;; amdgpu-corpus repo=pytorch/pytorch kind=compiled arch=gfx90a opt=O3
	.text
	.amdgcn_target "amdgcn-amd-amdhsa--gfx90a"
	.amdhsa_code_object_version 6
	.section	.text._ZN2at6native12_GLOBAL__N_114gatherKthValueIhiLi1EEEvNS_4cuda6detail10TensorInfoIKT_T0_EES8_S8_S8_S8_NS5_IS6_S8_EENS5_IlS8_EE,"axG",@progbits,_ZN2at6native12_GLOBAL__N_114gatherKthValueIhiLi1EEEvNS_4cuda6detail10TensorInfoIKT_T0_EES8_S8_S8_S8_NS5_IS6_S8_EENS5_IlS8_EE,comdat
	.globl	_ZN2at6native12_GLOBAL__N_114gatherKthValueIhiLi1EEEvNS_4cuda6detail10TensorInfoIKT_T0_EES8_S8_S8_S8_NS5_IS6_S8_EENS5_IlS8_EE ; -- Begin function _ZN2at6native12_GLOBAL__N_114gatherKthValueIhiLi1EEEvNS_4cuda6detail10TensorInfoIKT_T0_EES8_S8_S8_S8_NS5_IS6_S8_EENS5_IlS8_EE
	.p2align	8
	.type	_ZN2at6native12_GLOBAL__N_114gatherKthValueIhiLi1EEEvNS_4cuda6detail10TensorInfoIKT_T0_EES8_S8_S8_S8_NS5_IS6_S8_EENS5_IlS8_EE,@function
_ZN2at6native12_GLOBAL__N_114gatherKthValueIhiLi1EEEvNS_4cuda6detail10TensorInfoIKT_T0_EES8_S8_S8_S8_NS5_IS6_S8_EENS5_IlS8_EE: ; @_ZN2at6native12_GLOBAL__N_114gatherKthValueIhiLi1EEEvNS_4cuda6detail10TensorInfoIKT_T0_EES8_S8_S8_S8_NS5_IS6_S8_EENS5_IlS8_EE
; %bb.0:
	s_load_dwordx2 s[12:13], s[4:5], 0x298
	s_load_dwordx4 s[60:63], s[4:5], 0xd8
	s_add_u32 s10, s4, 0x298
	s_addc_u32 s11, s5, 0
	s_waitcnt lgkmcnt(0)
	s_mul_i32 s0, s13, s8
	s_add_i32 s0, s0, s7
	s_mul_i32 s0, s0, s12
	s_add_i32 s7, s0, s6
	s_cmp_ge_i32 s7, s62
	s_cbranch_scc1 .LBB0_239
; %bb.1:
	s_load_dwordx2 s[0:1], s[4:5], 0x1c0
                                        ; implicit-def: $vgpr42 : SGPR spill to VGPR lane
	s_mov_b32 s70, 0
	v_cmp_eq_u32_e64 s[14:15], 0, v0
	s_waitcnt lgkmcnt(0)
	v_writelane_b32 v42, s0, 0
	v_writelane_b32 v42, s1, 1
	s_load_dwordx2 s[0:1], s[4:5], 0xe8
	s_waitcnt lgkmcnt(0)
	v_writelane_b32 v42, s0, 2
	v_writelane_b32 v42, s1, 3
	s_load_dword s0, s[4:5], 0x6c
	s_load_dwordx2 s[2:3], s[4:5], 0x0
	s_mov_b64 s[8:9], exec
	v_writelane_b32 v42, s14, 4
	v_writelane_b32 v42, s15, 5
	s_and_b64 s[14:15], s[8:9], s[14:15]
	s_mov_b64 exec, s[14:15]
	s_cbranch_execz .LBB0_3
; %bb.2:
	v_mov_b32_e32 v2, 0
	v_mov_b32_e32 v3, s60
	;; [unrolled: 1-line block ×3, first 2 shown]
	ds_write_b96 v2, v[2:4] offset:4096
.LBB0_3:
	s_or_b64 exec, exec, s[8:9]
	s_load_dword s1, s[4:5], 0x22c
	s_waitcnt lgkmcnt(0)
	s_barrier
	s_mul_i32 s0, s0, s7
	v_writelane_b32 v42, s1, 6
	s_load_dword s1, s[4:5], 0x154
                                        ; kill: killed $sgpr4 killed $sgpr5
	s_ashr_i32 s4, s0, 31
	s_add_u32 s68, s2, s0
	v_mbcnt_lo_u32_b32 v1, -1, 0
	s_addc_u32 s69, s3, s4
	s_waitcnt lgkmcnt(0)
	v_writelane_b32 v42, s1, 7
	s_load_dword s1, s[10:11], 0xc
	v_mbcnt_hi_u32_b32 v12, -1, v1
	v_cmp_gt_u32_e32 vcc, 64, v0
	v_cmp_gt_i32_e64 s[2:3], 4, v12
	v_writelane_b32 v42, s7, 8
	s_waitcnt lgkmcnt(0)
	s_and_b32 s62, s1, 0xffff
	s_add_i32 s0, s62, -1
	s_lshl_b32 s33, s62, 2
	s_bfe_u32 s7, s1, 0xa0006
	s_and_b64 s[72:73], vcc, s[2:3]
	s_add_i32 s9, s0, s60
	s_cmpk_gt_i32 s60, 0xc00
	v_writelane_b32 v42, s0, 9
	s_cselect_b64 s[0:1], -1, 0
	v_writelane_b32 v42, s0, 10
	s_cmp_gt_u32 s62, 63
	v_writelane_b32 v42, s1, 11
	s_cselect_b64 s[0:1], -1, 0
	v_writelane_b32 v42, s0, 12
	s_cmp_lt_u32 s6, s12
	v_writelane_b32 v42, s1, 13
	s_cselect_b32 s0, 12, 18
	s_add_u32 s0, s10, s0
	s_addc_u32 s1, s11, 0
	v_writelane_b32 v42, s0, 14
	v_writelane_b32 v42, s1, 15
	s_add_i32 s0, s7, -2
	s_lshr_b32 s1, s0, 1
	s_add_i32 s1, s1, 1
	s_cmpk_gt_u32 s62, 0x7f
	s_cselect_b64 s[2:3], -1, 0
	v_writelane_b32 v42, s2, 16
	v_writelane_b32 v42, s3, 17
	v_cmp_gt_u32_e64 s[10:11], s60, v0
	v_lshlrev_b64 v[2:3], v12, -1
	v_writelane_b32 v42, s10, 18
	v_not_b32_e32 v8, v2
	v_cvt_f32_u32_e32 v2, s33
	v_writelane_b32 v42, s11, 19
	v_cmp_gt_i32_e64 s[10:11], s60, v0
	s_and_b32 s6, s7, 0x3fe
	s_and_b32 s8, s1, 7
	v_writelane_b32 v42, s10, 20
	s_cmp_gt_u32 s0, 13
	v_writelane_b32 v42, s11, 21
	s_cselect_b64 s[10:11], -1, 0
	v_writelane_b32 v42, s10, 22
	v_rcp_iflag_f32_e32 v2, v2
	v_writelane_b32 v42, s11, 23
	s_and_b32 s0, s1, -8
	v_writelane_b32 v42, s0, 24
	s_cmp_lg_u32 s8, 0
	v_writelane_b32 v42, s8, 25
	s_cselect_b64 s[0:1], -1, 0
	v_writelane_b32 v42, s0, 26
	v_mul_f32_e32 v2, 0x4f7ffffe, v2
	v_writelane_b32 v42, s1, 27
	v_cvt_u32_f32_e32 v2, v2
	v_writelane_b32 v42, s7, 28
	s_cmp_lg_u32 s6, s7
	v_writelane_b32 v42, s6, 29
	s_cselect_b64 s[0:1], -1, 0
	v_writelane_b32 v42, s0, 30
	v_writelane_b32 v42, s1, 31
	v_readfirstlane_b32 s1, v2
	v_cvt_f32_u32_e32 v2, s62
	s_sub_i32 s0, 0, s33
	s_mul_i32 s0, s0, s1
	s_mul_hi_u32 s0, s1, s0
	s_add_i32 s6, s1, s0
	v_rcp_iflag_f32_e32 v2, v2
	s_mul_hi_u32 s0, s60, s6
	s_mul_i32 s0, s0, s33
	s_sub_i32 s0, s60, s0
	s_sub_i32 s1, s0, s33
	v_mul_f32_e32 v2, 0x4f7ffffe, v2
	s_cmp_ge_u32 s0, s33
	v_cvt_u32_f32_e32 v2, v2
	s_cselect_b32 s0, s1, s0
	s_sub_i32 s1, s0, s33
	s_cmp_ge_u32 s0, s33
	s_cselect_b32 s0, s1, s0
	s_sub_i32 s16, 0, s62
	v_readfirstlane_b32 s17, v2
	s_mul_i32 s16, s16, s17
	s_mul_hi_u32 s16, s17, s16
	s_abs_i32 s8, s9
	s_add_i32 s16, s17, s16
	s_mov_b32 s77, s16
	s_mul_hi_u32 s16, s8, s16
	s_mul_i32 s16, s16, s62
	s_sub_i32 s8, s8, s16
	s_sub_i32 s7, s60, s0
	s_ashr_i32 s1, s9, 31
	s_sub_i32 s16, s8, s62
	s_cmp_ge_u32 s8, s62
	s_cselect_b32 s8, s16, s8
	s_sub_i32 s16, s8, s62
	s_cmp_ge_u32 s8, s62
	v_lshlrev_b32_e32 v13, 2, v0
	s_cselect_b32 s8, s16, s8
	v_mul_lo_u32 v9, v0, s63
	s_xor_b32 s8, s8, s1
	v_mul_lo_u32 v2, s63, v13
	v_mov_b32_e32 v1, s69
	v_add_co_u32_e32 v6, vcc, s68, v9
	s_sub_i32 s1, s1, s8
	v_add_u32_e32 v17, s63, v2
	v_or_b32_e32 v2, 2, v13
	v_addc_co_u32_e32 v7, vcc, 0, v1, vcc
	v_lshrrev_b32_e32 v1, 4, v0
	v_add_u32_e32 v16, s7, v0
	s_add_i32 s9, s9, s1
	v_mul_lo_u32 v18, s63, v2
	v_or_b32_e32 v2, 3, v13
	s_add_i32 s1, s62, s60
	v_and_b32_e32 v14, 60, v1
	v_not_b32_e32 v1, v3
	v_mul_lo_u32 v3, v16, s63
	v_cmp_gt_i32_e64 s[16:17], s9, v0
	v_mul_lo_u32 v19, s63, v2
	v_add_u32_e32 v2, s1, v0
	v_lshlrev_b32_e32 v4, 2, v12
	v_ashrrev_i32_e32 v5, 31, v3
	v_mov_b32_e32 v11, s69
	v_add_co_u32_e32 v10, vcc, s68, v3
	v_writelane_b32 v42, s16, 32
	s_mul_i32 s80, s63, s62
	v_subrev_u32_e32 v2, s0, v2
	v_cmp_eq_u32_e64 s[2:3], 0, v12
	v_cmp_gt_u32_e64 s[4:5], 2, v0
	v_and_b32_e32 v15, 0x100, v4
	v_cmp_gt_i32_e64 s[10:11], s7, v13
	v_cmp_gt_u32_e64 s[12:13], s60, v16
	v_addc_co_u32_e32 v11, vcc, v11, v5, vcc
	v_cmp_gt_i32_e64 s[14:15], s60, v16
	v_writelane_b32 v42, s17, 33
	s_lshl_b32 s78, s80, 2
	v_lshlrev_b32_e32 v20, 2, v9
	v_mul_lo_u32 v21, s63, v2
	v_or_b32_e32 v22, 0xc00, v4
	s_mov_b32 s79, 6
	s_mov_b64 s[88:89], 0
	v_mov_b32_e32 v23, 0
	v_mov_b32_e32 v24, 0xc00
	;; [unrolled: 1-line block ×3, first 2 shown]
	s_mov_b32 s16, 0
	s_mov_b32 s81, 0
	;; [unrolled: 1-line block ×3, first 2 shown]
                                        ; implicit-def: $sgpr90_sgpr91
                                        ; implicit-def: $sgpr94_sgpr95
                                        ; implicit-def: $sgpr92_sgpr93
                                        ; implicit-def: $sgpr64_sgpr65
                                        ; implicit-def: $sgpr66_sgpr67
                                        ; implicit-def: $sgpr82_sgpr83
	s_branch .LBB0_8
.LBB0_4:                                ;   in Loop: Header=BB0_8 Depth=1
	s_xor_b32 s16, s16, 1
	s_add_i32 s0, s79, -2
	s_cmp_eq_u32 s79, 0
	s_mov_b64 s[22:23], 0
	s_cselect_b64 s[30:31], -1, 0
	s_mov_b32 s79, s0
.LBB0_5:                                ;   in Loop: Header=BB0_8 Depth=1
	s_andn2_b64 s[0:1], s[26:27], exec
	s_and_b64 s[22:23], s[22:23], exec
	s_or_b64 s[26:27], s[0:1], s[22:23]
	s_andn2_b64 s[28:29], s[28:29], exec
	s_andn2_b64 s[24:25], s[24:25], exec
	s_orn2_b64 s[22:23], s[30:31], exec
	s_mov_b32 s61, s39
.LBB0_6:                                ;   in Loop: Header=BB0_8 Depth=1
	s_or_b64 exec, exec, s[18:19]
	s_andn2_b64 s[0:1], s[82:83], exec
	s_and_b64 s[18:19], s[26:27], exec
	s_or_b64 s[82:83], s[0:1], s[18:19]
	s_andn2_b64 s[0:1], s[66:67], exec
	s_and_b64 s[18:19], s[28:29], exec
	s_or_b64 s[66:67], s[0:1], s[18:19]
	;; [unrolled: 3-line block ×3, first 2 shown]
	s_orn2_b64 s[22:23], s[22:23], exec
.LBB0_7:                                ;   in Loop: Header=BB0_8 Depth=1
	s_or_b64 exec, exec, s[20:21]
	s_and_b64 s[0:1], exec, s[22:23]
	s_or_b64 s[88:89], s[0:1], s[88:89]
	s_andn2_b64 s[0:1], s[92:93], exec
	s_and_b64 s[18:19], s[82:83], exec
	s_or_b64 s[92:93], s[0:1], s[18:19]
	s_andn2_b64 s[0:1], s[94:95], exec
	s_and_b64 s[18:19], s[66:67], exec
	;; [unrolled: 3-line block ×3, first 2 shown]
	v_mov_b32_e32 v2, s81
	s_or_b64 s[90:91], s[0:1], s[18:19]
	s_andn2_b64 exec, exec, s[88:89]
	s_cbranch_execz .LBB0_235
.LBB0_8:                                ; =>This Loop Header: Depth=1
                                        ;     Child Loop BB0_13 Depth 2
                                        ;     Child Loop BB0_32 Depth 2
	;; [unrolled: 1-line block ×17, first 2 shown]
	ds_read_b64 v[2:3], v23 offset:4096
	s_waitcnt lgkmcnt(0)
	v_readfirstlane_b32 s71, v2
	s_cmp_gt_i32 s71, 0
	s_cbranch_scc1 .LBB0_39
; %bb.9:                                ;   in Loop: Header=BB0_8 Depth=1
	v_readlane_b32 s0, v42, 10
	v_readlane_b32 s1, v42, 11
	s_and_b64 vcc, exec, s[0:1]
	s_cbranch_vccz .LBB0_21
; %bb.10:                               ;   in Loop: Header=BB0_8 Depth=1
	s_movk_i32 s0, 0xc01
	v_cmp_gt_i32_e32 vcc, s0, v3
	s_mov_b64 s[18:19], 0
	s_mov_b64 s[20:21], 0
	s_cbranch_vccz .LBB0_26
; %bb.11:                               ;   in Loop: Header=BB0_8 Depth=1
	v_readlane_b32 s0, v42, 14
	v_readlane_b32 s1, v42, 15
	s_nop 4
	global_load_ushort v2, v23, s[0:1]
	global_load_ubyte v5, v[6:7], off
	v_mov_b32_e32 v26, v0
	s_waitcnt vmcnt(1)
	v_add_u32_e32 v4, v0, v2
	v_mul_lo_u32 v3, s63, v2
	v_mul_lo_u32 v4, s63, v4
	s_branch .LBB0_13
.LBB0_12:                               ;   in Loop: Header=BB0_13 Depth=2
	s_or_b64 exec, exec, s[24:25]
	v_cmp_le_i32_e32 vcc, s60, v26
	v_add_u32_e32 v4, v4, v3
	s_or_b64 s[20:21], vcc, s[20:21]
	v_mov_b32_e32 v5, v27
	s_andn2_b64 exec, exec, s[20:21]
	s_cbranch_execz .LBB0_22
.LBB0_13:                               ;   Parent Loop BB0_8 Depth=1
                                        ; =>  This Inner Loop Header: Depth=2
	v_add_u32_e32 v26, v26, v2
	v_cmp_gt_u32_e32 vcc, s60, v26
	s_waitcnt lgkmcnt(0)
	v_mov_b32_e32 v28, 0
	v_mov_b32_e32 v27, 0
	s_and_saveexec_b64 s[22:23], vcc
	s_cbranch_execz .LBB0_15
; %bb.14:                               ;   in Loop: Header=BB0_13 Depth=2
	global_load_ubyte v27, v4, s[68:69]
.LBB0_15:                               ;   in Loop: Header=BB0_13 Depth=2
	s_or_b64 exec, exec, s[22:23]
	s_waitcnt vmcnt(0)
	v_and_b32_e32 v29, s17, v5
	v_cmp_eq_u32_sdwa s[22:23], v29, s81 src0_sel:BYTE_0 src1_sel:DWORD
	s_cmp_lg_u64 s[22:23], 0
	s_cselect_b64 s[0:1], -1, 0
	s_and_b64 s[0:1], s[2:3], s[0:1]
	s_and_saveexec_b64 s[24:25], s[0:1]
	s_cbranch_execz .LBB0_19
; %bb.16:                               ;   in Loop: Header=BB0_13 Depth=2
	s_mov_b64 s[28:29], exec
	v_mbcnt_lo_u32_b32 v28, s28, 0
	v_mbcnt_hi_u32_b32 v28, s29, v28
	s_bcnt1_i32_b64 s0, s[22:23]
	v_cmp_eq_u32_e32 vcc, 0, v28
                                        ; implicit-def: $vgpr29
	s_and_saveexec_b64 s[26:27], vcc
	s_cbranch_execz .LBB0_18
; %bb.17:                               ;   in Loop: Header=BB0_13 Depth=2
	s_bcnt1_i32_b64 s1, s[28:29]
	s_mul_i32 s1, s0, s1
	v_mov_b32_e32 v29, s1
	ds_add_rtn_u32 v29, v23, v29 offset:4104
.LBB0_18:                               ;   in Loop: Header=BB0_13 Depth=2
	s_or_b64 exec, exec, s[26:27]
	s_waitcnt lgkmcnt(0)
	v_readfirstlane_b32 s1, v29
	v_mov_b32_e32 v29, s1
	v_mad_u32_u24 v28, s0, v28, v29
.LBB0_19:                               ;   in Loop: Header=BB0_13 Depth=2
	s_or_b64 exec, exec, s[24:25]
	ds_bpermute_b32 v28, v15, v28
	s_and_saveexec_b64 s[24:25], s[22:23]
	s_cbranch_execz .LBB0_12
; %bb.20:                               ;   in Loop: Header=BB0_13 Depth=2
	v_and_b32_e32 v30, s22, v8
	v_and_b32_e32 v29, s23, v1
	v_bcnt_u32_b32 v30, v30, 0
	v_bcnt_u32_b32 v29, v29, v30
	s_waitcnt lgkmcnt(0)
	v_add_u32_e32 v28, v28, v29
	ds_write_b8 v28, v5
	s_branch .LBB0_12
.LBB0_21:                               ;   in Loop: Header=BB0_8 Depth=1
	s_mov_b64 s[18:19], -1
	s_mov_b64 s[20:21], 0
	s_branch .LBB0_25
.LBB0_22:                               ;   in Loop: Header=BB0_8 Depth=1
	s_or_b64 exec, exec, s[20:21]
	s_waitcnt lgkmcnt(0)
	s_barrier
	s_mov_b64 s[20:21], exec
	v_readlane_b32 s0, v42, 4
	v_readlane_b32 s1, v42, 5
	s_and_b64 s[0:1], s[20:21], s[0:1]
	s_mov_b64 exec, s[0:1]
	s_cbranch_execz .LBB0_24
; %bb.23:                               ;   in Loop: Header=BB0_8 Depth=1
	ds_read_b32 v2, v23 offset:4104
	s_waitcnt lgkmcnt(0)
	ds_write_b32 v23, v2 offset:4096
.LBB0_24:                               ;   in Loop: Header=BB0_8 Depth=1
	s_or_b64 exec, exec, s[20:21]
	s_waitcnt lgkmcnt(0)
	s_barrier
	s_mov_b64 s[20:21], -1
.LBB0_25:                               ;   in Loop: Header=BB0_8 Depth=1
                                        ; implicit-def: $sgpr71
.LBB0_26:                               ;   in Loop: Header=BB0_8 Depth=1
	s_and_b64 vcc, exec, s[18:19]
	s_cbranch_vccz .LBB0_37
; %bb.27:                               ;   in Loop: Header=BB0_8 Depth=1
	v_mov_b32_e32 v2, 0
	s_mov_b64 s[18:19], exec
	v_readlane_b32 s0, v42, 18
	v_readlane_b32 s1, v42, 19
	s_and_b64 s[0:1], s[18:19], s[0:1]
	s_mov_b64 exec, s[0:1]
	s_cbranch_execz .LBB0_29
; %bb.28:                               ;   in Loop: Header=BB0_8 Depth=1
	global_load_ubyte v2, v[6:7], off
.LBB0_29:                               ;   in Loop: Header=BB0_8 Depth=1
	s_or_b64 exec, exec, s[18:19]
	s_mov_b64 s[18:19], exec
	v_readlane_b32 s0, v42, 20
	v_readlane_b32 s1, v42, 21
	s_and_b64 s[0:1], s[18:19], s[0:1]
	s_mov_b64 exec, s[0:1]
	s_cbranch_execz .LBB0_34
; %bb.30:                               ;   in Loop: Header=BB0_8 Depth=1
	v_readlane_b32 s0, v42, 14
	v_readlane_b32 s1, v42, 15
	s_mov_b64 s[20:21], 0
	v_mov_b32_e32 v26, v0
	s_nop 2
	global_load_ushort v3, v23, s[0:1]
	s_waitcnt vmcnt(0)
	v_add_u32_e32 v5, v0, v3
	v_mul_lo_u32 v4, s63, v3
	v_mul_lo_u32 v5, s63, v5
	s_branch .LBB0_32
.LBB0_31:                               ;   in Loop: Header=BB0_32 Depth=2
	s_or_b64 exec, exec, s[22:23]
	v_cmp_le_i32_e32 vcc, s60, v27
	ds_write_b8 v26, v2
	v_add_u32_e32 v5, v5, v4
	s_or_b64 s[20:21], vcc, s[20:21]
	s_waitcnt vmcnt(0)
	v_mov_b32_e32 v2, v28
	v_mov_b32_e32 v26, v27
	s_andn2_b64 exec, exec, s[20:21]
	s_cbranch_execz .LBB0_34
.LBB0_32:                               ;   Parent Loop BB0_8 Depth=1
                                        ; =>  This Inner Loop Header: Depth=2
	v_add_u32_e32 v27, v26, v3
	v_cmp_gt_u32_e32 vcc, s60, v27
	v_mov_b32_e32 v28, 0
	s_and_saveexec_b64 s[22:23], vcc
	s_cbranch_execz .LBB0_31
; %bb.33:                               ;   in Loop: Header=BB0_32 Depth=2
	global_load_ubyte v28, v5, s[68:69]
	s_branch .LBB0_31
.LBB0_34:                               ;   in Loop: Header=BB0_8 Depth=1
	s_or_b64 exec, exec, s[18:19]
	s_waitcnt lgkmcnt(0)
	s_barrier
	s_mov_b64 s[18:19], exec
	v_readlane_b32 s0, v42, 4
	v_readlane_b32 s1, v42, 5
	s_and_b64 s[0:1], s[18:19], s[0:1]
	s_mov_b64 exec, s[0:1]
	s_cbranch_execz .LBB0_36
; %bb.35:                               ;   in Loop: Header=BB0_8 Depth=1
	s_waitcnt vmcnt(0)
	v_mov_b32_e32 v2, s60
	ds_write_b32 v23, v2 offset:4096
.LBB0_36:                               ;   in Loop: Header=BB0_8 Depth=1
	s_or_b64 exec, exec, s[18:19]
	s_mov_b64 s[20:21], -1
	s_waitcnt lgkmcnt(0)
	s_barrier
                                        ; implicit-def: $sgpr71
.LBB0_37:                               ;   in Loop: Header=BB0_8 Depth=1
	s_and_b64 vcc, exec, s[20:21]
	s_cbranch_vccz .LBB0_39
; %bb.38:                               ;   in Loop: Header=BB0_8 Depth=1
	s_waitcnt vmcnt(0)
	ds_read_b32 v2, v23 offset:4096
	s_waitcnt lgkmcnt(0)
	v_readfirstlane_b32 s71, v2
.LBB0_39:                               ;   in Loop: Header=BB0_8 Depth=1
	s_cmp_lt_i32 s71, 1
	s_cbranch_scc0 .LBB0_43
; %bb.40:                               ;   in Loop: Header=BB0_8 Depth=1
	s_waitcnt vmcnt(0)
	v_mov_b32_e32 v2, 0
	s_mov_b32 s8, 0
	v_mov_b32_e32 v3, 0
	v_mov_b32_e32 v4, v2
	;; [unrolled: 1-line block ×3, first 2 shown]
	s_and_saveexec_b64 s[84:85], s[10:11]
	s_cbranch_execnz .LBB0_44
; %bb.41:                               ;   in Loop: Header=BB0_8 Depth=1
	s_or_b64 exec, exec, s[84:85]
	v_mov_b32_e32 v28, 0
	s_and_saveexec_b64 s[18:19], s[12:13]
	s_cbranch_execnz .LBB0_47
.LBB0_42:                               ;   in Loop: Header=BB0_8 Depth=1
	s_or_b64 exec, exec, s[18:19]
	s_and_saveexec_b64 s[20:21], s[14:15]
	s_cbranch_execnz .LBB0_48
	s_branch .LBB0_53
.LBB0_43:                               ;   in Loop: Header=BB0_8 Depth=1
                                        ; implicit-def: $vgpr5
	s_cbranch_execnz .LBB0_54
	s_branch .LBB0_63
.LBB0_44:                               ;   in Loop: Header=BB0_8 Depth=1
	s_and_b32 s0, s79, 0xfe
	s_mov_b64 s[86:87], 0
	s_mov_b32 s1, 0
	s_mov_b32 s74, 0
	;; [unrolled: 1-line block ×4, first 2 shown]
	v_mov_b32_e32 v26, v13
.LBB0_45:                               ;   Parent Loop BB0_8 Depth=1
                                        ; =>  This Inner Loop Header: Depth=2
	v_add_u32_e32 v3, s8, v20
	v_add_u32_e32 v2, s8, v17
	v_mov_b32_e32 v27, s69
	v_add_u32_e32 v4, s8, v18
	v_add_u32_e32 v5, s8, v19
	v_ashrrev_i32_e32 v29, 31, v3
	v_ashrrev_i32_e32 v32, 31, v2
	v_add_co_u32_e64 v2, s[18:19], s68, v2
	v_add_co_u32_e64 v30, s[24:25], s68, v3
	v_ashrrev_i32_e32 v33, 31, v4
	v_add_co_u32_e64 v4, s[20:21], s68, v4
	v_ashrrev_i32_e32 v34, 31, v5
	v_add_co_u32_e64 v28, s[22:23], s68, v5
	v_addc_co_u32_e64 v31, s[24:25], v27, v29, s[24:25]
	v_addc_co_u32_e64 v3, s[18:19], v27, v32, s[18:19]
	;; [unrolled: 1-line block ×4, first 2 shown]
	global_load_ubyte v27, v[30:31], off
	s_nop 0
	global_load_ubyte v2, v[2:3], off
	s_nop 0
	global_load_ubyte v3, v[4:5], off
	s_nop 0
	global_load_ubyte v4, v[28:29], off
	v_add_u32_e32 v26, s33, v26
	s_add_i32 s8, s8, s78
	v_cmp_le_i32_e32 vcc, s7, v26
	s_waitcnt vmcnt(3)
	v_and_b32_e32 v5, s17, v27
	v_bfe_u32 v27, v27, s0, 2
	s_waitcnt vmcnt(2)
	v_and_b32_e32 v28, s17, v2
	v_bfe_u32 v2, v2, s0, 2
	v_cmp_eq_u32_e64 s[18:19], s81, v5
	v_cmp_eq_u32_e64 s[26:27], 0, v27
	s_waitcnt vmcnt(1)
	v_and_b32_e32 v29, s17, v3
	v_bfe_u32 v3, v3, s0, 2
	v_cmp_eq_u32_e64 s[20:21], s81, v28
	v_cmp_eq_u32_e64 s[28:29], 0, v2
	s_and_b64 s[26:27], s[18:19], s[26:27]
	s_waitcnt vmcnt(0)
	v_and_b32_e32 v30, s17, v4
	v_bfe_u32 v4, v4, s0, 2
	v_cmp_eq_u32_e64 s[22:23], s81, v29
	v_cmp_eq_u32_e64 s[30:31], 0, v3
	;; [unrolled: 1-line block ×5, first 2 shown]
	v_cndmask_b32_e64 v2, 0, 1, s[26:27]
	s_and_b64 s[26:27], s[20:21], s[28:29]
	v_cmp_eq_u32_e64 s[24:25], s81, v30
	v_cmp_eq_u32_e64 s[34:35], 0, v4
	;; [unrolled: 1-line block ×5, first 2 shown]
	v_cndmask_b32_e64 v3, 0, 1, s[26:27]
	s_and_b64 s[26:27], s[22:23], s[30:31]
	v_cmp_eq_u32_e64 s[36:37], 1, v27
	v_cmp_eq_u32_e64 s[42:43], 1, v4
	;; [unrolled: 1-line block ×4, first 2 shown]
	v_cndmask_b32_e64 v4, 0, 1, s[26:27]
	s_and_b64 s[26:27], s[24:25], s[34:35]
	v_cndmask_b32_e64 v5, 0, 1, s[26:27]
	s_and_b64 s[26:27], s[18:19], s[36:37]
	v_cmp_eq_u32_e64 s[44:45], 2, v27
	v_cmp_eq_u32_e64 s[52:53], 3, v27
	v_cndmask_b32_e64 v27, 0, 1, s[26:27]
	s_and_b64 s[26:27], s[20:21], s[38:39]
	v_cndmask_b32_e64 v28, 0, 1, s[26:27]
	s_and_b64 s[26:27], s[22:23], s[40:41]
	;; [unrolled: 2-line block ×4, first 2 shown]
	s_and_b64 s[18:19], s[18:19], s[52:53]
	v_cndmask_b32_e64 v31, 0, 1, s[26:27]
	s_and_b64 s[26:27], s[20:21], s[46:47]
	v_cndmask_b32_e64 v35, 0, 1, s[18:19]
	;; [unrolled: 2-line block ×7, first 2 shown]
	v_cndmask_b32_e64 v38, 0, 1, s[18:19]
	v_cmp_ne_u32_e64 s[18:19], 0, v2
	v_cmp_ne_u32_e64 s[20:21], 0, v3
	;; [unrolled: 1-line block ×11, first 2 shown]
	s_bcnt1_i32_b64 s18, s[18:19]
	s_bcnt1_i32_b64 s19, s[20:21]
	;; [unrolled: 1-line block ×8, first 2 shown]
	v_cmp_ne_u32_e64 s[34:35], 0, v30
	v_cmp_ne_u32_e64 s[40:41], 0, v33
	;; [unrolled: 1-line block ×3, first 2 shown]
	s_bcnt1_i32_b64 s23, s[28:29]
	s_bcnt1_i32_b64 s27, s[38:39]
	;; [unrolled: 1-line block ×3, first 2 shown]
	s_add_i32 s18, s76, s18
	s_add_i32 s22, s75, s22
	;; [unrolled: 1-line block ×4, first 2 shown]
	v_cmp_ne_u32_e64 s[42:43], 0, v34
	v_cmp_ne_u32_e64 s[50:51], 0, v38
	s_bcnt1_i32_b64 s25, s[34:35]
	s_bcnt1_i32_b64 s28, s[40:41]
	;; [unrolled: 1-line block ×3, first 2 shown]
	s_add_i32 s18, s18, s19
	s_add_i32 s19, s22, s23
	;; [unrolled: 1-line block ×4, first 2 shown]
	s_bcnt1_i32_b64 s29, s[42:43]
	s_bcnt1_i32_b64 s35, s[50:51]
	s_add_i32 s18, s18, s20
	s_add_i32 s19, s19, s24
	;; [unrolled: 1-line block ×8, first 2 shown]
	s_or_b64 s[86:87], vcc, s[86:87]
	v_mov_b32_e32 v2, s76
	v_mov_b32_e32 v3, s75
	;; [unrolled: 1-line block ×4, first 2 shown]
	s_andn2_b64 exec, exec, s[86:87]
	s_cbranch_execnz .LBB0_45
; %bb.46:                               ;   in Loop: Header=BB0_8 Depth=1
	s_or_b64 exec, exec, s[86:87]
	s_or_b64 exec, exec, s[84:85]
	v_mov_b32_e32 v28, 0
	s_and_saveexec_b64 s[18:19], s[12:13]
	s_cbranch_execz .LBB0_42
.LBB0_47:                               ;   in Loop: Header=BB0_8 Depth=1
	global_load_ubyte v28, v[10:11], off
	s_or_b64 exec, exec, s[18:19]
	s_and_saveexec_b64 s[20:21], s[14:15]
	s_cbranch_execz .LBB0_53
.LBB0_48:                               ;   in Loop: Header=BB0_8 Depth=1
	s_and_b32 s0, s79, 0xfe
	s_mov_b64 s[22:23], 0
	v_mov_b32_e32 v26, v21
	v_mov_b32_e32 v27, v16
	s_branch .LBB0_50
.LBB0_49:                               ;   in Loop: Header=BB0_50 Depth=2
	s_or_b64 exec, exec, s[18:19]
	s_waitcnt vmcnt(0)
	v_and_b32_e32 v28, 0xff, v28
	v_and_b32_e32 v30, s17, v28
	v_bfe_u32 v28, v28, s0, 2
	v_cmp_eq_u32_e32 vcc, s81, v30
	v_cmp_eq_u32_e64 s[18:19], 0, v28
	s_and_b64 s[18:19], vcc, s[18:19]
	v_cndmask_b32_e64 v30, 0, 1, s[18:19]
	v_cmp_ne_u32_e64 s[18:19], 0, v30
	s_bcnt1_i32_b64 s1, s[18:19]
	v_cmp_eq_u32_e64 s[18:19], 1, v28
	s_and_b64 s[18:19], vcc, s[18:19]
	v_cndmask_b32_e64 v30, 0, 1, s[18:19]
	v_cmp_ne_u32_e64 s[18:19], 0, v30
	v_add_u32_e32 v2, s1, v2
	s_bcnt1_i32_b64 s1, s[18:19]
	v_cmp_eq_u32_e64 s[18:19], 2, v28
	s_and_b64 s[18:19], vcc, s[18:19]
	v_cndmask_b32_e64 v30, 0, 1, s[18:19]
	v_cmp_ne_u32_e64 s[18:19], 0, v30
	v_add_u32_e32 v3, s1, v3
	s_bcnt1_i32_b64 s1, s[18:19]
	v_cmp_eq_u32_e64 s[18:19], 3, v28
	s_and_b64 s[18:19], vcc, s[18:19]
	v_cndmask_b32_e64 v28, 0, 1, s[18:19]
	v_cmp_ne_u32_e32 vcc, 0, v28
	v_add_u32_e32 v4, s1, v4
	s_bcnt1_i32_b64 s1, vcc
	v_cmp_le_i32_e32 vcc, s60, v27
	v_add_u32_e32 v5, s1, v5
	v_add_u32_e32 v26, s80, v26
	s_or_b64 s[22:23], vcc, s[22:23]
	v_mov_b32_e32 v28, v29
	s_andn2_b64 exec, exec, s[22:23]
	s_cbranch_execz .LBB0_52
.LBB0_50:                               ;   Parent Loop BB0_8 Depth=1
                                        ; =>  This Inner Loop Header: Depth=2
	v_add_u32_e32 v27, s62, v27
	v_cmp_gt_u32_e32 vcc, s60, v27
	v_mov_b32_e32 v29, 0
	s_and_saveexec_b64 s[18:19], vcc
	s_cbranch_execz .LBB0_49
; %bb.51:                               ;   in Loop: Header=BB0_50 Depth=2
	v_ashrrev_i32_e32 v29, 31, v26
	v_mov_b32_e32 v31, s69
	v_add_co_u32_e32 v30, vcc, s68, v26
	v_addc_co_u32_e32 v31, vcc, v31, v29, vcc
	global_load_ubyte v29, v[30:31], off
	s_branch .LBB0_49
.LBB0_52:                               ;   in Loop: Header=BB0_8 Depth=1
	s_or_b64 exec, exec, s[22:23]
.LBB0_53:                               ;   in Loop: Header=BB0_8 Depth=1
	s_or_b64 exec, exec, s[20:21]
	s_branch .LBB0_63
.LBB0_54:                               ;   in Loop: Header=BB0_8 Depth=1
	s_mul_hi_u32 s0, s71, s6
	s_mul_i32 s0, s0, s33
	s_sub_i32 s0, s71, s0
	s_sub_i32 s1, s0, s33
	s_cmp_ge_u32 s0, s33
	s_cselect_b32 s0, s1, s0
	s_sub_i32 s1, s0, s33
	s_cmp_ge_u32 s0, s33
	s_cselect_b32 s0, s1, s0
	s_sub_i32 s0, s71, s0
	v_cmp_gt_u32_e32 vcc, s0, v13
	s_mov_b32 s8, 0
	s_waitcnt vmcnt(0)
	v_mov_b32_e32 v2, 0
	v_mov_b32_e32 v3, 0
	;; [unrolled: 1-line block ×4, first 2 shown]
	s_and_saveexec_b64 s[84:85], vcc
	s_cbranch_execz .LBB0_58
; %bb.55:                               ;   in Loop: Header=BB0_8 Depth=1
	s_and_b32 s1, s79, 0xfe
	s_mov_b64 s[86:87], 0
	s_mov_b32 s74, 0
	s_mov_b32 s75, 0
	;; [unrolled: 1-line block ×3, first 2 shown]
	v_mov_b32_e32 v26, v13
.LBB0_56:                               ;   Parent Loop BB0_8 Depth=1
                                        ; =>  This Inner Loop Header: Depth=2
	ds_read_b32 v2, v26
	v_add_u32_e32 v26, s33, v26
	v_cmp_le_i32_e32 vcc, s0, v26
	s_waitcnt lgkmcnt(0)
	v_and_b32_e32 v4, 0xff, v2
	v_bfe_u32 v5, v2, 8, 8
	v_and_b32_e32 v27, s17, v4
	v_bfe_u32 v4, v4, s1, 2
	v_lshrrev_b32_e32 v3, 24, v2
	v_bfe_u32 v2, v2, 16, 8
	v_and_b32_e32 v28, s17, v5
	v_bfe_u32 v5, v5, s1, 2
	v_cmp_eq_u32_e64 s[18:19], s81, v27
	v_cmp_eq_u32_e64 s[26:27], 0, v4
	v_and_b32_e32 v29, s17, v2
	v_bfe_u32 v2, v2, s1, 2
	v_cmp_eq_u32_e64 s[20:21], s81, v28
	v_cmp_eq_u32_e64 s[28:29], 0, v5
	s_and_b64 s[26:27], s[18:19], s[26:27]
	v_and_b32_e32 v30, s17, v3
	v_bfe_u32 v3, v3, s1, 2
	v_cmp_eq_u32_e64 s[22:23], s81, v29
	v_cmp_eq_u32_e64 s[30:31], 0, v2
	;; [unrolled: 1-line block ×5, first 2 shown]
	v_cndmask_b32_e64 v2, 0, 1, s[26:27]
	s_and_b64 s[26:27], s[20:21], s[28:29]
	v_cmp_eq_u32_e64 s[24:25], s81, v30
	v_cmp_eq_u32_e64 s[34:35], 0, v3
	;; [unrolled: 1-line block ×5, first 2 shown]
	v_cndmask_b32_e64 v3, 0, 1, s[26:27]
	s_and_b64 s[26:27], s[22:23], s[30:31]
	v_cmp_eq_u32_e64 s[36:37], 1, v4
	v_cmp_eq_u32_e64 s[44:45], 2, v4
	;; [unrolled: 1-line block ×3, first 2 shown]
	v_cndmask_b32_e64 v4, 0, 1, s[26:27]
	s_and_b64 s[26:27], s[24:25], s[34:35]
	v_cmp_eq_u32_e64 s[38:39], 1, v5
	v_cmp_eq_u32_e64 s[46:47], 2, v5
	;; [unrolled: 1-line block ×3, first 2 shown]
	v_cndmask_b32_e64 v5, 0, 1, s[26:27]
	s_and_b64 s[26:27], s[18:19], s[36:37]
	v_cndmask_b32_e64 v27, 0, 1, s[26:27]
	s_and_b64 s[26:27], s[20:21], s[38:39]
	;; [unrolled: 2-line block ×5, first 2 shown]
	s_and_b64 s[18:19], s[18:19], s[52:53]
	v_cndmask_b32_e64 v31, 0, 1, s[26:27]
	s_and_b64 s[26:27], s[20:21], s[46:47]
	v_cndmask_b32_e64 v35, 0, 1, s[18:19]
	;; [unrolled: 2-line block ×7, first 2 shown]
	v_cndmask_b32_e64 v38, 0, 1, s[18:19]
	v_cmp_ne_u32_e64 s[18:19], 0, v2
	v_cmp_ne_u32_e64 s[20:21], 0, v3
	;; [unrolled: 1-line block ×11, first 2 shown]
	s_bcnt1_i32_b64 s18, s[18:19]
	s_bcnt1_i32_b64 s19, s[20:21]
	s_bcnt1_i32_b64 s20, s[22:23]
	s_bcnt1_i32_b64 s21, s[24:25]
	s_bcnt1_i32_b64 s22, s[26:27]
	s_bcnt1_i32_b64 s24, s[30:31]
	s_bcnt1_i32_b64 s26, s[36:37]
	s_bcnt1_i32_b64 s30, s[44:45]
	v_cmp_ne_u32_e64 s[34:35], 0, v30
	v_cmp_ne_u32_e64 s[40:41], 0, v33
	;; [unrolled: 1-line block ×3, first 2 shown]
	s_bcnt1_i32_b64 s23, s[28:29]
	s_bcnt1_i32_b64 s27, s[38:39]
	;; [unrolled: 1-line block ×3, first 2 shown]
	s_add_i32 s18, s76, s18
	s_add_i32 s22, s75, s22
	;; [unrolled: 1-line block ×4, first 2 shown]
	v_cmp_ne_u32_e64 s[42:43], 0, v34
	v_cmp_ne_u32_e64 s[50:51], 0, v38
	s_bcnt1_i32_b64 s25, s[34:35]
	s_bcnt1_i32_b64 s28, s[40:41]
	;; [unrolled: 1-line block ×3, first 2 shown]
	s_add_i32 s18, s18, s19
	s_add_i32 s19, s22, s23
	;; [unrolled: 1-line block ×4, first 2 shown]
	s_bcnt1_i32_b64 s29, s[42:43]
	s_bcnt1_i32_b64 s35, s[50:51]
	s_add_i32 s18, s18, s20
	s_add_i32 s19, s19, s24
	;; [unrolled: 1-line block ×8, first 2 shown]
	s_or_b64 s[86:87], vcc, s[86:87]
	v_mov_b32_e32 v2, s76
	v_mov_b32_e32 v3, s75
	;; [unrolled: 1-line block ×4, first 2 shown]
	s_andn2_b64 exec, exec, s[86:87]
	s_cbranch_execnz .LBB0_56
; %bb.57:                               ;   in Loop: Header=BB0_8 Depth=1
	s_or_b64 exec, exec, s[86:87]
.LBB0_58:                               ;   in Loop: Header=BB0_8 Depth=1
	s_or_b64 exec, exec, s[84:85]
	v_add_u32_e32 v26, s0, v0
	v_cmp_gt_i32_e32 vcc, s71, v26
	s_and_saveexec_b64 s[28:29], vcc
	s_cbranch_execz .LBB0_62
; %bb.59:                               ;   in Loop: Header=BB0_8 Depth=1
	s_and_b32 s0, s79, 0xfe
	s_mov_b64 s[30:31], 0
.LBB0_60:                               ;   Parent Loop BB0_8 Depth=1
                                        ; =>  This Inner Loop Header: Depth=2
	ds_read_u8 v27, v26
	v_add_u32_e32 v26, s62, v26
	v_cmp_le_i32_e32 vcc, s71, v26
	s_waitcnt lgkmcnt(0)
	v_and_b32_e32 v28, s17, v27
	v_bfe_u32 v27, v27, s0, 2
	v_cmp_eq_u32_e64 s[18:19], s81, v28
	v_cmp_eq_u32_e64 s[20:21], 0, v27
	;; [unrolled: 1-line block ×3, first 2 shown]
	s_and_b64 s[20:21], s[18:19], s[20:21]
	v_cmp_eq_u32_e64 s[24:25], 2, v27
	v_cmp_eq_u32_e64 s[26:27], 3, v27
	v_cndmask_b32_e64 v27, 0, 1, s[20:21]
	s_and_b64 s[20:21], s[18:19], s[22:23]
	v_cndmask_b32_e64 v28, 0, 1, s[20:21]
	s_and_b64 s[20:21], s[18:19], s[24:25]
	s_and_b64 s[18:19], s[18:19], s[26:27]
	v_cndmask_b32_e64 v29, 0, 1, s[20:21]
	v_cndmask_b32_e64 v30, 0, 1, s[18:19]
	v_cmp_ne_u32_e64 s[18:19], 0, v27
	v_cmp_ne_u32_e64 s[20:21], 0, v28
	;; [unrolled: 1-line block ×4, first 2 shown]
	s_bcnt1_i32_b64 s1, s[18:19]
	s_bcnt1_i32_b64 s8, s[20:21]
	;; [unrolled: 1-line block ×4, first 2 shown]
	v_add_u32_e32 v2, s1, v2
	v_add_u32_e32 v3, s8, v3
	;; [unrolled: 1-line block ×3, first 2 shown]
	s_or_b64 s[30:31], vcc, s[30:31]
	v_add_u32_e32 v5, s19, v5
	s_andn2_b64 exec, exec, s[30:31]
	s_cbranch_execnz .LBB0_60
; %bb.61:                               ;   in Loop: Header=BB0_8 Depth=1
	s_or_b64 exec, exec, s[30:31]
.LBB0_62:                               ;   in Loop: Header=BB0_8 Depth=1
	s_or_b64 exec, exec, s[28:29]
.LBB0_63:                               ;   in Loop: Header=BB0_8 Depth=1
	s_lshl_b32 s0, s16, 6
	s_and_saveexec_b64 s[18:19], s[2:3]
	s_cbranch_execz .LBB0_65
; %bb.64:                               ;   in Loop: Header=BB0_8 Depth=1
	v_or_b32_e32 v26, s0, v14
	v_lshlrev_b32_e32 v26, 2, v26
	s_waitcnt vmcnt(0)
	ds_write_b128 v26, v[2:5] offset:3072
.LBB0_65:                               ;   in Loop: Header=BB0_8 Depth=1
	s_or_b64 exec, exec, s[18:19]
	s_waitcnt lgkmcnt(0)
	s_barrier
	s_and_saveexec_b64 s[18:19], s[72:73]
	s_cbranch_execz .LBB0_79
; %bb.66:                               ;   in Loop: Header=BB0_8 Depth=1
	v_readlane_b32 s20, v42, 12
	v_readlane_b32 s21, v42, 13
	v_add_u32_e32 v4, s0, v12
	s_andn2_b64 vcc, exec, s[20:21]
	s_waitcnt vmcnt(0)
	v_mov_b32_e32 v2, 0
	s_cbranch_vccnz .LBB0_78
; %bb.67:                               ;   in Loop: Header=BB0_8 Depth=1
	v_readlane_b32 s20, v42, 16
	v_readlane_b32 s21, v42, 17
	s_mov_b32 s1, 0
	s_and_b64 vcc, exec, s[20:21]
	v_mov_b32_e32 v2, 0
	s_cbranch_vccz .LBB0_71
; %bb.68:                               ;   in Loop: Header=BB0_8 Depth=1
	v_readlane_b32 s20, v42, 22
	v_readlane_b32 s21, v42, 23
	v_lshl_add_u32 v5, v4, 2, v24
	s_andn2_b64 vcc, exec, s[20:21]
	s_cbranch_vccnz .LBB0_72
; %bb.69:                               ;   in Loop: Header=BB0_8 Depth=1
	s_mov_b32 s21, 1
	s_mov_b32 s20, 0
	v_mov_b32_e32 v2, 0
	v_readlane_b32 s1, v42, 24
	v_mov_b32_e32 v3, 0
.LBB0_70:                               ;   Parent Loop BB0_8 Depth=1
                                        ; =>  This Inner Loop Header: Depth=2
	v_lshl_add_u32 v38, s20, 4, v5
	v_lshl_add_u32 v40, s21, 4, v5
	ds_read2_b32 v[26:27], v38 offset1:8
	ds_read2_b32 v[28:29], v40 offset1:8
	ds_read2_b32 v[30:31], v38 offset0:16 offset1:24
	ds_read2_b32 v[32:33], v40 offset0:16 offset1:24
	;; [unrolled: 1-line block ×6, first 2 shown]
	s_waitcnt lgkmcnt(7)
	v_add3_u32 v2, v26, v2, v27
	s_waitcnt lgkmcnt(6)
	v_add3_u32 v3, v28, v3, v29
	s_waitcnt lgkmcnt(4)
	v_add3_u32 v3, v32, v3, v33
	v_add3_u32 v2, v30, v2, v31
	s_add_i32 s21, s21, 16
	s_add_i32 s20, s20, 16
	s_add_i32 s1, s1, -8
	s_waitcnt lgkmcnt(3)
	v_add3_u32 v2, v34, v2, v35
	s_waitcnt lgkmcnt(2)
	v_add3_u32 v3, v36, v3, v37
	s_cmp_lg_u32 s1, 0
	s_waitcnt lgkmcnt(0)
	v_add3_u32 v3, v40, v3, v41
	v_add3_u32 v2, v38, v2, v39
	s_cbranch_scc1 .LBB0_70
	s_branch .LBB0_73
.LBB0_71:                               ;   in Loop: Header=BB0_8 Depth=1
	s_cbranch_execnz .LBB0_76
	s_branch .LBB0_78
.LBB0_72:                               ;   in Loop: Header=BB0_8 Depth=1
	s_mov_b32 s71, s70
	v_pk_mov_b32 v[2:3], s[70:71], s[70:71] op_sel:[0,1]
	s_mov_b32 s71, 1
	s_mov_b64 s[20:21], s[70:71]
.LBB0_73:                               ;   in Loop: Header=BB0_8 Depth=1
	v_readlane_b32 s22, v42, 26
	v_readlane_b32 s23, v42, 27
	s_andn2_b64 vcc, exec, s[22:23]
	v_readlane_b32 s1, v42, 25
	s_cbranch_vccnz .LBB0_75
.LBB0_74:                               ;   Parent Loop BB0_8 Depth=1
                                        ; =>  This Inner Loop Header: Depth=2
	v_lshl_add_u32 v26, s20, 4, v5
	v_lshl_add_u32 v27, s21, 4, v5
	ds_read_b32 v27, v27
	ds_read_b32 v26, v26
	s_add_i32 s21, s21, 2
	s_add_i32 s20, s20, 2
	s_add_i32 s1, s1, -1
	s_cmp_lg_u32 s1, 0
	s_waitcnt lgkmcnt(1)
	v_add_u32_e32 v3, v27, v3
	s_waitcnt lgkmcnt(0)
	v_add_u32_e32 v2, v26, v2
	s_cbranch_scc1 .LBB0_74
.LBB0_75:                               ;   in Loop: Header=BB0_8 Depth=1
	v_readlane_b32 s20, v42, 30
	v_add_u32_e32 v2, v2, v3
	v_readlane_b32 s1, v42, 29
	v_readlane_b32 s21, v42, 31
	s_and_b64 vcc, exec, s[20:21]
	s_cbranch_vccz .LBB0_78
.LBB0_76:                               ;   in Loop: Header=BB0_8 Depth=1
	s_lshl_b32 s8, s16, 8
	s_lshl_b32 s20, s1, 4
	s_add_i32 s8, s8, s20
	v_add_u32_e32 v3, s8, v22
	v_readlane_b32 s8, v42, 28
	s_sub_i32 s1, s8, s1
.LBB0_77:                               ;   Parent Loop BB0_8 Depth=1
                                        ; =>  This Inner Loop Header: Depth=2
	ds_read_b32 v5, v3
	s_add_i32 s1, s1, -1
	v_add_u32_e32 v3, 16, v3
	s_cmp_eq_u32 s1, 0
	s_waitcnt lgkmcnt(0)
	v_add_u32_e32 v2, v5, v2
	s_cbranch_scc0 .LBB0_77
.LBB0_78:                               ;   in Loop: Header=BB0_8 Depth=1
	v_lshlrev_b32_e32 v3, 2, v4
	ds_write_b32 v3, v2 offset:3072
.LBB0_79:                               ;   in Loop: Header=BB0_8 Depth=1
	s_or_b64 exec, exec, s[18:19]
	s_lshl_b32 s0, s0, 2
	s_waitcnt vmcnt(0)
	v_mov_b32_e32 v2, s0
	s_waitcnt lgkmcnt(0)
	s_barrier
	ds_read_b128 v[2:5], v2 offset:3072
	s_and_b32 s47, s79, 0xfe
	s_lshl_b32 s55, 3, s47
	s_not_b32 s48, s55
	s_mov_b64 s[22:23], -1
	s_waitcnt lgkmcnt(0)
	v_readfirstlane_b32 s34, v2
	s_cmp_eq_u32 s34, 1
	s_cselect_b64 s[0:1], -1, 0
	s_cmp_eq_u32 s61, 1
	s_cselect_b64 s[18:19], -1, 0
	s_and_b64 s[24:25], s[0:1], s[18:19]
	v_readfirstlane_b32 s38, v3
	v_readfirstlane_b32 s46, v4
	v_readfirstlane_b32 s54, v5
	s_and_b64 vcc, exec, s[24:25]
	s_cbranch_vccz .LBB0_90
; %bb.80:                               ;   in Loop: Header=BB0_8 Depth=1
	ds_read_b32 v2, v23 offset:4096
	s_waitcnt lgkmcnt(0)
	s_barrier
	v_readfirstlane_b32 s0, v2
	s_and_saveexec_b64 s[18:19], s[4:5]
	s_cbranch_execz .LBB0_82
; %bb.81:                               ;   in Loop: Header=BB0_8 Depth=1
	ds_write_b8 v0, v23 offset:3072
.LBB0_82:                               ;   in Loop: Header=BB0_8 Depth=1
	s_or_b64 exec, exec, s[18:19]
	s_and_b32 s81, s81, s48
	s_or_b32 s17, s17, s55
	s_cmp_lt_i32 s0, 1
	s_waitcnt lgkmcnt(0)
	s_barrier
	s_cbranch_scc0 .LBB0_91
; %bb.83:                               ;   in Loop: Header=BB0_8 Depth=1
	s_mov_b64 s[18:19], 0
                                        ; implicit-def: $vgpr25
	s_mov_b64 s[20:21], exec
	v_readlane_b32 s26, v42, 32
	v_readlane_b32 s27, v42, 33
	s_and_b64 s[26:27], s[20:21], s[26:27]
	s_mov_b64 exec, s[26:27]
	s_cbranch_execz .LBB0_93
; %bb.84:                               ;   in Loop: Header=BB0_8 Depth=1
	s_mov_b64 s[26:27], 0
	v_mov_b32_e32 v2, v9
	v_mov_b32_e32 v3, v0
                                        ; implicit-def: $sgpr28_sgpr29
	s_branch .LBB0_86
.LBB0_85:                               ;   in Loop: Header=BB0_86 Depth=2
	s_or_b64 exec, exec, s[18:19]
	s_waitcnt lgkmcnt(0)
	s_barrier
	ds_read_u16 v4, v23 offset:3072
	v_add_u32_e32 v3, s62, v3
	v_cmp_le_i32_e32 vcc, s9, v3
	v_add_u32_e32 v2, s80, v2
	s_waitcnt lgkmcnt(0)
	v_cmp_ne_u16_sdwa s[18:19], v4, v23 src0_sel:BYTE_0 src1_sel:DWORD
	s_or_b64 s[30:31], vcc, s[18:19]
	s_and_b64 s[30:31], exec, s[30:31]
	s_or_b64 s[26:27], s[30:31], s[26:27]
	s_andn2_b64 s[28:29], s[28:29], exec
	s_and_b64 s[18:19], s[18:19], exec
	s_or_b64 s[28:29], s[28:29], s[18:19]
	s_barrier
	s_andn2_b64 exec, exec, s[26:27]
	s_cbranch_execz .LBB0_92
.LBB0_86:                               ;   Parent Loop BB0_8 Depth=1
                                        ; =>  This Inner Loop Header: Depth=2
	v_cmp_gt_i32_e32 vcc, s60, v3
	v_mov_b32_e32 v4, 0
	s_and_saveexec_b64 s[30:31], vcc
	s_cbranch_execz .LBB0_88
; %bb.87:                               ;   in Loop: Header=BB0_86 Depth=2
	v_ashrrev_i32_e32 v5, 31, v2
	v_mov_b32_e32 v25, s69
	v_add_co_u32_e64 v4, s[18:19], s68, v2
	v_addc_co_u32_e64 v5, s[18:19], v25, v5, s[18:19]
	global_load_ubyte v4, v[4:5], off
.LBB0_88:                               ;   in Loop: Header=BB0_86 Depth=2
	s_or_b64 exec, exec, s[30:31]
	s_waitcnt vmcnt(0)
	v_and_b32_e32 v5, s17, v4
	v_cmp_eq_u32_sdwa s[18:19], v5, s81 src0_sel:BYTE_0 src1_sel:DWORD
	s_and_b64 s[30:31], vcc, s[18:19]
	s_and_saveexec_b64 s[18:19], s[30:31]
	s_cbranch_execz .LBB0_85
; %bb.89:                               ;   in Loop: Header=BB0_86 Depth=2
	v_lshlrev_b16_e32 v4, 8, v4
	v_or_b32_e32 v4, 1, v4
	ds_write_b16 v23, v4 offset:3072
	s_branch .LBB0_85
.LBB0_90:                               ;   in Loop: Header=BB0_8 Depth=1
	s_mov_b64 s[18:19], -1
                                        ; implicit-def: $sgpr20_sgpr21
                                        ; implicit-def: $sgpr28_sgpr29
                                        ; implicit-def: $sgpr26_sgpr27
	s_branch .LBB0_103
.LBB0_91:                               ;   in Loop: Header=BB0_8 Depth=1
	s_mov_b64 s[20:21], -1
	s_mov_b64 s[18:19], 0
                                        ; implicit-def: $sgpr26_sgpr27
                                        ; implicit-def: $vgpr25
	s_mov_b64 s[28:29], s[20:21]
	s_cbranch_execnz .LBB0_94
	s_branch .LBB0_103
.LBB0_92:                               ;   in Loop: Header=BB0_8 Depth=1
	s_or_b64 exec, exec, s[26:27]
	v_lshrrev_b16_e32 v25, 8, v4
	s_and_b64 s[18:19], s[28:29], exec
.LBB0_93:                               ;   in Loop: Header=BB0_8 Depth=1
	s_or_b64 exec, exec, s[20:21]
	s_mov_b64 s[26:27], -1
	s_mov_b64 s[20:21], 0
	s_mov_b64 s[28:29], s[20:21]
	s_branch .LBB0_103
.LBB0_94:                               ;   in Loop: Header=BB0_8 Depth=1
	v_readlane_b32 s1, v42, 9
	s_add_i32 s1, s0, s1
	s_abs_i32 s18, s1
	s_mul_hi_u32 s19, s18, s77
	s_mul_i32 s19, s19, s62
	s_sub_i32 s18, s18, s19
	s_ashr_i32 s8, s1, 31
	s_sub_i32 s19, s18, s62
	s_cmp_ge_u32 s18, s62
	s_cselect_b32 s18, s19, s18
	s_sub_i32 s19, s18, s62
	s_cmp_ge_u32 s18, s62
	s_cselect_b32 s18, s19, s18
	s_xor_b32 s18, s18, s8
	s_sub_i32 s8, s8, s18
	s_add_i32 s1, s1, s8
	v_cmp_gt_i32_e32 vcc, s1, v0
	s_mov_b64 s[18:19], 0
                                        ; implicit-def: $vgpr25
	s_and_saveexec_b64 s[20:21], vcc
	s_cbranch_execz .LBB0_102
; %bb.95:                               ;   in Loop: Header=BB0_8 Depth=1
	v_mov_b32_e32 v2, v0
                                        ; implicit-def: $sgpr26_sgpr27
	s_branch .LBB0_97
.LBB0_96:                               ;   in Loop: Header=BB0_97 Depth=2
	s_or_b64 exec, exec, s[28:29]
	s_waitcnt lgkmcnt(0)
	s_barrier
	ds_read_u16 v3, v23 offset:3072
	v_add_u32_e32 v2, s62, v2
	v_cmp_le_i32_e32 vcc, s1, v2
	s_waitcnt lgkmcnt(0)
	s_barrier
	v_cmp_ne_u16_sdwa s[28:29], v3, v23 src0_sel:BYTE_0 src1_sel:DWORD
	s_or_b64 s[30:31], vcc, s[28:29]
	s_and_b64 s[30:31], exec, s[30:31]
	s_or_b64 s[18:19], s[30:31], s[18:19]
	s_andn2_b64 s[26:27], s[26:27], exec
	s_and_b64 s[28:29], s[28:29], exec
	s_or_b64 s[26:27], s[26:27], s[28:29]
	s_andn2_b64 exec, exec, s[18:19]
	s_cbranch_execz .LBB0_101
.LBB0_97:                               ;   Parent Loop BB0_8 Depth=1
                                        ; =>  This Inner Loop Header: Depth=2
	v_cmp_gt_i32_e32 vcc, s0, v2
	v_mov_b32_e32 v3, 0
	s_and_saveexec_b64 s[28:29], vcc
	s_cbranch_execz .LBB0_99
; %bb.98:                               ;   in Loop: Header=BB0_97 Depth=2
	ds_read_u8 v3, v2
.LBB0_99:                               ;   in Loop: Header=BB0_97 Depth=2
	s_or_b64 exec, exec, s[28:29]
	s_waitcnt lgkmcnt(0)
	v_and_b32_e32 v4, s17, v3
	v_cmp_eq_u32_sdwa s[28:29], v4, s81 src0_sel:BYTE_0 src1_sel:DWORD
	s_and_b64 s[30:31], vcc, s[28:29]
	s_and_saveexec_b64 s[28:29], s[30:31]
	s_cbranch_execz .LBB0_96
; %bb.100:                              ;   in Loop: Header=BB0_97 Depth=2
	v_lshlrev_b16_e32 v3, 8, v3
	v_or_b32_e32 v3, 1, v3
	ds_write_b16 v23, v3 offset:3072
	s_branch .LBB0_96
.LBB0_101:                              ;   in Loop: Header=BB0_8 Depth=1
	s_or_b64 exec, exec, s[18:19]
	v_lshrrev_b16_e32 v25, 8, v3
	s_and_b64 s[18:19], s[26:27], exec
.LBB0_102:                              ;   in Loop: Header=BB0_8 Depth=1
	s_or_b64 exec, exec, s[20:21]
	s_mov_b64 s[28:29], -1
	s_mov_b64 s[20:21], 0
	s_mov_b64 s[26:27], 0
.LBB0_103:                              ;   in Loop: Header=BB0_8 Depth=1
	s_andn2_b64 s[0:1], s[82:83], exec
	s_and_b64 s[20:21], s[20:21], exec
	s_or_b64 s[82:83], s[0:1], s[20:21]
	s_andn2_b64 s[0:1], s[66:67], exec
	s_and_b64 s[20:21], s[28:29], exec
	s_or_b64 s[66:67], s[0:1], s[20:21]
	;; [unrolled: 3-line block ×3, first 2 shown]
	s_and_saveexec_b64 s[20:21], s[18:19]
	s_cbranch_execz .LBB0_7
; %bb.104:                              ;   in Loop: Header=BB0_8 Depth=1
	s_xor_b64 s[0:1], s[24:25], -1
	s_mov_b64 s[18:19], 0
	s_andn2_b64 vcc, exec, s[0:1]
	s_mov_b32 s39, 1
	s_cbranch_vccnz .LBB0_115
; %bb.105:                              ;   in Loop: Header=BB0_8 Depth=1
	s_cmp_gt_i32 s61, s34
	s_mov_b64 s[18:19], -1
                                        ; implicit-def: $sgpr57
                                        ; implicit-def: $sgpr0
                                        ; implicit-def: $sgpr1
	s_cbranch_scc1 .LBB0_111
; %bb.106:                              ;   in Loop: Header=BB0_8 Depth=1
	ds_read_b32 v2, v23 offset:4096
	s_waitcnt lgkmcnt(0)
	v_cmp_ne_u32_e32 vcc, 0, v2
	s_cbranch_vccnz .LBB0_110
; %bb.107:                              ;   in Loop: Header=BB0_8 Depth=1
	s_mov_b64 s[18:19], exec
	v_readlane_b32 s0, v42, 4
	v_readlane_b32 s1, v42, 5
	s_and_b64 s[0:1], s[18:19], s[0:1]
	s_mov_b64 exec, s[0:1]
	s_cbranch_execz .LBB0_109
; %bb.108:                              ;   in Loop: Header=BB0_8 Depth=1
	v_mov_b32_e32 v2, s34
	ds_write_b32 v23, v2 offset:4100
.LBB0_109:                              ;   in Loop: Header=BB0_8 Depth=1
	s_or_b64 exec, exec, s[18:19]
	s_waitcnt lgkmcnt(0)
	s_barrier
.LBB0_110:                              ;   in Loop: Header=BB0_8 Depth=1
	s_and_b32 s0, s81, s48
	s_or_b32 s1, s17, s55
	s_mov_b64 s[18:19], 0
	s_mov_b32 s57, 8
.LBB0_111:                              ;   in Loop: Header=BB0_8 Depth=1
	s_andn2_b64 vcc, exec, s[18:19]
	s_cbranch_vccnz .LBB0_113
; %bb.112:                              ;   in Loop: Header=BB0_8 Depth=1
	s_sub_i32 s61, s61, s34
	s_mov_b64 s[18:19], -1
	s_mov_b32 s57, 0
	s_mov_b32 s0, s81
	;; [unrolled: 1-line block ×3, first 2 shown]
.LBB0_113:                              ;   in Loop: Header=BB0_8 Depth=1
	s_mov_b32 s17, s1
	s_mov_b32 s81, s0
	;; [unrolled: 1-line block ×3, first 2 shown]
	s_mov_b64 s[22:23], -1
	s_and_b64 vcc, exec, s[18:19]
	s_cbranch_vccnz .LBB0_116
.LBB0_114:                              ;   in Loop: Header=BB0_8 Depth=1
	s_mov_b64 s[36:37], -1
                                        ; implicit-def: $sgpr24_sgpr25
                                        ; implicit-def: $sgpr28_sgpr29
                                        ; implicit-def: $sgpr26_sgpr27
	s_and_saveexec_b64 s[0:1], s[36:37]
	s_xor_b64 s[18:19], exec, s[0:1]
	s_cbranch_execz .LBB0_6
	s_branch .LBB0_233
.LBB0_115:                              ;   in Loop: Header=BB0_8 Depth=1
	s_mov_b32 s57, 1
	s_mov_b64 s[22:23], -1
	s_and_b64 vcc, exec, s[18:19]
	s_cbranch_vccz .LBB0_114
.LBB0_116:                              ;   in Loop: Header=BB0_8 Depth=1
	s_cmp_eq_u32 s38, 1
	s_cselect_b64 s[0:1], -1, 0
	s_cmp_eq_u32 s39, 1
	s_cselect_b64 s[18:19], -1, 0
	s_and_b64 s[34:35], s[0:1], s[18:19]
	s_mov_b64 s[18:19], -1
	s_and_b64 vcc, exec, s[34:35]
	s_cbranch_vccz .LBB0_127
; %bb.117:                              ;   in Loop: Header=BB0_8 Depth=1
	ds_read_b32 v2, v23 offset:4096
	s_waitcnt lgkmcnt(0)
	s_barrier
	v_readfirstlane_b32 s0, v2
	s_and_saveexec_b64 s[18:19], s[4:5]
	s_cbranch_execz .LBB0_119
; %bb.118:                              ;   in Loop: Header=BB0_8 Depth=1
	ds_write_b8 v0, v23 offset:3072
.LBB0_119:                              ;   in Loop: Header=BB0_8 Depth=1
	s_or_b64 exec, exec, s[18:19]
	s_lshl_b32 s1, 1, s47
	s_and_b32 s8, s81, s48
	s_or_b32 s81, s8, s1
	s_or_b32 s17, s17, s55
	s_cmp_gt_i32 s0, 0
	s_waitcnt lgkmcnt(0)
	s_barrier
	s_cbranch_scc1 .LBB0_128
; %bb.120:                              ;   in Loop: Header=BB0_8 Depth=1
	s_mov_b64 s[18:19], 0
                                        ; implicit-def: $vgpr25
	s_mov_b64 s[24:25], exec
	v_readlane_b32 s26, v42, 32
	v_readlane_b32 s27, v42, 33
	s_and_b64 s[26:27], s[24:25], s[26:27]
	s_mov_b64 exec, s[26:27]
	s_cbranch_execz .LBB0_130
; %bb.121:                              ;   in Loop: Header=BB0_8 Depth=1
	s_mov_b64 s[26:27], 0
	v_mov_b32_e32 v2, v9
	v_mov_b32_e32 v3, v0
                                        ; implicit-def: $sgpr28_sgpr29
	s_branch .LBB0_123
.LBB0_122:                              ;   in Loop: Header=BB0_123 Depth=2
	s_or_b64 exec, exec, s[18:19]
	s_waitcnt lgkmcnt(0)
	s_barrier
	ds_read_u16 v4, v23 offset:3072
	v_add_u32_e32 v3, s62, v3
	v_cmp_le_i32_e32 vcc, s9, v3
	v_add_u32_e32 v2, s80, v2
	s_waitcnt lgkmcnt(0)
	v_cmp_ne_u16_sdwa s[18:19], v4, v23 src0_sel:BYTE_0 src1_sel:DWORD
	s_or_b64 s[30:31], vcc, s[18:19]
	s_and_b64 s[30:31], exec, s[30:31]
	s_or_b64 s[26:27], s[30:31], s[26:27]
	s_andn2_b64 s[28:29], s[28:29], exec
	s_and_b64 s[18:19], s[18:19], exec
	s_or_b64 s[28:29], s[28:29], s[18:19]
	s_barrier
	s_andn2_b64 exec, exec, s[26:27]
	s_cbranch_execz .LBB0_129
.LBB0_123:                              ;   Parent Loop BB0_8 Depth=1
                                        ; =>  This Inner Loop Header: Depth=2
	v_cmp_gt_i32_e32 vcc, s60, v3
	v_mov_b32_e32 v4, 0
	s_and_saveexec_b64 s[30:31], vcc
	s_cbranch_execz .LBB0_125
; %bb.124:                              ;   in Loop: Header=BB0_123 Depth=2
	v_ashrrev_i32_e32 v5, 31, v2
	v_mov_b32_e32 v25, s69
	v_add_co_u32_e64 v4, s[18:19], s68, v2
	v_addc_co_u32_e64 v5, s[18:19], v25, v5, s[18:19]
	global_load_ubyte v4, v[4:5], off
.LBB0_125:                              ;   in Loop: Header=BB0_123 Depth=2
	s_or_b64 exec, exec, s[30:31]
	s_waitcnt vmcnt(0)
	v_and_b32_e32 v5, s17, v4
	v_cmp_eq_u32_sdwa s[18:19], v5, s81 src0_sel:BYTE_0 src1_sel:DWORD
	s_and_b64 s[30:31], vcc, s[18:19]
	s_and_saveexec_b64 s[18:19], s[30:31]
	s_cbranch_execz .LBB0_122
; %bb.126:                              ;   in Loop: Header=BB0_123 Depth=2
	v_lshlrev_b16_e32 v4, 8, v4
	v_or_b32_e32 v4, 1, v4
	ds_write_b16 v23, v4 offset:3072
	s_branch .LBB0_122
.LBB0_127:                              ;   in Loop: Header=BB0_8 Depth=1
                                        ; implicit-def: $sgpr26_sgpr27
                                        ; implicit-def: $sgpr28_sgpr29
                                        ; implicit-def: $sgpr24_sgpr25
	s_branch .LBB0_140
.LBB0_128:                              ;   in Loop: Header=BB0_8 Depth=1
	s_mov_b64 s[26:27], -1
	s_mov_b64 s[18:19], 0
                                        ; implicit-def: $sgpr24_sgpr25
                                        ; implicit-def: $vgpr25
	s_mov_b64 s[28:29], s[26:27]
	s_cbranch_execnz .LBB0_131
	s_branch .LBB0_140
.LBB0_129:                              ;   in Loop: Header=BB0_8 Depth=1
	s_or_b64 exec, exec, s[26:27]
	v_lshrrev_b16_e32 v25, 8, v4
	s_and_b64 s[18:19], s[28:29], exec
.LBB0_130:                              ;   in Loop: Header=BB0_8 Depth=1
	s_or_b64 exec, exec, s[24:25]
	s_mov_b64 s[24:25], -1
	s_mov_b64 s[26:27], 0
	s_mov_b64 s[28:29], s[26:27]
	s_branch .LBB0_140
.LBB0_131:                              ;   in Loop: Header=BB0_8 Depth=1
	v_readlane_b32 s1, v42, 9
	s_add_i32 s1, s0, s1
	s_abs_i32 s18, s1
	s_mul_hi_u32 s19, s18, s77
	s_mul_i32 s19, s19, s62
	s_sub_i32 s18, s18, s19
	s_ashr_i32 s8, s1, 31
	s_sub_i32 s19, s18, s62
	s_cmp_ge_u32 s18, s62
	s_cselect_b32 s18, s19, s18
	s_sub_i32 s19, s18, s62
	s_cmp_ge_u32 s18, s62
	s_cselect_b32 s18, s19, s18
	s_xor_b32 s18, s18, s8
	s_sub_i32 s8, s8, s18
	s_add_i32 s1, s1, s8
	v_cmp_gt_i32_e32 vcc, s1, v0
	s_mov_b64 s[18:19], 0
                                        ; implicit-def: $vgpr25
	s_and_saveexec_b64 s[24:25], vcc
	s_cbranch_execz .LBB0_139
; %bb.132:                              ;   in Loop: Header=BB0_8 Depth=1
	v_mov_b32_e32 v2, v0
                                        ; implicit-def: $sgpr26_sgpr27
	s_branch .LBB0_134
.LBB0_133:                              ;   in Loop: Header=BB0_134 Depth=2
	s_or_b64 exec, exec, s[28:29]
	s_waitcnt lgkmcnt(0)
	s_barrier
	ds_read_u16 v3, v23 offset:3072
	v_add_u32_e32 v2, s62, v2
	v_cmp_le_i32_e32 vcc, s1, v2
	s_waitcnt lgkmcnt(0)
	s_barrier
	v_cmp_ne_u16_sdwa s[28:29], v3, v23 src0_sel:BYTE_0 src1_sel:DWORD
	s_or_b64 s[30:31], vcc, s[28:29]
	s_and_b64 s[30:31], exec, s[30:31]
	s_or_b64 s[18:19], s[30:31], s[18:19]
	s_andn2_b64 s[26:27], s[26:27], exec
	s_and_b64 s[28:29], s[28:29], exec
	s_or_b64 s[26:27], s[26:27], s[28:29]
	s_andn2_b64 exec, exec, s[18:19]
	s_cbranch_execz .LBB0_138
.LBB0_134:                              ;   Parent Loop BB0_8 Depth=1
                                        ; =>  This Inner Loop Header: Depth=2
	v_cmp_gt_i32_e32 vcc, s0, v2
	v_mov_b32_e32 v3, 0
	s_and_saveexec_b64 s[28:29], vcc
	s_cbranch_execz .LBB0_136
; %bb.135:                              ;   in Loop: Header=BB0_134 Depth=2
	ds_read_u8 v3, v2
.LBB0_136:                              ;   in Loop: Header=BB0_134 Depth=2
	s_or_b64 exec, exec, s[28:29]
	s_waitcnt lgkmcnt(0)
	v_and_b32_e32 v4, s17, v3
	v_cmp_eq_u32_sdwa s[28:29], v4, s81 src0_sel:BYTE_0 src1_sel:DWORD
	s_and_b64 s[30:31], vcc, s[28:29]
	s_and_saveexec_b64 s[28:29], s[30:31]
	s_cbranch_execz .LBB0_133
; %bb.137:                              ;   in Loop: Header=BB0_134 Depth=2
	v_lshlrev_b16_e32 v3, 8, v3
	v_or_b32_e32 v3, 1, v3
	ds_write_b16 v23, v3 offset:3072
	s_branch .LBB0_133
.LBB0_138:                              ;   in Loop: Header=BB0_8 Depth=1
	s_or_b64 exec, exec, s[18:19]
	v_lshrrev_b16_e32 v25, 8, v3
	s_and_b64 s[18:19], s[26:27], exec
.LBB0_139:                              ;   in Loop: Header=BB0_8 Depth=1
	s_or_b64 exec, exec, s[24:25]
	s_mov_b64 s[28:29], -1
	s_mov_b64 s[26:27], 0
	s_mov_b64 s[24:25], 0
.LBB0_140:                              ;   in Loop: Header=BB0_8 Depth=1
	s_mov_b64 s[36:37], 0
                                        ; implicit-def: $sgpr57
	s_and_saveexec_b64 s[30:31], s[18:19]
	s_cbranch_execz .LBB0_232
; %bb.141:                              ;   in Loop: Header=BB0_8 Depth=1
	s_xor_b64 s[0:1], s[34:35], -1
	s_mov_b64 s[18:19], 0
	s_andn2_b64 vcc, exec, s[0:1]
	s_mov_b32 s49, 1
	s_cbranch_vccnz .LBB0_152
; %bb.142:                              ;   in Loop: Header=BB0_8 Depth=1
	s_cmp_gt_i32 s39, s38
	s_mov_b64 s[18:19], -1
                                        ; implicit-def: $sgpr57
                                        ; implicit-def: $sgpr0
                                        ; implicit-def: $sgpr1
	s_cbranch_scc1 .LBB0_148
; %bb.143:                              ;   in Loop: Header=BB0_8 Depth=1
	ds_read_b32 v2, v23 offset:4096
	s_waitcnt lgkmcnt(0)
	v_cmp_ne_u32_e32 vcc, 0, v2
	s_cbranch_vccnz .LBB0_147
; %bb.144:                              ;   in Loop: Header=BB0_8 Depth=1
	s_mov_b64 s[18:19], exec
	v_readlane_b32 s0, v42, 4
	v_readlane_b32 s1, v42, 5
	s_and_b64 s[0:1], s[18:19], s[0:1]
	s_mov_b64 exec, s[0:1]
	s_cbranch_execz .LBB0_146
; %bb.145:                              ;   in Loop: Header=BB0_8 Depth=1
	v_mov_b32_e32 v2, s38
	ds_write_b32 v23, v2 offset:4100
.LBB0_146:                              ;   in Loop: Header=BB0_8 Depth=1
	s_or_b64 exec, exec, s[18:19]
	s_waitcnt lgkmcnt(0)
	s_barrier
.LBB0_147:                              ;   in Loop: Header=BB0_8 Depth=1
	s_lshl_b32 s0, 1, s47
	s_and_b32 s1, s81, s48
	s_or_b32 s0, s1, s0
	s_or_b32 s1, s17, s55
	s_mov_b64 s[18:19], 0
	s_mov_b32 s57, 8
.LBB0_148:                              ;   in Loop: Header=BB0_8 Depth=1
	s_andn2_b64 vcc, exec, s[18:19]
	s_cbranch_vccnz .LBB0_150
; %bb.149:                              ;   in Loop: Header=BB0_8 Depth=1
	s_sub_i32 s39, s39, s38
	s_mov_b64 s[18:19], -1
	s_mov_b32 s57, 0
	s_mov_b32 s0, s81
	;; [unrolled: 1-line block ×3, first 2 shown]
.LBB0_150:                              ;   in Loop: Header=BB0_8 Depth=1
	s_mov_b32 s17, s1
	s_mov_b32 s81, s0
	s_mov_b32 s49, s39
	s_andn2_b64 vcc, exec, s[18:19]
	s_mov_b64 s[44:45], -1
	s_cbranch_vccz .LBB0_153
.LBB0_151:                              ;   in Loop: Header=BB0_8 Depth=1
                                        ; implicit-def: $sgpr36_sgpr37
                                        ; implicit-def: $sgpr38_sgpr39
                                        ; implicit-def: $sgpr34_sgpr35
	s_branch .LBB0_231
.LBB0_152:                              ;   in Loop: Header=BB0_8 Depth=1
	s_mov_b32 s57, 1
	s_andn2_b64 vcc, exec, s[18:19]
	s_mov_b64 s[44:45], -1
	s_cbranch_vccnz .LBB0_151
.LBB0_153:                              ;   in Loop: Header=BB0_8 Depth=1
	s_cmp_eq_u32 s46, 1
	s_cselect_b64 s[0:1], -1, 0
	s_cmp_eq_u32 s49, 1
	s_cselect_b64 s[18:19], -1, 0
	s_and_b64 s[42:43], s[0:1], s[18:19]
	s_mov_b64 s[18:19], -1
	s_and_b64 vcc, exec, s[42:43]
	s_cbranch_vccz .LBB0_164
; %bb.154:                              ;   in Loop: Header=BB0_8 Depth=1
	ds_read_b32 v2, v23 offset:4096
	s_waitcnt lgkmcnt(0)
	s_barrier
	v_readfirstlane_b32 s0, v2
	s_and_saveexec_b64 s[18:19], s[4:5]
	s_cbranch_execz .LBB0_156
; %bb.155:                              ;   in Loop: Header=BB0_8 Depth=1
	ds_write_b8 v0, v23 offset:3072
.LBB0_156:                              ;   in Loop: Header=BB0_8 Depth=1
	s_or_b64 exec, exec, s[18:19]
	s_lshl_b32 s1, 2, s47
	s_and_b32 s8, s81, s48
	s_or_b32 s81, s8, s1
	s_or_b32 s17, s17, s55
	s_cmp_gt_i32 s0, 0
	s_waitcnt lgkmcnt(0)
	s_barrier
	s_cbranch_scc1 .LBB0_165
; %bb.157:                              ;   in Loop: Header=BB0_8 Depth=1
	s_mov_b64 s[18:19], 0
                                        ; implicit-def: $vgpr25
	s_mov_b64 s[34:35], exec
	v_readlane_b32 s36, v42, 32
	v_readlane_b32 s37, v42, 33
	s_and_b64 s[36:37], s[34:35], s[36:37]
	s_mov_b64 exec, s[36:37]
	s_cbranch_execz .LBB0_167
; %bb.158:                              ;   in Loop: Header=BB0_8 Depth=1
	s_mov_b64 s[36:37], 0
	v_mov_b32_e32 v2, v9
	v_mov_b32_e32 v3, v0
                                        ; implicit-def: $sgpr38_sgpr39
	s_branch .LBB0_160
.LBB0_159:                              ;   in Loop: Header=BB0_160 Depth=2
	s_or_b64 exec, exec, s[18:19]
	s_waitcnt lgkmcnt(0)
	s_barrier
	ds_read_u16 v4, v23 offset:3072
	v_add_u32_e32 v3, s62, v3
	v_cmp_le_i32_e32 vcc, s9, v3
	v_add_u32_e32 v2, s80, v2
	s_waitcnt lgkmcnt(0)
	v_cmp_ne_u16_sdwa s[18:19], v4, v23 src0_sel:BYTE_0 src1_sel:DWORD
	s_or_b64 s[40:41], vcc, s[18:19]
	s_and_b64 s[40:41], exec, s[40:41]
	s_or_b64 s[36:37], s[40:41], s[36:37]
	s_andn2_b64 s[38:39], s[38:39], exec
	s_and_b64 s[18:19], s[18:19], exec
	s_or_b64 s[38:39], s[38:39], s[18:19]
	s_barrier
	s_andn2_b64 exec, exec, s[36:37]
	s_cbranch_execz .LBB0_166
.LBB0_160:                              ;   Parent Loop BB0_8 Depth=1
                                        ; =>  This Inner Loop Header: Depth=2
	v_cmp_gt_i32_e32 vcc, s60, v3
	v_mov_b32_e32 v4, 0
	s_and_saveexec_b64 s[40:41], vcc
	s_cbranch_execz .LBB0_162
; %bb.161:                              ;   in Loop: Header=BB0_160 Depth=2
	v_ashrrev_i32_e32 v5, 31, v2
	v_mov_b32_e32 v25, s69
	v_add_co_u32_e64 v4, s[18:19], s68, v2
	v_addc_co_u32_e64 v5, s[18:19], v25, v5, s[18:19]
	global_load_ubyte v4, v[4:5], off
.LBB0_162:                              ;   in Loop: Header=BB0_160 Depth=2
	s_or_b64 exec, exec, s[40:41]
	s_waitcnt vmcnt(0)
	v_and_b32_e32 v5, s17, v4
	v_cmp_eq_u32_sdwa s[18:19], v5, s81 src0_sel:BYTE_0 src1_sel:DWORD
	s_and_b64 s[40:41], vcc, s[18:19]
	s_and_saveexec_b64 s[18:19], s[40:41]
	s_cbranch_execz .LBB0_159
; %bb.163:                              ;   in Loop: Header=BB0_160 Depth=2
	v_lshlrev_b16_e32 v4, 8, v4
	v_or_b32_e32 v4, 1, v4
	ds_write_b16 v23, v4 offset:3072
	s_branch .LBB0_159
.LBB0_164:                              ;   in Loop: Header=BB0_8 Depth=1
                                        ; implicit-def: $sgpr34_sgpr35
                                        ; implicit-def: $sgpr38_sgpr39
                                        ; implicit-def: $sgpr36_sgpr37
	s_branch .LBB0_177
.LBB0_165:                              ;   in Loop: Header=BB0_8 Depth=1
	s_mov_b64 s[34:35], -1
	s_mov_b64 s[18:19], 0
                                        ; implicit-def: $sgpr36_sgpr37
                                        ; implicit-def: $vgpr25
	s_mov_b64 s[38:39], s[34:35]
	s_cbranch_execnz .LBB0_168
	s_branch .LBB0_177
.LBB0_166:                              ;   in Loop: Header=BB0_8 Depth=1
	s_or_b64 exec, exec, s[36:37]
	v_lshrrev_b16_e32 v25, 8, v4
	s_and_b64 s[18:19], s[38:39], exec
.LBB0_167:                              ;   in Loop: Header=BB0_8 Depth=1
	s_or_b64 exec, exec, s[34:35]
	s_mov_b64 s[36:37], -1
	s_mov_b64 s[34:35], 0
	s_mov_b64 s[38:39], s[34:35]
	s_branch .LBB0_177
.LBB0_168:                              ;   in Loop: Header=BB0_8 Depth=1
	v_readlane_b32 s1, v42, 9
	s_add_i32 s1, s0, s1
	s_abs_i32 s18, s1
	s_mul_hi_u32 s19, s18, s77
	s_mul_i32 s19, s19, s62
	s_sub_i32 s18, s18, s19
	s_ashr_i32 s8, s1, 31
	s_sub_i32 s19, s18, s62
	s_cmp_ge_u32 s18, s62
	s_cselect_b32 s18, s19, s18
	s_sub_i32 s19, s18, s62
	s_cmp_ge_u32 s18, s62
	s_cselect_b32 s18, s19, s18
	s_xor_b32 s18, s18, s8
	s_sub_i32 s8, s8, s18
	s_add_i32 s1, s1, s8
	v_cmp_gt_i32_e32 vcc, s1, v0
	s_mov_b64 s[18:19], 0
                                        ; implicit-def: $vgpr25
	s_and_saveexec_b64 s[34:35], vcc
	s_cbranch_execz .LBB0_176
; %bb.169:                              ;   in Loop: Header=BB0_8 Depth=1
	v_mov_b32_e32 v2, v0
                                        ; implicit-def: $sgpr36_sgpr37
	s_branch .LBB0_171
.LBB0_170:                              ;   in Loop: Header=BB0_171 Depth=2
	s_or_b64 exec, exec, s[38:39]
	s_waitcnt lgkmcnt(0)
	s_barrier
	ds_read_u16 v3, v23 offset:3072
	v_add_u32_e32 v2, s62, v2
	v_cmp_le_i32_e32 vcc, s1, v2
	s_waitcnt lgkmcnt(0)
	s_barrier
	v_cmp_ne_u16_sdwa s[38:39], v3, v23 src0_sel:BYTE_0 src1_sel:DWORD
	s_or_b64 s[40:41], vcc, s[38:39]
	s_and_b64 s[40:41], exec, s[40:41]
	s_or_b64 s[18:19], s[40:41], s[18:19]
	s_andn2_b64 s[36:37], s[36:37], exec
	s_and_b64 s[38:39], s[38:39], exec
	s_or_b64 s[36:37], s[36:37], s[38:39]
	s_andn2_b64 exec, exec, s[18:19]
	s_cbranch_execz .LBB0_175
.LBB0_171:                              ;   Parent Loop BB0_8 Depth=1
                                        ; =>  This Inner Loop Header: Depth=2
	v_cmp_gt_i32_e32 vcc, s0, v2
	v_mov_b32_e32 v3, 0
	s_and_saveexec_b64 s[38:39], vcc
	s_cbranch_execz .LBB0_173
; %bb.172:                              ;   in Loop: Header=BB0_171 Depth=2
	ds_read_u8 v3, v2
.LBB0_173:                              ;   in Loop: Header=BB0_171 Depth=2
	s_or_b64 exec, exec, s[38:39]
	s_waitcnt lgkmcnt(0)
	v_and_b32_e32 v4, s17, v3
	v_cmp_eq_u32_sdwa s[38:39], v4, s81 src0_sel:BYTE_0 src1_sel:DWORD
	s_and_b64 s[40:41], vcc, s[38:39]
	s_and_saveexec_b64 s[38:39], s[40:41]
	s_cbranch_execz .LBB0_170
; %bb.174:                              ;   in Loop: Header=BB0_171 Depth=2
	v_lshlrev_b16_e32 v3, 8, v3
	v_or_b32_e32 v3, 1, v3
	ds_write_b16 v23, v3 offset:3072
	s_branch .LBB0_170
.LBB0_175:                              ;   in Loop: Header=BB0_8 Depth=1
	s_or_b64 exec, exec, s[18:19]
	v_lshrrev_b16_e32 v25, 8, v3
	s_and_b64 s[18:19], s[36:37], exec
.LBB0_176:                              ;   in Loop: Header=BB0_8 Depth=1
	s_or_b64 exec, exec, s[34:35]
	s_mov_b64 s[38:39], -1
	s_mov_b64 s[34:35], 0
	s_mov_b64 s[36:37], 0
.LBB0_177:                              ;   in Loop: Header=BB0_8 Depth=1
	s_mov_b64 s[44:45], 0
                                        ; implicit-def: $sgpr57
	s_and_saveexec_b64 s[40:41], s[18:19]
	s_cbranch_execz .LBB0_230
; %bb.178:                              ;   in Loop: Header=BB0_8 Depth=1
	s_xor_b64 s[0:1], s[42:43], -1
	s_mov_b64 s[18:19], 0
	s_andn2_b64 vcc, exec, s[0:1]
	s_mov_b32 s56, 1
	s_cbranch_vccnz .LBB0_189
; %bb.179:                              ;   in Loop: Header=BB0_8 Depth=1
	s_cmp_gt_i32 s49, s46
	s_mov_b64 s[18:19], -1
                                        ; implicit-def: $sgpr57
                                        ; implicit-def: $sgpr0
                                        ; implicit-def: $sgpr1
	s_cbranch_scc1 .LBB0_185
; %bb.180:                              ;   in Loop: Header=BB0_8 Depth=1
	ds_read_b32 v2, v23 offset:4096
	s_waitcnt lgkmcnt(0)
	v_cmp_ne_u32_e32 vcc, 0, v2
	s_cbranch_vccnz .LBB0_184
; %bb.181:                              ;   in Loop: Header=BB0_8 Depth=1
	s_mov_b64 s[18:19], exec
	v_readlane_b32 s0, v42, 4
	v_readlane_b32 s1, v42, 5
	s_and_b64 s[0:1], s[18:19], s[0:1]
	s_mov_b64 exec, s[0:1]
	s_cbranch_execz .LBB0_183
; %bb.182:                              ;   in Loop: Header=BB0_8 Depth=1
	v_mov_b32_e32 v2, s46
	ds_write_b32 v23, v2 offset:4100
.LBB0_183:                              ;   in Loop: Header=BB0_8 Depth=1
	s_or_b64 exec, exec, s[18:19]
	s_waitcnt lgkmcnt(0)
	s_barrier
.LBB0_184:                              ;   in Loop: Header=BB0_8 Depth=1
	s_lshl_b32 s0, 2, s47
	s_and_b32 s1, s81, s48
	s_or_b32 s0, s1, s0
	s_or_b32 s1, s17, s55
	s_mov_b64 s[18:19], 0
	s_mov_b32 s57, 8
.LBB0_185:                              ;   in Loop: Header=BB0_8 Depth=1
	s_andn2_b64 vcc, exec, s[18:19]
	s_cbranch_vccnz .LBB0_187
; %bb.186:                              ;   in Loop: Header=BB0_8 Depth=1
	s_sub_i32 s49, s49, s46
	s_mov_b64 s[18:19], -1
	s_mov_b32 s57, 0
	s_mov_b32 s0, s81
	;; [unrolled: 1-line block ×3, first 2 shown]
.LBB0_187:                              ;   in Loop: Header=BB0_8 Depth=1
	s_mov_b32 s17, s1
	s_mov_b32 s81, s0
	;; [unrolled: 1-line block ×3, first 2 shown]
	s_andn2_b64 vcc, exec, s[18:19]
	s_mov_b64 s[52:53], -1
	s_cbranch_vccz .LBB0_190
.LBB0_188:                              ;   in Loop: Header=BB0_8 Depth=1
                                        ; implicit-def: $sgpr18_sgpr19
                                        ; implicit-def: $sgpr46_sgpr47
                                        ; implicit-def: $sgpr44_sgpr45
	s_branch .LBB0_229
.LBB0_189:                              ;   in Loop: Header=BB0_8 Depth=1
	s_mov_b32 s57, 1
	s_andn2_b64 vcc, exec, s[18:19]
	s_mov_b64 s[52:53], -1
	s_cbranch_vccnz .LBB0_188
.LBB0_190:                              ;   in Loop: Header=BB0_8 Depth=1
	s_cmp_eq_u32 s54, 1
	s_cselect_b64 s[0:1], -1, 0
	s_cmp_eq_u32 s56, 1
	s_cselect_b64 s[18:19], -1, 0
	s_and_b64 s[42:43], s[0:1], s[18:19]
	s_mov_b64 s[48:49], -1
	s_and_b64 vcc, exec, s[42:43]
	s_cbranch_vccz .LBB0_201
; %bb.191:                              ;   in Loop: Header=BB0_8 Depth=1
	ds_read_b32 v2, v23 offset:4096
	s_waitcnt lgkmcnt(0)
	s_barrier
	v_readfirstlane_b32 s0, v2
	s_and_saveexec_b64 s[18:19], s[4:5]
	s_cbranch_execz .LBB0_193
; %bb.192:                              ;   in Loop: Header=BB0_8 Depth=1
	ds_write_b8 v0, v23 offset:3072
.LBB0_193:                              ;   in Loop: Header=BB0_8 Depth=1
	s_or_b64 exec, exec, s[18:19]
	s_or_b32 s81, s81, s55
	s_or_b32 s17, s17, s55
	s_cmp_gt_i32 s0, 0
	s_waitcnt lgkmcnt(0)
	s_barrier
	s_cbranch_scc1 .LBB0_202
; %bb.194:                              ;   in Loop: Header=BB0_8 Depth=1
	s_mov_b64 s[48:49], 0
                                        ; implicit-def: $vgpr25
	s_mov_b64 s[44:45], exec
	v_readlane_b32 s18, v42, 32
	v_readlane_b32 s19, v42, 33
	s_and_b64 s[18:19], s[44:45], s[18:19]
	s_mov_b64 exec, s[18:19]
	s_cbranch_execz .LBB0_204
; %bb.195:                              ;   in Loop: Header=BB0_8 Depth=1
	s_mov_b64 s[46:47], 0
	v_mov_b32_e32 v2, v9
	v_mov_b32_e32 v3, v0
                                        ; implicit-def: $sgpr48_sgpr49
	s_branch .LBB0_197
.LBB0_196:                              ;   in Loop: Header=BB0_197 Depth=2
	s_or_b64 exec, exec, s[18:19]
	s_waitcnt lgkmcnt(0)
	s_barrier
	ds_read_u16 v4, v23 offset:3072
	v_add_u32_e32 v3, s62, v3
	v_cmp_le_i32_e32 vcc, s9, v3
	v_add_u32_e32 v2, s80, v2
	s_waitcnt lgkmcnt(0)
	v_cmp_ne_u16_sdwa s[18:19], v4, v23 src0_sel:BYTE_0 src1_sel:DWORD
	s_or_b64 s[50:51], vcc, s[18:19]
	s_and_b64 s[50:51], exec, s[50:51]
	s_or_b64 s[46:47], s[50:51], s[46:47]
	s_andn2_b64 s[48:49], s[48:49], exec
	s_and_b64 s[18:19], s[18:19], exec
	s_or_b64 s[48:49], s[48:49], s[18:19]
	s_barrier
	s_andn2_b64 exec, exec, s[46:47]
	s_cbranch_execz .LBB0_203
.LBB0_197:                              ;   Parent Loop BB0_8 Depth=1
                                        ; =>  This Inner Loop Header: Depth=2
	v_cmp_gt_i32_e32 vcc, s60, v3
	v_mov_b32_e32 v4, 0
	s_and_saveexec_b64 s[50:51], vcc
	s_cbranch_execz .LBB0_199
; %bb.198:                              ;   in Loop: Header=BB0_197 Depth=2
	v_ashrrev_i32_e32 v5, 31, v2
	v_mov_b32_e32 v25, s69
	v_add_co_u32_e64 v4, s[18:19], s68, v2
	v_addc_co_u32_e64 v5, s[18:19], v25, v5, s[18:19]
	global_load_ubyte v4, v[4:5], off
.LBB0_199:                              ;   in Loop: Header=BB0_197 Depth=2
	s_or_b64 exec, exec, s[50:51]
	s_waitcnt vmcnt(0)
	v_and_b32_e32 v5, s17, v4
	v_cmp_eq_u32_sdwa s[18:19], v5, s81 src0_sel:BYTE_0 src1_sel:DWORD
	s_and_b64 s[50:51], vcc, s[18:19]
	s_and_saveexec_b64 s[18:19], s[50:51]
	s_cbranch_execz .LBB0_196
; %bb.200:                              ;   in Loop: Header=BB0_197 Depth=2
	v_lshlrev_b16_e32 v4, 8, v4
	v_or_b32_e32 v4, 1, v4
	ds_write_b16 v23, v4 offset:3072
	s_branch .LBB0_196
.LBB0_201:                              ;   in Loop: Header=BB0_8 Depth=1
                                        ; implicit-def: $sgpr18_sgpr19
                                        ; implicit-def: $sgpr46_sgpr47
                                        ; implicit-def: $sgpr44_sgpr45
	s_branch .LBB0_214
.LBB0_202:                              ;   in Loop: Header=BB0_8 Depth=1
	s_mov_b64 s[18:19], -1
	s_mov_b64 s[48:49], 0
                                        ; implicit-def: $sgpr44_sgpr45
                                        ; implicit-def: $vgpr25
	s_mov_b64 s[46:47], s[18:19]
	s_cbranch_execnz .LBB0_205
	s_branch .LBB0_214
.LBB0_203:                              ;   in Loop: Header=BB0_8 Depth=1
	s_or_b64 exec, exec, s[46:47]
	v_lshrrev_b16_e32 v25, 8, v4
	s_and_b64 s[48:49], s[48:49], exec
.LBB0_204:                              ;   in Loop: Header=BB0_8 Depth=1
	s_or_b64 exec, exec, s[44:45]
	s_mov_b64 s[44:45], -1
	s_mov_b64 s[18:19], 0
	s_mov_b64 s[46:47], s[18:19]
	s_branch .LBB0_214
.LBB0_205:                              ;   in Loop: Header=BB0_8 Depth=1
	v_readlane_b32 s1, v42, 9
	s_add_i32 s1, s0, s1
	s_abs_i32 s18, s1
	s_mul_hi_u32 s19, s18, s77
	s_mul_i32 s19, s19, s62
	s_sub_i32 s18, s18, s19
	s_ashr_i32 s8, s1, 31
	s_sub_i32 s19, s18, s62
	s_cmp_ge_u32 s18, s62
	s_cselect_b32 s18, s19, s18
	s_sub_i32 s19, s18, s62
	s_cmp_ge_u32 s18, s62
	s_cselect_b32 s18, s19, s18
	s_xor_b32 s18, s18, s8
	s_sub_i32 s8, s8, s18
	s_add_i32 s1, s1, s8
	v_cmp_gt_i32_e32 vcc, s1, v0
	s_mov_b64 s[48:49], 0
                                        ; implicit-def: $vgpr25
	s_and_saveexec_b64 s[18:19], vcc
	s_cbranch_execz .LBB0_213
; %bb.206:                              ;   in Loop: Header=BB0_8 Depth=1
	s_mov_b64 s[44:45], 0
	v_mov_b32_e32 v2, v0
                                        ; implicit-def: $sgpr46_sgpr47
	s_branch .LBB0_208
.LBB0_207:                              ;   in Loop: Header=BB0_208 Depth=2
	s_or_b64 exec, exec, s[48:49]
	s_waitcnt lgkmcnt(0)
	s_barrier
	ds_read_u16 v3, v23 offset:3072
	v_add_u32_e32 v2, s62, v2
	v_cmp_le_i32_e32 vcc, s1, v2
	s_waitcnt lgkmcnt(0)
	s_barrier
	v_cmp_ne_u16_sdwa s[48:49], v3, v23 src0_sel:BYTE_0 src1_sel:DWORD
	s_or_b64 s[50:51], vcc, s[48:49]
	s_and_b64 s[50:51], exec, s[50:51]
	s_or_b64 s[44:45], s[50:51], s[44:45]
	s_andn2_b64 s[46:47], s[46:47], exec
	s_and_b64 s[48:49], s[48:49], exec
	s_or_b64 s[46:47], s[46:47], s[48:49]
	s_andn2_b64 exec, exec, s[44:45]
	s_cbranch_execz .LBB0_212
.LBB0_208:                              ;   Parent Loop BB0_8 Depth=1
                                        ; =>  This Inner Loop Header: Depth=2
	v_cmp_gt_i32_e32 vcc, s0, v2
	v_mov_b32_e32 v3, 0
	s_and_saveexec_b64 s[48:49], vcc
	s_cbranch_execz .LBB0_210
; %bb.209:                              ;   in Loop: Header=BB0_208 Depth=2
	ds_read_u8 v3, v2
.LBB0_210:                              ;   in Loop: Header=BB0_208 Depth=2
	s_or_b64 exec, exec, s[48:49]
	s_waitcnt lgkmcnt(0)
	v_and_b32_e32 v4, s17, v3
	v_cmp_eq_u32_sdwa s[48:49], v4, s81 src0_sel:BYTE_0 src1_sel:DWORD
	s_and_b64 s[50:51], vcc, s[48:49]
	s_and_saveexec_b64 s[48:49], s[50:51]
	s_cbranch_execz .LBB0_207
; %bb.211:                              ;   in Loop: Header=BB0_208 Depth=2
	v_lshlrev_b16_e32 v3, 8, v3
	v_or_b32_e32 v3, 1, v3
	ds_write_b16 v23, v3 offset:3072
	s_branch .LBB0_207
.LBB0_212:                              ;   in Loop: Header=BB0_8 Depth=1
	s_or_b64 exec, exec, s[44:45]
	v_lshrrev_b16_e32 v25, 8, v3
	s_and_b64 s[48:49], s[46:47], exec
.LBB0_213:                              ;   in Loop: Header=BB0_8 Depth=1
	s_or_b64 exec, exec, s[18:19]
	s_mov_b64 s[46:47], -1
	s_mov_b64 s[18:19], 0
	s_mov_b64 s[44:45], 0
.LBB0_214:                              ;   in Loop: Header=BB0_8 Depth=1
	s_mov_b64 s[52:53], 0
                                        ; implicit-def: $sgpr57
	s_and_saveexec_b64 s[50:51], s[48:49]
	s_cbranch_execz .LBB0_228
; %bb.215:                              ;   in Loop: Header=BB0_8 Depth=1
	s_xor_b64 s[0:1], s[42:43], -1
	s_andn2_b64 vcc, exec, s[0:1]
	s_mov_b32 s57, 1
	s_cbranch_vccnz .LBB0_222
; %bb.216:                              ;   in Loop: Header=BB0_8 Depth=1
	s_cmp_gt_i32 s56, s54
	s_cbranch_scc1 .LBB0_223
; %bb.217:                              ;   in Loop: Header=BB0_8 Depth=1
	ds_read_b32 v2, v23 offset:4096
	s_waitcnt lgkmcnt(0)
	v_cmp_ne_u32_e32 vcc, 0, v2
	s_cbranch_vccnz .LBB0_221
; %bb.218:                              ;   in Loop: Header=BB0_8 Depth=1
	s_mov_b64 s[42:43], exec
	v_readlane_b32 s0, v42, 4
	v_readlane_b32 s1, v42, 5
	s_and_b64 s[0:1], s[42:43], s[0:1]
	s_mov_b64 exec, s[0:1]
	s_cbranch_execz .LBB0_220
; %bb.219:                              ;   in Loop: Header=BB0_8 Depth=1
	v_mov_b32_e32 v2, s54
	ds_write_b32 v23, v2 offset:4100
.LBB0_220:                              ;   in Loop: Header=BB0_8 Depth=1
	s_or_b64 exec, exec, s[42:43]
	s_waitcnt lgkmcnt(0)
	s_barrier
.LBB0_221:                              ;   in Loop: Header=BB0_8 Depth=1
	s_or_b32 s0, s81, s55
	s_or_b32 s1, s17, s55
	s_mov_b64 s[42:43], 0
	s_mov_b32 s57, 8
	s_branch .LBB0_224
.LBB0_222:                              ;   in Loop: Header=BB0_8 Depth=1
	s_mov_b32 s56, 1
	s_branch .LBB0_227
.LBB0_223:                              ;   in Loop: Header=BB0_8 Depth=1
	s_mov_b64 s[42:43], -1
                                        ; implicit-def: $sgpr57
                                        ; implicit-def: $sgpr0
                                        ; implicit-def: $sgpr1
.LBB0_224:                              ;   in Loop: Header=BB0_8 Depth=1
	s_andn2_b64 vcc, exec, s[42:43]
	s_cbranch_vccnz .LBB0_226
; %bb.225:                              ;   in Loop: Header=BB0_8 Depth=1
	s_sub_i32 s56, s56, s54
	s_mov_b32 s57, 8
	s_mov_b32 s0, s81
	;; [unrolled: 1-line block ×3, first 2 shown]
.LBB0_226:                              ;   in Loop: Header=BB0_8 Depth=1
	s_mov_b32 s81, s0
	s_mov_b32 s17, s1
.LBB0_227:                              ;   in Loop: Header=BB0_8 Depth=1
	s_mov_b64 s[52:53], exec
.LBB0_228:                              ;   in Loop: Header=BB0_8 Depth=1
	s_or_b64 exec, exec, s[50:51]
.LBB0_229:                              ;   in Loop: Header=BB0_8 Depth=1
	s_andn2_b64 s[0:1], s[34:35], exec
	s_and_b64 s[18:19], s[18:19], exec
	s_or_b64 s[34:35], s[0:1], s[18:19]
	s_andn2_b64 s[0:1], s[38:39], exec
	s_and_b64 s[18:19], s[46:47], exec
	s_or_b64 s[38:39], s[0:1], s[18:19]
	;; [unrolled: 3-line block ×3, first 2 shown]
	s_and_b64 s[44:45], s[52:53], exec
	s_mov_b32 s49, s56
.LBB0_230:                              ;   in Loop: Header=BB0_8 Depth=1
	s_or_b64 exec, exec, s[40:41]
.LBB0_231:                              ;   in Loop: Header=BB0_8 Depth=1
	s_andn2_b64 s[0:1], s[26:27], exec
	s_and_b64 s[18:19], s[34:35], exec
	s_or_b64 s[26:27], s[0:1], s[18:19]
	s_andn2_b64 s[0:1], s[28:29], exec
	s_and_b64 s[18:19], s[38:39], exec
	s_or_b64 s[28:29], s[0:1], s[18:19]
	;; [unrolled: 3-line block ×3, first 2 shown]
	s_and_b64 s[36:37], s[44:45], exec
	s_mov_b32 s39, s49
.LBB0_232:                              ;   in Loop: Header=BB0_8 Depth=1
	s_or_b64 exec, exec, s[30:31]
	s_and_saveexec_b64 s[0:1], s[36:37]
	s_xor_b64 s[18:19], exec, s[0:1]
	s_cbranch_execz .LBB0_6
.LBB0_233:                              ;   in Loop: Header=BB0_8 Depth=1
	s_and_b32 s0, s57, -9
	s_cmp_eq_u32 s0, 0
	s_cbranch_scc1 .LBB0_4
; %bb.234:                              ;   in Loop: Header=BB0_8 Depth=1
	s_mov_b64 s[22:23], -1
                                        ; implicit-def: $sgpr17
                                        ; implicit-def: $sgpr39
                                        ; implicit-def: $sgpr79
                                        ; implicit-def: $sgpr16
	s_mov_b64 s[30:31], -1
	s_branch .LBB0_5
.LBB0_235:
	s_or_b64 exec, exec, s[88:89]
	s_xor_b64 s[8:9], s[94:95], -1
	s_xor_b64 s[0:1], s[90:91], -1
	;; [unrolled: 1-line block ×3, first 2 shown]
	s_mov_b64 s[4:5], 0
	s_and_saveexec_b64 s[2:3], s[0:1]
	s_xor_b64 s[2:3], exec, s[2:3]
	s_cbranch_execnz .LBB0_240
; %bb.236:
	s_andn2_saveexec_b64 s[0:1], s[2:3]
	s_cbranch_execnz .LBB0_260
.LBB0_237:
	s_or_b64 exec, exec, s[0:1]
	s_and_saveexec_b64 s[0:1], s[4:5]
.LBB0_238:
	; divergent unreachable
.LBB0_239:
	s_endpgm
.LBB0_240:
	s_and_saveexec_b64 s[0:1], s[8:9]
	s_xor_b64 s[4:5], exec, s[0:1]
	s_cbranch_execz .LBB0_258
; %bb.241:
	s_and_saveexec_b64 s[0:1], s[6:7]
	s_xor_b64 s[6:7], exec, s[0:1]
; %bb.242:
	v_mov_b32_e32 v25, v2
; %bb.243:
	s_or_b64 exec, exec, s[6:7]
	s_mov_b64 s[6:7], exec
	v_readlane_b32 s0, v42, 4
	v_readlane_b32 s1, v42, 5
	s_and_b64 s[0:1], s[6:7], s[0:1]
	s_mov_b64 exec, s[0:1]
	s_cbranch_execz .LBB0_245
; %bb.244:
	v_mov_b32_e32 v1, 0
	v_mov_b32_e32 v2, s60
	ds_write_b32 v1, v2 offset:4108
.LBB0_245:
	s_or_b64 exec, exec, s[6:7]
	v_mov_b32_e32 v1, 0
	s_waitcnt lgkmcnt(0)
	s_barrier
	ds_read_b32 v1, v1 offset:4108
	s_waitcnt lgkmcnt(0)
	v_min_i32_e32 v2, s60, v1
	v_cmp_lt_i32_e32 vcc, v0, v2
	s_and_saveexec_b64 s[6:7], vcc
	s_cbranch_execz .LBB0_255
; %bb.246:
	s_mov_b64 s[8:9], 0
	v_mov_b32_e32 v3, s69
                                        ; implicit-def: $sgpr10_sgpr11
                                        ; implicit-def: $sgpr14_sgpr15
                                        ; implicit-def: $sgpr12_sgpr13
	s_branch .LBB0_248
.LBB0_247:                              ;   in Loop: Header=BB0_248 Depth=1
	s_or_b64 exec, exec, s[16:17]
	s_and_b64 s[0:1], exec, s[14:15]
	s_or_b64 s[8:9], s[0:1], s[8:9]
	s_andn2_b64 s[0:1], s[10:11], exec
	s_and_b64 s[10:11], s[12:13], exec
	s_or_b64 s[10:11], s[0:1], s[10:11]
	s_andn2_b64 exec, exec, s[8:9]
	s_cbranch_execz .LBB0_250
.LBB0_248:                              ; =>This Inner Loop Header: Depth=1
	v_ashrrev_i32_e32 v1, 31, v9
	v_add_co_u32_e32 v4, vcc, s68, v9
	v_addc_co_u32_e32 v5, vcc, v3, v1, vcc
	global_load_ubyte v4, v[4:5], off
	v_mov_b32_e32 v1, v0
	s_or_b64 s[12:13], s[12:13], exec
	s_or_b64 s[14:15], s[14:15], exec
                                        ; implicit-def: $vgpr0
	s_waitcnt vmcnt(0)
	v_cmp_ne_u16_sdwa s[0:1], v4, v25 src0_sel:DWORD src1_sel:BYTE_0
	s_and_saveexec_b64 s[16:17], s[0:1]
	s_cbranch_execz .LBB0_247
; %bb.249:                              ;   in Loop: Header=BB0_248 Depth=1
	v_add_u32_e32 v0, s62, v1
	v_cmp_ge_i32_e32 vcc, v0, v2
	s_andn2_b64 s[0:1], s[14:15], exec
	s_and_b64 s[14:15], vcc, exec
	v_add_u32_e32 v9, s80, v9
	s_andn2_b64 s[12:13], s[12:13], exec
	s_or_b64 s[14:15], s[0:1], s[14:15]
	s_branch .LBB0_247
.LBB0_250:
	s_or_b64 exec, exec, s[8:9]
	s_and_saveexec_b64 s[0:1], s[10:11]
	s_xor_b64 s[0:1], exec, s[0:1]
	s_cbranch_execz .LBB0_255
; %bb.251:
	s_mov_b64 s[8:9], exec
	s_brev_b32 s0, -2
.LBB0_252:                              ; =>This Inner Loop Header: Depth=1
	s_ff1_i32_b64 s1, s[8:9]
	v_readlane_b32 s12, v1, s1
	s_lshl_b64 s[10:11], 1, s1
	s_min_i32 s0, s0, s12
	s_andn2_b64 s[8:9], s[8:9], s[10:11]
	s_cmp_lg_u64 s[8:9], 0
	s_cbranch_scc1 .LBB0_252
; %bb.253:
	v_mbcnt_lo_u32_b32 v0, exec_lo, 0
	v_mbcnt_hi_u32_b32 v0, exec_hi, v0
	v_cmp_eq_u32_e32 vcc, 0, v0
	s_and_saveexec_b64 s[8:9], vcc
	s_xor_b64 s[8:9], exec, s[8:9]
	s_cbranch_execz .LBB0_255
; %bb.254:
	v_mov_b32_e32 v0, 0
	v_mov_b32_e32 v1, s0
	ds_min_i32 v0, v1 offset:4108
.LBB0_255:
	s_or_b64 exec, exec, s[6:7]
	s_waitcnt lgkmcnt(0)
	s_barrier
	s_mov_b64 s[6:7], exec
	v_readlane_b32 s0, v42, 4
	v_readlane_b32 s1, v42, 5
	s_and_b64 s[0:1], s[6:7], s[0:1]
	s_mov_b64 exec, s[0:1]
	s_cbranch_execz .LBB0_257
; %bb.256:
	v_readlane_b32 s0, v42, 7
	v_readlane_b32 s8, v42, 8
	s_mul_i32 s1, s0, s8
	v_mov_b32_e32 v2, 0
	v_readlane_b32 s0, v42, 6
	s_ashr_i32 s9, s1, 31
	v_readlane_b32 s10, v42, 2
	ds_read_b32 v0, v2 offset:4108
	s_mul_i32 s0, s0, s8
	v_readlane_b32 s11, v42, 3
	s_add_u32 s8, s10, s1
	s_addc_u32 s9, s11, s9
	s_ashr_i32 s1, s0, 31
	s_lshl_b64 s[0:1], s[0:1], 3
	v_readlane_b32 s10, v42, 0
	v_readlane_b32 s11, v42, 1
	s_add_u32 s0, s10, s0
	s_addc_u32 s1, s11, s1
	s_waitcnt lgkmcnt(0)
	v_ashrrev_i32_e32 v1, 31, v0
	global_store_dwordx2 v2, v[0:1], s[0:1]
	global_store_byte v2, v25, s[8:9]
.LBB0_257:
	s_or_b64 exec, exec, s[6:7]
.LBB0_258:
	s_or_saveexec_b64 s[0:1], s[4:5]
	s_mov_b64 s[4:5], 0
	s_xor_b64 exec, exec, s[0:1]
	s_cbranch_execnz .LBB0_261
.LBB0_259:
	s_or_b64 exec, exec, s[0:1]
	s_and_b64 s[4:5], s[4:5], exec
	s_andn2_saveexec_b64 s[0:1], s[2:3]
	s_cbranch_execz .LBB0_237
.LBB0_260:
	s_or_b64 s[4:5], s[4:5], exec
	s_trap 2
	s_or_b64 exec, exec, s[0:1]
	s_and_saveexec_b64 s[0:1], s[4:5]
	s_cbranch_execnz .LBB0_238
	s_branch .LBB0_239
.LBB0_261:
	s_mov_b64 s[4:5], exec
	s_trap 2
	s_branch .LBB0_259
	.section	.rodata,"a",@progbits
	.p2align	6, 0x0
	.amdhsa_kernel _ZN2at6native12_GLOBAL__N_114gatherKthValueIhiLi1EEEvNS_4cuda6detail10TensorInfoIKT_T0_EES8_S8_S8_S8_NS5_IS6_S8_EENS5_IlS8_EE
		.amdhsa_group_segment_fixed_size 4112
		.amdhsa_private_segment_fixed_size 0
		.amdhsa_kernarg_size 920
		.amdhsa_user_sgpr_count 6
		.amdhsa_user_sgpr_private_segment_buffer 1
		.amdhsa_user_sgpr_dispatch_ptr 0
		.amdhsa_user_sgpr_queue_ptr 0
		.amdhsa_user_sgpr_kernarg_segment_ptr 1
		.amdhsa_user_sgpr_dispatch_id 0
		.amdhsa_user_sgpr_flat_scratch_init 0
		.amdhsa_user_sgpr_kernarg_preload_length 0
		.amdhsa_user_sgpr_kernarg_preload_offset 0
		.amdhsa_user_sgpr_private_segment_size 0
		.amdhsa_uses_dynamic_stack 0
		.amdhsa_system_sgpr_private_segment_wavefront_offset 0
		.amdhsa_system_sgpr_workgroup_id_x 1
		.amdhsa_system_sgpr_workgroup_id_y 1
		.amdhsa_system_sgpr_workgroup_id_z 1
		.amdhsa_system_sgpr_workgroup_info 0
		.amdhsa_system_vgpr_workitem_id 0
		.amdhsa_next_free_vgpr 43
		.amdhsa_next_free_sgpr 96
		.amdhsa_accum_offset 44
		.amdhsa_reserve_vcc 1
		.amdhsa_reserve_flat_scratch 0
		.amdhsa_float_round_mode_32 0
		.amdhsa_float_round_mode_16_64 0
		.amdhsa_float_denorm_mode_32 3
		.amdhsa_float_denorm_mode_16_64 3
		.amdhsa_dx10_clamp 1
		.amdhsa_ieee_mode 1
		.amdhsa_fp16_overflow 0
		.amdhsa_tg_split 0
		.amdhsa_exception_fp_ieee_invalid_op 0
		.amdhsa_exception_fp_denorm_src 0
		.amdhsa_exception_fp_ieee_div_zero 0
		.amdhsa_exception_fp_ieee_overflow 0
		.amdhsa_exception_fp_ieee_underflow 0
		.amdhsa_exception_fp_ieee_inexact 0
		.amdhsa_exception_int_div_zero 0
	.end_amdhsa_kernel
	.section	.text._ZN2at6native12_GLOBAL__N_114gatherKthValueIhiLi1EEEvNS_4cuda6detail10TensorInfoIKT_T0_EES8_S8_S8_S8_NS5_IS6_S8_EENS5_IlS8_EE,"axG",@progbits,_ZN2at6native12_GLOBAL__N_114gatherKthValueIhiLi1EEEvNS_4cuda6detail10TensorInfoIKT_T0_EES8_S8_S8_S8_NS5_IS6_S8_EENS5_IlS8_EE,comdat
.Lfunc_end0:
	.size	_ZN2at6native12_GLOBAL__N_114gatherKthValueIhiLi1EEEvNS_4cuda6detail10TensorInfoIKT_T0_EES8_S8_S8_S8_NS5_IS6_S8_EENS5_IlS8_EE, .Lfunc_end0-_ZN2at6native12_GLOBAL__N_114gatherKthValueIhiLi1EEEvNS_4cuda6detail10TensorInfoIKT_T0_EES8_S8_S8_S8_NS5_IS6_S8_EENS5_IlS8_EE
                                        ; -- End function
	.section	.AMDGPU.csdata,"",@progbits
; Kernel info:
; codeLenInByte = 9376
; NumSgprs: 100
; NumVgprs: 43
; NumAgprs: 0
; TotalNumVgprs: 43
; ScratchSize: 0
; MemoryBound: 0
; FloatMode: 240
; IeeeMode: 1
; LDSByteSize: 4112 bytes/workgroup (compile time only)
; SGPRBlocks: 12
; VGPRBlocks: 5
; NumSGPRsForWavesPerEU: 100
; NumVGPRsForWavesPerEU: 43
; AccumOffset: 44
; Occupancy: 8
; WaveLimiterHint : 1
; COMPUTE_PGM_RSRC2:SCRATCH_EN: 0
; COMPUTE_PGM_RSRC2:USER_SGPR: 6
; COMPUTE_PGM_RSRC2:TRAP_HANDLER: 0
; COMPUTE_PGM_RSRC2:TGID_X_EN: 1
; COMPUTE_PGM_RSRC2:TGID_Y_EN: 1
; COMPUTE_PGM_RSRC2:TGID_Z_EN: 1
; COMPUTE_PGM_RSRC2:TIDIG_COMP_CNT: 0
; COMPUTE_PGM_RSRC3_GFX90A:ACCUM_OFFSET: 10
; COMPUTE_PGM_RSRC3_GFX90A:TG_SPLIT: 0
	.section	.text._ZN2at6native12_GLOBAL__N_114gatherKthValueIhiLi2EEEvNS_4cuda6detail10TensorInfoIKT_T0_EES8_S8_S8_S8_NS5_IS6_S8_EENS5_IlS8_EE,"axG",@progbits,_ZN2at6native12_GLOBAL__N_114gatherKthValueIhiLi2EEEvNS_4cuda6detail10TensorInfoIKT_T0_EES8_S8_S8_S8_NS5_IS6_S8_EENS5_IlS8_EE,comdat
	.globl	_ZN2at6native12_GLOBAL__N_114gatherKthValueIhiLi2EEEvNS_4cuda6detail10TensorInfoIKT_T0_EES8_S8_S8_S8_NS5_IS6_S8_EENS5_IlS8_EE ; -- Begin function _ZN2at6native12_GLOBAL__N_114gatherKthValueIhiLi2EEEvNS_4cuda6detail10TensorInfoIKT_T0_EES8_S8_S8_S8_NS5_IS6_S8_EENS5_IlS8_EE
	.p2align	8
	.type	_ZN2at6native12_GLOBAL__N_114gatherKthValueIhiLi2EEEvNS_4cuda6detail10TensorInfoIKT_T0_EES8_S8_S8_S8_NS5_IS6_S8_EENS5_IlS8_EE,@function
_ZN2at6native12_GLOBAL__N_114gatherKthValueIhiLi2EEEvNS_4cuda6detail10TensorInfoIKT_T0_EES8_S8_S8_S8_NS5_IS6_S8_EENS5_IlS8_EE: ; @_ZN2at6native12_GLOBAL__N_114gatherKthValueIhiLi2EEEvNS_4cuda6detail10TensorInfoIKT_T0_EES8_S8_S8_S8_NS5_IS6_S8_EENS5_IlS8_EE
; %bb.0:
	s_load_dwordx2 s[12:13], s[4:5], 0x298
	s_load_dwordx4 s[60:63], s[4:5], 0xd8
	s_add_u32 s10, s4, 0x298
	s_addc_u32 s11, s5, 0
	s_waitcnt lgkmcnt(0)
	s_mul_i32 s0, s13, s8
	s_add_i32 s0, s0, s7
	s_mul_i32 s0, s0, s12
	s_add_i32 s20, s0, s6
	s_cmp_ge_i32 s20, s62
	s_cbranch_scc1 .LBB1_239
; %bb.1:
	s_load_dword s0, s[4:5], 0xc
	s_load_dwordx2 s[2:3], s[4:5], 0xe8
                                        ; implicit-def: $vgpr42 : SGPR spill to VGPR lane
                                        ; kill: killed $sgpr4 killed $sgpr5
	s_abs_i32 s18, s20
	s_ashr_i32 s17, s20, 31
	s_mov_b32 s74, 0
	s_waitcnt lgkmcnt(0)
	s_abs_i32 s1, s0
	v_writelane_b32 v42, s2, 0
	v_writelane_b32 v42, s3, 1
	s_load_dwordx2 s[8:9], s[4:5], 0x6c
	s_load_dwordx2 s[2:3], s[4:5], 0x0
	;; [unrolled: 1-line block ×3, first 2 shown]
	v_cvt_f32_u32_e32 v1, s1
	s_ashr_i32 s7, s0, 31
	s_load_dword s19, s[4:5], 0xf4
	s_waitcnt lgkmcnt(0)
	v_writelane_b32 v42, s14, 2
	v_writelane_b32 v42, s15, 3
	s_load_dword s16, s[4:5], 0x1cc
	s_load_dwordx2 s[14:15], s[4:5], 0x1c0
	v_rcp_iflag_f32_e32 v1, v1
	s_waitcnt lgkmcnt(0)
	v_writelane_b32 v42, s14, 4
	v_writelane_b32 v42, s15, 5
	s_load_dwordx2 s[14:15], s[4:5], 0x154
	v_mul_f32_e32 v1, 0x4f7ffffe, v1
	v_cvt_u32_f32_e32 v1, v1
	s_sub_i32 s4, 0, s1
	s_waitcnt lgkmcnt(0)
	v_writelane_b32 v42, s14, 6
	v_writelane_b32 v42, s15, 7
	s_abs_i32 s15, s19
	v_cvt_f32_u32_e32 v2, s15
	v_readfirstlane_b32 s5, v1
	s_abs_i32 s14, s16
	s_mul_i32 s4, s4, s5
	v_rcp_iflag_f32_e32 v1, v2
	v_cvt_f32_u32_e32 v2, s14
	s_mul_hi_u32 s4, s5, s4
	s_add_i32 s5, s5, s4
	v_mul_f32_e32 v1, 0x4f7ffffe, v1
	v_cvt_u32_f32_e32 v1, v1
	v_rcp_iflag_f32_e32 v2, v2
	s_mul_hi_u32 s13, s18, s5
	s_sub_i32 s4, 0, s15
	v_readfirstlane_b32 s5, v1
	v_mul_f32_e32 v1, 0x4f7ffffe, v2
	s_mul_i32 s4, s4, s5
	v_cvt_u32_f32_e32 v1, v1
	s_mul_hi_u32 s4, s5, s4
	s_add_i32 s5, s5, s4
	v_writelane_b32 v42, s15, 8
	s_mul_hi_u32 s4, s18, s5
	v_writelane_b32 v42, s4, 9
	s_sub_i32 s4, 0, s14
	v_readfirstlane_b32 s5, v1
	s_mul_i32 s4, s4, s5
	s_mul_hi_u32 s4, s5, s4
	s_add_i32 s5, s5, s4
	v_writelane_b32 v42, s14, 10
	s_mul_hi_u32 s4, s18, s5
	v_writelane_b32 v42, s4, 11
	v_cmp_eq_u32_e64 s[14:15], 0, v0
	s_mov_b64 s[4:5], exec
	v_writelane_b32 v42, s14, 12
	v_writelane_b32 v42, s15, 13
	s_and_b64 s[14:15], s[4:5], s[14:15]
	s_mov_b64 exec, s[14:15]
	s_cbranch_execz .LBB1_3
; %bb.2:
	v_mov_b32_e32 v2, 0
	v_mov_b32_e32 v3, s60
	;; [unrolled: 1-line block ×3, first 2 shown]
	ds_write_b96 v2, v[2:4] offset:4096
.LBB1_3:
	s_or_b64 exec, exec, s[4:5]
	v_writelane_b32 v42, s19, 14
	s_ashr_i32 s4, s19, 31
	v_writelane_b32 v42, s4, 15
	s_mul_i32 s5, s13, s1
	v_writelane_b32 v42, s16, 16
	s_ashr_i32 s4, s16, 31
	s_sub_i32 s5, s18, s5
	v_writelane_b32 v42, s4, 17
	s_xor_b32 s4, s17, s7
	s_add_i32 s7, s13, 1
	s_sub_i32 s14, s5, s1
	s_cmp_ge_u32 s5, s1
	s_cselect_b32 s7, s7, s13
	s_cselect_b32 s5, s14, s5
	s_add_i32 s13, s7, 1
	s_cmp_ge_u32 s5, s1
	s_cselect_b32 s1, s13, s7
	s_xor_b32 s1, s1, s4
	s_sub_i32 s1, s1, s4
	s_mul_i32 s0, s1, s0
	s_sub_i32 s0, s20, s0
	s_waitcnt lgkmcnt(0)
	s_barrier
	s_load_dword s4, s[10:11], 0xc
	s_mul_i32 s0, s0, s9
	s_mul_i32 s1, s1, s8
	s_add_i32 s1, s1, s0
	s_ashr_i32 s0, s1, 31
	s_add_u32 s72, s2, s1
	v_mbcnt_lo_u32_b32 v1, -1, 0
	s_addc_u32 s73, s3, s0
	s_waitcnt lgkmcnt(0)
	s_and_b32 s62, s4, 0xffff
	v_mbcnt_hi_u32_b32 v12, -1, v1
	v_writelane_b32 v42, s17, 18
	v_cmp_gt_u32_e32 vcc, 64, v0
	v_cmp_gt_i32_e64 s[2:3], 4, v12
	s_add_i32 s0, s62, -1
	v_writelane_b32 v42, s18, 19
	s_lshl_b32 s33, s62, 2
	s_bfe_u32 s7, s4, 0xa0006
	s_and_b64 s[76:77], vcc, s[2:3]
	s_add_i32 s9, s0, s60
	v_writelane_b32 v42, s20, 20
	s_cmpk_gt_i32 s60, 0xc00
	v_writelane_b32 v42, s0, 21
	s_cselect_b64 s[0:1], -1, 0
	v_writelane_b32 v42, s0, 22
	s_cmp_gt_u32 s62, 63
	v_writelane_b32 v42, s1, 23
	s_cselect_b64 s[0:1], -1, 0
	v_writelane_b32 v42, s0, 24
	s_cmp_lt_u32 s6, s12
	v_writelane_b32 v42, s1, 25
	s_cselect_b32 s0, 12, 18
	s_add_u32 s0, s10, s0
	s_addc_u32 s1, s11, 0
	v_writelane_b32 v42, s0, 26
	v_writelane_b32 v42, s1, 27
	s_add_i32 s0, s7, -2
	s_lshr_b32 s1, s0, 1
	s_add_i32 s1, s1, 1
	s_cmpk_gt_u32 s62, 0x7f
	s_cselect_b64 s[2:3], -1, 0
	v_writelane_b32 v42, s2, 28
	v_writelane_b32 v42, s3, 29
	v_cmp_gt_u32_e64 s[10:11], s60, v0
	v_lshlrev_b64 v[2:3], v12, -1
	v_writelane_b32 v42, s10, 30
	v_not_b32_e32 v8, v2
	v_cvt_f32_u32_e32 v2, s33
	v_writelane_b32 v42, s11, 31
	v_cmp_gt_i32_e64 s[10:11], s60, v0
	s_and_b32 s6, s7, 0x3fe
	s_and_b32 s8, s1, 7
	v_writelane_b32 v42, s10, 32
	s_cmp_gt_u32 s0, 13
	v_writelane_b32 v42, s11, 33
	s_cselect_b64 s[10:11], -1, 0
	v_writelane_b32 v42, s10, 34
	v_rcp_iflag_f32_e32 v2, v2
	v_writelane_b32 v42, s11, 35
	s_and_b32 s0, s1, -8
	v_writelane_b32 v42, s0, 36
	s_cmp_lg_u32 s8, 0
	v_writelane_b32 v42, s8, 37
	s_cselect_b64 s[0:1], -1, 0
	v_writelane_b32 v42, s0, 38
	v_mul_f32_e32 v2, 0x4f7ffffe, v2
	v_writelane_b32 v42, s1, 39
	v_cvt_u32_f32_e32 v2, v2
	v_writelane_b32 v42, s7, 40
	s_cmp_lg_u32 s6, s7
	v_writelane_b32 v42, s6, 41
	s_cselect_b64 s[0:1], -1, 0
	v_writelane_b32 v42, s0, 42
	v_writelane_b32 v42, s1, 43
	v_readfirstlane_b32 s1, v2
	v_cvt_f32_u32_e32 v2, s62
	s_sub_i32 s0, 0, s33
	s_mul_i32 s0, s0, s1
	s_mul_hi_u32 s0, s1, s0
	s_add_i32 s6, s1, s0
	v_rcp_iflag_f32_e32 v2, v2
	s_mul_hi_u32 s0, s60, s6
	s_mul_i32 s0, s0, s33
	s_sub_i32 s0, s60, s0
	s_sub_i32 s1, s0, s33
	v_mul_f32_e32 v2, 0x4f7ffffe, v2
	s_cmp_ge_u32 s0, s33
	v_cvt_u32_f32_e32 v2, v2
	s_cselect_b32 s0, s1, s0
	s_sub_i32 s1, s0, s33
	s_cmp_ge_u32 s0, s33
	s_cselect_b32 s0, s1, s0
	s_sub_i32 s16, 0, s62
	v_readfirstlane_b32 s17, v2
	s_mul_i32 s16, s16, s17
	s_mul_hi_u32 s16, s17, s16
	s_abs_i32 s8, s9
	s_add_i32 s16, s17, s16
	s_mov_b32 s81, s16
	s_mul_hi_u32 s16, s8, s16
	s_mul_i32 s16, s16, s62
	s_sub_i32 s8, s8, s16
	s_sub_i32 s7, s60, s0
	s_ashr_i32 s1, s9, 31
	s_sub_i32 s16, s8, s62
	s_cmp_ge_u32 s8, s62
	s_cselect_b32 s8, s16, s8
	s_sub_i32 s16, s8, s62
	s_cmp_ge_u32 s8, s62
	v_lshlrev_b32_e32 v13, 2, v0
	s_cselect_b32 s8, s16, s8
	v_mul_lo_u32 v9, v0, s63
	s_xor_b32 s8, s8, s1
	v_mul_lo_u32 v2, s63, v13
	v_mov_b32_e32 v1, s73
	v_add_co_u32_e32 v6, vcc, s72, v9
	s_sub_i32 s1, s1, s8
	v_add_u32_e32 v17, s63, v2
	v_or_b32_e32 v2, 2, v13
	v_addc_co_u32_e32 v7, vcc, 0, v1, vcc
	v_lshrrev_b32_e32 v1, 4, v0
	v_add_u32_e32 v16, s7, v0
	s_add_i32 s9, s9, s1
	v_mul_lo_u32 v18, s63, v2
	v_or_b32_e32 v2, 3, v13
	s_add_i32 s1, s62, s60
	v_and_b32_e32 v14, 60, v1
	v_not_b32_e32 v1, v3
	v_mul_lo_u32 v3, v16, s63
	v_cmp_gt_i32_e64 s[16:17], s9, v0
	v_mul_lo_u32 v19, s63, v2
	v_add_u32_e32 v2, s1, v0
	v_lshlrev_b32_e32 v4, 2, v12
	v_ashrrev_i32_e32 v5, 31, v3
	v_mov_b32_e32 v11, s73
	v_add_co_u32_e32 v10, vcc, s72, v3
	v_writelane_b32 v42, s16, 44
	s_mul_i32 s84, s63, s62
	v_subrev_u32_e32 v2, s0, v2
	v_cmp_eq_u32_e64 s[2:3], 0, v12
	v_cmp_gt_u32_e64 s[4:5], 2, v0
	v_and_b32_e32 v15, 0x100, v4
	v_cmp_gt_i32_e64 s[10:11], s7, v13
	v_cmp_gt_u32_e64 s[12:13], s60, v16
	v_addc_co_u32_e32 v11, vcc, v11, v5, vcc
	v_cmp_gt_i32_e64 s[14:15], s60, v16
	v_writelane_b32 v42, s17, 45
	s_lshl_b32 s82, s84, 2
	v_lshlrev_b32_e32 v20, 2, v9
	v_mul_lo_u32 v21, s63, v2
	v_or_b32_e32 v22, 0xc00, v4
	s_mov_b32 s83, 6
	s_mov_b64 s[92:93], 0
	v_mov_b32_e32 v23, 0
	v_mov_b32_e32 v24, 0xc00
	;; [unrolled: 1-line block ×3, first 2 shown]
	s_mov_b32 s16, 0
	s_mov_b32 s85, 0
	;; [unrolled: 1-line block ×3, first 2 shown]
                                        ; implicit-def: $sgpr94_sgpr95
                                        ; implicit-def: $sgpr66_sgpr67
                                        ; implicit-def: $sgpr64_sgpr65
                                        ; implicit-def: $sgpr68_sgpr69
                                        ; implicit-def: $sgpr70_sgpr71
                                        ; implicit-def: $sgpr86_sgpr87
	s_branch .LBB1_8
.LBB1_4:                                ;   in Loop: Header=BB1_8 Depth=1
	s_xor_b32 s16, s16, 1
	s_add_i32 s0, s83, -2
	s_cmp_eq_u32 s83, 0
	s_mov_b64 s[22:23], 0
	s_cselect_b64 s[30:31], -1, 0
	s_mov_b32 s83, s0
.LBB1_5:                                ;   in Loop: Header=BB1_8 Depth=1
	s_andn2_b64 s[0:1], s[26:27], exec
	s_and_b64 s[22:23], s[22:23], exec
	s_or_b64 s[26:27], s[0:1], s[22:23]
	s_andn2_b64 s[28:29], s[28:29], exec
	s_andn2_b64 s[24:25], s[24:25], exec
	s_orn2_b64 s[22:23], s[30:31], exec
	s_mov_b32 s61, s39
.LBB1_6:                                ;   in Loop: Header=BB1_8 Depth=1
	s_or_b64 exec, exec, s[18:19]
	s_andn2_b64 s[0:1], s[86:87], exec
	s_and_b64 s[18:19], s[26:27], exec
	s_or_b64 s[86:87], s[0:1], s[18:19]
	s_andn2_b64 s[0:1], s[70:71], exec
	s_and_b64 s[18:19], s[28:29], exec
	s_or_b64 s[70:71], s[0:1], s[18:19]
	;; [unrolled: 3-line block ×3, first 2 shown]
	s_orn2_b64 s[22:23], s[22:23], exec
.LBB1_7:                                ;   in Loop: Header=BB1_8 Depth=1
	s_or_b64 exec, exec, s[20:21]
	s_and_b64 s[0:1], exec, s[22:23]
	s_or_b64 s[92:93], s[0:1], s[92:93]
	s_andn2_b64 s[0:1], s[64:65], exec
	s_and_b64 s[18:19], s[86:87], exec
	s_or_b64 s[64:65], s[0:1], s[18:19]
	s_andn2_b64 s[0:1], s[66:67], exec
	s_and_b64 s[18:19], s[70:71], exec
	s_or_b64 s[66:67], s[0:1], s[18:19]
	s_andn2_b64 s[0:1], s[94:95], exec
	s_and_b64 s[18:19], s[68:69], exec
	v_mov_b32_e32 v2, s85
	s_or_b64 s[94:95], s[0:1], s[18:19]
	s_andn2_b64 exec, exec, s[92:93]
	s_cbranch_execz .LBB1_235
.LBB1_8:                                ; =>This Loop Header: Depth=1
                                        ;     Child Loop BB1_13 Depth 2
                                        ;     Child Loop BB1_32 Depth 2
	;; [unrolled: 1-line block ×17, first 2 shown]
	ds_read_b64 v[2:3], v23 offset:4096
	s_waitcnt lgkmcnt(0)
	v_readfirstlane_b32 s75, v2
	s_cmp_gt_i32 s75, 0
	s_cbranch_scc1 .LBB1_39
; %bb.9:                                ;   in Loop: Header=BB1_8 Depth=1
	v_readlane_b32 s0, v42, 22
	v_readlane_b32 s1, v42, 23
	s_and_b64 vcc, exec, s[0:1]
	s_cbranch_vccz .LBB1_21
; %bb.10:                               ;   in Loop: Header=BB1_8 Depth=1
	s_movk_i32 s0, 0xc01
	v_cmp_gt_i32_e32 vcc, s0, v3
	s_mov_b64 s[18:19], 0
	s_mov_b64 s[20:21], 0
	s_cbranch_vccz .LBB1_26
; %bb.11:                               ;   in Loop: Header=BB1_8 Depth=1
	v_readlane_b32 s0, v42, 26
	v_readlane_b32 s1, v42, 27
	s_nop 4
	global_load_ushort v2, v23, s[0:1]
	global_load_ubyte v5, v[6:7], off
	v_mov_b32_e32 v26, v0
	s_waitcnt vmcnt(1)
	v_add_u32_e32 v4, v0, v2
	v_mul_lo_u32 v3, s63, v2
	v_mul_lo_u32 v4, s63, v4
	s_branch .LBB1_13
.LBB1_12:                               ;   in Loop: Header=BB1_13 Depth=2
	s_or_b64 exec, exec, s[24:25]
	v_cmp_le_i32_e32 vcc, s60, v26
	v_add_u32_e32 v4, v4, v3
	s_or_b64 s[20:21], vcc, s[20:21]
	v_mov_b32_e32 v5, v27
	s_andn2_b64 exec, exec, s[20:21]
	s_cbranch_execz .LBB1_22
.LBB1_13:                               ;   Parent Loop BB1_8 Depth=1
                                        ; =>  This Inner Loop Header: Depth=2
	v_add_u32_e32 v26, v26, v2
	v_cmp_gt_u32_e32 vcc, s60, v26
	s_waitcnt lgkmcnt(0)
	v_mov_b32_e32 v28, 0
	v_mov_b32_e32 v27, 0
	s_and_saveexec_b64 s[22:23], vcc
	s_cbranch_execz .LBB1_15
; %bb.14:                               ;   in Loop: Header=BB1_13 Depth=2
	global_load_ubyte v27, v4, s[72:73]
.LBB1_15:                               ;   in Loop: Header=BB1_13 Depth=2
	s_or_b64 exec, exec, s[22:23]
	s_waitcnt vmcnt(0)
	v_and_b32_e32 v29, s17, v5
	v_cmp_eq_u32_sdwa s[22:23], v29, s85 src0_sel:BYTE_0 src1_sel:DWORD
	s_cmp_lg_u64 s[22:23], 0
	s_cselect_b64 s[0:1], -1, 0
	s_and_b64 s[0:1], s[2:3], s[0:1]
	s_and_saveexec_b64 s[24:25], s[0:1]
	s_cbranch_execz .LBB1_19
; %bb.16:                               ;   in Loop: Header=BB1_13 Depth=2
	s_mov_b64 s[28:29], exec
	v_mbcnt_lo_u32_b32 v28, s28, 0
	v_mbcnt_hi_u32_b32 v28, s29, v28
	s_bcnt1_i32_b64 s0, s[22:23]
	v_cmp_eq_u32_e32 vcc, 0, v28
                                        ; implicit-def: $vgpr29
	s_and_saveexec_b64 s[26:27], vcc
	s_cbranch_execz .LBB1_18
; %bb.17:                               ;   in Loop: Header=BB1_13 Depth=2
	s_bcnt1_i32_b64 s1, s[28:29]
	s_mul_i32 s1, s0, s1
	v_mov_b32_e32 v29, s1
	ds_add_rtn_u32 v29, v23, v29 offset:4104
.LBB1_18:                               ;   in Loop: Header=BB1_13 Depth=2
	s_or_b64 exec, exec, s[26:27]
	s_waitcnt lgkmcnt(0)
	v_readfirstlane_b32 s1, v29
	v_mov_b32_e32 v29, s1
	v_mad_u32_u24 v28, s0, v28, v29
.LBB1_19:                               ;   in Loop: Header=BB1_13 Depth=2
	s_or_b64 exec, exec, s[24:25]
	ds_bpermute_b32 v28, v15, v28
	s_and_saveexec_b64 s[24:25], s[22:23]
	s_cbranch_execz .LBB1_12
; %bb.20:                               ;   in Loop: Header=BB1_13 Depth=2
	v_and_b32_e32 v30, s22, v8
	v_and_b32_e32 v29, s23, v1
	v_bcnt_u32_b32 v30, v30, 0
	v_bcnt_u32_b32 v29, v29, v30
	s_waitcnt lgkmcnt(0)
	v_add_u32_e32 v28, v28, v29
	ds_write_b8 v28, v5
	s_branch .LBB1_12
.LBB1_21:                               ;   in Loop: Header=BB1_8 Depth=1
	s_mov_b64 s[18:19], -1
	s_mov_b64 s[20:21], 0
	s_branch .LBB1_25
.LBB1_22:                               ;   in Loop: Header=BB1_8 Depth=1
	s_or_b64 exec, exec, s[20:21]
	s_waitcnt lgkmcnt(0)
	s_barrier
	s_mov_b64 s[20:21], exec
	v_readlane_b32 s0, v42, 12
	v_readlane_b32 s1, v42, 13
	s_and_b64 s[0:1], s[20:21], s[0:1]
	s_mov_b64 exec, s[0:1]
	s_cbranch_execz .LBB1_24
; %bb.23:                               ;   in Loop: Header=BB1_8 Depth=1
	ds_read_b32 v2, v23 offset:4104
	s_waitcnt lgkmcnt(0)
	ds_write_b32 v23, v2 offset:4096
.LBB1_24:                               ;   in Loop: Header=BB1_8 Depth=1
	s_or_b64 exec, exec, s[20:21]
	s_waitcnt lgkmcnt(0)
	s_barrier
	s_mov_b64 s[20:21], -1
.LBB1_25:                               ;   in Loop: Header=BB1_8 Depth=1
                                        ; implicit-def: $sgpr75
.LBB1_26:                               ;   in Loop: Header=BB1_8 Depth=1
	s_and_b64 vcc, exec, s[18:19]
	s_cbranch_vccz .LBB1_37
; %bb.27:                               ;   in Loop: Header=BB1_8 Depth=1
	v_mov_b32_e32 v2, 0
	s_mov_b64 s[18:19], exec
	v_readlane_b32 s0, v42, 30
	v_readlane_b32 s1, v42, 31
	s_and_b64 s[0:1], s[18:19], s[0:1]
	s_mov_b64 exec, s[0:1]
	s_cbranch_execz .LBB1_29
; %bb.28:                               ;   in Loop: Header=BB1_8 Depth=1
	global_load_ubyte v2, v[6:7], off
.LBB1_29:                               ;   in Loop: Header=BB1_8 Depth=1
	s_or_b64 exec, exec, s[18:19]
	s_mov_b64 s[18:19], exec
	v_readlane_b32 s0, v42, 32
	v_readlane_b32 s1, v42, 33
	s_and_b64 s[0:1], s[18:19], s[0:1]
	s_mov_b64 exec, s[0:1]
	s_cbranch_execz .LBB1_34
; %bb.30:                               ;   in Loop: Header=BB1_8 Depth=1
	v_readlane_b32 s0, v42, 26
	v_readlane_b32 s1, v42, 27
	s_mov_b64 s[20:21], 0
	v_mov_b32_e32 v26, v0
	s_nop 2
	global_load_ushort v3, v23, s[0:1]
	s_waitcnt vmcnt(0)
	v_add_u32_e32 v5, v0, v3
	v_mul_lo_u32 v4, s63, v3
	v_mul_lo_u32 v5, s63, v5
	s_branch .LBB1_32
.LBB1_31:                               ;   in Loop: Header=BB1_32 Depth=2
	s_or_b64 exec, exec, s[22:23]
	v_cmp_le_i32_e32 vcc, s60, v27
	ds_write_b8 v26, v2
	v_add_u32_e32 v5, v5, v4
	s_or_b64 s[20:21], vcc, s[20:21]
	s_waitcnt vmcnt(0)
	v_mov_b32_e32 v2, v28
	v_mov_b32_e32 v26, v27
	s_andn2_b64 exec, exec, s[20:21]
	s_cbranch_execz .LBB1_34
.LBB1_32:                               ;   Parent Loop BB1_8 Depth=1
                                        ; =>  This Inner Loop Header: Depth=2
	v_add_u32_e32 v27, v26, v3
	v_cmp_gt_u32_e32 vcc, s60, v27
	v_mov_b32_e32 v28, 0
	s_and_saveexec_b64 s[22:23], vcc
	s_cbranch_execz .LBB1_31
; %bb.33:                               ;   in Loop: Header=BB1_32 Depth=2
	global_load_ubyte v28, v5, s[72:73]
	s_branch .LBB1_31
.LBB1_34:                               ;   in Loop: Header=BB1_8 Depth=1
	s_or_b64 exec, exec, s[18:19]
	s_waitcnt lgkmcnt(0)
	s_barrier
	s_mov_b64 s[18:19], exec
	v_readlane_b32 s0, v42, 12
	v_readlane_b32 s1, v42, 13
	s_and_b64 s[0:1], s[18:19], s[0:1]
	s_mov_b64 exec, s[0:1]
	s_cbranch_execz .LBB1_36
; %bb.35:                               ;   in Loop: Header=BB1_8 Depth=1
	s_waitcnt vmcnt(0)
	v_mov_b32_e32 v2, s60
	ds_write_b32 v23, v2 offset:4096
.LBB1_36:                               ;   in Loop: Header=BB1_8 Depth=1
	s_or_b64 exec, exec, s[18:19]
	s_mov_b64 s[20:21], -1
	s_waitcnt lgkmcnt(0)
	s_barrier
                                        ; implicit-def: $sgpr75
.LBB1_37:                               ;   in Loop: Header=BB1_8 Depth=1
	s_and_b64 vcc, exec, s[20:21]
	s_cbranch_vccz .LBB1_39
; %bb.38:                               ;   in Loop: Header=BB1_8 Depth=1
	s_waitcnt vmcnt(0)
	ds_read_b32 v2, v23 offset:4096
	s_waitcnt lgkmcnt(0)
	v_readfirstlane_b32 s75, v2
.LBB1_39:                               ;   in Loop: Header=BB1_8 Depth=1
	s_cmp_lt_i32 s75, 1
	s_cbranch_scc0 .LBB1_43
; %bb.40:                               ;   in Loop: Header=BB1_8 Depth=1
	s_waitcnt vmcnt(0)
	v_mov_b32_e32 v2, 0
	s_mov_b32 s8, 0
	v_mov_b32_e32 v3, 0
	v_mov_b32_e32 v4, v2
	;; [unrolled: 1-line block ×3, first 2 shown]
	s_and_saveexec_b64 s[88:89], s[10:11]
	s_cbranch_execnz .LBB1_44
; %bb.41:                               ;   in Loop: Header=BB1_8 Depth=1
	s_or_b64 exec, exec, s[88:89]
	v_mov_b32_e32 v28, 0
	s_and_saveexec_b64 s[18:19], s[12:13]
	s_cbranch_execnz .LBB1_47
.LBB1_42:                               ;   in Loop: Header=BB1_8 Depth=1
	s_or_b64 exec, exec, s[18:19]
	s_and_saveexec_b64 s[20:21], s[14:15]
	s_cbranch_execnz .LBB1_48
	s_branch .LBB1_53
.LBB1_43:                               ;   in Loop: Header=BB1_8 Depth=1
                                        ; implicit-def: $vgpr5
	s_cbranch_execnz .LBB1_54
	s_branch .LBB1_63
.LBB1_44:                               ;   in Loop: Header=BB1_8 Depth=1
	s_and_b32 s0, s83, 0xfe
	s_mov_b64 s[90:91], 0
	s_mov_b32 s1, 0
	s_mov_b32 s78, 0
	;; [unrolled: 1-line block ×4, first 2 shown]
	v_mov_b32_e32 v26, v13
.LBB1_45:                               ;   Parent Loop BB1_8 Depth=1
                                        ; =>  This Inner Loop Header: Depth=2
	v_add_u32_e32 v3, s8, v20
	v_add_u32_e32 v2, s8, v17
	v_mov_b32_e32 v27, s73
	v_add_u32_e32 v4, s8, v18
	v_add_u32_e32 v5, s8, v19
	v_ashrrev_i32_e32 v29, 31, v3
	v_ashrrev_i32_e32 v32, 31, v2
	v_add_co_u32_e64 v2, s[18:19], s72, v2
	v_add_co_u32_e64 v30, s[24:25], s72, v3
	v_ashrrev_i32_e32 v33, 31, v4
	v_add_co_u32_e64 v4, s[20:21], s72, v4
	v_ashrrev_i32_e32 v34, 31, v5
	v_add_co_u32_e64 v28, s[22:23], s72, v5
	v_addc_co_u32_e64 v31, s[24:25], v27, v29, s[24:25]
	v_addc_co_u32_e64 v3, s[18:19], v27, v32, s[18:19]
	;; [unrolled: 1-line block ×4, first 2 shown]
	global_load_ubyte v27, v[30:31], off
	s_nop 0
	global_load_ubyte v2, v[2:3], off
	s_nop 0
	;; [unrolled: 2-line block ×3, first 2 shown]
	global_load_ubyte v4, v[28:29], off
	v_add_u32_e32 v26, s33, v26
	s_add_i32 s8, s8, s82
	v_cmp_le_i32_e32 vcc, s7, v26
	s_waitcnt vmcnt(3)
	v_and_b32_e32 v5, s17, v27
	v_bfe_u32 v27, v27, s0, 2
	s_waitcnt vmcnt(2)
	v_and_b32_e32 v28, s17, v2
	v_bfe_u32 v2, v2, s0, 2
	v_cmp_eq_u32_e64 s[18:19], s85, v5
	v_cmp_eq_u32_e64 s[26:27], 0, v27
	s_waitcnt vmcnt(1)
	v_and_b32_e32 v29, s17, v3
	v_bfe_u32 v3, v3, s0, 2
	v_cmp_eq_u32_e64 s[20:21], s85, v28
	v_cmp_eq_u32_e64 s[28:29], 0, v2
	s_and_b64 s[26:27], s[18:19], s[26:27]
	s_waitcnt vmcnt(0)
	v_and_b32_e32 v30, s17, v4
	v_bfe_u32 v4, v4, s0, 2
	v_cmp_eq_u32_e64 s[22:23], s85, v29
	v_cmp_eq_u32_e64 s[30:31], 0, v3
	;; [unrolled: 1-line block ×5, first 2 shown]
	v_cndmask_b32_e64 v2, 0, 1, s[26:27]
	s_and_b64 s[26:27], s[20:21], s[28:29]
	v_cmp_eq_u32_e64 s[24:25], s85, v30
	v_cmp_eq_u32_e64 s[34:35], 0, v4
	v_cmp_eq_u32_e64 s[40:41], 1, v3
	v_cmp_eq_u32_e64 s[48:49], 2, v3
	v_cmp_eq_u32_e64 s[56:57], 3, v3
	v_cndmask_b32_e64 v3, 0, 1, s[26:27]
	s_and_b64 s[26:27], s[22:23], s[30:31]
	v_cmp_eq_u32_e64 s[36:37], 1, v27
	v_cmp_eq_u32_e64 s[42:43], 1, v4
	;; [unrolled: 1-line block ×4, first 2 shown]
	v_cndmask_b32_e64 v4, 0, 1, s[26:27]
	s_and_b64 s[26:27], s[24:25], s[34:35]
	v_cndmask_b32_e64 v5, 0, 1, s[26:27]
	s_and_b64 s[26:27], s[18:19], s[36:37]
	v_cmp_eq_u32_e64 s[44:45], 2, v27
	v_cmp_eq_u32_e64 s[52:53], 3, v27
	v_cndmask_b32_e64 v27, 0, 1, s[26:27]
	s_and_b64 s[26:27], s[20:21], s[38:39]
	v_cndmask_b32_e64 v28, 0, 1, s[26:27]
	s_and_b64 s[26:27], s[22:23], s[40:41]
	;; [unrolled: 2-line block ×4, first 2 shown]
	s_and_b64 s[18:19], s[18:19], s[52:53]
	v_cndmask_b32_e64 v31, 0, 1, s[26:27]
	s_and_b64 s[26:27], s[20:21], s[46:47]
	v_cndmask_b32_e64 v35, 0, 1, s[18:19]
	;; [unrolled: 2-line block ×7, first 2 shown]
	v_cndmask_b32_e64 v38, 0, 1, s[18:19]
	v_cmp_ne_u32_e64 s[18:19], 0, v2
	v_cmp_ne_u32_e64 s[20:21], 0, v3
	;; [unrolled: 1-line block ×11, first 2 shown]
	s_bcnt1_i32_b64 s18, s[18:19]
	s_bcnt1_i32_b64 s19, s[20:21]
	;; [unrolled: 1-line block ×8, first 2 shown]
	v_cmp_ne_u32_e64 s[34:35], 0, v30
	v_cmp_ne_u32_e64 s[40:41], 0, v33
	;; [unrolled: 1-line block ×3, first 2 shown]
	s_bcnt1_i32_b64 s23, s[28:29]
	s_bcnt1_i32_b64 s27, s[38:39]
	;; [unrolled: 1-line block ×3, first 2 shown]
	s_add_i32 s18, s80, s18
	s_add_i32 s22, s79, s22
	;; [unrolled: 1-line block ×4, first 2 shown]
	v_cmp_ne_u32_e64 s[42:43], 0, v34
	v_cmp_ne_u32_e64 s[50:51], 0, v38
	s_bcnt1_i32_b64 s25, s[34:35]
	s_bcnt1_i32_b64 s28, s[40:41]
	;; [unrolled: 1-line block ×3, first 2 shown]
	s_add_i32 s18, s18, s19
	s_add_i32 s19, s22, s23
	;; [unrolled: 1-line block ×4, first 2 shown]
	s_bcnt1_i32_b64 s29, s[42:43]
	s_bcnt1_i32_b64 s35, s[50:51]
	s_add_i32 s18, s18, s20
	s_add_i32 s19, s19, s24
	;; [unrolled: 1-line block ×8, first 2 shown]
	s_or_b64 s[90:91], vcc, s[90:91]
	v_mov_b32_e32 v2, s80
	v_mov_b32_e32 v3, s79
	;; [unrolled: 1-line block ×4, first 2 shown]
	s_andn2_b64 exec, exec, s[90:91]
	s_cbranch_execnz .LBB1_45
; %bb.46:                               ;   in Loop: Header=BB1_8 Depth=1
	s_or_b64 exec, exec, s[90:91]
	s_or_b64 exec, exec, s[88:89]
	v_mov_b32_e32 v28, 0
	s_and_saveexec_b64 s[18:19], s[12:13]
	s_cbranch_execz .LBB1_42
.LBB1_47:                               ;   in Loop: Header=BB1_8 Depth=1
	global_load_ubyte v28, v[10:11], off
	s_or_b64 exec, exec, s[18:19]
	s_and_saveexec_b64 s[20:21], s[14:15]
	s_cbranch_execz .LBB1_53
.LBB1_48:                               ;   in Loop: Header=BB1_8 Depth=1
	s_and_b32 s0, s83, 0xfe
	s_mov_b64 s[22:23], 0
	v_mov_b32_e32 v26, v21
	v_mov_b32_e32 v27, v16
	s_branch .LBB1_50
.LBB1_49:                               ;   in Loop: Header=BB1_50 Depth=2
	s_or_b64 exec, exec, s[18:19]
	s_waitcnt vmcnt(0)
	v_and_b32_e32 v28, 0xff, v28
	v_and_b32_e32 v30, s17, v28
	v_bfe_u32 v28, v28, s0, 2
	v_cmp_eq_u32_e32 vcc, s85, v30
	v_cmp_eq_u32_e64 s[18:19], 0, v28
	s_and_b64 s[18:19], vcc, s[18:19]
	v_cndmask_b32_e64 v30, 0, 1, s[18:19]
	v_cmp_ne_u32_e64 s[18:19], 0, v30
	s_bcnt1_i32_b64 s1, s[18:19]
	v_cmp_eq_u32_e64 s[18:19], 1, v28
	s_and_b64 s[18:19], vcc, s[18:19]
	v_cndmask_b32_e64 v30, 0, 1, s[18:19]
	v_cmp_ne_u32_e64 s[18:19], 0, v30
	v_add_u32_e32 v2, s1, v2
	s_bcnt1_i32_b64 s1, s[18:19]
	v_cmp_eq_u32_e64 s[18:19], 2, v28
	s_and_b64 s[18:19], vcc, s[18:19]
	v_cndmask_b32_e64 v30, 0, 1, s[18:19]
	v_cmp_ne_u32_e64 s[18:19], 0, v30
	v_add_u32_e32 v3, s1, v3
	s_bcnt1_i32_b64 s1, s[18:19]
	v_cmp_eq_u32_e64 s[18:19], 3, v28
	s_and_b64 s[18:19], vcc, s[18:19]
	v_cndmask_b32_e64 v28, 0, 1, s[18:19]
	v_cmp_ne_u32_e32 vcc, 0, v28
	v_add_u32_e32 v4, s1, v4
	s_bcnt1_i32_b64 s1, vcc
	v_cmp_le_i32_e32 vcc, s60, v27
	v_add_u32_e32 v5, s1, v5
	v_add_u32_e32 v26, s84, v26
	s_or_b64 s[22:23], vcc, s[22:23]
	v_mov_b32_e32 v28, v29
	s_andn2_b64 exec, exec, s[22:23]
	s_cbranch_execz .LBB1_52
.LBB1_50:                               ;   Parent Loop BB1_8 Depth=1
                                        ; =>  This Inner Loop Header: Depth=2
	v_add_u32_e32 v27, s62, v27
	v_cmp_gt_u32_e32 vcc, s60, v27
	v_mov_b32_e32 v29, 0
	s_and_saveexec_b64 s[18:19], vcc
	s_cbranch_execz .LBB1_49
; %bb.51:                               ;   in Loop: Header=BB1_50 Depth=2
	v_ashrrev_i32_e32 v29, 31, v26
	v_mov_b32_e32 v31, s73
	v_add_co_u32_e32 v30, vcc, s72, v26
	v_addc_co_u32_e32 v31, vcc, v31, v29, vcc
	global_load_ubyte v29, v[30:31], off
	s_branch .LBB1_49
.LBB1_52:                               ;   in Loop: Header=BB1_8 Depth=1
	s_or_b64 exec, exec, s[22:23]
.LBB1_53:                               ;   in Loop: Header=BB1_8 Depth=1
	s_or_b64 exec, exec, s[20:21]
	s_branch .LBB1_63
.LBB1_54:                               ;   in Loop: Header=BB1_8 Depth=1
	s_mul_hi_u32 s0, s75, s6
	s_mul_i32 s0, s0, s33
	s_sub_i32 s0, s75, s0
	s_sub_i32 s1, s0, s33
	s_cmp_ge_u32 s0, s33
	s_cselect_b32 s0, s1, s0
	s_sub_i32 s1, s0, s33
	s_cmp_ge_u32 s0, s33
	s_cselect_b32 s0, s1, s0
	s_sub_i32 s0, s75, s0
	v_cmp_gt_u32_e32 vcc, s0, v13
	s_mov_b32 s8, 0
	s_waitcnt vmcnt(0)
	v_mov_b32_e32 v2, 0
	v_mov_b32_e32 v3, 0
	;; [unrolled: 1-line block ×4, first 2 shown]
	s_and_saveexec_b64 s[88:89], vcc
	s_cbranch_execz .LBB1_58
; %bb.55:                               ;   in Loop: Header=BB1_8 Depth=1
	s_and_b32 s1, s83, 0xfe
	s_mov_b64 s[90:91], 0
	s_mov_b32 s78, 0
	s_mov_b32 s79, 0
	;; [unrolled: 1-line block ×3, first 2 shown]
	v_mov_b32_e32 v26, v13
.LBB1_56:                               ;   Parent Loop BB1_8 Depth=1
                                        ; =>  This Inner Loop Header: Depth=2
	ds_read_b32 v2, v26
	v_add_u32_e32 v26, s33, v26
	v_cmp_le_i32_e32 vcc, s0, v26
	s_waitcnt lgkmcnt(0)
	v_and_b32_e32 v4, 0xff, v2
	v_bfe_u32 v5, v2, 8, 8
	v_and_b32_e32 v27, s17, v4
	v_bfe_u32 v4, v4, s1, 2
	v_lshrrev_b32_e32 v3, 24, v2
	v_bfe_u32 v2, v2, 16, 8
	v_and_b32_e32 v28, s17, v5
	v_bfe_u32 v5, v5, s1, 2
	v_cmp_eq_u32_e64 s[18:19], s85, v27
	v_cmp_eq_u32_e64 s[26:27], 0, v4
	v_and_b32_e32 v29, s17, v2
	v_bfe_u32 v2, v2, s1, 2
	v_cmp_eq_u32_e64 s[20:21], s85, v28
	v_cmp_eq_u32_e64 s[28:29], 0, v5
	s_and_b64 s[26:27], s[18:19], s[26:27]
	v_and_b32_e32 v30, s17, v3
	v_bfe_u32 v3, v3, s1, 2
	v_cmp_eq_u32_e64 s[22:23], s85, v29
	v_cmp_eq_u32_e64 s[30:31], 0, v2
	;; [unrolled: 1-line block ×5, first 2 shown]
	v_cndmask_b32_e64 v2, 0, 1, s[26:27]
	s_and_b64 s[26:27], s[20:21], s[28:29]
	v_cmp_eq_u32_e64 s[24:25], s85, v30
	v_cmp_eq_u32_e64 s[34:35], 0, v3
	;; [unrolled: 1-line block ×5, first 2 shown]
	v_cndmask_b32_e64 v3, 0, 1, s[26:27]
	s_and_b64 s[26:27], s[22:23], s[30:31]
	v_cmp_eq_u32_e64 s[36:37], 1, v4
	v_cmp_eq_u32_e64 s[44:45], 2, v4
	;; [unrolled: 1-line block ×3, first 2 shown]
	v_cndmask_b32_e64 v4, 0, 1, s[26:27]
	s_and_b64 s[26:27], s[24:25], s[34:35]
	v_cmp_eq_u32_e64 s[38:39], 1, v5
	v_cmp_eq_u32_e64 s[46:47], 2, v5
	;; [unrolled: 1-line block ×3, first 2 shown]
	v_cndmask_b32_e64 v5, 0, 1, s[26:27]
	s_and_b64 s[26:27], s[18:19], s[36:37]
	v_cndmask_b32_e64 v27, 0, 1, s[26:27]
	s_and_b64 s[26:27], s[20:21], s[38:39]
	;; [unrolled: 2-line block ×5, first 2 shown]
	s_and_b64 s[18:19], s[18:19], s[52:53]
	v_cndmask_b32_e64 v31, 0, 1, s[26:27]
	s_and_b64 s[26:27], s[20:21], s[46:47]
	v_cndmask_b32_e64 v35, 0, 1, s[18:19]
	;; [unrolled: 2-line block ×7, first 2 shown]
	v_cndmask_b32_e64 v38, 0, 1, s[18:19]
	v_cmp_ne_u32_e64 s[18:19], 0, v2
	v_cmp_ne_u32_e64 s[20:21], 0, v3
	;; [unrolled: 1-line block ×11, first 2 shown]
	s_bcnt1_i32_b64 s18, s[18:19]
	s_bcnt1_i32_b64 s19, s[20:21]
	;; [unrolled: 1-line block ×8, first 2 shown]
	v_cmp_ne_u32_e64 s[34:35], 0, v30
	v_cmp_ne_u32_e64 s[40:41], 0, v33
	;; [unrolled: 1-line block ×3, first 2 shown]
	s_bcnt1_i32_b64 s23, s[28:29]
	s_bcnt1_i32_b64 s27, s[38:39]
	;; [unrolled: 1-line block ×3, first 2 shown]
	s_add_i32 s18, s80, s18
	s_add_i32 s22, s79, s22
	;; [unrolled: 1-line block ×4, first 2 shown]
	v_cmp_ne_u32_e64 s[42:43], 0, v34
	v_cmp_ne_u32_e64 s[50:51], 0, v38
	s_bcnt1_i32_b64 s25, s[34:35]
	s_bcnt1_i32_b64 s28, s[40:41]
	;; [unrolled: 1-line block ×3, first 2 shown]
	s_add_i32 s18, s18, s19
	s_add_i32 s19, s22, s23
	;; [unrolled: 1-line block ×4, first 2 shown]
	s_bcnt1_i32_b64 s29, s[42:43]
	s_bcnt1_i32_b64 s35, s[50:51]
	s_add_i32 s18, s18, s20
	s_add_i32 s19, s19, s24
	;; [unrolled: 1-line block ×8, first 2 shown]
	s_or_b64 s[90:91], vcc, s[90:91]
	v_mov_b32_e32 v2, s80
	v_mov_b32_e32 v3, s79
	;; [unrolled: 1-line block ×4, first 2 shown]
	s_andn2_b64 exec, exec, s[90:91]
	s_cbranch_execnz .LBB1_56
; %bb.57:                               ;   in Loop: Header=BB1_8 Depth=1
	s_or_b64 exec, exec, s[90:91]
.LBB1_58:                               ;   in Loop: Header=BB1_8 Depth=1
	s_or_b64 exec, exec, s[88:89]
	v_add_u32_e32 v26, s0, v0
	v_cmp_gt_i32_e32 vcc, s75, v26
	s_and_saveexec_b64 s[28:29], vcc
	s_cbranch_execz .LBB1_62
; %bb.59:                               ;   in Loop: Header=BB1_8 Depth=1
	s_and_b32 s0, s83, 0xfe
	s_mov_b64 s[30:31], 0
.LBB1_60:                               ;   Parent Loop BB1_8 Depth=1
                                        ; =>  This Inner Loop Header: Depth=2
	ds_read_u8 v27, v26
	v_add_u32_e32 v26, s62, v26
	v_cmp_le_i32_e32 vcc, s75, v26
	s_waitcnt lgkmcnt(0)
	v_and_b32_e32 v28, s17, v27
	v_bfe_u32 v27, v27, s0, 2
	v_cmp_eq_u32_e64 s[18:19], s85, v28
	v_cmp_eq_u32_e64 s[20:21], 0, v27
	;; [unrolled: 1-line block ×3, first 2 shown]
	s_and_b64 s[20:21], s[18:19], s[20:21]
	v_cmp_eq_u32_e64 s[24:25], 2, v27
	v_cmp_eq_u32_e64 s[26:27], 3, v27
	v_cndmask_b32_e64 v27, 0, 1, s[20:21]
	s_and_b64 s[20:21], s[18:19], s[22:23]
	v_cndmask_b32_e64 v28, 0, 1, s[20:21]
	s_and_b64 s[20:21], s[18:19], s[24:25]
	s_and_b64 s[18:19], s[18:19], s[26:27]
	v_cndmask_b32_e64 v29, 0, 1, s[20:21]
	v_cndmask_b32_e64 v30, 0, 1, s[18:19]
	v_cmp_ne_u32_e64 s[18:19], 0, v27
	v_cmp_ne_u32_e64 s[20:21], 0, v28
	;; [unrolled: 1-line block ×4, first 2 shown]
	s_bcnt1_i32_b64 s1, s[18:19]
	s_bcnt1_i32_b64 s8, s[20:21]
	;; [unrolled: 1-line block ×4, first 2 shown]
	v_add_u32_e32 v2, s1, v2
	v_add_u32_e32 v3, s8, v3
	;; [unrolled: 1-line block ×3, first 2 shown]
	s_or_b64 s[30:31], vcc, s[30:31]
	v_add_u32_e32 v5, s19, v5
	s_andn2_b64 exec, exec, s[30:31]
	s_cbranch_execnz .LBB1_60
; %bb.61:                               ;   in Loop: Header=BB1_8 Depth=1
	s_or_b64 exec, exec, s[30:31]
.LBB1_62:                               ;   in Loop: Header=BB1_8 Depth=1
	s_or_b64 exec, exec, s[28:29]
.LBB1_63:                               ;   in Loop: Header=BB1_8 Depth=1
	s_lshl_b32 s0, s16, 6
	s_and_saveexec_b64 s[18:19], s[2:3]
	s_cbranch_execz .LBB1_65
; %bb.64:                               ;   in Loop: Header=BB1_8 Depth=1
	v_or_b32_e32 v26, s0, v14
	v_lshlrev_b32_e32 v26, 2, v26
	s_waitcnt vmcnt(0)
	ds_write_b128 v26, v[2:5] offset:3072
.LBB1_65:                               ;   in Loop: Header=BB1_8 Depth=1
	s_or_b64 exec, exec, s[18:19]
	s_waitcnt lgkmcnt(0)
	s_barrier
	s_and_saveexec_b64 s[18:19], s[76:77]
	s_cbranch_execz .LBB1_79
; %bb.66:                               ;   in Loop: Header=BB1_8 Depth=1
	v_readlane_b32 s20, v42, 24
	v_readlane_b32 s21, v42, 25
	v_add_u32_e32 v4, s0, v12
	s_andn2_b64 vcc, exec, s[20:21]
	s_waitcnt vmcnt(0)
	v_mov_b32_e32 v2, 0
	s_cbranch_vccnz .LBB1_78
; %bb.67:                               ;   in Loop: Header=BB1_8 Depth=1
	v_readlane_b32 s20, v42, 28
	v_readlane_b32 s21, v42, 29
	s_mov_b32 s1, 0
	s_and_b64 vcc, exec, s[20:21]
	v_mov_b32_e32 v2, 0
	s_cbranch_vccz .LBB1_71
; %bb.68:                               ;   in Loop: Header=BB1_8 Depth=1
	v_readlane_b32 s20, v42, 34
	v_readlane_b32 s21, v42, 35
	v_lshl_add_u32 v5, v4, 2, v24
	s_andn2_b64 vcc, exec, s[20:21]
	s_cbranch_vccnz .LBB1_72
; %bb.69:                               ;   in Loop: Header=BB1_8 Depth=1
	s_mov_b32 s21, 1
	s_mov_b32 s20, 0
	v_mov_b32_e32 v2, 0
	v_readlane_b32 s1, v42, 36
	v_mov_b32_e32 v3, 0
.LBB1_70:                               ;   Parent Loop BB1_8 Depth=1
                                        ; =>  This Inner Loop Header: Depth=2
	v_lshl_add_u32 v38, s20, 4, v5
	v_lshl_add_u32 v40, s21, 4, v5
	ds_read2_b32 v[26:27], v38 offset1:8
	ds_read2_b32 v[28:29], v40 offset1:8
	ds_read2_b32 v[30:31], v38 offset0:16 offset1:24
	ds_read2_b32 v[32:33], v40 offset0:16 offset1:24
	;; [unrolled: 1-line block ×6, first 2 shown]
	s_waitcnt lgkmcnt(7)
	v_add3_u32 v2, v26, v2, v27
	s_waitcnt lgkmcnt(6)
	v_add3_u32 v3, v28, v3, v29
	;; [unrolled: 2-line block ×3, first 2 shown]
	v_add3_u32 v2, v30, v2, v31
	s_add_i32 s21, s21, 16
	s_add_i32 s20, s20, 16
	s_add_i32 s1, s1, -8
	s_waitcnt lgkmcnt(3)
	v_add3_u32 v2, v34, v2, v35
	s_waitcnt lgkmcnt(2)
	v_add3_u32 v3, v36, v3, v37
	s_cmp_lg_u32 s1, 0
	s_waitcnt lgkmcnt(0)
	v_add3_u32 v3, v40, v3, v41
	v_add3_u32 v2, v38, v2, v39
	s_cbranch_scc1 .LBB1_70
	s_branch .LBB1_73
.LBB1_71:                               ;   in Loop: Header=BB1_8 Depth=1
	s_cbranch_execnz .LBB1_76
	s_branch .LBB1_78
.LBB1_72:                               ;   in Loop: Header=BB1_8 Depth=1
	s_mov_b32 s75, s74
	v_pk_mov_b32 v[2:3], s[74:75], s[74:75] op_sel:[0,1]
	s_mov_b32 s75, 1
	s_mov_b64 s[20:21], s[74:75]
.LBB1_73:                               ;   in Loop: Header=BB1_8 Depth=1
	v_readlane_b32 s22, v42, 38
	v_readlane_b32 s23, v42, 39
	s_andn2_b64 vcc, exec, s[22:23]
	v_readlane_b32 s1, v42, 37
	s_cbranch_vccnz .LBB1_75
.LBB1_74:                               ;   Parent Loop BB1_8 Depth=1
                                        ; =>  This Inner Loop Header: Depth=2
	v_lshl_add_u32 v26, s20, 4, v5
	v_lshl_add_u32 v27, s21, 4, v5
	ds_read_b32 v27, v27
	ds_read_b32 v26, v26
	s_add_i32 s21, s21, 2
	s_add_i32 s20, s20, 2
	s_add_i32 s1, s1, -1
	s_cmp_lg_u32 s1, 0
	s_waitcnt lgkmcnt(1)
	v_add_u32_e32 v3, v27, v3
	s_waitcnt lgkmcnt(0)
	v_add_u32_e32 v2, v26, v2
	s_cbranch_scc1 .LBB1_74
.LBB1_75:                               ;   in Loop: Header=BB1_8 Depth=1
	v_readlane_b32 s20, v42, 42
	v_add_u32_e32 v2, v2, v3
	v_readlane_b32 s1, v42, 41
	v_readlane_b32 s21, v42, 43
	s_and_b64 vcc, exec, s[20:21]
	s_cbranch_vccz .LBB1_78
.LBB1_76:                               ;   in Loop: Header=BB1_8 Depth=1
	s_lshl_b32 s8, s16, 8
	s_lshl_b32 s20, s1, 4
	s_add_i32 s8, s8, s20
	v_add_u32_e32 v3, s8, v22
	v_readlane_b32 s8, v42, 40
	s_sub_i32 s1, s8, s1
.LBB1_77:                               ;   Parent Loop BB1_8 Depth=1
                                        ; =>  This Inner Loop Header: Depth=2
	ds_read_b32 v5, v3
	s_add_i32 s1, s1, -1
	v_add_u32_e32 v3, 16, v3
	s_cmp_eq_u32 s1, 0
	s_waitcnt lgkmcnt(0)
	v_add_u32_e32 v2, v5, v2
	s_cbranch_scc0 .LBB1_77
.LBB1_78:                               ;   in Loop: Header=BB1_8 Depth=1
	v_lshlrev_b32_e32 v3, 2, v4
	ds_write_b32 v3, v2 offset:3072
.LBB1_79:                               ;   in Loop: Header=BB1_8 Depth=1
	s_or_b64 exec, exec, s[18:19]
	s_lshl_b32 s0, s0, 2
	s_waitcnt vmcnt(0)
	v_mov_b32_e32 v2, s0
	s_waitcnt lgkmcnt(0)
	s_barrier
	ds_read_b128 v[2:5], v2 offset:3072
	s_and_b32 s47, s83, 0xfe
	s_lshl_b32 s55, 3, s47
	s_not_b32 s48, s55
	s_mov_b64 s[22:23], -1
	s_waitcnt lgkmcnt(0)
	v_readfirstlane_b32 s34, v2
	s_cmp_eq_u32 s34, 1
	s_cselect_b64 s[0:1], -1, 0
	s_cmp_eq_u32 s61, 1
	s_cselect_b64 s[18:19], -1, 0
	s_and_b64 s[24:25], s[0:1], s[18:19]
	v_readfirstlane_b32 s38, v3
	v_readfirstlane_b32 s46, v4
	;; [unrolled: 1-line block ×3, first 2 shown]
	s_and_b64 vcc, exec, s[24:25]
	s_cbranch_vccz .LBB1_90
; %bb.80:                               ;   in Loop: Header=BB1_8 Depth=1
	ds_read_b32 v2, v23 offset:4096
	s_waitcnt lgkmcnt(0)
	s_barrier
	v_readfirstlane_b32 s0, v2
	s_and_saveexec_b64 s[18:19], s[4:5]
	s_cbranch_execz .LBB1_82
; %bb.81:                               ;   in Loop: Header=BB1_8 Depth=1
	ds_write_b8 v0, v23 offset:3072
.LBB1_82:                               ;   in Loop: Header=BB1_8 Depth=1
	s_or_b64 exec, exec, s[18:19]
	s_and_b32 s85, s85, s48
	s_or_b32 s17, s17, s55
	s_cmp_lt_i32 s0, 1
	s_waitcnt lgkmcnt(0)
	s_barrier
	s_cbranch_scc0 .LBB1_91
; %bb.83:                               ;   in Loop: Header=BB1_8 Depth=1
	s_mov_b64 s[18:19], 0
                                        ; implicit-def: $vgpr25
	s_mov_b64 s[20:21], exec
	v_readlane_b32 s26, v42, 44
	v_readlane_b32 s27, v42, 45
	s_and_b64 s[26:27], s[20:21], s[26:27]
	s_mov_b64 exec, s[26:27]
	s_cbranch_execz .LBB1_93
; %bb.84:                               ;   in Loop: Header=BB1_8 Depth=1
	s_mov_b64 s[26:27], 0
	v_mov_b32_e32 v2, v9
	v_mov_b32_e32 v3, v0
                                        ; implicit-def: $sgpr28_sgpr29
	s_branch .LBB1_86
.LBB1_85:                               ;   in Loop: Header=BB1_86 Depth=2
	s_or_b64 exec, exec, s[18:19]
	s_waitcnt lgkmcnt(0)
	s_barrier
	ds_read_u16 v4, v23 offset:3072
	v_add_u32_e32 v3, s62, v3
	v_cmp_le_i32_e32 vcc, s9, v3
	v_add_u32_e32 v2, s84, v2
	s_waitcnt lgkmcnt(0)
	v_cmp_ne_u16_sdwa s[18:19], v4, v23 src0_sel:BYTE_0 src1_sel:DWORD
	s_or_b64 s[30:31], vcc, s[18:19]
	s_and_b64 s[30:31], exec, s[30:31]
	s_or_b64 s[26:27], s[30:31], s[26:27]
	s_andn2_b64 s[28:29], s[28:29], exec
	s_and_b64 s[18:19], s[18:19], exec
	s_or_b64 s[28:29], s[28:29], s[18:19]
	s_barrier
	s_andn2_b64 exec, exec, s[26:27]
	s_cbranch_execz .LBB1_92
.LBB1_86:                               ;   Parent Loop BB1_8 Depth=1
                                        ; =>  This Inner Loop Header: Depth=2
	v_cmp_gt_i32_e32 vcc, s60, v3
	v_mov_b32_e32 v4, 0
	s_and_saveexec_b64 s[30:31], vcc
	s_cbranch_execz .LBB1_88
; %bb.87:                               ;   in Loop: Header=BB1_86 Depth=2
	v_ashrrev_i32_e32 v5, 31, v2
	v_mov_b32_e32 v25, s73
	v_add_co_u32_e64 v4, s[18:19], s72, v2
	v_addc_co_u32_e64 v5, s[18:19], v25, v5, s[18:19]
	global_load_ubyte v4, v[4:5], off
.LBB1_88:                               ;   in Loop: Header=BB1_86 Depth=2
	s_or_b64 exec, exec, s[30:31]
	s_waitcnt vmcnt(0)
	v_and_b32_e32 v5, s17, v4
	v_cmp_eq_u32_sdwa s[18:19], v5, s85 src0_sel:BYTE_0 src1_sel:DWORD
	s_and_b64 s[30:31], vcc, s[18:19]
	s_and_saveexec_b64 s[18:19], s[30:31]
	s_cbranch_execz .LBB1_85
; %bb.89:                               ;   in Loop: Header=BB1_86 Depth=2
	v_lshlrev_b16_e32 v4, 8, v4
	v_or_b32_e32 v4, 1, v4
	ds_write_b16 v23, v4 offset:3072
	s_branch .LBB1_85
.LBB1_90:                               ;   in Loop: Header=BB1_8 Depth=1
	s_mov_b64 s[18:19], -1
                                        ; implicit-def: $sgpr20_sgpr21
                                        ; implicit-def: $sgpr28_sgpr29
                                        ; implicit-def: $sgpr26_sgpr27
	s_branch .LBB1_103
.LBB1_91:                               ;   in Loop: Header=BB1_8 Depth=1
	s_mov_b64 s[20:21], -1
	s_mov_b64 s[18:19], 0
                                        ; implicit-def: $sgpr26_sgpr27
                                        ; implicit-def: $vgpr25
	s_mov_b64 s[28:29], s[20:21]
	s_cbranch_execnz .LBB1_94
	s_branch .LBB1_103
.LBB1_92:                               ;   in Loop: Header=BB1_8 Depth=1
	s_or_b64 exec, exec, s[26:27]
	v_lshrrev_b16_e32 v25, 8, v4
	s_and_b64 s[18:19], s[28:29], exec
.LBB1_93:                               ;   in Loop: Header=BB1_8 Depth=1
	s_or_b64 exec, exec, s[20:21]
	s_mov_b64 s[26:27], -1
	s_mov_b64 s[20:21], 0
	s_mov_b64 s[28:29], s[20:21]
	s_branch .LBB1_103
.LBB1_94:                               ;   in Loop: Header=BB1_8 Depth=1
	v_readlane_b32 s1, v42, 21
	s_add_i32 s1, s0, s1
	s_abs_i32 s18, s1
	s_mul_hi_u32 s19, s18, s81
	s_mul_i32 s19, s19, s62
	s_sub_i32 s18, s18, s19
	s_ashr_i32 s8, s1, 31
	s_sub_i32 s19, s18, s62
	s_cmp_ge_u32 s18, s62
	s_cselect_b32 s18, s19, s18
	s_sub_i32 s19, s18, s62
	s_cmp_ge_u32 s18, s62
	s_cselect_b32 s18, s19, s18
	s_xor_b32 s18, s18, s8
	s_sub_i32 s8, s8, s18
	s_add_i32 s1, s1, s8
	v_cmp_gt_i32_e32 vcc, s1, v0
	s_mov_b64 s[18:19], 0
                                        ; implicit-def: $vgpr25
	s_and_saveexec_b64 s[20:21], vcc
	s_cbranch_execz .LBB1_102
; %bb.95:                               ;   in Loop: Header=BB1_8 Depth=1
	v_mov_b32_e32 v2, v0
                                        ; implicit-def: $sgpr26_sgpr27
	s_branch .LBB1_97
.LBB1_96:                               ;   in Loop: Header=BB1_97 Depth=2
	s_or_b64 exec, exec, s[28:29]
	s_waitcnt lgkmcnt(0)
	s_barrier
	ds_read_u16 v3, v23 offset:3072
	v_add_u32_e32 v2, s62, v2
	v_cmp_le_i32_e32 vcc, s1, v2
	s_waitcnt lgkmcnt(0)
	s_barrier
	v_cmp_ne_u16_sdwa s[28:29], v3, v23 src0_sel:BYTE_0 src1_sel:DWORD
	s_or_b64 s[30:31], vcc, s[28:29]
	s_and_b64 s[30:31], exec, s[30:31]
	s_or_b64 s[18:19], s[30:31], s[18:19]
	s_andn2_b64 s[26:27], s[26:27], exec
	s_and_b64 s[28:29], s[28:29], exec
	s_or_b64 s[26:27], s[26:27], s[28:29]
	s_andn2_b64 exec, exec, s[18:19]
	s_cbranch_execz .LBB1_101
.LBB1_97:                               ;   Parent Loop BB1_8 Depth=1
                                        ; =>  This Inner Loop Header: Depth=2
	v_cmp_gt_i32_e32 vcc, s0, v2
	v_mov_b32_e32 v3, 0
	s_and_saveexec_b64 s[28:29], vcc
	s_cbranch_execz .LBB1_99
; %bb.98:                               ;   in Loop: Header=BB1_97 Depth=2
	ds_read_u8 v3, v2
.LBB1_99:                               ;   in Loop: Header=BB1_97 Depth=2
	s_or_b64 exec, exec, s[28:29]
	s_waitcnt lgkmcnt(0)
	v_and_b32_e32 v4, s17, v3
	v_cmp_eq_u32_sdwa s[28:29], v4, s85 src0_sel:BYTE_0 src1_sel:DWORD
	s_and_b64 s[30:31], vcc, s[28:29]
	s_and_saveexec_b64 s[28:29], s[30:31]
	s_cbranch_execz .LBB1_96
; %bb.100:                              ;   in Loop: Header=BB1_97 Depth=2
	v_lshlrev_b16_e32 v3, 8, v3
	v_or_b32_e32 v3, 1, v3
	ds_write_b16 v23, v3 offset:3072
	s_branch .LBB1_96
.LBB1_101:                              ;   in Loop: Header=BB1_8 Depth=1
	s_or_b64 exec, exec, s[18:19]
	v_lshrrev_b16_e32 v25, 8, v3
	s_and_b64 s[18:19], s[26:27], exec
.LBB1_102:                              ;   in Loop: Header=BB1_8 Depth=1
	s_or_b64 exec, exec, s[20:21]
	s_mov_b64 s[28:29], -1
	s_mov_b64 s[20:21], 0
	s_mov_b64 s[26:27], 0
.LBB1_103:                              ;   in Loop: Header=BB1_8 Depth=1
	s_andn2_b64 s[0:1], s[86:87], exec
	s_and_b64 s[20:21], s[20:21], exec
	s_or_b64 s[86:87], s[0:1], s[20:21]
	s_andn2_b64 s[0:1], s[70:71], exec
	s_and_b64 s[20:21], s[28:29], exec
	s_or_b64 s[70:71], s[0:1], s[20:21]
	;; [unrolled: 3-line block ×3, first 2 shown]
	s_and_saveexec_b64 s[20:21], s[18:19]
	s_cbranch_execz .LBB1_7
; %bb.104:                              ;   in Loop: Header=BB1_8 Depth=1
	s_xor_b64 s[0:1], s[24:25], -1
	s_mov_b64 s[18:19], 0
	s_andn2_b64 vcc, exec, s[0:1]
	s_mov_b32 s39, 1
	s_cbranch_vccnz .LBB1_115
; %bb.105:                              ;   in Loop: Header=BB1_8 Depth=1
	s_cmp_gt_i32 s61, s34
	s_mov_b64 s[18:19], -1
                                        ; implicit-def: $sgpr57
                                        ; implicit-def: $sgpr0
                                        ; implicit-def: $sgpr1
	s_cbranch_scc1 .LBB1_111
; %bb.106:                              ;   in Loop: Header=BB1_8 Depth=1
	ds_read_b32 v2, v23 offset:4096
	s_waitcnt lgkmcnt(0)
	v_cmp_ne_u32_e32 vcc, 0, v2
	s_cbranch_vccnz .LBB1_110
; %bb.107:                              ;   in Loop: Header=BB1_8 Depth=1
	s_mov_b64 s[18:19], exec
	v_readlane_b32 s0, v42, 12
	v_readlane_b32 s1, v42, 13
	s_and_b64 s[0:1], s[18:19], s[0:1]
	s_mov_b64 exec, s[0:1]
	s_cbranch_execz .LBB1_109
; %bb.108:                              ;   in Loop: Header=BB1_8 Depth=1
	v_mov_b32_e32 v2, s34
	ds_write_b32 v23, v2 offset:4100
.LBB1_109:                              ;   in Loop: Header=BB1_8 Depth=1
	s_or_b64 exec, exec, s[18:19]
	s_waitcnt lgkmcnt(0)
	s_barrier
.LBB1_110:                              ;   in Loop: Header=BB1_8 Depth=1
	s_and_b32 s0, s85, s48
	s_or_b32 s1, s17, s55
	s_mov_b64 s[18:19], 0
	s_mov_b32 s57, 8
.LBB1_111:                              ;   in Loop: Header=BB1_8 Depth=1
	s_andn2_b64 vcc, exec, s[18:19]
	s_cbranch_vccnz .LBB1_113
; %bb.112:                              ;   in Loop: Header=BB1_8 Depth=1
	s_sub_i32 s61, s61, s34
	s_mov_b64 s[18:19], -1
	s_mov_b32 s57, 0
	s_mov_b32 s0, s85
	;; [unrolled: 1-line block ×3, first 2 shown]
.LBB1_113:                              ;   in Loop: Header=BB1_8 Depth=1
	s_mov_b32 s17, s1
	s_mov_b32 s85, s0
	s_mov_b32 s39, s61
	s_mov_b64 s[22:23], -1
	s_and_b64 vcc, exec, s[18:19]
	s_cbranch_vccnz .LBB1_116
.LBB1_114:                              ;   in Loop: Header=BB1_8 Depth=1
	s_mov_b64 s[36:37], -1
                                        ; implicit-def: $sgpr24_sgpr25
                                        ; implicit-def: $sgpr28_sgpr29
                                        ; implicit-def: $sgpr26_sgpr27
	s_and_saveexec_b64 s[0:1], s[36:37]
	s_xor_b64 s[18:19], exec, s[0:1]
	s_cbranch_execz .LBB1_6
	s_branch .LBB1_233
.LBB1_115:                              ;   in Loop: Header=BB1_8 Depth=1
	s_mov_b32 s57, 1
	s_mov_b64 s[22:23], -1
	s_and_b64 vcc, exec, s[18:19]
	s_cbranch_vccz .LBB1_114
.LBB1_116:                              ;   in Loop: Header=BB1_8 Depth=1
	s_cmp_eq_u32 s38, 1
	s_cselect_b64 s[0:1], -1, 0
	s_cmp_eq_u32 s39, 1
	s_cselect_b64 s[18:19], -1, 0
	s_and_b64 s[34:35], s[0:1], s[18:19]
	s_mov_b64 s[18:19], -1
	s_and_b64 vcc, exec, s[34:35]
	s_cbranch_vccz .LBB1_127
; %bb.117:                              ;   in Loop: Header=BB1_8 Depth=1
	ds_read_b32 v2, v23 offset:4096
	s_waitcnt lgkmcnt(0)
	s_barrier
	v_readfirstlane_b32 s0, v2
	s_and_saveexec_b64 s[18:19], s[4:5]
	s_cbranch_execz .LBB1_119
; %bb.118:                              ;   in Loop: Header=BB1_8 Depth=1
	ds_write_b8 v0, v23 offset:3072
.LBB1_119:                              ;   in Loop: Header=BB1_8 Depth=1
	s_or_b64 exec, exec, s[18:19]
	s_lshl_b32 s1, 1, s47
	s_and_b32 s8, s85, s48
	s_or_b32 s85, s8, s1
	s_or_b32 s17, s17, s55
	s_cmp_gt_i32 s0, 0
	s_waitcnt lgkmcnt(0)
	s_barrier
	s_cbranch_scc1 .LBB1_128
; %bb.120:                              ;   in Loop: Header=BB1_8 Depth=1
	s_mov_b64 s[18:19], 0
                                        ; implicit-def: $vgpr25
	s_mov_b64 s[24:25], exec
	v_readlane_b32 s26, v42, 44
	v_readlane_b32 s27, v42, 45
	s_and_b64 s[26:27], s[24:25], s[26:27]
	s_mov_b64 exec, s[26:27]
	s_cbranch_execz .LBB1_130
; %bb.121:                              ;   in Loop: Header=BB1_8 Depth=1
	s_mov_b64 s[26:27], 0
	v_mov_b32_e32 v2, v9
	v_mov_b32_e32 v3, v0
                                        ; implicit-def: $sgpr28_sgpr29
	s_branch .LBB1_123
.LBB1_122:                              ;   in Loop: Header=BB1_123 Depth=2
	s_or_b64 exec, exec, s[18:19]
	s_waitcnt lgkmcnt(0)
	s_barrier
	ds_read_u16 v4, v23 offset:3072
	v_add_u32_e32 v3, s62, v3
	v_cmp_le_i32_e32 vcc, s9, v3
	v_add_u32_e32 v2, s84, v2
	s_waitcnt lgkmcnt(0)
	v_cmp_ne_u16_sdwa s[18:19], v4, v23 src0_sel:BYTE_0 src1_sel:DWORD
	s_or_b64 s[30:31], vcc, s[18:19]
	s_and_b64 s[30:31], exec, s[30:31]
	s_or_b64 s[26:27], s[30:31], s[26:27]
	s_andn2_b64 s[28:29], s[28:29], exec
	s_and_b64 s[18:19], s[18:19], exec
	s_or_b64 s[28:29], s[28:29], s[18:19]
	s_barrier
	s_andn2_b64 exec, exec, s[26:27]
	s_cbranch_execz .LBB1_129
.LBB1_123:                              ;   Parent Loop BB1_8 Depth=1
                                        ; =>  This Inner Loop Header: Depth=2
	v_cmp_gt_i32_e32 vcc, s60, v3
	v_mov_b32_e32 v4, 0
	s_and_saveexec_b64 s[30:31], vcc
	s_cbranch_execz .LBB1_125
; %bb.124:                              ;   in Loop: Header=BB1_123 Depth=2
	v_ashrrev_i32_e32 v5, 31, v2
	v_mov_b32_e32 v25, s73
	v_add_co_u32_e64 v4, s[18:19], s72, v2
	v_addc_co_u32_e64 v5, s[18:19], v25, v5, s[18:19]
	global_load_ubyte v4, v[4:5], off
.LBB1_125:                              ;   in Loop: Header=BB1_123 Depth=2
	s_or_b64 exec, exec, s[30:31]
	s_waitcnt vmcnt(0)
	v_and_b32_e32 v5, s17, v4
	v_cmp_eq_u32_sdwa s[18:19], v5, s85 src0_sel:BYTE_0 src1_sel:DWORD
	s_and_b64 s[30:31], vcc, s[18:19]
	s_and_saveexec_b64 s[18:19], s[30:31]
	s_cbranch_execz .LBB1_122
; %bb.126:                              ;   in Loop: Header=BB1_123 Depth=2
	v_lshlrev_b16_e32 v4, 8, v4
	v_or_b32_e32 v4, 1, v4
	ds_write_b16 v23, v4 offset:3072
	s_branch .LBB1_122
.LBB1_127:                              ;   in Loop: Header=BB1_8 Depth=1
                                        ; implicit-def: $sgpr26_sgpr27
                                        ; implicit-def: $sgpr28_sgpr29
                                        ; implicit-def: $sgpr24_sgpr25
	s_branch .LBB1_140
.LBB1_128:                              ;   in Loop: Header=BB1_8 Depth=1
	s_mov_b64 s[26:27], -1
	s_mov_b64 s[18:19], 0
                                        ; implicit-def: $sgpr24_sgpr25
                                        ; implicit-def: $vgpr25
	s_mov_b64 s[28:29], s[26:27]
	s_cbranch_execnz .LBB1_131
	s_branch .LBB1_140
.LBB1_129:                              ;   in Loop: Header=BB1_8 Depth=1
	s_or_b64 exec, exec, s[26:27]
	v_lshrrev_b16_e32 v25, 8, v4
	s_and_b64 s[18:19], s[28:29], exec
.LBB1_130:                              ;   in Loop: Header=BB1_8 Depth=1
	s_or_b64 exec, exec, s[24:25]
	s_mov_b64 s[24:25], -1
	s_mov_b64 s[26:27], 0
	s_mov_b64 s[28:29], s[26:27]
	s_branch .LBB1_140
.LBB1_131:                              ;   in Loop: Header=BB1_8 Depth=1
	v_readlane_b32 s1, v42, 21
	s_add_i32 s1, s0, s1
	s_abs_i32 s18, s1
	s_mul_hi_u32 s19, s18, s81
	s_mul_i32 s19, s19, s62
	s_sub_i32 s18, s18, s19
	s_ashr_i32 s8, s1, 31
	s_sub_i32 s19, s18, s62
	s_cmp_ge_u32 s18, s62
	s_cselect_b32 s18, s19, s18
	s_sub_i32 s19, s18, s62
	s_cmp_ge_u32 s18, s62
	s_cselect_b32 s18, s19, s18
	s_xor_b32 s18, s18, s8
	s_sub_i32 s8, s8, s18
	s_add_i32 s1, s1, s8
	v_cmp_gt_i32_e32 vcc, s1, v0
	s_mov_b64 s[18:19], 0
                                        ; implicit-def: $vgpr25
	s_and_saveexec_b64 s[24:25], vcc
	s_cbranch_execz .LBB1_139
; %bb.132:                              ;   in Loop: Header=BB1_8 Depth=1
	v_mov_b32_e32 v2, v0
                                        ; implicit-def: $sgpr26_sgpr27
	s_branch .LBB1_134
.LBB1_133:                              ;   in Loop: Header=BB1_134 Depth=2
	s_or_b64 exec, exec, s[28:29]
	s_waitcnt lgkmcnt(0)
	s_barrier
	ds_read_u16 v3, v23 offset:3072
	v_add_u32_e32 v2, s62, v2
	v_cmp_le_i32_e32 vcc, s1, v2
	s_waitcnt lgkmcnt(0)
	s_barrier
	v_cmp_ne_u16_sdwa s[28:29], v3, v23 src0_sel:BYTE_0 src1_sel:DWORD
	s_or_b64 s[30:31], vcc, s[28:29]
	s_and_b64 s[30:31], exec, s[30:31]
	s_or_b64 s[18:19], s[30:31], s[18:19]
	s_andn2_b64 s[26:27], s[26:27], exec
	s_and_b64 s[28:29], s[28:29], exec
	s_or_b64 s[26:27], s[26:27], s[28:29]
	s_andn2_b64 exec, exec, s[18:19]
	s_cbranch_execz .LBB1_138
.LBB1_134:                              ;   Parent Loop BB1_8 Depth=1
                                        ; =>  This Inner Loop Header: Depth=2
	v_cmp_gt_i32_e32 vcc, s0, v2
	v_mov_b32_e32 v3, 0
	s_and_saveexec_b64 s[28:29], vcc
	s_cbranch_execz .LBB1_136
; %bb.135:                              ;   in Loop: Header=BB1_134 Depth=2
	ds_read_u8 v3, v2
.LBB1_136:                              ;   in Loop: Header=BB1_134 Depth=2
	s_or_b64 exec, exec, s[28:29]
	s_waitcnt lgkmcnt(0)
	v_and_b32_e32 v4, s17, v3
	v_cmp_eq_u32_sdwa s[28:29], v4, s85 src0_sel:BYTE_0 src1_sel:DWORD
	s_and_b64 s[30:31], vcc, s[28:29]
	s_and_saveexec_b64 s[28:29], s[30:31]
	s_cbranch_execz .LBB1_133
; %bb.137:                              ;   in Loop: Header=BB1_134 Depth=2
	v_lshlrev_b16_e32 v3, 8, v3
	v_or_b32_e32 v3, 1, v3
	ds_write_b16 v23, v3 offset:3072
	s_branch .LBB1_133
.LBB1_138:                              ;   in Loop: Header=BB1_8 Depth=1
	s_or_b64 exec, exec, s[18:19]
	v_lshrrev_b16_e32 v25, 8, v3
	s_and_b64 s[18:19], s[26:27], exec
.LBB1_139:                              ;   in Loop: Header=BB1_8 Depth=1
	s_or_b64 exec, exec, s[24:25]
	s_mov_b64 s[28:29], -1
	s_mov_b64 s[26:27], 0
	s_mov_b64 s[24:25], 0
.LBB1_140:                              ;   in Loop: Header=BB1_8 Depth=1
	s_mov_b64 s[36:37], 0
                                        ; implicit-def: $sgpr57
	s_and_saveexec_b64 s[30:31], s[18:19]
	s_cbranch_execz .LBB1_232
; %bb.141:                              ;   in Loop: Header=BB1_8 Depth=1
	s_xor_b64 s[0:1], s[34:35], -1
	s_mov_b64 s[18:19], 0
	s_andn2_b64 vcc, exec, s[0:1]
	s_mov_b32 s49, 1
	s_cbranch_vccnz .LBB1_152
; %bb.142:                              ;   in Loop: Header=BB1_8 Depth=1
	s_cmp_gt_i32 s39, s38
	s_mov_b64 s[18:19], -1
                                        ; implicit-def: $sgpr57
                                        ; implicit-def: $sgpr0
                                        ; implicit-def: $sgpr1
	s_cbranch_scc1 .LBB1_148
; %bb.143:                              ;   in Loop: Header=BB1_8 Depth=1
	ds_read_b32 v2, v23 offset:4096
	s_waitcnt lgkmcnt(0)
	v_cmp_ne_u32_e32 vcc, 0, v2
	s_cbranch_vccnz .LBB1_147
; %bb.144:                              ;   in Loop: Header=BB1_8 Depth=1
	s_mov_b64 s[18:19], exec
	v_readlane_b32 s0, v42, 12
	v_readlane_b32 s1, v42, 13
	s_and_b64 s[0:1], s[18:19], s[0:1]
	s_mov_b64 exec, s[0:1]
	s_cbranch_execz .LBB1_146
; %bb.145:                              ;   in Loop: Header=BB1_8 Depth=1
	v_mov_b32_e32 v2, s38
	ds_write_b32 v23, v2 offset:4100
.LBB1_146:                              ;   in Loop: Header=BB1_8 Depth=1
	s_or_b64 exec, exec, s[18:19]
	s_waitcnt lgkmcnt(0)
	s_barrier
.LBB1_147:                              ;   in Loop: Header=BB1_8 Depth=1
	s_lshl_b32 s0, 1, s47
	s_and_b32 s1, s85, s48
	s_or_b32 s0, s1, s0
	s_or_b32 s1, s17, s55
	s_mov_b64 s[18:19], 0
	s_mov_b32 s57, 8
.LBB1_148:                              ;   in Loop: Header=BB1_8 Depth=1
	s_andn2_b64 vcc, exec, s[18:19]
	s_cbranch_vccnz .LBB1_150
; %bb.149:                              ;   in Loop: Header=BB1_8 Depth=1
	s_sub_i32 s39, s39, s38
	s_mov_b64 s[18:19], -1
	s_mov_b32 s57, 0
	s_mov_b32 s0, s85
	;; [unrolled: 1-line block ×3, first 2 shown]
.LBB1_150:                              ;   in Loop: Header=BB1_8 Depth=1
	s_mov_b32 s17, s1
	s_mov_b32 s85, s0
	;; [unrolled: 1-line block ×3, first 2 shown]
	s_andn2_b64 vcc, exec, s[18:19]
	s_mov_b64 s[44:45], -1
	s_cbranch_vccz .LBB1_153
.LBB1_151:                              ;   in Loop: Header=BB1_8 Depth=1
                                        ; implicit-def: $sgpr36_sgpr37
                                        ; implicit-def: $sgpr38_sgpr39
                                        ; implicit-def: $sgpr34_sgpr35
	s_branch .LBB1_231
.LBB1_152:                              ;   in Loop: Header=BB1_8 Depth=1
	s_mov_b32 s57, 1
	s_andn2_b64 vcc, exec, s[18:19]
	s_mov_b64 s[44:45], -1
	s_cbranch_vccnz .LBB1_151
.LBB1_153:                              ;   in Loop: Header=BB1_8 Depth=1
	s_cmp_eq_u32 s46, 1
	s_cselect_b64 s[0:1], -1, 0
	s_cmp_eq_u32 s49, 1
	s_cselect_b64 s[18:19], -1, 0
	s_and_b64 s[42:43], s[0:1], s[18:19]
	s_mov_b64 s[18:19], -1
	s_and_b64 vcc, exec, s[42:43]
	s_cbranch_vccz .LBB1_164
; %bb.154:                              ;   in Loop: Header=BB1_8 Depth=1
	ds_read_b32 v2, v23 offset:4096
	s_waitcnt lgkmcnt(0)
	s_barrier
	v_readfirstlane_b32 s0, v2
	s_and_saveexec_b64 s[18:19], s[4:5]
	s_cbranch_execz .LBB1_156
; %bb.155:                              ;   in Loop: Header=BB1_8 Depth=1
	ds_write_b8 v0, v23 offset:3072
.LBB1_156:                              ;   in Loop: Header=BB1_8 Depth=1
	s_or_b64 exec, exec, s[18:19]
	s_lshl_b32 s1, 2, s47
	s_and_b32 s8, s85, s48
	s_or_b32 s85, s8, s1
	s_or_b32 s17, s17, s55
	s_cmp_gt_i32 s0, 0
	s_waitcnt lgkmcnt(0)
	s_barrier
	s_cbranch_scc1 .LBB1_165
; %bb.157:                              ;   in Loop: Header=BB1_8 Depth=1
	s_mov_b64 s[18:19], 0
                                        ; implicit-def: $vgpr25
	s_mov_b64 s[34:35], exec
	v_readlane_b32 s36, v42, 44
	v_readlane_b32 s37, v42, 45
	s_and_b64 s[36:37], s[34:35], s[36:37]
	s_mov_b64 exec, s[36:37]
	s_cbranch_execz .LBB1_167
; %bb.158:                              ;   in Loop: Header=BB1_8 Depth=1
	s_mov_b64 s[36:37], 0
	v_mov_b32_e32 v2, v9
	v_mov_b32_e32 v3, v0
                                        ; implicit-def: $sgpr38_sgpr39
	s_branch .LBB1_160
.LBB1_159:                              ;   in Loop: Header=BB1_160 Depth=2
	s_or_b64 exec, exec, s[18:19]
	s_waitcnt lgkmcnt(0)
	s_barrier
	ds_read_u16 v4, v23 offset:3072
	v_add_u32_e32 v3, s62, v3
	v_cmp_le_i32_e32 vcc, s9, v3
	v_add_u32_e32 v2, s84, v2
	s_waitcnt lgkmcnt(0)
	v_cmp_ne_u16_sdwa s[18:19], v4, v23 src0_sel:BYTE_0 src1_sel:DWORD
	s_or_b64 s[40:41], vcc, s[18:19]
	s_and_b64 s[40:41], exec, s[40:41]
	s_or_b64 s[36:37], s[40:41], s[36:37]
	s_andn2_b64 s[38:39], s[38:39], exec
	s_and_b64 s[18:19], s[18:19], exec
	s_or_b64 s[38:39], s[38:39], s[18:19]
	s_barrier
	s_andn2_b64 exec, exec, s[36:37]
	s_cbranch_execz .LBB1_166
.LBB1_160:                              ;   Parent Loop BB1_8 Depth=1
                                        ; =>  This Inner Loop Header: Depth=2
	v_cmp_gt_i32_e32 vcc, s60, v3
	v_mov_b32_e32 v4, 0
	s_and_saveexec_b64 s[40:41], vcc
	s_cbranch_execz .LBB1_162
; %bb.161:                              ;   in Loop: Header=BB1_160 Depth=2
	v_ashrrev_i32_e32 v5, 31, v2
	v_mov_b32_e32 v25, s73
	v_add_co_u32_e64 v4, s[18:19], s72, v2
	v_addc_co_u32_e64 v5, s[18:19], v25, v5, s[18:19]
	global_load_ubyte v4, v[4:5], off
.LBB1_162:                              ;   in Loop: Header=BB1_160 Depth=2
	s_or_b64 exec, exec, s[40:41]
	s_waitcnt vmcnt(0)
	v_and_b32_e32 v5, s17, v4
	v_cmp_eq_u32_sdwa s[18:19], v5, s85 src0_sel:BYTE_0 src1_sel:DWORD
	s_and_b64 s[40:41], vcc, s[18:19]
	s_and_saveexec_b64 s[18:19], s[40:41]
	s_cbranch_execz .LBB1_159
; %bb.163:                              ;   in Loop: Header=BB1_160 Depth=2
	v_lshlrev_b16_e32 v4, 8, v4
	v_or_b32_e32 v4, 1, v4
	ds_write_b16 v23, v4 offset:3072
	s_branch .LBB1_159
.LBB1_164:                              ;   in Loop: Header=BB1_8 Depth=1
                                        ; implicit-def: $sgpr34_sgpr35
                                        ; implicit-def: $sgpr38_sgpr39
                                        ; implicit-def: $sgpr36_sgpr37
	s_branch .LBB1_177
.LBB1_165:                              ;   in Loop: Header=BB1_8 Depth=1
	s_mov_b64 s[34:35], -1
	s_mov_b64 s[18:19], 0
                                        ; implicit-def: $sgpr36_sgpr37
                                        ; implicit-def: $vgpr25
	s_mov_b64 s[38:39], s[34:35]
	s_cbranch_execnz .LBB1_168
	s_branch .LBB1_177
.LBB1_166:                              ;   in Loop: Header=BB1_8 Depth=1
	s_or_b64 exec, exec, s[36:37]
	v_lshrrev_b16_e32 v25, 8, v4
	s_and_b64 s[18:19], s[38:39], exec
.LBB1_167:                              ;   in Loop: Header=BB1_8 Depth=1
	s_or_b64 exec, exec, s[34:35]
	s_mov_b64 s[36:37], -1
	s_mov_b64 s[34:35], 0
	s_mov_b64 s[38:39], s[34:35]
	s_branch .LBB1_177
.LBB1_168:                              ;   in Loop: Header=BB1_8 Depth=1
	v_readlane_b32 s1, v42, 21
	s_add_i32 s1, s0, s1
	s_abs_i32 s18, s1
	s_mul_hi_u32 s19, s18, s81
	s_mul_i32 s19, s19, s62
	s_sub_i32 s18, s18, s19
	s_ashr_i32 s8, s1, 31
	s_sub_i32 s19, s18, s62
	s_cmp_ge_u32 s18, s62
	s_cselect_b32 s18, s19, s18
	s_sub_i32 s19, s18, s62
	s_cmp_ge_u32 s18, s62
	s_cselect_b32 s18, s19, s18
	s_xor_b32 s18, s18, s8
	s_sub_i32 s8, s8, s18
	s_add_i32 s1, s1, s8
	v_cmp_gt_i32_e32 vcc, s1, v0
	s_mov_b64 s[18:19], 0
                                        ; implicit-def: $vgpr25
	s_and_saveexec_b64 s[34:35], vcc
	s_cbranch_execz .LBB1_176
; %bb.169:                              ;   in Loop: Header=BB1_8 Depth=1
	v_mov_b32_e32 v2, v0
                                        ; implicit-def: $sgpr36_sgpr37
	s_branch .LBB1_171
.LBB1_170:                              ;   in Loop: Header=BB1_171 Depth=2
	s_or_b64 exec, exec, s[38:39]
	s_waitcnt lgkmcnt(0)
	s_barrier
	ds_read_u16 v3, v23 offset:3072
	v_add_u32_e32 v2, s62, v2
	v_cmp_le_i32_e32 vcc, s1, v2
	s_waitcnt lgkmcnt(0)
	s_barrier
	v_cmp_ne_u16_sdwa s[38:39], v3, v23 src0_sel:BYTE_0 src1_sel:DWORD
	s_or_b64 s[40:41], vcc, s[38:39]
	s_and_b64 s[40:41], exec, s[40:41]
	s_or_b64 s[18:19], s[40:41], s[18:19]
	s_andn2_b64 s[36:37], s[36:37], exec
	s_and_b64 s[38:39], s[38:39], exec
	s_or_b64 s[36:37], s[36:37], s[38:39]
	s_andn2_b64 exec, exec, s[18:19]
	s_cbranch_execz .LBB1_175
.LBB1_171:                              ;   Parent Loop BB1_8 Depth=1
                                        ; =>  This Inner Loop Header: Depth=2
	v_cmp_gt_i32_e32 vcc, s0, v2
	v_mov_b32_e32 v3, 0
	s_and_saveexec_b64 s[38:39], vcc
	s_cbranch_execz .LBB1_173
; %bb.172:                              ;   in Loop: Header=BB1_171 Depth=2
	ds_read_u8 v3, v2
.LBB1_173:                              ;   in Loop: Header=BB1_171 Depth=2
	s_or_b64 exec, exec, s[38:39]
	s_waitcnt lgkmcnt(0)
	v_and_b32_e32 v4, s17, v3
	v_cmp_eq_u32_sdwa s[38:39], v4, s85 src0_sel:BYTE_0 src1_sel:DWORD
	s_and_b64 s[40:41], vcc, s[38:39]
	s_and_saveexec_b64 s[38:39], s[40:41]
	s_cbranch_execz .LBB1_170
; %bb.174:                              ;   in Loop: Header=BB1_171 Depth=2
	v_lshlrev_b16_e32 v3, 8, v3
	v_or_b32_e32 v3, 1, v3
	ds_write_b16 v23, v3 offset:3072
	s_branch .LBB1_170
.LBB1_175:                              ;   in Loop: Header=BB1_8 Depth=1
	s_or_b64 exec, exec, s[18:19]
	v_lshrrev_b16_e32 v25, 8, v3
	s_and_b64 s[18:19], s[36:37], exec
.LBB1_176:                              ;   in Loop: Header=BB1_8 Depth=1
	s_or_b64 exec, exec, s[34:35]
	s_mov_b64 s[38:39], -1
	s_mov_b64 s[34:35], 0
	s_mov_b64 s[36:37], 0
.LBB1_177:                              ;   in Loop: Header=BB1_8 Depth=1
	s_mov_b64 s[44:45], 0
                                        ; implicit-def: $sgpr57
	s_and_saveexec_b64 s[40:41], s[18:19]
	s_cbranch_execz .LBB1_230
; %bb.178:                              ;   in Loop: Header=BB1_8 Depth=1
	s_xor_b64 s[0:1], s[42:43], -1
	s_mov_b64 s[18:19], 0
	s_andn2_b64 vcc, exec, s[0:1]
	s_mov_b32 s56, 1
	s_cbranch_vccnz .LBB1_189
; %bb.179:                              ;   in Loop: Header=BB1_8 Depth=1
	s_cmp_gt_i32 s49, s46
	s_mov_b64 s[18:19], -1
                                        ; implicit-def: $sgpr57
                                        ; implicit-def: $sgpr0
                                        ; implicit-def: $sgpr1
	s_cbranch_scc1 .LBB1_185
; %bb.180:                              ;   in Loop: Header=BB1_8 Depth=1
	ds_read_b32 v2, v23 offset:4096
	s_waitcnt lgkmcnt(0)
	v_cmp_ne_u32_e32 vcc, 0, v2
	s_cbranch_vccnz .LBB1_184
; %bb.181:                              ;   in Loop: Header=BB1_8 Depth=1
	s_mov_b64 s[18:19], exec
	v_readlane_b32 s0, v42, 12
	v_readlane_b32 s1, v42, 13
	s_and_b64 s[0:1], s[18:19], s[0:1]
	s_mov_b64 exec, s[0:1]
	s_cbranch_execz .LBB1_183
; %bb.182:                              ;   in Loop: Header=BB1_8 Depth=1
	v_mov_b32_e32 v2, s46
	ds_write_b32 v23, v2 offset:4100
.LBB1_183:                              ;   in Loop: Header=BB1_8 Depth=1
	s_or_b64 exec, exec, s[18:19]
	s_waitcnt lgkmcnt(0)
	s_barrier
.LBB1_184:                              ;   in Loop: Header=BB1_8 Depth=1
	s_lshl_b32 s0, 2, s47
	s_and_b32 s1, s85, s48
	s_or_b32 s0, s1, s0
	s_or_b32 s1, s17, s55
	s_mov_b64 s[18:19], 0
	s_mov_b32 s57, 8
.LBB1_185:                              ;   in Loop: Header=BB1_8 Depth=1
	s_andn2_b64 vcc, exec, s[18:19]
	s_cbranch_vccnz .LBB1_187
; %bb.186:                              ;   in Loop: Header=BB1_8 Depth=1
	s_sub_i32 s49, s49, s46
	s_mov_b64 s[18:19], -1
	s_mov_b32 s57, 0
	s_mov_b32 s0, s85
	;; [unrolled: 1-line block ×3, first 2 shown]
.LBB1_187:                              ;   in Loop: Header=BB1_8 Depth=1
	s_mov_b32 s17, s1
	s_mov_b32 s85, s0
	;; [unrolled: 1-line block ×3, first 2 shown]
	s_andn2_b64 vcc, exec, s[18:19]
	s_mov_b64 s[52:53], -1
	s_cbranch_vccz .LBB1_190
.LBB1_188:                              ;   in Loop: Header=BB1_8 Depth=1
                                        ; implicit-def: $sgpr18_sgpr19
                                        ; implicit-def: $sgpr46_sgpr47
                                        ; implicit-def: $sgpr44_sgpr45
	s_branch .LBB1_229
.LBB1_189:                              ;   in Loop: Header=BB1_8 Depth=1
	s_mov_b32 s57, 1
	s_andn2_b64 vcc, exec, s[18:19]
	s_mov_b64 s[52:53], -1
	s_cbranch_vccnz .LBB1_188
.LBB1_190:                              ;   in Loop: Header=BB1_8 Depth=1
	s_cmp_eq_u32 s54, 1
	s_cselect_b64 s[0:1], -1, 0
	s_cmp_eq_u32 s56, 1
	s_cselect_b64 s[18:19], -1, 0
	s_and_b64 s[42:43], s[0:1], s[18:19]
	s_mov_b64 s[48:49], -1
	s_and_b64 vcc, exec, s[42:43]
	s_cbranch_vccz .LBB1_201
; %bb.191:                              ;   in Loop: Header=BB1_8 Depth=1
	ds_read_b32 v2, v23 offset:4096
	s_waitcnt lgkmcnt(0)
	s_barrier
	v_readfirstlane_b32 s0, v2
	s_and_saveexec_b64 s[18:19], s[4:5]
	s_cbranch_execz .LBB1_193
; %bb.192:                              ;   in Loop: Header=BB1_8 Depth=1
	ds_write_b8 v0, v23 offset:3072
.LBB1_193:                              ;   in Loop: Header=BB1_8 Depth=1
	s_or_b64 exec, exec, s[18:19]
	s_or_b32 s85, s85, s55
	s_or_b32 s17, s17, s55
	s_cmp_gt_i32 s0, 0
	s_waitcnt lgkmcnt(0)
	s_barrier
	s_cbranch_scc1 .LBB1_202
; %bb.194:                              ;   in Loop: Header=BB1_8 Depth=1
	s_mov_b64 s[48:49], 0
                                        ; implicit-def: $vgpr25
	s_mov_b64 s[44:45], exec
	v_readlane_b32 s18, v42, 44
	v_readlane_b32 s19, v42, 45
	s_and_b64 s[18:19], s[44:45], s[18:19]
	s_mov_b64 exec, s[18:19]
	s_cbranch_execz .LBB1_204
; %bb.195:                              ;   in Loop: Header=BB1_8 Depth=1
	s_mov_b64 s[46:47], 0
	v_mov_b32_e32 v2, v9
	v_mov_b32_e32 v3, v0
                                        ; implicit-def: $sgpr48_sgpr49
	s_branch .LBB1_197
.LBB1_196:                              ;   in Loop: Header=BB1_197 Depth=2
	s_or_b64 exec, exec, s[18:19]
	s_waitcnt lgkmcnt(0)
	s_barrier
	ds_read_u16 v4, v23 offset:3072
	v_add_u32_e32 v3, s62, v3
	v_cmp_le_i32_e32 vcc, s9, v3
	v_add_u32_e32 v2, s84, v2
	s_waitcnt lgkmcnt(0)
	v_cmp_ne_u16_sdwa s[18:19], v4, v23 src0_sel:BYTE_0 src1_sel:DWORD
	s_or_b64 s[50:51], vcc, s[18:19]
	s_and_b64 s[50:51], exec, s[50:51]
	s_or_b64 s[46:47], s[50:51], s[46:47]
	s_andn2_b64 s[48:49], s[48:49], exec
	s_and_b64 s[18:19], s[18:19], exec
	s_or_b64 s[48:49], s[48:49], s[18:19]
	s_barrier
	s_andn2_b64 exec, exec, s[46:47]
	s_cbranch_execz .LBB1_203
.LBB1_197:                              ;   Parent Loop BB1_8 Depth=1
                                        ; =>  This Inner Loop Header: Depth=2
	v_cmp_gt_i32_e32 vcc, s60, v3
	v_mov_b32_e32 v4, 0
	s_and_saveexec_b64 s[50:51], vcc
	s_cbranch_execz .LBB1_199
; %bb.198:                              ;   in Loop: Header=BB1_197 Depth=2
	v_ashrrev_i32_e32 v5, 31, v2
	v_mov_b32_e32 v25, s73
	v_add_co_u32_e64 v4, s[18:19], s72, v2
	v_addc_co_u32_e64 v5, s[18:19], v25, v5, s[18:19]
	global_load_ubyte v4, v[4:5], off
.LBB1_199:                              ;   in Loop: Header=BB1_197 Depth=2
	s_or_b64 exec, exec, s[50:51]
	s_waitcnt vmcnt(0)
	v_and_b32_e32 v5, s17, v4
	v_cmp_eq_u32_sdwa s[18:19], v5, s85 src0_sel:BYTE_0 src1_sel:DWORD
	s_and_b64 s[50:51], vcc, s[18:19]
	s_and_saveexec_b64 s[18:19], s[50:51]
	s_cbranch_execz .LBB1_196
; %bb.200:                              ;   in Loop: Header=BB1_197 Depth=2
	v_lshlrev_b16_e32 v4, 8, v4
	v_or_b32_e32 v4, 1, v4
	ds_write_b16 v23, v4 offset:3072
	s_branch .LBB1_196
.LBB1_201:                              ;   in Loop: Header=BB1_8 Depth=1
                                        ; implicit-def: $sgpr18_sgpr19
                                        ; implicit-def: $sgpr46_sgpr47
                                        ; implicit-def: $sgpr44_sgpr45
	s_branch .LBB1_214
.LBB1_202:                              ;   in Loop: Header=BB1_8 Depth=1
	s_mov_b64 s[18:19], -1
	s_mov_b64 s[48:49], 0
                                        ; implicit-def: $sgpr44_sgpr45
                                        ; implicit-def: $vgpr25
	s_mov_b64 s[46:47], s[18:19]
	s_cbranch_execnz .LBB1_205
	s_branch .LBB1_214
.LBB1_203:                              ;   in Loop: Header=BB1_8 Depth=1
	s_or_b64 exec, exec, s[46:47]
	v_lshrrev_b16_e32 v25, 8, v4
	s_and_b64 s[48:49], s[48:49], exec
.LBB1_204:                              ;   in Loop: Header=BB1_8 Depth=1
	s_or_b64 exec, exec, s[44:45]
	s_mov_b64 s[44:45], -1
	s_mov_b64 s[18:19], 0
	s_mov_b64 s[46:47], s[18:19]
	s_branch .LBB1_214
.LBB1_205:                              ;   in Loop: Header=BB1_8 Depth=1
	v_readlane_b32 s1, v42, 21
	s_add_i32 s1, s0, s1
	s_abs_i32 s18, s1
	s_mul_hi_u32 s19, s18, s81
	s_mul_i32 s19, s19, s62
	s_sub_i32 s18, s18, s19
	s_ashr_i32 s8, s1, 31
	s_sub_i32 s19, s18, s62
	s_cmp_ge_u32 s18, s62
	s_cselect_b32 s18, s19, s18
	s_sub_i32 s19, s18, s62
	s_cmp_ge_u32 s18, s62
	s_cselect_b32 s18, s19, s18
	s_xor_b32 s18, s18, s8
	s_sub_i32 s8, s8, s18
	s_add_i32 s1, s1, s8
	v_cmp_gt_i32_e32 vcc, s1, v0
	s_mov_b64 s[48:49], 0
                                        ; implicit-def: $vgpr25
	s_and_saveexec_b64 s[18:19], vcc
	s_cbranch_execz .LBB1_213
; %bb.206:                              ;   in Loop: Header=BB1_8 Depth=1
	s_mov_b64 s[44:45], 0
	v_mov_b32_e32 v2, v0
                                        ; implicit-def: $sgpr46_sgpr47
	s_branch .LBB1_208
.LBB1_207:                              ;   in Loop: Header=BB1_208 Depth=2
	s_or_b64 exec, exec, s[48:49]
	s_waitcnt lgkmcnt(0)
	s_barrier
	ds_read_u16 v3, v23 offset:3072
	v_add_u32_e32 v2, s62, v2
	v_cmp_le_i32_e32 vcc, s1, v2
	s_waitcnt lgkmcnt(0)
	s_barrier
	v_cmp_ne_u16_sdwa s[48:49], v3, v23 src0_sel:BYTE_0 src1_sel:DWORD
	s_or_b64 s[50:51], vcc, s[48:49]
	s_and_b64 s[50:51], exec, s[50:51]
	s_or_b64 s[44:45], s[50:51], s[44:45]
	s_andn2_b64 s[46:47], s[46:47], exec
	s_and_b64 s[48:49], s[48:49], exec
	s_or_b64 s[46:47], s[46:47], s[48:49]
	s_andn2_b64 exec, exec, s[44:45]
	s_cbranch_execz .LBB1_212
.LBB1_208:                              ;   Parent Loop BB1_8 Depth=1
                                        ; =>  This Inner Loop Header: Depth=2
	v_cmp_gt_i32_e32 vcc, s0, v2
	v_mov_b32_e32 v3, 0
	s_and_saveexec_b64 s[48:49], vcc
	s_cbranch_execz .LBB1_210
; %bb.209:                              ;   in Loop: Header=BB1_208 Depth=2
	ds_read_u8 v3, v2
.LBB1_210:                              ;   in Loop: Header=BB1_208 Depth=2
	s_or_b64 exec, exec, s[48:49]
	s_waitcnt lgkmcnt(0)
	v_and_b32_e32 v4, s17, v3
	v_cmp_eq_u32_sdwa s[48:49], v4, s85 src0_sel:BYTE_0 src1_sel:DWORD
	s_and_b64 s[50:51], vcc, s[48:49]
	s_and_saveexec_b64 s[48:49], s[50:51]
	s_cbranch_execz .LBB1_207
; %bb.211:                              ;   in Loop: Header=BB1_208 Depth=2
	v_lshlrev_b16_e32 v3, 8, v3
	v_or_b32_e32 v3, 1, v3
	ds_write_b16 v23, v3 offset:3072
	s_branch .LBB1_207
.LBB1_212:                              ;   in Loop: Header=BB1_8 Depth=1
	s_or_b64 exec, exec, s[44:45]
	v_lshrrev_b16_e32 v25, 8, v3
	s_and_b64 s[48:49], s[46:47], exec
.LBB1_213:                              ;   in Loop: Header=BB1_8 Depth=1
	s_or_b64 exec, exec, s[18:19]
	s_mov_b64 s[46:47], -1
	s_mov_b64 s[18:19], 0
	s_mov_b64 s[44:45], 0
.LBB1_214:                              ;   in Loop: Header=BB1_8 Depth=1
	s_mov_b64 s[52:53], 0
                                        ; implicit-def: $sgpr57
	s_and_saveexec_b64 s[50:51], s[48:49]
	s_cbranch_execz .LBB1_228
; %bb.215:                              ;   in Loop: Header=BB1_8 Depth=1
	s_xor_b64 s[0:1], s[42:43], -1
	s_andn2_b64 vcc, exec, s[0:1]
	s_mov_b32 s57, 1
	s_cbranch_vccnz .LBB1_222
; %bb.216:                              ;   in Loop: Header=BB1_8 Depth=1
	s_cmp_gt_i32 s56, s54
	s_cbranch_scc1 .LBB1_223
; %bb.217:                              ;   in Loop: Header=BB1_8 Depth=1
	ds_read_b32 v2, v23 offset:4096
	s_waitcnt lgkmcnt(0)
	v_cmp_ne_u32_e32 vcc, 0, v2
	s_cbranch_vccnz .LBB1_221
; %bb.218:                              ;   in Loop: Header=BB1_8 Depth=1
	s_mov_b64 s[42:43], exec
	v_readlane_b32 s0, v42, 12
	v_readlane_b32 s1, v42, 13
	s_and_b64 s[0:1], s[42:43], s[0:1]
	s_mov_b64 exec, s[0:1]
	s_cbranch_execz .LBB1_220
; %bb.219:                              ;   in Loop: Header=BB1_8 Depth=1
	v_mov_b32_e32 v2, s54
	ds_write_b32 v23, v2 offset:4100
.LBB1_220:                              ;   in Loop: Header=BB1_8 Depth=1
	s_or_b64 exec, exec, s[42:43]
	s_waitcnt lgkmcnt(0)
	s_barrier
.LBB1_221:                              ;   in Loop: Header=BB1_8 Depth=1
	s_or_b32 s0, s85, s55
	s_or_b32 s1, s17, s55
	s_mov_b64 s[42:43], 0
	s_mov_b32 s57, 8
	s_branch .LBB1_224
.LBB1_222:                              ;   in Loop: Header=BB1_8 Depth=1
	s_mov_b32 s56, 1
	s_branch .LBB1_227
.LBB1_223:                              ;   in Loop: Header=BB1_8 Depth=1
	s_mov_b64 s[42:43], -1
                                        ; implicit-def: $sgpr57
                                        ; implicit-def: $sgpr0
                                        ; implicit-def: $sgpr1
.LBB1_224:                              ;   in Loop: Header=BB1_8 Depth=1
	s_andn2_b64 vcc, exec, s[42:43]
	s_cbranch_vccnz .LBB1_226
; %bb.225:                              ;   in Loop: Header=BB1_8 Depth=1
	s_sub_i32 s56, s56, s54
	s_mov_b32 s57, 8
	s_mov_b32 s0, s85
	s_mov_b32 s1, s17
.LBB1_226:                              ;   in Loop: Header=BB1_8 Depth=1
	s_mov_b32 s85, s0
	s_mov_b32 s17, s1
.LBB1_227:                              ;   in Loop: Header=BB1_8 Depth=1
	s_mov_b64 s[52:53], exec
.LBB1_228:                              ;   in Loop: Header=BB1_8 Depth=1
	s_or_b64 exec, exec, s[50:51]
.LBB1_229:                              ;   in Loop: Header=BB1_8 Depth=1
	s_andn2_b64 s[0:1], s[34:35], exec
	s_and_b64 s[18:19], s[18:19], exec
	s_or_b64 s[34:35], s[0:1], s[18:19]
	s_andn2_b64 s[0:1], s[38:39], exec
	s_and_b64 s[18:19], s[46:47], exec
	s_or_b64 s[38:39], s[0:1], s[18:19]
	;; [unrolled: 3-line block ×3, first 2 shown]
	s_and_b64 s[44:45], s[52:53], exec
	s_mov_b32 s49, s56
.LBB1_230:                              ;   in Loop: Header=BB1_8 Depth=1
	s_or_b64 exec, exec, s[40:41]
.LBB1_231:                              ;   in Loop: Header=BB1_8 Depth=1
	s_andn2_b64 s[0:1], s[26:27], exec
	s_and_b64 s[18:19], s[34:35], exec
	s_or_b64 s[26:27], s[0:1], s[18:19]
	s_andn2_b64 s[0:1], s[28:29], exec
	s_and_b64 s[18:19], s[38:39], exec
	s_or_b64 s[28:29], s[0:1], s[18:19]
	;; [unrolled: 3-line block ×3, first 2 shown]
	s_and_b64 s[36:37], s[44:45], exec
	s_mov_b32 s39, s49
.LBB1_232:                              ;   in Loop: Header=BB1_8 Depth=1
	s_or_b64 exec, exec, s[30:31]
	s_and_saveexec_b64 s[0:1], s[36:37]
	s_xor_b64 s[18:19], exec, s[0:1]
	s_cbranch_execz .LBB1_6
.LBB1_233:                              ;   in Loop: Header=BB1_8 Depth=1
	s_and_b32 s0, s57, -9
	s_cmp_eq_u32 s0, 0
	s_cbranch_scc1 .LBB1_4
; %bb.234:                              ;   in Loop: Header=BB1_8 Depth=1
	s_mov_b64 s[22:23], -1
                                        ; implicit-def: $sgpr17
                                        ; implicit-def: $sgpr39
                                        ; implicit-def: $sgpr83
                                        ; implicit-def: $sgpr16
	s_mov_b64 s[30:31], -1
	s_branch .LBB1_5
.LBB1_235:
	s_or_b64 exec, exec, s[92:93]
	s_xor_b64 s[8:9], s[66:67], -1
	s_xor_b64 s[0:1], s[94:95], -1
	;; [unrolled: 1-line block ×3, first 2 shown]
	s_mov_b64 s[4:5], 0
	s_and_saveexec_b64 s[2:3], s[0:1]
	s_xor_b64 s[2:3], exec, s[2:3]
	s_cbranch_execnz .LBB1_240
; %bb.236:
	s_andn2_saveexec_b64 s[0:1], s[2:3]
	s_cbranch_execnz .LBB1_260
.LBB1_237:
	s_or_b64 exec, exec, s[0:1]
	s_and_saveexec_b64 s[0:1], s[4:5]
.LBB1_238:
	; divergent unreachable
.LBB1_239:
	s_endpgm
.LBB1_240:
	s_and_saveexec_b64 s[0:1], s[8:9]
	s_xor_b64 s[4:5], exec, s[0:1]
	s_cbranch_execz .LBB1_258
; %bb.241:
	s_and_saveexec_b64 s[0:1], s[6:7]
	s_xor_b64 s[6:7], exec, s[0:1]
; %bb.242:
	v_mov_b32_e32 v25, v2
; %bb.243:
	s_or_b64 exec, exec, s[6:7]
	s_mov_b64 s[6:7], exec
	v_readlane_b32 s0, v42, 12
	v_readlane_b32 s1, v42, 13
	s_and_b64 s[0:1], s[6:7], s[0:1]
	v_readlane_b32 s18, v42, 16
	v_readlane_b32 s19, v42, 18
	;; [unrolled: 1-line block ×5, first 2 shown]
	s_mov_b64 exec, s[0:1]
	s_cbranch_execz .LBB1_245
; %bb.244:
	v_mov_b32_e32 v1, 0
	v_mov_b32_e32 v2, s60
	ds_write_b32 v1, v2 offset:4108
.LBB1_245:
	s_or_b64 exec, exec, s[6:7]
	v_mov_b32_e32 v1, 0
	s_waitcnt lgkmcnt(0)
	s_barrier
	ds_read_b32 v1, v1 offset:4108
	s_waitcnt lgkmcnt(0)
	v_min_i32_e32 v2, s60, v1
	v_cmp_lt_i32_e32 vcc, v0, v2
	s_and_saveexec_b64 s[6:7], vcc
	s_cbranch_execz .LBB1_255
; %bb.246:
	s_mov_b64 s[8:9], 0
	v_mov_b32_e32 v3, s73
                                        ; implicit-def: $sgpr10_sgpr11
                                        ; implicit-def: $sgpr14_sgpr15
                                        ; implicit-def: $sgpr12_sgpr13
	s_branch .LBB1_248
.LBB1_247:                              ;   in Loop: Header=BB1_248 Depth=1
	s_or_b64 exec, exec, s[16:17]
	s_and_b64 s[0:1], exec, s[14:15]
	s_or_b64 s[8:9], s[0:1], s[8:9]
	s_andn2_b64 s[0:1], s[10:11], exec
	s_and_b64 s[10:11], s[12:13], exec
	s_or_b64 s[10:11], s[0:1], s[10:11]
	s_andn2_b64 exec, exec, s[8:9]
	s_cbranch_execz .LBB1_250
.LBB1_248:                              ; =>This Inner Loop Header: Depth=1
	v_ashrrev_i32_e32 v1, 31, v9
	v_add_co_u32_e32 v4, vcc, s72, v9
	v_addc_co_u32_e32 v5, vcc, v3, v1, vcc
	global_load_ubyte v4, v[4:5], off
	v_mov_b32_e32 v1, v0
	s_or_b64 s[12:13], s[12:13], exec
	s_or_b64 s[14:15], s[14:15], exec
                                        ; implicit-def: $vgpr0
	s_waitcnt vmcnt(0)
	v_cmp_ne_u16_sdwa s[0:1], v4, v25 src0_sel:DWORD src1_sel:BYTE_0
	s_and_saveexec_b64 s[16:17], s[0:1]
	s_cbranch_execz .LBB1_247
; %bb.249:                              ;   in Loop: Header=BB1_248 Depth=1
	v_add_u32_e32 v0, s62, v1
	v_cmp_ge_i32_e32 vcc, v0, v2
	s_andn2_b64 s[0:1], s[14:15], exec
	s_and_b64 s[14:15], vcc, exec
	v_add_u32_e32 v9, s84, v9
	s_andn2_b64 s[12:13], s[12:13], exec
	s_or_b64 s[14:15], s[0:1], s[14:15]
	s_branch .LBB1_247
.LBB1_250:
	s_or_b64 exec, exec, s[8:9]
	s_and_saveexec_b64 s[0:1], s[10:11]
	s_xor_b64 s[0:1], exec, s[0:1]
	s_cbranch_execz .LBB1_255
; %bb.251:
	s_mov_b64 s[8:9], exec
	s_brev_b32 s0, -2
.LBB1_252:                              ; =>This Inner Loop Header: Depth=1
	s_ff1_i32_b64 s1, s[8:9]
	v_readlane_b32 s12, v1, s1
	s_lshl_b64 s[10:11], 1, s1
	s_min_i32 s0, s0, s12
	s_andn2_b64 s[8:9], s[8:9], s[10:11]
	s_cmp_lg_u64 s[8:9], 0
	s_cbranch_scc1 .LBB1_252
; %bb.253:
	v_mbcnt_lo_u32_b32 v0, exec_lo, 0
	v_mbcnt_hi_u32_b32 v0, exec_hi, v0
	v_cmp_eq_u32_e32 vcc, 0, v0
	s_and_saveexec_b64 s[8:9], vcc
	s_xor_b64 s[8:9], exec, s[8:9]
	s_cbranch_execz .LBB1_255
; %bb.254:
	v_mov_b32_e32 v0, 0
	v_mov_b32_e32 v1, s0
	ds_min_i32 v0, v1 offset:4108
.LBB1_255:
	s_or_b64 exec, exec, s[6:7]
	s_waitcnt lgkmcnt(0)
	s_barrier
	s_mov_b64 s[6:7], exec
	v_readlane_b32 s0, v42, 12
	v_readlane_b32 s1, v42, 13
	s_and_b64 s[0:1], s[6:7], s[0:1]
	s_mov_b64 exec, s[0:1]
	s_cbranch_execz .LBB1_257
; %bb.256:
	v_readlane_b32 s10, v42, 8
	v_readlane_b32 s11, v42, 9
	s_mul_i32 s1, s11, s10
	v_readlane_b32 s0, v42, 15
	s_sub_i32 s1, s20, s1
	s_xor_b32 s0, s19, s0
	s_add_i32 s8, s11, 1
	s_sub_i32 s9, s1, s10
	s_cmp_ge_u32 s1, s10
	s_cselect_b32 s8, s8, s11
	s_cselect_b32 s1, s9, s1
	s_add_i32 s9, s8, 1
	s_cmp_ge_u32 s1, s10
	s_cselect_b32 s1, s9, s8
	s_xor_b32 s1, s1, s0
	s_sub_i32 s0, s1, s0
	s_mul_i32 s1, s0, s21
	v_readlane_b32 s8, v42, 6
	s_sub_i32 s1, s22, s1
	v_readlane_b32 s9, v42, 7
	v_readlane_b32 s11, v42, 10
	;; [unrolled: 1-line block ×3, first 2 shown]
	s_mul_i32 s1, s1, s9
	s_mul_i32 s0, s0, s8
	;; [unrolled: 1-line block ×3, first 2 shown]
	s_add_i32 s1, s0, s1
	v_readlane_b32 s0, v42, 17
	s_sub_i32 s8, s20, s8
	s_xor_b32 s0, s19, s0
	s_add_i32 s9, s12, 1
	s_sub_i32 s10, s8, s11
	s_cmp_ge_u32 s8, s11
	s_cselect_b32 s9, s9, s12
	s_cselect_b32 s8, s10, s8
	s_add_i32 s10, s9, 1
	s_cmp_ge_u32 s8, s11
	s_cselect_b32 s8, s10, s9
	s_xor_b32 s8, s8, s0
	s_sub_i32 s0, s8, s0
	s_mul_i32 s8, s0, s18
	v_readlane_b32 s10, v42, 2
	s_sub_i32 s8, s22, s8
	v_readlane_b32 s11, v42, 3
	s_mul_i32 s8, s8, s11
	s_mul_i32 s0, s0, s10
	v_mov_b32_e32 v2, 0
	s_add_i32 s0, s0, s8
	s_ashr_i32 s9, s1, 31
	v_readlane_b32 s10, v42, 0
	ds_read_b32 v0, v2 offset:4108
	v_readlane_b32 s11, v42, 1
	s_add_u32 s8, s10, s1
	s_addc_u32 s9, s11, s9
	s_ashr_i32 s1, s0, 31
	s_lshl_b64 s[0:1], s[0:1], 3
	v_readlane_b32 s10, v42, 4
	v_readlane_b32 s11, v42, 5
	s_add_u32 s0, s10, s0
	s_addc_u32 s1, s11, s1
	s_waitcnt lgkmcnt(0)
	v_ashrrev_i32_e32 v1, 31, v0
	global_store_dwordx2 v2, v[0:1], s[0:1]
	global_store_byte v2, v25, s[8:9]
.LBB1_257:
	s_or_b64 exec, exec, s[6:7]
.LBB1_258:
	s_or_saveexec_b64 s[0:1], s[4:5]
	s_mov_b64 s[4:5], 0
	s_xor_b64 exec, exec, s[0:1]
	s_cbranch_execnz .LBB1_261
.LBB1_259:
	s_or_b64 exec, exec, s[0:1]
	s_and_b64 s[4:5], s[4:5], exec
	s_andn2_saveexec_b64 s[0:1], s[2:3]
	s_cbranch_execz .LBB1_237
.LBB1_260:
	s_or_b64 s[4:5], s[4:5], exec
	s_trap 2
	s_or_b64 exec, exec, s[0:1]
	s_and_saveexec_b64 s[0:1], s[4:5]
	s_cbranch_execnz .LBB1_238
	s_branch .LBB1_239
.LBB1_261:
	s_mov_b64 s[4:5], exec
	s_trap 2
	s_branch .LBB1_259
	.section	.rodata,"a",@progbits
	.p2align	6, 0x0
	.amdhsa_kernel _ZN2at6native12_GLOBAL__N_114gatherKthValueIhiLi2EEEvNS_4cuda6detail10TensorInfoIKT_T0_EES8_S8_S8_S8_NS5_IS6_S8_EENS5_IlS8_EE
		.amdhsa_group_segment_fixed_size 4112
		.amdhsa_private_segment_fixed_size 0
		.amdhsa_kernarg_size 920
		.amdhsa_user_sgpr_count 6
		.amdhsa_user_sgpr_private_segment_buffer 1
		.amdhsa_user_sgpr_dispatch_ptr 0
		.amdhsa_user_sgpr_queue_ptr 0
		.amdhsa_user_sgpr_kernarg_segment_ptr 1
		.amdhsa_user_sgpr_dispatch_id 0
		.amdhsa_user_sgpr_flat_scratch_init 0
		.amdhsa_user_sgpr_kernarg_preload_length 0
		.amdhsa_user_sgpr_kernarg_preload_offset 0
		.amdhsa_user_sgpr_private_segment_size 0
		.amdhsa_uses_dynamic_stack 0
		.amdhsa_system_sgpr_private_segment_wavefront_offset 0
		.amdhsa_system_sgpr_workgroup_id_x 1
		.amdhsa_system_sgpr_workgroup_id_y 1
		.amdhsa_system_sgpr_workgroup_id_z 1
		.amdhsa_system_sgpr_workgroup_info 0
		.amdhsa_system_vgpr_workitem_id 0
		.amdhsa_next_free_vgpr 43
		.amdhsa_next_free_sgpr 96
		.amdhsa_accum_offset 44
		.amdhsa_reserve_vcc 1
		.amdhsa_reserve_flat_scratch 0
		.amdhsa_float_round_mode_32 0
		.amdhsa_float_round_mode_16_64 0
		.amdhsa_float_denorm_mode_32 3
		.amdhsa_float_denorm_mode_16_64 3
		.amdhsa_dx10_clamp 1
		.amdhsa_ieee_mode 1
		.amdhsa_fp16_overflow 0
		.amdhsa_tg_split 0
		.amdhsa_exception_fp_ieee_invalid_op 0
		.amdhsa_exception_fp_denorm_src 0
		.amdhsa_exception_fp_ieee_div_zero 0
		.amdhsa_exception_fp_ieee_overflow 0
		.amdhsa_exception_fp_ieee_underflow 0
		.amdhsa_exception_fp_ieee_inexact 0
		.amdhsa_exception_int_div_zero 0
	.end_amdhsa_kernel
	.section	.text._ZN2at6native12_GLOBAL__N_114gatherKthValueIhiLi2EEEvNS_4cuda6detail10TensorInfoIKT_T0_EES8_S8_S8_S8_NS5_IS6_S8_EENS5_IlS8_EE,"axG",@progbits,_ZN2at6native12_GLOBAL__N_114gatherKthValueIhiLi2EEEvNS_4cuda6detail10TensorInfoIKT_T0_EES8_S8_S8_S8_NS5_IS6_S8_EENS5_IlS8_EE,comdat
.Lfunc_end1:
	.size	_ZN2at6native12_GLOBAL__N_114gatherKthValueIhiLi2EEEvNS_4cuda6detail10TensorInfoIKT_T0_EES8_S8_S8_S8_NS5_IS6_S8_EENS5_IlS8_EE, .Lfunc_end1-_ZN2at6native12_GLOBAL__N_114gatherKthValueIhiLi2EEEvNS_4cuda6detail10TensorInfoIKT_T0_EES8_S8_S8_S8_NS5_IS6_S8_EENS5_IlS8_EE
                                        ; -- End function
	.section	.AMDGPU.csdata,"",@progbits
; Kernel info:
; codeLenInByte = 9964
; NumSgprs: 100
; NumVgprs: 43
; NumAgprs: 0
; TotalNumVgprs: 43
; ScratchSize: 0
; MemoryBound: 0
; FloatMode: 240
; IeeeMode: 1
; LDSByteSize: 4112 bytes/workgroup (compile time only)
; SGPRBlocks: 12
; VGPRBlocks: 5
; NumSGPRsForWavesPerEU: 100
; NumVGPRsForWavesPerEU: 43
; AccumOffset: 44
; Occupancy: 8
; WaveLimiterHint : 1
; COMPUTE_PGM_RSRC2:SCRATCH_EN: 0
; COMPUTE_PGM_RSRC2:USER_SGPR: 6
; COMPUTE_PGM_RSRC2:TRAP_HANDLER: 0
; COMPUTE_PGM_RSRC2:TGID_X_EN: 1
; COMPUTE_PGM_RSRC2:TGID_Y_EN: 1
; COMPUTE_PGM_RSRC2:TGID_Z_EN: 1
; COMPUTE_PGM_RSRC2:TIDIG_COMP_CNT: 0
; COMPUTE_PGM_RSRC3_GFX90A:ACCUM_OFFSET: 10
; COMPUTE_PGM_RSRC3_GFX90A:TG_SPLIT: 0
	.section	.text._ZN2at6native12_GLOBAL__N_114gatherKthValueIhiLi3EEEvNS_4cuda6detail10TensorInfoIKT_T0_EES8_S8_S8_S8_NS5_IS6_S8_EENS5_IlS8_EE,"axG",@progbits,_ZN2at6native12_GLOBAL__N_114gatherKthValueIhiLi3EEEvNS_4cuda6detail10TensorInfoIKT_T0_EES8_S8_S8_S8_NS5_IS6_S8_EENS5_IlS8_EE,comdat
	.globl	_ZN2at6native12_GLOBAL__N_114gatherKthValueIhiLi3EEEvNS_4cuda6detail10TensorInfoIKT_T0_EES8_S8_S8_S8_NS5_IS6_S8_EENS5_IlS8_EE ; -- Begin function _ZN2at6native12_GLOBAL__N_114gatherKthValueIhiLi3EEEvNS_4cuda6detail10TensorInfoIKT_T0_EES8_S8_S8_S8_NS5_IS6_S8_EENS5_IlS8_EE
	.p2align	8
	.type	_ZN2at6native12_GLOBAL__N_114gatherKthValueIhiLi3EEEvNS_4cuda6detail10TensorInfoIKT_T0_EES8_S8_S8_S8_NS5_IS6_S8_EENS5_IlS8_EE,@function
_ZN2at6native12_GLOBAL__N_114gatherKthValueIhiLi3EEEvNS_4cuda6detail10TensorInfoIKT_T0_EES8_S8_S8_S8_NS5_IS6_S8_EENS5_IlS8_EE: ; @_ZN2at6native12_GLOBAL__N_114gatherKthValueIhiLi3EEEvNS_4cuda6detail10TensorInfoIKT_T0_EES8_S8_S8_S8_NS5_IS6_S8_EENS5_IlS8_EE
; %bb.0:
	s_load_dwordx2 s[14:15], s[4:5], 0x298
	s_load_dwordx4 s[68:71], s[4:5], 0xd8
	s_add_u32 s12, s4, 0x298
	s_addc_u32 s13, s5, 0
	s_waitcnt lgkmcnt(0)
	s_mul_i32 s0, s15, s8
	s_add_i32 s0, s0, s7
	s_mul_i32 s0, s0, s14
	s_add_i32 s33, s0, s6
	s_cmp_ge_i32 s33, s70
	s_cbranch_scc1 .LBB2_239
; %bb.1:
	s_load_dwordx2 s[2:3], s[4:5], 0xc
	s_load_dwordx2 s[24:25], s[4:5], 0xf4
	s_ashr_i32 s8, s33, 31
	s_abs_i32 s9, s33
	s_load_dwordx4 s[28:31], s[4:5], 0x154
	s_waitcnt lgkmcnt(0)
	s_ashr_i32 s0, s3, 31
	s_add_i32 s1, s3, s0
	s_xor_b32 s1, s1, s0
	v_cvt_f32_u32_e32 v1, s1
	s_xor_b32 s7, s8, s0
	s_sub_i32 s0, 0, s1
                                        ; implicit-def: $vgpr42 : SGPR spill to VGPR lane
                                        ; kill: killed $sgpr4 killed $sgpr5
	s_mov_b32 s82, 0
	v_rcp_iflag_f32_e32 v1, v1
	v_writelane_b32 v42, s28, 0
	v_writelane_b32 v42, s29, 1
	;; [unrolled: 1-line block ×3, first 2 shown]
	v_mul_f32_e32 v1, 0x4f7ffffe, v1
	v_cvt_u32_f32_e32 v1, v1
	v_writelane_b32 v42, s31, 3
	v_readfirstlane_b32 s10, v1
	s_mul_i32 s0, s0, s10
	s_mul_hi_u32 s0, s10, s0
	s_add_i32 s10, s10, s0
	s_mul_hi_u32 s0, s9, s10
	s_mul_i32 s10, s0, s1
	s_sub_i32 s10, s9, s10
	s_add_i32 s11, s0, 1
	s_sub_i32 s15, s10, s1
	s_cmp_ge_u32 s10, s1
	s_cselect_b32 s0, s11, s0
	s_cselect_b32 s10, s15, s10
	s_add_i32 s11, s0, 1
	s_cmp_ge_u32 s10, s1
	s_cselect_b32 s10, s11, s0
	s_abs_i32 s0, s2
	s_ashr_i32 s11, s25, 31
	v_cvt_f32_u32_e32 v1, s0
	s_add_i32 s15, s25, s11
	s_xor_b32 s19, s8, s11
	s_xor_b32 s11, s15, s11
	v_cvt_f32_u32_e32 v2, s11
	v_rcp_iflag_f32_e32 v1, v1
	s_xor_b32 s10, s10, s7
	s_sub_i32 s16, 0, s0
	v_rcp_iflag_f32_e32 v2, v2
	v_mul_f32_e32 v1, 0x4f7ffffe, v1
	v_cvt_u32_f32_e32 v1, v1
	s_sub_i32 s7, s10, s7
	v_mul_f32_e32 v2, 0x4f7ffffe, v2
	v_cvt_u32_f32_e32 v2, v2
	v_readfirstlane_b32 s10, v1
	s_mul_i32 s16, s16, s10
	s_mul_hi_u32 s16, s10, s16
	s_add_i32 s20, s10, s16
	s_sub_i32 s10, 0, s11
	v_readfirstlane_b32 s16, v2
	s_mul_i32 s10, s10, s16
	s_mul_hi_u32 s10, s16, s10
	s_add_i32 s16, s16, s10
	s_mul_hi_u32 s10, s9, s16
	s_mul_i32 s16, s10, s11
	s_sub_i32 s16, s9, s16
	s_ashr_i32 s1, s2, 31
	s_ashr_i32 s15, s7, 31
	s_abs_i32 s18, s7
	s_add_i32 s17, s10, 1
	s_sub_i32 s21, s16, s11
	s_cmp_ge_u32 s16, s11
	s_cselect_b32 s10, s17, s10
	s_cselect_b32 s16, s21, s16
	s_add_i32 s17, s10, 1
	s_cmp_ge_u32 s16, s11
	s_cselect_b32 s10, s17, s10
	s_load_dwordx2 s[16:17], s[4:5], 0x0
	s_load_dwordx4 s[28:31], s[4:5], 0x22c
	s_load_dwordx2 s[26:27], s[4:5], 0x1cc
	s_load_dwordx2 s[22:23], s[4:5], 0x1c0
	s_abs_i32 s21, s24
	v_cvt_f32_u32_e32 v1, s21
	s_xor_b32 s10, s10, s19
	s_waitcnt lgkmcnt(0)
	v_writelane_b32 v42, s28, 4
	v_writelane_b32 v42, s29, 5
	;; [unrolled: 1-line block ×6, first 2 shown]
	s_sub_i32 s23, s10, s19
	s_ashr_i32 s10, s27, 31
	s_add_i32 s11, s27, s10
	v_rcp_iflag_f32_e32 v1, v1
	s_xor_b32 s11, s11, s10
	v_cvt_f32_u32_e32 v2, s11
	v_writelane_b32 v42, s21, 10
	v_mul_f32_e32 v1, 0x4f7ffffe, v1
	v_cvt_u32_f32_e32 v1, v1
	v_rcp_iflag_f32_e32 v2, v2
	s_sub_i32 s19, 0, s21
	s_abs_i32 s28, s23
	v_readfirstlane_b32 s21, v1
	v_mul_f32_e32 v1, 0x4f7ffffe, v2
	v_cvt_u32_f32_e32 v1, v1
	s_mul_i32 s19, s19, s21
	s_mul_hi_u32 s19, s21, s19
	s_add_i32 s21, s21, s19
	s_xor_b32 s19, s8, s10
	s_sub_i32 s8, 0, s11
	v_readfirstlane_b32 s10, v1
	s_mul_i32 s8, s8, s10
	s_mul_hi_u32 s8, s10, s8
	s_add_i32 s10, s10, s8
	s_mul_hi_u32 s8, s9, s10
	s_mul_i32 s10, s8, s11
	s_sub_i32 s9, s9, s10
	s_add_i32 s10, s8, 1
	s_sub_i32 s22, s9, s11
	s_cmp_ge_u32 s9, s11
	s_cselect_b32 s8, s10, s8
	s_cselect_b32 s9, s22, s9
	s_add_i32 s10, s8, 1
	s_cmp_ge_u32 s9, s11
	s_cselect_b32 s22, s10, s8
	s_abs_i32 s29, s26
	v_cvt_f32_u32_e32 v1, s29
	s_load_dwordx2 s[8:9], s[4:5], 0xe8
	v_rcp_iflag_f32_e32 v1, v1
	s_waitcnt lgkmcnt(0)
	v_writelane_b32 v42, s8, 11
	v_writelane_b32 v42, s9, 12
	v_mul_f32_e32 v1, 0x4f7ffffe, v1
	v_cvt_u32_f32_e32 v1, v1
	s_load_dwordx4 s[8:11], s[4:5], 0x6c
	v_writelane_b32 v42, s28, 13
	s_mul_hi_u32 s4, s28, s21
	v_writelane_b32 v42, s4, 14
	s_xor_b32 s4, s22, s19
	s_sub_i32 s19, s4, s19
	s_sub_i32 s4, 0, s29
	v_readfirstlane_b32 s5, v1
	s_mul_i32 s4, s4, s5
	s_mul_hi_u32 s4, s5, s4
	s_waitcnt lgkmcnt(0)
	s_mul_hi_u32 s11, s18, s20
	s_abs_i32 s20, s19
	v_writelane_b32 v42, s29, 15
	s_add_i32 s5, s5, s4
	v_writelane_b32 v42, s20, 16
	s_mul_hi_u32 s4, s20, s5
	v_writelane_b32 v42, s4, 17
	v_cmp_eq_u32_e64 s[20:21], 0, v0
	s_mov_b64 s[4:5], exec
	v_writelane_b32 v42, s20, 18
	v_writelane_b32 v42, s21, 19
	s_and_b64 s[20:21], s[4:5], s[20:21]
	s_mov_b64 exec, s[20:21]
	s_cbranch_execz .LBB2_3
; %bb.2:
	v_mov_b32_e32 v2, 0
	v_mov_b32_e32 v3, s68
	;; [unrolled: 1-line block ×3, first 2 shown]
	ds_write_b96 v2, v[2:4] offset:4096
.LBB2_3:
	s_or_b64 exec, exec, s[4:5]
	v_writelane_b32 v42, s23, 20
	s_ashr_i32 s4, s23, 31
	v_writelane_b32 v42, s4, 21
	v_writelane_b32 v42, s24, 22
	;; [unrolled: 1-line block ×3, first 2 shown]
	s_ashr_i32 s4, s24, 31
	v_writelane_b32 v42, s4, 24
	v_writelane_b32 v42, s19, 25
	s_ashr_i32 s4, s19, 31
	v_writelane_b32 v42, s4, 26
	v_writelane_b32 v42, s26, 27
	;; [unrolled: 1-line block ×3, first 2 shown]
	s_ashr_i32 s4, s26, 31
	v_writelane_b32 v42, s4, 29
	s_mul_i32 s3, s7, s3
	s_mul_i32 s4, s11, s0
	s_sub_i32 s3, s33, s3
	s_sub_i32 s4, s18, s4
	s_mul_i32 s3, s3, s10
	s_xor_b32 s1, s15, s1
	s_add_i32 s5, s11, 1
	s_sub_i32 s10, s4, s0
	s_cmp_ge_u32 s4, s0
	s_cselect_b32 s5, s5, s11
	s_cselect_b32 s4, s10, s4
	s_add_i32 s10, s5, 1
	s_cmp_ge_u32 s4, s0
	s_cselect_b32 s0, s10, s5
	s_xor_b32 s0, s0, s1
	s_sub_i32 s0, s0, s1
	s_mul_i32 s1, s0, s2
	s_sub_i32 s1, s7, s1
	s_mul_i32 s1, s1, s9
	s_waitcnt lgkmcnt(0)
	s_barrier
	s_load_dword s2, s[12:13], 0xc
	s_add_i32 s1, s1, s3
	s_mul_i32 s0, s0, s8
	s_add_i32 s1, s1, s0
	s_ashr_i32 s0, s1, 31
	s_add_u32 s80, s16, s1
	v_mbcnt_lo_u32_b32 v1, -1, 0
	s_addc_u32 s81, s17, s0
	s_waitcnt lgkmcnt(0)
	s_and_b32 s70, s2, 0xffff
	v_mbcnt_hi_u32_b32 v12, -1, v1
	s_bfe_u32 s7, s2, 0xa0006
	v_cmp_gt_u32_e32 vcc, 64, v0
	v_cmp_gt_i32_e64 s[2:3], 4, v12
	s_add_i32 s0, s70, -1
	v_writelane_b32 v42, s33, 30
	s_lshl_b32 s33, s70, 2
	s_and_b64 s[84:85], vcc, s[2:3]
	s_add_i32 s9, s0, s68
	s_cmpk_gt_i32 s68, 0xc00
	v_writelane_b32 v42, s0, 31
	s_cselect_b64 s[0:1], -1, 0
	v_writelane_b32 v42, s0, 32
	s_cmp_gt_u32 s70, 63
	v_writelane_b32 v42, s1, 33
	s_cselect_b64 s[0:1], -1, 0
	v_writelane_b32 v42, s0, 34
	s_cmp_lt_u32 s6, s14
	v_writelane_b32 v42, s1, 35
	s_cselect_b32 s0, 12, 18
	s_add_u32 s0, s12, s0
	s_addc_u32 s1, s13, 0
	v_writelane_b32 v42, s0, 36
	v_writelane_b32 v42, s1, 37
	s_add_i32 s0, s7, -2
	s_lshr_b32 s1, s0, 1
	s_add_i32 s1, s1, 1
	s_cmpk_gt_u32 s70, 0x7f
	s_cselect_b64 s[2:3], -1, 0
	v_writelane_b32 v42, s2, 38
	v_writelane_b32 v42, s3, 39
	v_cmp_gt_u32_e64 s[10:11], s68, v0
	v_lshlrev_b64 v[2:3], v12, -1
	v_writelane_b32 v42, s10, 40
	v_not_b32_e32 v8, v2
	v_cvt_f32_u32_e32 v2, s33
	v_writelane_b32 v42, s11, 41
	v_cmp_gt_i32_e64 s[10:11], s68, v0
	s_and_b32 s6, s7, 0x3fe
	s_and_b32 s8, s1, 7
	v_writelane_b32 v42, s10, 42
	s_cmp_gt_u32 s0, 13
	v_writelane_b32 v42, s11, 43
	s_cselect_b64 s[10:11], -1, 0
	v_writelane_b32 v42, s10, 44
	v_rcp_iflag_f32_e32 v2, v2
	v_writelane_b32 v42, s11, 45
	s_and_b32 s0, s1, -8
	v_writelane_b32 v42, s0, 46
	s_cmp_lg_u32 s8, 0
	v_writelane_b32 v42, s8, 47
	s_cselect_b64 s[0:1], -1, 0
	v_writelane_b32 v42, s0, 48
	v_mul_f32_e32 v2, 0x4f7ffffe, v2
	v_writelane_b32 v42, s1, 49
	v_cvt_u32_f32_e32 v2, v2
	v_writelane_b32 v42, s7, 50
	s_cmp_lg_u32 s6, s7
	v_writelane_b32 v42, s6, 51
	s_cselect_b64 s[0:1], -1, 0
	v_writelane_b32 v42, s0, 52
	v_writelane_b32 v42, s1, 53
	v_readfirstlane_b32 s1, v2
	v_cvt_f32_u32_e32 v2, s70
	s_sub_i32 s0, 0, s33
	s_mul_i32 s0, s0, s1
	s_mul_hi_u32 s0, s1, s0
	s_add_i32 s6, s1, s0
	v_rcp_iflag_f32_e32 v2, v2
	s_mul_hi_u32 s0, s68, s6
	s_mul_i32 s0, s0, s33
	s_sub_i32 s0, s68, s0
	s_sub_i32 s1, s0, s33
	v_mul_f32_e32 v2, 0x4f7ffffe, v2
	s_cmp_ge_u32 s0, s33
	v_cvt_u32_f32_e32 v2, v2
	s_cselect_b32 s0, s1, s0
	s_sub_i32 s1, s0, s33
	s_cmp_ge_u32 s0, s33
	s_cselect_b32 s0, s1, s0
	s_sub_i32 s16, 0, s70
	v_readfirstlane_b32 s17, v2
	s_mul_i32 s16, s16, s17
	s_mul_hi_u32 s16, s17, s16
	s_abs_i32 s8, s9
	s_add_i32 s16, s17, s16
	s_mov_b32 s89, s16
	s_mul_hi_u32 s16, s8, s16
	s_mul_i32 s16, s16, s70
	s_sub_i32 s8, s8, s16
	s_sub_i32 s7, s68, s0
	s_ashr_i32 s1, s9, 31
	s_sub_i32 s16, s8, s70
	s_cmp_ge_u32 s8, s70
	s_cselect_b32 s8, s16, s8
	s_sub_i32 s16, s8, s70
	s_cmp_ge_u32 s8, s70
	v_lshlrev_b32_e32 v13, 2, v0
	s_cselect_b32 s8, s16, s8
	v_mul_lo_u32 v9, v0, s71
	s_xor_b32 s8, s8, s1
	v_mul_lo_u32 v2, s71, v13
	v_mov_b32_e32 v1, s81
	v_add_co_u32_e32 v6, vcc, s80, v9
	s_sub_i32 s1, s1, s8
	v_add_u32_e32 v17, s71, v2
	v_or_b32_e32 v2, 2, v13
	v_addc_co_u32_e32 v7, vcc, 0, v1, vcc
	v_lshrrev_b32_e32 v1, 4, v0
	v_add_u32_e32 v16, s7, v0
	s_add_i32 s9, s9, s1
	v_mul_lo_u32 v18, s71, v2
	v_or_b32_e32 v2, 3, v13
	s_add_i32 s1, s70, s68
	v_and_b32_e32 v14, 60, v1
	v_not_b32_e32 v1, v3
	v_mul_lo_u32 v3, v16, s71
	v_cmp_gt_i32_e64 s[16:17], s9, v0
	v_mul_lo_u32 v19, s71, v2
	v_add_u32_e32 v2, s1, v0
	v_lshlrev_b32_e32 v4, 2, v12
	v_ashrrev_i32_e32 v5, 31, v3
	v_mov_b32_e32 v11, s81
	v_add_co_u32_e32 v10, vcc, s80, v3
	v_writelane_b32 v42, s16, 54
	s_mul_i32 s92, s71, s70
	v_subrev_u32_e32 v2, s0, v2
	v_cmp_eq_u32_e64 s[2:3], 0, v12
	v_cmp_gt_u32_e64 s[4:5], 2, v0
	v_and_b32_e32 v15, 0x100, v4
	v_cmp_gt_i32_e64 s[10:11], s7, v13
	v_cmp_gt_u32_e64 s[12:13], s68, v16
	v_addc_co_u32_e32 v11, vcc, v11, v5, vcc
	v_cmp_gt_i32_e64 s[14:15], s68, v16
	v_writelane_b32 v42, s17, 55
	s_lshl_b32 s90, s92, 2
	v_lshlrev_b32_e32 v20, 2, v9
	v_mul_lo_u32 v21, s71, v2
	v_or_b32_e32 v22, 0xc00, v4
	s_mov_b32 s91, 6
	s_mov_b64 s[60:61], 0
	v_mov_b32_e32 v23, 0
	v_mov_b32_e32 v24, 0xc00
	;; [unrolled: 1-line block ×3, first 2 shown]
	s_mov_b32 s16, 0
	s_mov_b32 s93, 0
	;; [unrolled: 1-line block ×3, first 2 shown]
                                        ; implicit-def: $sgpr62_sgpr63
                                        ; implicit-def: $sgpr66_sgpr67
                                        ; implicit-def: $sgpr64_sgpr65
                                        ; implicit-def: $sgpr72_sgpr73
                                        ; implicit-def: $sgpr76_sgpr77
                                        ; implicit-def: $sgpr94_sgpr95
	s_branch .LBB2_8
.LBB2_4:                                ;   in Loop: Header=BB2_8 Depth=1
	s_xor_b32 s16, s16, 1
	s_add_i32 s0, s91, -2
	s_cmp_eq_u32 s91, 0
	s_mov_b64 s[22:23], 0
	s_cselect_b64 s[30:31], -1, 0
	s_mov_b32 s91, s0
.LBB2_5:                                ;   in Loop: Header=BB2_8 Depth=1
	s_andn2_b64 s[0:1], s[26:27], exec
	s_and_b64 s[22:23], s[22:23], exec
	s_or_b64 s[26:27], s[0:1], s[22:23]
	s_andn2_b64 s[28:29], s[28:29], exec
	s_andn2_b64 s[24:25], s[24:25], exec
	s_orn2_b64 s[22:23], s[30:31], exec
	s_mov_b32 s69, s39
.LBB2_6:                                ;   in Loop: Header=BB2_8 Depth=1
	s_or_b64 exec, exec, s[18:19]
	s_andn2_b64 s[0:1], s[94:95], exec
	s_and_b64 s[18:19], s[26:27], exec
	s_or_b64 s[94:95], s[0:1], s[18:19]
	s_andn2_b64 s[0:1], s[76:77], exec
	s_and_b64 s[18:19], s[28:29], exec
	s_or_b64 s[76:77], s[0:1], s[18:19]
	;; [unrolled: 3-line block ×3, first 2 shown]
	s_orn2_b64 s[22:23], s[22:23], exec
.LBB2_7:                                ;   in Loop: Header=BB2_8 Depth=1
	s_or_b64 exec, exec, s[20:21]
	s_and_b64 s[0:1], exec, s[22:23]
	s_or_b64 s[60:61], s[0:1], s[60:61]
	s_andn2_b64 s[0:1], s[64:65], exec
	s_and_b64 s[18:19], s[94:95], exec
	s_or_b64 s[64:65], s[0:1], s[18:19]
	s_andn2_b64 s[0:1], s[66:67], exec
	s_and_b64 s[18:19], s[76:77], exec
	;; [unrolled: 3-line block ×3, first 2 shown]
	v_mov_b32_e32 v2, s93
	s_or_b64 s[62:63], s[0:1], s[18:19]
	s_andn2_b64 exec, exec, s[60:61]
	s_cbranch_execz .LBB2_235
.LBB2_8:                                ; =>This Loop Header: Depth=1
                                        ;     Child Loop BB2_13 Depth 2
                                        ;     Child Loop BB2_32 Depth 2
	;; [unrolled: 1-line block ×17, first 2 shown]
	ds_read_b64 v[2:3], v23 offset:4096
	s_waitcnt lgkmcnt(0)
	v_readfirstlane_b32 s83, v2
	s_cmp_gt_i32 s83, 0
	s_cbranch_scc1 .LBB2_39
; %bb.9:                                ;   in Loop: Header=BB2_8 Depth=1
	v_readlane_b32 s0, v42, 32
	v_readlane_b32 s1, v42, 33
	s_and_b64 vcc, exec, s[0:1]
	s_cbranch_vccz .LBB2_21
; %bb.10:                               ;   in Loop: Header=BB2_8 Depth=1
	s_movk_i32 s0, 0xc01
	v_cmp_gt_i32_e32 vcc, s0, v3
	s_mov_b64 s[18:19], 0
	s_mov_b64 s[20:21], 0
	s_cbranch_vccz .LBB2_26
; %bb.11:                               ;   in Loop: Header=BB2_8 Depth=1
	v_readlane_b32 s0, v42, 36
	v_readlane_b32 s1, v42, 37
	s_nop 4
	global_load_ushort v2, v23, s[0:1]
	global_load_ubyte v5, v[6:7], off
	v_mov_b32_e32 v26, v0
	s_waitcnt vmcnt(1)
	v_add_u32_e32 v4, v0, v2
	v_mul_lo_u32 v3, s71, v2
	v_mul_lo_u32 v4, s71, v4
	s_branch .LBB2_13
.LBB2_12:                               ;   in Loop: Header=BB2_13 Depth=2
	s_or_b64 exec, exec, s[24:25]
	v_cmp_le_i32_e32 vcc, s68, v26
	v_add_u32_e32 v4, v4, v3
	s_or_b64 s[20:21], vcc, s[20:21]
	v_mov_b32_e32 v5, v27
	s_andn2_b64 exec, exec, s[20:21]
	s_cbranch_execz .LBB2_22
.LBB2_13:                               ;   Parent Loop BB2_8 Depth=1
                                        ; =>  This Inner Loop Header: Depth=2
	v_add_u32_e32 v26, v26, v2
	v_cmp_gt_u32_e32 vcc, s68, v26
	s_waitcnt lgkmcnt(0)
	v_mov_b32_e32 v28, 0
	v_mov_b32_e32 v27, 0
	s_and_saveexec_b64 s[22:23], vcc
	s_cbranch_execz .LBB2_15
; %bb.14:                               ;   in Loop: Header=BB2_13 Depth=2
	global_load_ubyte v27, v4, s[80:81]
.LBB2_15:                               ;   in Loop: Header=BB2_13 Depth=2
	s_or_b64 exec, exec, s[22:23]
	s_waitcnt vmcnt(0)
	v_and_b32_e32 v29, s17, v5
	v_cmp_eq_u32_sdwa s[22:23], v29, s93 src0_sel:BYTE_0 src1_sel:DWORD
	s_cmp_lg_u64 s[22:23], 0
	s_cselect_b64 s[0:1], -1, 0
	s_and_b64 s[0:1], s[2:3], s[0:1]
	s_and_saveexec_b64 s[24:25], s[0:1]
	s_cbranch_execz .LBB2_19
; %bb.16:                               ;   in Loop: Header=BB2_13 Depth=2
	s_mov_b64 s[28:29], exec
	v_mbcnt_lo_u32_b32 v28, s28, 0
	v_mbcnt_hi_u32_b32 v28, s29, v28
	s_bcnt1_i32_b64 s0, s[22:23]
	v_cmp_eq_u32_e32 vcc, 0, v28
                                        ; implicit-def: $vgpr29
	s_and_saveexec_b64 s[26:27], vcc
	s_cbranch_execz .LBB2_18
; %bb.17:                               ;   in Loop: Header=BB2_13 Depth=2
	s_bcnt1_i32_b64 s1, s[28:29]
	s_mul_i32 s1, s0, s1
	v_mov_b32_e32 v29, s1
	ds_add_rtn_u32 v29, v23, v29 offset:4104
.LBB2_18:                               ;   in Loop: Header=BB2_13 Depth=2
	s_or_b64 exec, exec, s[26:27]
	s_waitcnt lgkmcnt(0)
	v_readfirstlane_b32 s1, v29
	v_mov_b32_e32 v29, s1
	v_mad_u32_u24 v28, s0, v28, v29
.LBB2_19:                               ;   in Loop: Header=BB2_13 Depth=2
	s_or_b64 exec, exec, s[24:25]
	ds_bpermute_b32 v28, v15, v28
	s_and_saveexec_b64 s[24:25], s[22:23]
	s_cbranch_execz .LBB2_12
; %bb.20:                               ;   in Loop: Header=BB2_13 Depth=2
	v_and_b32_e32 v30, s22, v8
	v_and_b32_e32 v29, s23, v1
	v_bcnt_u32_b32 v30, v30, 0
	v_bcnt_u32_b32 v29, v29, v30
	s_waitcnt lgkmcnt(0)
	v_add_u32_e32 v28, v28, v29
	ds_write_b8 v28, v5
	s_branch .LBB2_12
.LBB2_21:                               ;   in Loop: Header=BB2_8 Depth=1
	s_mov_b64 s[18:19], -1
	s_mov_b64 s[20:21], 0
	s_branch .LBB2_25
.LBB2_22:                               ;   in Loop: Header=BB2_8 Depth=1
	s_or_b64 exec, exec, s[20:21]
	s_waitcnt lgkmcnt(0)
	s_barrier
	s_mov_b64 s[20:21], exec
	v_readlane_b32 s0, v42, 18
	v_readlane_b32 s1, v42, 19
	s_and_b64 s[0:1], s[20:21], s[0:1]
	s_mov_b64 exec, s[0:1]
	s_cbranch_execz .LBB2_24
; %bb.23:                               ;   in Loop: Header=BB2_8 Depth=1
	ds_read_b32 v2, v23 offset:4104
	s_waitcnt lgkmcnt(0)
	ds_write_b32 v23, v2 offset:4096
.LBB2_24:                               ;   in Loop: Header=BB2_8 Depth=1
	s_or_b64 exec, exec, s[20:21]
	s_waitcnt lgkmcnt(0)
	s_barrier
	s_mov_b64 s[20:21], -1
.LBB2_25:                               ;   in Loop: Header=BB2_8 Depth=1
                                        ; implicit-def: $sgpr83
.LBB2_26:                               ;   in Loop: Header=BB2_8 Depth=1
	s_and_b64 vcc, exec, s[18:19]
	s_cbranch_vccz .LBB2_37
; %bb.27:                               ;   in Loop: Header=BB2_8 Depth=1
	v_mov_b32_e32 v2, 0
	s_mov_b64 s[18:19], exec
	v_readlane_b32 s0, v42, 40
	v_readlane_b32 s1, v42, 41
	s_and_b64 s[0:1], s[18:19], s[0:1]
	s_mov_b64 exec, s[0:1]
	s_cbranch_execz .LBB2_29
; %bb.28:                               ;   in Loop: Header=BB2_8 Depth=1
	global_load_ubyte v2, v[6:7], off
.LBB2_29:                               ;   in Loop: Header=BB2_8 Depth=1
	s_or_b64 exec, exec, s[18:19]
	s_mov_b64 s[18:19], exec
	v_readlane_b32 s0, v42, 42
	v_readlane_b32 s1, v42, 43
	s_and_b64 s[0:1], s[18:19], s[0:1]
	s_mov_b64 exec, s[0:1]
	s_cbranch_execz .LBB2_34
; %bb.30:                               ;   in Loop: Header=BB2_8 Depth=1
	v_readlane_b32 s0, v42, 36
	v_readlane_b32 s1, v42, 37
	s_mov_b64 s[20:21], 0
	v_mov_b32_e32 v26, v0
	s_nop 2
	global_load_ushort v3, v23, s[0:1]
	s_waitcnt vmcnt(0)
	v_add_u32_e32 v5, v0, v3
	v_mul_lo_u32 v4, s71, v3
	v_mul_lo_u32 v5, s71, v5
	s_branch .LBB2_32
.LBB2_31:                               ;   in Loop: Header=BB2_32 Depth=2
	s_or_b64 exec, exec, s[22:23]
	v_cmp_le_i32_e32 vcc, s68, v27
	ds_write_b8 v26, v2
	v_add_u32_e32 v5, v5, v4
	s_or_b64 s[20:21], vcc, s[20:21]
	s_waitcnt vmcnt(0)
	v_mov_b32_e32 v2, v28
	v_mov_b32_e32 v26, v27
	s_andn2_b64 exec, exec, s[20:21]
	s_cbranch_execz .LBB2_34
.LBB2_32:                               ;   Parent Loop BB2_8 Depth=1
                                        ; =>  This Inner Loop Header: Depth=2
	v_add_u32_e32 v27, v26, v3
	v_cmp_gt_u32_e32 vcc, s68, v27
	v_mov_b32_e32 v28, 0
	s_and_saveexec_b64 s[22:23], vcc
	s_cbranch_execz .LBB2_31
; %bb.33:                               ;   in Loop: Header=BB2_32 Depth=2
	global_load_ubyte v28, v5, s[80:81]
	s_branch .LBB2_31
.LBB2_34:                               ;   in Loop: Header=BB2_8 Depth=1
	s_or_b64 exec, exec, s[18:19]
	s_waitcnt lgkmcnt(0)
	s_barrier
	s_mov_b64 s[18:19], exec
	v_readlane_b32 s0, v42, 18
	v_readlane_b32 s1, v42, 19
	s_and_b64 s[0:1], s[18:19], s[0:1]
	s_mov_b64 exec, s[0:1]
	s_cbranch_execz .LBB2_36
; %bb.35:                               ;   in Loop: Header=BB2_8 Depth=1
	s_waitcnt vmcnt(0)
	v_mov_b32_e32 v2, s68
	ds_write_b32 v23, v2 offset:4096
.LBB2_36:                               ;   in Loop: Header=BB2_8 Depth=1
	s_or_b64 exec, exec, s[18:19]
	s_mov_b64 s[20:21], -1
	s_waitcnt lgkmcnt(0)
	s_barrier
                                        ; implicit-def: $sgpr83
.LBB2_37:                               ;   in Loop: Header=BB2_8 Depth=1
	s_and_b64 vcc, exec, s[20:21]
	s_cbranch_vccz .LBB2_39
; %bb.38:                               ;   in Loop: Header=BB2_8 Depth=1
	s_waitcnt vmcnt(0)
	ds_read_b32 v2, v23 offset:4096
	s_waitcnt lgkmcnt(0)
	v_readfirstlane_b32 s83, v2
.LBB2_39:                               ;   in Loop: Header=BB2_8 Depth=1
	s_cmp_lt_i32 s83, 1
	s_cbranch_scc0 .LBB2_43
; %bb.40:                               ;   in Loop: Header=BB2_8 Depth=1
	s_waitcnt vmcnt(0)
	v_mov_b32_e32 v2, 0
	s_mov_b32 s8, 0
	v_mov_b32_e32 v3, 0
	v_mov_b32_e32 v4, v2
	;; [unrolled: 1-line block ×3, first 2 shown]
	s_and_saveexec_b64 s[74:75], s[10:11]
	s_cbranch_execnz .LBB2_44
; %bb.41:                               ;   in Loop: Header=BB2_8 Depth=1
	s_or_b64 exec, exec, s[74:75]
	v_mov_b32_e32 v28, 0
	s_and_saveexec_b64 s[18:19], s[12:13]
	s_cbranch_execnz .LBB2_47
.LBB2_42:                               ;   in Loop: Header=BB2_8 Depth=1
	s_or_b64 exec, exec, s[18:19]
	s_and_saveexec_b64 s[20:21], s[14:15]
	s_cbranch_execnz .LBB2_48
	s_branch .LBB2_53
.LBB2_43:                               ;   in Loop: Header=BB2_8 Depth=1
                                        ; implicit-def: $vgpr5
	s_cbranch_execnz .LBB2_54
	s_branch .LBB2_63
.LBB2_44:                               ;   in Loop: Header=BB2_8 Depth=1
	s_and_b32 s0, s91, 0xfe
	s_mov_b64 s[78:79], 0
	s_mov_b32 s1, 0
	s_mov_b32 s86, 0
	;; [unrolled: 1-line block ×4, first 2 shown]
	v_mov_b32_e32 v26, v13
.LBB2_45:                               ;   Parent Loop BB2_8 Depth=1
                                        ; =>  This Inner Loop Header: Depth=2
	v_add_u32_e32 v3, s8, v20
	v_add_u32_e32 v2, s8, v17
	v_mov_b32_e32 v27, s81
	v_add_u32_e32 v4, s8, v18
	v_add_u32_e32 v5, s8, v19
	v_ashrrev_i32_e32 v29, 31, v3
	v_ashrrev_i32_e32 v32, 31, v2
	v_add_co_u32_e64 v2, s[18:19], s80, v2
	v_add_co_u32_e64 v30, s[24:25], s80, v3
	v_ashrrev_i32_e32 v33, 31, v4
	v_add_co_u32_e64 v4, s[20:21], s80, v4
	v_ashrrev_i32_e32 v34, 31, v5
	v_add_co_u32_e64 v28, s[22:23], s80, v5
	v_addc_co_u32_e64 v31, s[24:25], v27, v29, s[24:25]
	v_addc_co_u32_e64 v3, s[18:19], v27, v32, s[18:19]
	;; [unrolled: 1-line block ×4, first 2 shown]
	global_load_ubyte v27, v[30:31], off
	s_nop 0
	global_load_ubyte v2, v[2:3], off
	s_nop 0
	;; [unrolled: 2-line block ×3, first 2 shown]
	global_load_ubyte v4, v[28:29], off
	v_add_u32_e32 v26, s33, v26
	s_add_i32 s8, s8, s90
	v_cmp_le_i32_e32 vcc, s7, v26
	s_waitcnt vmcnt(3)
	v_and_b32_e32 v5, s17, v27
	v_bfe_u32 v27, v27, s0, 2
	s_waitcnt vmcnt(2)
	v_and_b32_e32 v28, s17, v2
	v_bfe_u32 v2, v2, s0, 2
	v_cmp_eq_u32_e64 s[18:19], s93, v5
	v_cmp_eq_u32_e64 s[26:27], 0, v27
	s_waitcnt vmcnt(1)
	v_and_b32_e32 v29, s17, v3
	v_bfe_u32 v3, v3, s0, 2
	v_cmp_eq_u32_e64 s[20:21], s93, v28
	v_cmp_eq_u32_e64 s[28:29], 0, v2
	s_and_b64 s[26:27], s[18:19], s[26:27]
	s_waitcnt vmcnt(0)
	v_and_b32_e32 v30, s17, v4
	v_bfe_u32 v4, v4, s0, 2
	v_cmp_eq_u32_e64 s[22:23], s93, v29
	v_cmp_eq_u32_e64 s[30:31], 0, v3
	v_cmp_eq_u32_e64 s[38:39], 1, v2
	v_cmp_eq_u32_e64 s[46:47], 2, v2
	v_cmp_eq_u32_e64 s[54:55], 3, v2
	v_cndmask_b32_e64 v2, 0, 1, s[26:27]
	s_and_b64 s[26:27], s[20:21], s[28:29]
	v_cmp_eq_u32_e64 s[24:25], s93, v30
	v_cmp_eq_u32_e64 s[34:35], 0, v4
	;; [unrolled: 1-line block ×5, first 2 shown]
	v_cndmask_b32_e64 v3, 0, 1, s[26:27]
	s_and_b64 s[26:27], s[22:23], s[30:31]
	v_cmp_eq_u32_e64 s[36:37], 1, v27
	v_cmp_eq_u32_e64 s[42:43], 1, v4
	;; [unrolled: 1-line block ×4, first 2 shown]
	v_cndmask_b32_e64 v4, 0, 1, s[26:27]
	s_and_b64 s[26:27], s[24:25], s[34:35]
	v_cndmask_b32_e64 v5, 0, 1, s[26:27]
	s_and_b64 s[26:27], s[18:19], s[36:37]
	v_cmp_eq_u32_e64 s[44:45], 2, v27
	v_cmp_eq_u32_e64 s[52:53], 3, v27
	v_cndmask_b32_e64 v27, 0, 1, s[26:27]
	s_and_b64 s[26:27], s[20:21], s[38:39]
	v_cndmask_b32_e64 v28, 0, 1, s[26:27]
	s_and_b64 s[26:27], s[22:23], s[40:41]
	;; [unrolled: 2-line block ×4, first 2 shown]
	s_and_b64 s[18:19], s[18:19], s[52:53]
	v_cndmask_b32_e64 v31, 0, 1, s[26:27]
	s_and_b64 s[26:27], s[20:21], s[46:47]
	v_cndmask_b32_e64 v35, 0, 1, s[18:19]
	;; [unrolled: 2-line block ×7, first 2 shown]
	v_cndmask_b32_e64 v38, 0, 1, s[18:19]
	v_cmp_ne_u32_e64 s[18:19], 0, v2
	v_cmp_ne_u32_e64 s[20:21], 0, v3
	;; [unrolled: 1-line block ×11, first 2 shown]
	s_bcnt1_i32_b64 s18, s[18:19]
	s_bcnt1_i32_b64 s19, s[20:21]
	;; [unrolled: 1-line block ×8, first 2 shown]
	v_cmp_ne_u32_e64 s[34:35], 0, v30
	v_cmp_ne_u32_e64 s[40:41], 0, v33
	;; [unrolled: 1-line block ×3, first 2 shown]
	s_bcnt1_i32_b64 s23, s[28:29]
	s_bcnt1_i32_b64 s27, s[38:39]
	;; [unrolled: 1-line block ×3, first 2 shown]
	s_add_i32 s18, s88, s18
	s_add_i32 s22, s87, s22
	;; [unrolled: 1-line block ×4, first 2 shown]
	v_cmp_ne_u32_e64 s[42:43], 0, v34
	v_cmp_ne_u32_e64 s[50:51], 0, v38
	s_bcnt1_i32_b64 s25, s[34:35]
	s_bcnt1_i32_b64 s28, s[40:41]
	s_bcnt1_i32_b64 s34, s[48:49]
	s_add_i32 s18, s18, s19
	s_add_i32 s19, s22, s23
	;; [unrolled: 1-line block ×4, first 2 shown]
	s_bcnt1_i32_b64 s29, s[42:43]
	s_bcnt1_i32_b64 s35, s[50:51]
	s_add_i32 s18, s18, s20
	s_add_i32 s19, s19, s24
	;; [unrolled: 1-line block ×8, first 2 shown]
	s_or_b64 s[78:79], vcc, s[78:79]
	v_mov_b32_e32 v2, s88
	v_mov_b32_e32 v3, s87
	;; [unrolled: 1-line block ×4, first 2 shown]
	s_andn2_b64 exec, exec, s[78:79]
	s_cbranch_execnz .LBB2_45
; %bb.46:                               ;   in Loop: Header=BB2_8 Depth=1
	s_or_b64 exec, exec, s[78:79]
	s_or_b64 exec, exec, s[74:75]
	v_mov_b32_e32 v28, 0
	s_and_saveexec_b64 s[18:19], s[12:13]
	s_cbranch_execz .LBB2_42
.LBB2_47:                               ;   in Loop: Header=BB2_8 Depth=1
	global_load_ubyte v28, v[10:11], off
	s_or_b64 exec, exec, s[18:19]
	s_and_saveexec_b64 s[20:21], s[14:15]
	s_cbranch_execz .LBB2_53
.LBB2_48:                               ;   in Loop: Header=BB2_8 Depth=1
	s_and_b32 s0, s91, 0xfe
	s_mov_b64 s[22:23], 0
	v_mov_b32_e32 v26, v21
	v_mov_b32_e32 v27, v16
	s_branch .LBB2_50
.LBB2_49:                               ;   in Loop: Header=BB2_50 Depth=2
	s_or_b64 exec, exec, s[18:19]
	s_waitcnt vmcnt(0)
	v_and_b32_e32 v28, 0xff, v28
	v_and_b32_e32 v30, s17, v28
	v_bfe_u32 v28, v28, s0, 2
	v_cmp_eq_u32_e32 vcc, s93, v30
	v_cmp_eq_u32_e64 s[18:19], 0, v28
	s_and_b64 s[18:19], vcc, s[18:19]
	v_cndmask_b32_e64 v30, 0, 1, s[18:19]
	v_cmp_ne_u32_e64 s[18:19], 0, v30
	s_bcnt1_i32_b64 s1, s[18:19]
	v_cmp_eq_u32_e64 s[18:19], 1, v28
	s_and_b64 s[18:19], vcc, s[18:19]
	v_cndmask_b32_e64 v30, 0, 1, s[18:19]
	v_cmp_ne_u32_e64 s[18:19], 0, v30
	v_add_u32_e32 v2, s1, v2
	s_bcnt1_i32_b64 s1, s[18:19]
	v_cmp_eq_u32_e64 s[18:19], 2, v28
	s_and_b64 s[18:19], vcc, s[18:19]
	v_cndmask_b32_e64 v30, 0, 1, s[18:19]
	v_cmp_ne_u32_e64 s[18:19], 0, v30
	v_add_u32_e32 v3, s1, v3
	s_bcnt1_i32_b64 s1, s[18:19]
	v_cmp_eq_u32_e64 s[18:19], 3, v28
	s_and_b64 s[18:19], vcc, s[18:19]
	v_cndmask_b32_e64 v28, 0, 1, s[18:19]
	v_cmp_ne_u32_e32 vcc, 0, v28
	v_add_u32_e32 v4, s1, v4
	s_bcnt1_i32_b64 s1, vcc
	v_cmp_le_i32_e32 vcc, s68, v27
	v_add_u32_e32 v5, s1, v5
	v_add_u32_e32 v26, s92, v26
	s_or_b64 s[22:23], vcc, s[22:23]
	v_mov_b32_e32 v28, v29
	s_andn2_b64 exec, exec, s[22:23]
	s_cbranch_execz .LBB2_52
.LBB2_50:                               ;   Parent Loop BB2_8 Depth=1
                                        ; =>  This Inner Loop Header: Depth=2
	v_add_u32_e32 v27, s70, v27
	v_cmp_gt_u32_e32 vcc, s68, v27
	v_mov_b32_e32 v29, 0
	s_and_saveexec_b64 s[18:19], vcc
	s_cbranch_execz .LBB2_49
; %bb.51:                               ;   in Loop: Header=BB2_50 Depth=2
	v_ashrrev_i32_e32 v29, 31, v26
	v_mov_b32_e32 v31, s81
	v_add_co_u32_e32 v30, vcc, s80, v26
	v_addc_co_u32_e32 v31, vcc, v31, v29, vcc
	global_load_ubyte v29, v[30:31], off
	s_branch .LBB2_49
.LBB2_52:                               ;   in Loop: Header=BB2_8 Depth=1
	s_or_b64 exec, exec, s[22:23]
.LBB2_53:                               ;   in Loop: Header=BB2_8 Depth=1
	s_or_b64 exec, exec, s[20:21]
	s_branch .LBB2_63
.LBB2_54:                               ;   in Loop: Header=BB2_8 Depth=1
	s_mul_hi_u32 s0, s83, s6
	s_mul_i32 s0, s0, s33
	s_sub_i32 s0, s83, s0
	s_sub_i32 s1, s0, s33
	s_cmp_ge_u32 s0, s33
	s_cselect_b32 s0, s1, s0
	s_sub_i32 s1, s0, s33
	s_cmp_ge_u32 s0, s33
	s_cselect_b32 s0, s1, s0
	s_sub_i32 s0, s83, s0
	v_cmp_gt_u32_e32 vcc, s0, v13
	s_mov_b32 s8, 0
	s_waitcnt vmcnt(0)
	v_mov_b32_e32 v2, 0
	v_mov_b32_e32 v3, 0
	;; [unrolled: 1-line block ×4, first 2 shown]
	s_and_saveexec_b64 s[74:75], vcc
	s_cbranch_execz .LBB2_58
; %bb.55:                               ;   in Loop: Header=BB2_8 Depth=1
	s_and_b32 s1, s91, 0xfe
	s_mov_b64 s[78:79], 0
	s_mov_b32 s86, 0
	s_mov_b32 s87, 0
	;; [unrolled: 1-line block ×3, first 2 shown]
	v_mov_b32_e32 v26, v13
.LBB2_56:                               ;   Parent Loop BB2_8 Depth=1
                                        ; =>  This Inner Loop Header: Depth=2
	ds_read_b32 v2, v26
	v_add_u32_e32 v26, s33, v26
	v_cmp_le_i32_e32 vcc, s0, v26
	s_waitcnt lgkmcnt(0)
	v_and_b32_e32 v4, 0xff, v2
	v_bfe_u32 v5, v2, 8, 8
	v_and_b32_e32 v27, s17, v4
	v_bfe_u32 v4, v4, s1, 2
	v_lshrrev_b32_e32 v3, 24, v2
	v_bfe_u32 v2, v2, 16, 8
	v_and_b32_e32 v28, s17, v5
	v_bfe_u32 v5, v5, s1, 2
	v_cmp_eq_u32_e64 s[18:19], s93, v27
	v_cmp_eq_u32_e64 s[26:27], 0, v4
	v_and_b32_e32 v29, s17, v2
	v_bfe_u32 v2, v2, s1, 2
	v_cmp_eq_u32_e64 s[20:21], s93, v28
	v_cmp_eq_u32_e64 s[28:29], 0, v5
	s_and_b64 s[26:27], s[18:19], s[26:27]
	v_and_b32_e32 v30, s17, v3
	v_bfe_u32 v3, v3, s1, 2
	v_cmp_eq_u32_e64 s[22:23], s93, v29
	v_cmp_eq_u32_e64 s[30:31], 0, v2
	;; [unrolled: 1-line block ×5, first 2 shown]
	v_cndmask_b32_e64 v2, 0, 1, s[26:27]
	s_and_b64 s[26:27], s[20:21], s[28:29]
	v_cmp_eq_u32_e64 s[24:25], s93, v30
	v_cmp_eq_u32_e64 s[34:35], 0, v3
	;; [unrolled: 1-line block ×5, first 2 shown]
	v_cndmask_b32_e64 v3, 0, 1, s[26:27]
	s_and_b64 s[26:27], s[22:23], s[30:31]
	v_cmp_eq_u32_e64 s[36:37], 1, v4
	v_cmp_eq_u32_e64 s[44:45], 2, v4
	;; [unrolled: 1-line block ×3, first 2 shown]
	v_cndmask_b32_e64 v4, 0, 1, s[26:27]
	s_and_b64 s[26:27], s[24:25], s[34:35]
	v_cmp_eq_u32_e64 s[38:39], 1, v5
	v_cmp_eq_u32_e64 s[46:47], 2, v5
	;; [unrolled: 1-line block ×3, first 2 shown]
	v_cndmask_b32_e64 v5, 0, 1, s[26:27]
	s_and_b64 s[26:27], s[18:19], s[36:37]
	v_cndmask_b32_e64 v27, 0, 1, s[26:27]
	s_and_b64 s[26:27], s[20:21], s[38:39]
	v_cndmask_b32_e64 v28, 0, 1, s[26:27]
	s_and_b64 s[26:27], s[22:23], s[40:41]
	v_cndmask_b32_e64 v29, 0, 1, s[26:27]
	s_and_b64 s[26:27], s[24:25], s[42:43]
	v_cndmask_b32_e64 v30, 0, 1, s[26:27]
	s_and_b64 s[26:27], s[18:19], s[44:45]
	s_and_b64 s[18:19], s[18:19], s[52:53]
	v_cndmask_b32_e64 v31, 0, 1, s[26:27]
	s_and_b64 s[26:27], s[20:21], s[46:47]
	v_cndmask_b32_e64 v35, 0, 1, s[18:19]
	;; [unrolled: 2-line block ×7, first 2 shown]
	v_cndmask_b32_e64 v38, 0, 1, s[18:19]
	v_cmp_ne_u32_e64 s[18:19], 0, v2
	v_cmp_ne_u32_e64 s[20:21], 0, v3
	;; [unrolled: 1-line block ×11, first 2 shown]
	s_bcnt1_i32_b64 s18, s[18:19]
	s_bcnt1_i32_b64 s19, s[20:21]
	;; [unrolled: 1-line block ×8, first 2 shown]
	v_cmp_ne_u32_e64 s[34:35], 0, v30
	v_cmp_ne_u32_e64 s[40:41], 0, v33
	;; [unrolled: 1-line block ×3, first 2 shown]
	s_bcnt1_i32_b64 s23, s[28:29]
	s_bcnt1_i32_b64 s27, s[38:39]
	;; [unrolled: 1-line block ×3, first 2 shown]
	s_add_i32 s18, s88, s18
	s_add_i32 s22, s87, s22
	;; [unrolled: 1-line block ×4, first 2 shown]
	v_cmp_ne_u32_e64 s[42:43], 0, v34
	v_cmp_ne_u32_e64 s[50:51], 0, v38
	s_bcnt1_i32_b64 s25, s[34:35]
	s_bcnt1_i32_b64 s28, s[40:41]
	;; [unrolled: 1-line block ×3, first 2 shown]
	s_add_i32 s18, s18, s19
	s_add_i32 s19, s22, s23
	;; [unrolled: 1-line block ×4, first 2 shown]
	s_bcnt1_i32_b64 s29, s[42:43]
	s_bcnt1_i32_b64 s35, s[50:51]
	s_add_i32 s18, s18, s20
	s_add_i32 s19, s19, s24
	;; [unrolled: 1-line block ×8, first 2 shown]
	s_or_b64 s[78:79], vcc, s[78:79]
	v_mov_b32_e32 v2, s88
	v_mov_b32_e32 v3, s87
	;; [unrolled: 1-line block ×4, first 2 shown]
	s_andn2_b64 exec, exec, s[78:79]
	s_cbranch_execnz .LBB2_56
; %bb.57:                               ;   in Loop: Header=BB2_8 Depth=1
	s_or_b64 exec, exec, s[78:79]
.LBB2_58:                               ;   in Loop: Header=BB2_8 Depth=1
	s_or_b64 exec, exec, s[74:75]
	v_add_u32_e32 v26, s0, v0
	v_cmp_gt_i32_e32 vcc, s83, v26
	s_and_saveexec_b64 s[28:29], vcc
	s_cbranch_execz .LBB2_62
; %bb.59:                               ;   in Loop: Header=BB2_8 Depth=1
	s_and_b32 s0, s91, 0xfe
	s_mov_b64 s[30:31], 0
.LBB2_60:                               ;   Parent Loop BB2_8 Depth=1
                                        ; =>  This Inner Loop Header: Depth=2
	ds_read_u8 v27, v26
	v_add_u32_e32 v26, s70, v26
	v_cmp_le_i32_e32 vcc, s83, v26
	s_waitcnt lgkmcnt(0)
	v_and_b32_e32 v28, s17, v27
	v_bfe_u32 v27, v27, s0, 2
	v_cmp_eq_u32_e64 s[18:19], s93, v28
	v_cmp_eq_u32_e64 s[20:21], 0, v27
	;; [unrolled: 1-line block ×3, first 2 shown]
	s_and_b64 s[20:21], s[18:19], s[20:21]
	v_cmp_eq_u32_e64 s[24:25], 2, v27
	v_cmp_eq_u32_e64 s[26:27], 3, v27
	v_cndmask_b32_e64 v27, 0, 1, s[20:21]
	s_and_b64 s[20:21], s[18:19], s[22:23]
	v_cndmask_b32_e64 v28, 0, 1, s[20:21]
	s_and_b64 s[20:21], s[18:19], s[24:25]
	s_and_b64 s[18:19], s[18:19], s[26:27]
	v_cndmask_b32_e64 v29, 0, 1, s[20:21]
	v_cndmask_b32_e64 v30, 0, 1, s[18:19]
	v_cmp_ne_u32_e64 s[18:19], 0, v27
	v_cmp_ne_u32_e64 s[20:21], 0, v28
	;; [unrolled: 1-line block ×4, first 2 shown]
	s_bcnt1_i32_b64 s1, s[18:19]
	s_bcnt1_i32_b64 s8, s[20:21]
	;; [unrolled: 1-line block ×4, first 2 shown]
	v_add_u32_e32 v2, s1, v2
	v_add_u32_e32 v3, s8, v3
	;; [unrolled: 1-line block ×3, first 2 shown]
	s_or_b64 s[30:31], vcc, s[30:31]
	v_add_u32_e32 v5, s19, v5
	s_andn2_b64 exec, exec, s[30:31]
	s_cbranch_execnz .LBB2_60
; %bb.61:                               ;   in Loop: Header=BB2_8 Depth=1
	s_or_b64 exec, exec, s[30:31]
.LBB2_62:                               ;   in Loop: Header=BB2_8 Depth=1
	s_or_b64 exec, exec, s[28:29]
.LBB2_63:                               ;   in Loop: Header=BB2_8 Depth=1
	s_lshl_b32 s0, s16, 6
	s_and_saveexec_b64 s[18:19], s[2:3]
	s_cbranch_execz .LBB2_65
; %bb.64:                               ;   in Loop: Header=BB2_8 Depth=1
	v_or_b32_e32 v26, s0, v14
	v_lshlrev_b32_e32 v26, 2, v26
	s_waitcnt vmcnt(0)
	ds_write_b128 v26, v[2:5] offset:3072
.LBB2_65:                               ;   in Loop: Header=BB2_8 Depth=1
	s_or_b64 exec, exec, s[18:19]
	s_waitcnt lgkmcnt(0)
	s_barrier
	s_and_saveexec_b64 s[18:19], s[84:85]
	s_cbranch_execz .LBB2_79
; %bb.66:                               ;   in Loop: Header=BB2_8 Depth=1
	v_readlane_b32 s20, v42, 34
	v_readlane_b32 s21, v42, 35
	v_add_u32_e32 v4, s0, v12
	s_andn2_b64 vcc, exec, s[20:21]
	s_waitcnt vmcnt(0)
	v_mov_b32_e32 v2, 0
	s_cbranch_vccnz .LBB2_78
; %bb.67:                               ;   in Loop: Header=BB2_8 Depth=1
	v_readlane_b32 s20, v42, 38
	v_readlane_b32 s21, v42, 39
	s_mov_b32 s1, 0
	s_and_b64 vcc, exec, s[20:21]
	v_mov_b32_e32 v2, 0
	s_cbranch_vccz .LBB2_71
; %bb.68:                               ;   in Loop: Header=BB2_8 Depth=1
	v_readlane_b32 s20, v42, 44
	v_readlane_b32 s21, v42, 45
	v_lshl_add_u32 v5, v4, 2, v24
	s_andn2_b64 vcc, exec, s[20:21]
	s_cbranch_vccnz .LBB2_72
; %bb.69:                               ;   in Loop: Header=BB2_8 Depth=1
	s_mov_b32 s21, 1
	s_mov_b32 s20, 0
	v_mov_b32_e32 v2, 0
	v_readlane_b32 s1, v42, 46
	v_mov_b32_e32 v3, 0
.LBB2_70:                               ;   Parent Loop BB2_8 Depth=1
                                        ; =>  This Inner Loop Header: Depth=2
	v_lshl_add_u32 v38, s20, 4, v5
	v_lshl_add_u32 v40, s21, 4, v5
	ds_read2_b32 v[26:27], v38 offset1:8
	ds_read2_b32 v[28:29], v40 offset1:8
	ds_read2_b32 v[30:31], v38 offset0:16 offset1:24
	ds_read2_b32 v[32:33], v40 offset0:16 offset1:24
	ds_read2_b32 v[34:35], v38 offset0:32 offset1:40
	ds_read2_b32 v[36:37], v40 offset0:32 offset1:40
	ds_read2_b32 v[38:39], v38 offset0:48 offset1:56
	ds_read2_b32 v[40:41], v40 offset0:48 offset1:56
	s_waitcnt lgkmcnt(7)
	v_add3_u32 v2, v26, v2, v27
	s_waitcnt lgkmcnt(6)
	v_add3_u32 v3, v28, v3, v29
	;; [unrolled: 2-line block ×3, first 2 shown]
	v_add3_u32 v2, v30, v2, v31
	s_add_i32 s21, s21, 16
	s_add_i32 s20, s20, 16
	s_add_i32 s1, s1, -8
	s_waitcnt lgkmcnt(3)
	v_add3_u32 v2, v34, v2, v35
	s_waitcnt lgkmcnt(2)
	v_add3_u32 v3, v36, v3, v37
	s_cmp_lg_u32 s1, 0
	s_waitcnt lgkmcnt(0)
	v_add3_u32 v3, v40, v3, v41
	v_add3_u32 v2, v38, v2, v39
	s_cbranch_scc1 .LBB2_70
	s_branch .LBB2_73
.LBB2_71:                               ;   in Loop: Header=BB2_8 Depth=1
	s_cbranch_execnz .LBB2_76
	s_branch .LBB2_78
.LBB2_72:                               ;   in Loop: Header=BB2_8 Depth=1
	s_mov_b32 s83, s82
	v_pk_mov_b32 v[2:3], s[82:83], s[82:83] op_sel:[0,1]
	s_mov_b32 s83, 1
	s_mov_b64 s[20:21], s[82:83]
.LBB2_73:                               ;   in Loop: Header=BB2_8 Depth=1
	v_readlane_b32 s22, v42, 48
	v_readlane_b32 s23, v42, 49
	s_andn2_b64 vcc, exec, s[22:23]
	v_readlane_b32 s1, v42, 47
	s_cbranch_vccnz .LBB2_75
.LBB2_74:                               ;   Parent Loop BB2_8 Depth=1
                                        ; =>  This Inner Loop Header: Depth=2
	v_lshl_add_u32 v26, s20, 4, v5
	v_lshl_add_u32 v27, s21, 4, v5
	ds_read_b32 v27, v27
	ds_read_b32 v26, v26
	s_add_i32 s21, s21, 2
	s_add_i32 s20, s20, 2
	s_add_i32 s1, s1, -1
	s_cmp_lg_u32 s1, 0
	s_waitcnt lgkmcnt(1)
	v_add_u32_e32 v3, v27, v3
	s_waitcnt lgkmcnt(0)
	v_add_u32_e32 v2, v26, v2
	s_cbranch_scc1 .LBB2_74
.LBB2_75:                               ;   in Loop: Header=BB2_8 Depth=1
	v_readlane_b32 s20, v42, 52
	v_add_u32_e32 v2, v2, v3
	v_readlane_b32 s1, v42, 51
	v_readlane_b32 s21, v42, 53
	s_and_b64 vcc, exec, s[20:21]
	s_cbranch_vccz .LBB2_78
.LBB2_76:                               ;   in Loop: Header=BB2_8 Depth=1
	s_lshl_b32 s8, s16, 8
	s_lshl_b32 s20, s1, 4
	s_add_i32 s8, s8, s20
	v_add_u32_e32 v3, s8, v22
	v_readlane_b32 s8, v42, 50
	s_sub_i32 s1, s8, s1
.LBB2_77:                               ;   Parent Loop BB2_8 Depth=1
                                        ; =>  This Inner Loop Header: Depth=2
	ds_read_b32 v5, v3
	s_add_i32 s1, s1, -1
	v_add_u32_e32 v3, 16, v3
	s_cmp_eq_u32 s1, 0
	s_waitcnt lgkmcnt(0)
	v_add_u32_e32 v2, v5, v2
	s_cbranch_scc0 .LBB2_77
.LBB2_78:                               ;   in Loop: Header=BB2_8 Depth=1
	v_lshlrev_b32_e32 v3, 2, v4
	ds_write_b32 v3, v2 offset:3072
.LBB2_79:                               ;   in Loop: Header=BB2_8 Depth=1
	s_or_b64 exec, exec, s[18:19]
	s_lshl_b32 s0, s0, 2
	s_waitcnt vmcnt(0)
	v_mov_b32_e32 v2, s0
	s_waitcnt lgkmcnt(0)
	s_barrier
	ds_read_b128 v[2:5], v2 offset:3072
	s_and_b32 s47, s91, 0xfe
	s_lshl_b32 s55, 3, s47
	s_not_b32 s48, s55
	s_mov_b64 s[22:23], -1
	s_waitcnt lgkmcnt(0)
	v_readfirstlane_b32 s34, v2
	s_cmp_eq_u32 s34, 1
	s_cselect_b64 s[0:1], -1, 0
	s_cmp_eq_u32 s69, 1
	s_cselect_b64 s[18:19], -1, 0
	s_and_b64 s[24:25], s[0:1], s[18:19]
	v_readfirstlane_b32 s38, v3
	v_readfirstlane_b32 s46, v4
	;; [unrolled: 1-line block ×3, first 2 shown]
	s_and_b64 vcc, exec, s[24:25]
	s_cbranch_vccz .LBB2_90
; %bb.80:                               ;   in Loop: Header=BB2_8 Depth=1
	ds_read_b32 v2, v23 offset:4096
	s_waitcnt lgkmcnt(0)
	s_barrier
	v_readfirstlane_b32 s0, v2
	s_and_saveexec_b64 s[18:19], s[4:5]
	s_cbranch_execz .LBB2_82
; %bb.81:                               ;   in Loop: Header=BB2_8 Depth=1
	ds_write_b8 v0, v23 offset:3072
.LBB2_82:                               ;   in Loop: Header=BB2_8 Depth=1
	s_or_b64 exec, exec, s[18:19]
	s_and_b32 s93, s93, s48
	s_or_b32 s17, s17, s55
	s_cmp_lt_i32 s0, 1
	s_waitcnt lgkmcnt(0)
	s_barrier
	s_cbranch_scc0 .LBB2_91
; %bb.83:                               ;   in Loop: Header=BB2_8 Depth=1
	s_mov_b64 s[18:19], 0
                                        ; implicit-def: $vgpr25
	s_mov_b64 s[20:21], exec
	v_readlane_b32 s26, v42, 54
	v_readlane_b32 s27, v42, 55
	s_and_b64 s[26:27], s[20:21], s[26:27]
	s_mov_b64 exec, s[26:27]
	s_cbranch_execz .LBB2_93
; %bb.84:                               ;   in Loop: Header=BB2_8 Depth=1
	s_mov_b64 s[26:27], 0
	v_mov_b32_e32 v2, v9
	v_mov_b32_e32 v3, v0
                                        ; implicit-def: $sgpr28_sgpr29
	s_branch .LBB2_86
.LBB2_85:                               ;   in Loop: Header=BB2_86 Depth=2
	s_or_b64 exec, exec, s[18:19]
	s_waitcnt lgkmcnt(0)
	s_barrier
	ds_read_u16 v4, v23 offset:3072
	v_add_u32_e32 v3, s70, v3
	v_cmp_le_i32_e32 vcc, s9, v3
	v_add_u32_e32 v2, s92, v2
	s_waitcnt lgkmcnt(0)
	v_cmp_ne_u16_sdwa s[18:19], v4, v23 src0_sel:BYTE_0 src1_sel:DWORD
	s_or_b64 s[30:31], vcc, s[18:19]
	s_and_b64 s[30:31], exec, s[30:31]
	s_or_b64 s[26:27], s[30:31], s[26:27]
	s_andn2_b64 s[28:29], s[28:29], exec
	s_and_b64 s[18:19], s[18:19], exec
	s_or_b64 s[28:29], s[28:29], s[18:19]
	s_barrier
	s_andn2_b64 exec, exec, s[26:27]
	s_cbranch_execz .LBB2_92
.LBB2_86:                               ;   Parent Loop BB2_8 Depth=1
                                        ; =>  This Inner Loop Header: Depth=2
	v_cmp_gt_i32_e32 vcc, s68, v3
	v_mov_b32_e32 v4, 0
	s_and_saveexec_b64 s[30:31], vcc
	s_cbranch_execz .LBB2_88
; %bb.87:                               ;   in Loop: Header=BB2_86 Depth=2
	v_ashrrev_i32_e32 v5, 31, v2
	v_mov_b32_e32 v25, s81
	v_add_co_u32_e64 v4, s[18:19], s80, v2
	v_addc_co_u32_e64 v5, s[18:19], v25, v5, s[18:19]
	global_load_ubyte v4, v[4:5], off
.LBB2_88:                               ;   in Loop: Header=BB2_86 Depth=2
	s_or_b64 exec, exec, s[30:31]
	s_waitcnt vmcnt(0)
	v_and_b32_e32 v5, s17, v4
	v_cmp_eq_u32_sdwa s[18:19], v5, s93 src0_sel:BYTE_0 src1_sel:DWORD
	s_and_b64 s[30:31], vcc, s[18:19]
	s_and_saveexec_b64 s[18:19], s[30:31]
	s_cbranch_execz .LBB2_85
; %bb.89:                               ;   in Loop: Header=BB2_86 Depth=2
	v_lshlrev_b16_e32 v4, 8, v4
	v_or_b32_e32 v4, 1, v4
	ds_write_b16 v23, v4 offset:3072
	s_branch .LBB2_85
.LBB2_90:                               ;   in Loop: Header=BB2_8 Depth=1
	s_mov_b64 s[18:19], -1
                                        ; implicit-def: $sgpr20_sgpr21
                                        ; implicit-def: $sgpr28_sgpr29
                                        ; implicit-def: $sgpr26_sgpr27
	s_branch .LBB2_103
.LBB2_91:                               ;   in Loop: Header=BB2_8 Depth=1
	s_mov_b64 s[20:21], -1
	s_mov_b64 s[18:19], 0
                                        ; implicit-def: $sgpr26_sgpr27
                                        ; implicit-def: $vgpr25
	s_mov_b64 s[28:29], s[20:21]
	s_cbranch_execnz .LBB2_94
	s_branch .LBB2_103
.LBB2_92:                               ;   in Loop: Header=BB2_8 Depth=1
	s_or_b64 exec, exec, s[26:27]
	v_lshrrev_b16_e32 v25, 8, v4
	s_and_b64 s[18:19], s[28:29], exec
.LBB2_93:                               ;   in Loop: Header=BB2_8 Depth=1
	s_or_b64 exec, exec, s[20:21]
	s_mov_b64 s[26:27], -1
	s_mov_b64 s[20:21], 0
	s_mov_b64 s[28:29], s[20:21]
	s_branch .LBB2_103
.LBB2_94:                               ;   in Loop: Header=BB2_8 Depth=1
	v_readlane_b32 s1, v42, 31
	s_add_i32 s1, s0, s1
	s_abs_i32 s18, s1
	s_mul_hi_u32 s19, s18, s89
	s_mul_i32 s19, s19, s70
	s_sub_i32 s18, s18, s19
	s_ashr_i32 s8, s1, 31
	s_sub_i32 s19, s18, s70
	s_cmp_ge_u32 s18, s70
	s_cselect_b32 s18, s19, s18
	s_sub_i32 s19, s18, s70
	s_cmp_ge_u32 s18, s70
	s_cselect_b32 s18, s19, s18
	s_xor_b32 s18, s18, s8
	s_sub_i32 s8, s8, s18
	s_add_i32 s1, s1, s8
	v_cmp_gt_i32_e32 vcc, s1, v0
	s_mov_b64 s[18:19], 0
                                        ; implicit-def: $vgpr25
	s_and_saveexec_b64 s[20:21], vcc
	s_cbranch_execz .LBB2_102
; %bb.95:                               ;   in Loop: Header=BB2_8 Depth=1
	v_mov_b32_e32 v2, v0
                                        ; implicit-def: $sgpr26_sgpr27
	s_branch .LBB2_97
.LBB2_96:                               ;   in Loop: Header=BB2_97 Depth=2
	s_or_b64 exec, exec, s[28:29]
	s_waitcnt lgkmcnt(0)
	s_barrier
	ds_read_u16 v3, v23 offset:3072
	v_add_u32_e32 v2, s70, v2
	v_cmp_le_i32_e32 vcc, s1, v2
	s_waitcnt lgkmcnt(0)
	s_barrier
	v_cmp_ne_u16_sdwa s[28:29], v3, v23 src0_sel:BYTE_0 src1_sel:DWORD
	s_or_b64 s[30:31], vcc, s[28:29]
	s_and_b64 s[30:31], exec, s[30:31]
	s_or_b64 s[18:19], s[30:31], s[18:19]
	s_andn2_b64 s[26:27], s[26:27], exec
	s_and_b64 s[28:29], s[28:29], exec
	s_or_b64 s[26:27], s[26:27], s[28:29]
	s_andn2_b64 exec, exec, s[18:19]
	s_cbranch_execz .LBB2_101
.LBB2_97:                               ;   Parent Loop BB2_8 Depth=1
                                        ; =>  This Inner Loop Header: Depth=2
	v_cmp_gt_i32_e32 vcc, s0, v2
	v_mov_b32_e32 v3, 0
	s_and_saveexec_b64 s[28:29], vcc
	s_cbranch_execz .LBB2_99
; %bb.98:                               ;   in Loop: Header=BB2_97 Depth=2
	ds_read_u8 v3, v2
.LBB2_99:                               ;   in Loop: Header=BB2_97 Depth=2
	s_or_b64 exec, exec, s[28:29]
	s_waitcnt lgkmcnt(0)
	v_and_b32_e32 v4, s17, v3
	v_cmp_eq_u32_sdwa s[28:29], v4, s93 src0_sel:BYTE_0 src1_sel:DWORD
	s_and_b64 s[30:31], vcc, s[28:29]
	s_and_saveexec_b64 s[28:29], s[30:31]
	s_cbranch_execz .LBB2_96
; %bb.100:                              ;   in Loop: Header=BB2_97 Depth=2
	v_lshlrev_b16_e32 v3, 8, v3
	v_or_b32_e32 v3, 1, v3
	ds_write_b16 v23, v3 offset:3072
	s_branch .LBB2_96
.LBB2_101:                              ;   in Loop: Header=BB2_8 Depth=1
	s_or_b64 exec, exec, s[18:19]
	v_lshrrev_b16_e32 v25, 8, v3
	s_and_b64 s[18:19], s[26:27], exec
.LBB2_102:                              ;   in Loop: Header=BB2_8 Depth=1
	s_or_b64 exec, exec, s[20:21]
	s_mov_b64 s[28:29], -1
	s_mov_b64 s[20:21], 0
	s_mov_b64 s[26:27], 0
.LBB2_103:                              ;   in Loop: Header=BB2_8 Depth=1
	s_andn2_b64 s[0:1], s[94:95], exec
	s_and_b64 s[20:21], s[20:21], exec
	s_or_b64 s[94:95], s[0:1], s[20:21]
	s_andn2_b64 s[0:1], s[76:77], exec
	s_and_b64 s[20:21], s[28:29], exec
	s_or_b64 s[76:77], s[0:1], s[20:21]
	;; [unrolled: 3-line block ×3, first 2 shown]
	s_and_saveexec_b64 s[20:21], s[18:19]
	s_cbranch_execz .LBB2_7
; %bb.104:                              ;   in Loop: Header=BB2_8 Depth=1
	s_xor_b64 s[0:1], s[24:25], -1
	s_mov_b64 s[18:19], 0
	s_andn2_b64 vcc, exec, s[0:1]
	s_mov_b32 s39, 1
	s_cbranch_vccnz .LBB2_115
; %bb.105:                              ;   in Loop: Header=BB2_8 Depth=1
	s_cmp_gt_i32 s69, s34
	s_mov_b64 s[18:19], -1
                                        ; implicit-def: $sgpr57
                                        ; implicit-def: $sgpr0
                                        ; implicit-def: $sgpr1
	s_cbranch_scc1 .LBB2_111
; %bb.106:                              ;   in Loop: Header=BB2_8 Depth=1
	ds_read_b32 v2, v23 offset:4096
	s_waitcnt lgkmcnt(0)
	v_cmp_ne_u32_e32 vcc, 0, v2
	s_cbranch_vccnz .LBB2_110
; %bb.107:                              ;   in Loop: Header=BB2_8 Depth=1
	s_mov_b64 s[18:19], exec
	v_readlane_b32 s0, v42, 18
	v_readlane_b32 s1, v42, 19
	s_and_b64 s[0:1], s[18:19], s[0:1]
	s_mov_b64 exec, s[0:1]
	s_cbranch_execz .LBB2_109
; %bb.108:                              ;   in Loop: Header=BB2_8 Depth=1
	v_mov_b32_e32 v2, s34
	ds_write_b32 v23, v2 offset:4100
.LBB2_109:                              ;   in Loop: Header=BB2_8 Depth=1
	s_or_b64 exec, exec, s[18:19]
	s_waitcnt lgkmcnt(0)
	s_barrier
.LBB2_110:                              ;   in Loop: Header=BB2_8 Depth=1
	s_and_b32 s0, s93, s48
	s_or_b32 s1, s17, s55
	s_mov_b64 s[18:19], 0
	s_mov_b32 s57, 8
.LBB2_111:                              ;   in Loop: Header=BB2_8 Depth=1
	s_andn2_b64 vcc, exec, s[18:19]
	s_cbranch_vccnz .LBB2_113
; %bb.112:                              ;   in Loop: Header=BB2_8 Depth=1
	s_sub_i32 s69, s69, s34
	s_mov_b64 s[18:19], -1
	s_mov_b32 s57, 0
	s_mov_b32 s0, s93
	;; [unrolled: 1-line block ×3, first 2 shown]
.LBB2_113:                              ;   in Loop: Header=BB2_8 Depth=1
	s_mov_b32 s17, s1
	s_mov_b32 s93, s0
	;; [unrolled: 1-line block ×3, first 2 shown]
	s_mov_b64 s[22:23], -1
	s_and_b64 vcc, exec, s[18:19]
	s_cbranch_vccnz .LBB2_116
.LBB2_114:                              ;   in Loop: Header=BB2_8 Depth=1
	s_mov_b64 s[36:37], -1
                                        ; implicit-def: $sgpr24_sgpr25
                                        ; implicit-def: $sgpr28_sgpr29
                                        ; implicit-def: $sgpr26_sgpr27
	s_and_saveexec_b64 s[0:1], s[36:37]
	s_xor_b64 s[18:19], exec, s[0:1]
	s_cbranch_execz .LBB2_6
	s_branch .LBB2_233
.LBB2_115:                              ;   in Loop: Header=BB2_8 Depth=1
	s_mov_b32 s57, 1
	s_mov_b64 s[22:23], -1
	s_and_b64 vcc, exec, s[18:19]
	s_cbranch_vccz .LBB2_114
.LBB2_116:                              ;   in Loop: Header=BB2_8 Depth=1
	s_cmp_eq_u32 s38, 1
	s_cselect_b64 s[0:1], -1, 0
	s_cmp_eq_u32 s39, 1
	s_cselect_b64 s[18:19], -1, 0
	s_and_b64 s[34:35], s[0:1], s[18:19]
	s_mov_b64 s[18:19], -1
	s_and_b64 vcc, exec, s[34:35]
	s_cbranch_vccz .LBB2_127
; %bb.117:                              ;   in Loop: Header=BB2_8 Depth=1
	ds_read_b32 v2, v23 offset:4096
	s_waitcnt lgkmcnt(0)
	s_barrier
	v_readfirstlane_b32 s0, v2
	s_and_saveexec_b64 s[18:19], s[4:5]
	s_cbranch_execz .LBB2_119
; %bb.118:                              ;   in Loop: Header=BB2_8 Depth=1
	ds_write_b8 v0, v23 offset:3072
.LBB2_119:                              ;   in Loop: Header=BB2_8 Depth=1
	s_or_b64 exec, exec, s[18:19]
	s_lshl_b32 s1, 1, s47
	s_and_b32 s8, s93, s48
	s_or_b32 s93, s8, s1
	s_or_b32 s17, s17, s55
	s_cmp_gt_i32 s0, 0
	s_waitcnt lgkmcnt(0)
	s_barrier
	s_cbranch_scc1 .LBB2_128
; %bb.120:                              ;   in Loop: Header=BB2_8 Depth=1
	s_mov_b64 s[18:19], 0
                                        ; implicit-def: $vgpr25
	s_mov_b64 s[24:25], exec
	v_readlane_b32 s26, v42, 54
	v_readlane_b32 s27, v42, 55
	s_and_b64 s[26:27], s[24:25], s[26:27]
	s_mov_b64 exec, s[26:27]
	s_cbranch_execz .LBB2_130
; %bb.121:                              ;   in Loop: Header=BB2_8 Depth=1
	s_mov_b64 s[26:27], 0
	v_mov_b32_e32 v2, v9
	v_mov_b32_e32 v3, v0
                                        ; implicit-def: $sgpr28_sgpr29
	s_branch .LBB2_123
.LBB2_122:                              ;   in Loop: Header=BB2_123 Depth=2
	s_or_b64 exec, exec, s[18:19]
	s_waitcnt lgkmcnt(0)
	s_barrier
	ds_read_u16 v4, v23 offset:3072
	v_add_u32_e32 v3, s70, v3
	v_cmp_le_i32_e32 vcc, s9, v3
	v_add_u32_e32 v2, s92, v2
	s_waitcnt lgkmcnt(0)
	v_cmp_ne_u16_sdwa s[18:19], v4, v23 src0_sel:BYTE_0 src1_sel:DWORD
	s_or_b64 s[30:31], vcc, s[18:19]
	s_and_b64 s[30:31], exec, s[30:31]
	s_or_b64 s[26:27], s[30:31], s[26:27]
	s_andn2_b64 s[28:29], s[28:29], exec
	s_and_b64 s[18:19], s[18:19], exec
	s_or_b64 s[28:29], s[28:29], s[18:19]
	s_barrier
	s_andn2_b64 exec, exec, s[26:27]
	s_cbranch_execz .LBB2_129
.LBB2_123:                              ;   Parent Loop BB2_8 Depth=1
                                        ; =>  This Inner Loop Header: Depth=2
	v_cmp_gt_i32_e32 vcc, s68, v3
	v_mov_b32_e32 v4, 0
	s_and_saveexec_b64 s[30:31], vcc
	s_cbranch_execz .LBB2_125
; %bb.124:                              ;   in Loop: Header=BB2_123 Depth=2
	v_ashrrev_i32_e32 v5, 31, v2
	v_mov_b32_e32 v25, s81
	v_add_co_u32_e64 v4, s[18:19], s80, v2
	v_addc_co_u32_e64 v5, s[18:19], v25, v5, s[18:19]
	global_load_ubyte v4, v[4:5], off
.LBB2_125:                              ;   in Loop: Header=BB2_123 Depth=2
	s_or_b64 exec, exec, s[30:31]
	s_waitcnt vmcnt(0)
	v_and_b32_e32 v5, s17, v4
	v_cmp_eq_u32_sdwa s[18:19], v5, s93 src0_sel:BYTE_0 src1_sel:DWORD
	s_and_b64 s[30:31], vcc, s[18:19]
	s_and_saveexec_b64 s[18:19], s[30:31]
	s_cbranch_execz .LBB2_122
; %bb.126:                              ;   in Loop: Header=BB2_123 Depth=2
	v_lshlrev_b16_e32 v4, 8, v4
	v_or_b32_e32 v4, 1, v4
	ds_write_b16 v23, v4 offset:3072
	s_branch .LBB2_122
.LBB2_127:                              ;   in Loop: Header=BB2_8 Depth=1
                                        ; implicit-def: $sgpr26_sgpr27
                                        ; implicit-def: $sgpr28_sgpr29
                                        ; implicit-def: $sgpr24_sgpr25
	s_branch .LBB2_140
.LBB2_128:                              ;   in Loop: Header=BB2_8 Depth=1
	s_mov_b64 s[26:27], -1
	s_mov_b64 s[18:19], 0
                                        ; implicit-def: $sgpr24_sgpr25
                                        ; implicit-def: $vgpr25
	s_mov_b64 s[28:29], s[26:27]
	s_cbranch_execnz .LBB2_131
	s_branch .LBB2_140
.LBB2_129:                              ;   in Loop: Header=BB2_8 Depth=1
	s_or_b64 exec, exec, s[26:27]
	v_lshrrev_b16_e32 v25, 8, v4
	s_and_b64 s[18:19], s[28:29], exec
.LBB2_130:                              ;   in Loop: Header=BB2_8 Depth=1
	s_or_b64 exec, exec, s[24:25]
	s_mov_b64 s[24:25], -1
	s_mov_b64 s[26:27], 0
	s_mov_b64 s[28:29], s[26:27]
	s_branch .LBB2_140
.LBB2_131:                              ;   in Loop: Header=BB2_8 Depth=1
	v_readlane_b32 s1, v42, 31
	s_add_i32 s1, s0, s1
	s_abs_i32 s18, s1
	s_mul_hi_u32 s19, s18, s89
	s_mul_i32 s19, s19, s70
	s_sub_i32 s18, s18, s19
	s_ashr_i32 s8, s1, 31
	s_sub_i32 s19, s18, s70
	s_cmp_ge_u32 s18, s70
	s_cselect_b32 s18, s19, s18
	s_sub_i32 s19, s18, s70
	s_cmp_ge_u32 s18, s70
	s_cselect_b32 s18, s19, s18
	s_xor_b32 s18, s18, s8
	s_sub_i32 s8, s8, s18
	s_add_i32 s1, s1, s8
	v_cmp_gt_i32_e32 vcc, s1, v0
	s_mov_b64 s[18:19], 0
                                        ; implicit-def: $vgpr25
	s_and_saveexec_b64 s[24:25], vcc
	s_cbranch_execz .LBB2_139
; %bb.132:                              ;   in Loop: Header=BB2_8 Depth=1
	v_mov_b32_e32 v2, v0
                                        ; implicit-def: $sgpr26_sgpr27
	s_branch .LBB2_134
.LBB2_133:                              ;   in Loop: Header=BB2_134 Depth=2
	s_or_b64 exec, exec, s[28:29]
	s_waitcnt lgkmcnt(0)
	s_barrier
	ds_read_u16 v3, v23 offset:3072
	v_add_u32_e32 v2, s70, v2
	v_cmp_le_i32_e32 vcc, s1, v2
	s_waitcnt lgkmcnt(0)
	s_barrier
	v_cmp_ne_u16_sdwa s[28:29], v3, v23 src0_sel:BYTE_0 src1_sel:DWORD
	s_or_b64 s[30:31], vcc, s[28:29]
	s_and_b64 s[30:31], exec, s[30:31]
	s_or_b64 s[18:19], s[30:31], s[18:19]
	s_andn2_b64 s[26:27], s[26:27], exec
	s_and_b64 s[28:29], s[28:29], exec
	s_or_b64 s[26:27], s[26:27], s[28:29]
	s_andn2_b64 exec, exec, s[18:19]
	s_cbranch_execz .LBB2_138
.LBB2_134:                              ;   Parent Loop BB2_8 Depth=1
                                        ; =>  This Inner Loop Header: Depth=2
	v_cmp_gt_i32_e32 vcc, s0, v2
	v_mov_b32_e32 v3, 0
	s_and_saveexec_b64 s[28:29], vcc
	s_cbranch_execz .LBB2_136
; %bb.135:                              ;   in Loop: Header=BB2_134 Depth=2
	ds_read_u8 v3, v2
.LBB2_136:                              ;   in Loop: Header=BB2_134 Depth=2
	s_or_b64 exec, exec, s[28:29]
	s_waitcnt lgkmcnt(0)
	v_and_b32_e32 v4, s17, v3
	v_cmp_eq_u32_sdwa s[28:29], v4, s93 src0_sel:BYTE_0 src1_sel:DWORD
	s_and_b64 s[30:31], vcc, s[28:29]
	s_and_saveexec_b64 s[28:29], s[30:31]
	s_cbranch_execz .LBB2_133
; %bb.137:                              ;   in Loop: Header=BB2_134 Depth=2
	v_lshlrev_b16_e32 v3, 8, v3
	v_or_b32_e32 v3, 1, v3
	ds_write_b16 v23, v3 offset:3072
	s_branch .LBB2_133
.LBB2_138:                              ;   in Loop: Header=BB2_8 Depth=1
	s_or_b64 exec, exec, s[18:19]
	v_lshrrev_b16_e32 v25, 8, v3
	s_and_b64 s[18:19], s[26:27], exec
.LBB2_139:                              ;   in Loop: Header=BB2_8 Depth=1
	s_or_b64 exec, exec, s[24:25]
	s_mov_b64 s[28:29], -1
	s_mov_b64 s[26:27], 0
	s_mov_b64 s[24:25], 0
.LBB2_140:                              ;   in Loop: Header=BB2_8 Depth=1
	s_mov_b64 s[36:37], 0
                                        ; implicit-def: $sgpr57
	s_and_saveexec_b64 s[30:31], s[18:19]
	s_cbranch_execz .LBB2_232
; %bb.141:                              ;   in Loop: Header=BB2_8 Depth=1
	s_xor_b64 s[0:1], s[34:35], -1
	s_mov_b64 s[18:19], 0
	s_andn2_b64 vcc, exec, s[0:1]
	s_mov_b32 s49, 1
	s_cbranch_vccnz .LBB2_152
; %bb.142:                              ;   in Loop: Header=BB2_8 Depth=1
	s_cmp_gt_i32 s39, s38
	s_mov_b64 s[18:19], -1
                                        ; implicit-def: $sgpr57
                                        ; implicit-def: $sgpr0
                                        ; implicit-def: $sgpr1
	s_cbranch_scc1 .LBB2_148
; %bb.143:                              ;   in Loop: Header=BB2_8 Depth=1
	ds_read_b32 v2, v23 offset:4096
	s_waitcnt lgkmcnt(0)
	v_cmp_ne_u32_e32 vcc, 0, v2
	s_cbranch_vccnz .LBB2_147
; %bb.144:                              ;   in Loop: Header=BB2_8 Depth=1
	s_mov_b64 s[18:19], exec
	v_readlane_b32 s0, v42, 18
	v_readlane_b32 s1, v42, 19
	s_and_b64 s[0:1], s[18:19], s[0:1]
	s_mov_b64 exec, s[0:1]
	s_cbranch_execz .LBB2_146
; %bb.145:                              ;   in Loop: Header=BB2_8 Depth=1
	v_mov_b32_e32 v2, s38
	ds_write_b32 v23, v2 offset:4100
.LBB2_146:                              ;   in Loop: Header=BB2_8 Depth=1
	s_or_b64 exec, exec, s[18:19]
	s_waitcnt lgkmcnt(0)
	s_barrier
.LBB2_147:                              ;   in Loop: Header=BB2_8 Depth=1
	s_lshl_b32 s0, 1, s47
	s_and_b32 s1, s93, s48
	s_or_b32 s0, s1, s0
	s_or_b32 s1, s17, s55
	s_mov_b64 s[18:19], 0
	s_mov_b32 s57, 8
.LBB2_148:                              ;   in Loop: Header=BB2_8 Depth=1
	s_andn2_b64 vcc, exec, s[18:19]
	s_cbranch_vccnz .LBB2_150
; %bb.149:                              ;   in Loop: Header=BB2_8 Depth=1
	s_sub_i32 s39, s39, s38
	s_mov_b64 s[18:19], -1
	s_mov_b32 s57, 0
	s_mov_b32 s0, s93
	;; [unrolled: 1-line block ×3, first 2 shown]
.LBB2_150:                              ;   in Loop: Header=BB2_8 Depth=1
	s_mov_b32 s17, s1
	s_mov_b32 s93, s0
	;; [unrolled: 1-line block ×3, first 2 shown]
	s_andn2_b64 vcc, exec, s[18:19]
	s_mov_b64 s[44:45], -1
	s_cbranch_vccz .LBB2_153
.LBB2_151:                              ;   in Loop: Header=BB2_8 Depth=1
                                        ; implicit-def: $sgpr36_sgpr37
                                        ; implicit-def: $sgpr38_sgpr39
                                        ; implicit-def: $sgpr34_sgpr35
	s_branch .LBB2_231
.LBB2_152:                              ;   in Loop: Header=BB2_8 Depth=1
	s_mov_b32 s57, 1
	s_andn2_b64 vcc, exec, s[18:19]
	s_mov_b64 s[44:45], -1
	s_cbranch_vccnz .LBB2_151
.LBB2_153:                              ;   in Loop: Header=BB2_8 Depth=1
	s_cmp_eq_u32 s46, 1
	s_cselect_b64 s[0:1], -1, 0
	s_cmp_eq_u32 s49, 1
	s_cselect_b64 s[18:19], -1, 0
	s_and_b64 s[42:43], s[0:1], s[18:19]
	s_mov_b64 s[18:19], -1
	s_and_b64 vcc, exec, s[42:43]
	s_cbranch_vccz .LBB2_164
; %bb.154:                              ;   in Loop: Header=BB2_8 Depth=1
	ds_read_b32 v2, v23 offset:4096
	s_waitcnt lgkmcnt(0)
	s_barrier
	v_readfirstlane_b32 s0, v2
	s_and_saveexec_b64 s[18:19], s[4:5]
	s_cbranch_execz .LBB2_156
; %bb.155:                              ;   in Loop: Header=BB2_8 Depth=1
	ds_write_b8 v0, v23 offset:3072
.LBB2_156:                              ;   in Loop: Header=BB2_8 Depth=1
	s_or_b64 exec, exec, s[18:19]
	s_lshl_b32 s1, 2, s47
	s_and_b32 s8, s93, s48
	s_or_b32 s93, s8, s1
	s_or_b32 s17, s17, s55
	s_cmp_gt_i32 s0, 0
	s_waitcnt lgkmcnt(0)
	s_barrier
	s_cbranch_scc1 .LBB2_165
; %bb.157:                              ;   in Loop: Header=BB2_8 Depth=1
	s_mov_b64 s[18:19], 0
                                        ; implicit-def: $vgpr25
	s_mov_b64 s[34:35], exec
	v_readlane_b32 s36, v42, 54
	v_readlane_b32 s37, v42, 55
	s_and_b64 s[36:37], s[34:35], s[36:37]
	s_mov_b64 exec, s[36:37]
	s_cbranch_execz .LBB2_167
; %bb.158:                              ;   in Loop: Header=BB2_8 Depth=1
	s_mov_b64 s[36:37], 0
	v_mov_b32_e32 v2, v9
	v_mov_b32_e32 v3, v0
                                        ; implicit-def: $sgpr38_sgpr39
	s_branch .LBB2_160
.LBB2_159:                              ;   in Loop: Header=BB2_160 Depth=2
	s_or_b64 exec, exec, s[18:19]
	s_waitcnt lgkmcnt(0)
	s_barrier
	ds_read_u16 v4, v23 offset:3072
	v_add_u32_e32 v3, s70, v3
	v_cmp_le_i32_e32 vcc, s9, v3
	v_add_u32_e32 v2, s92, v2
	s_waitcnt lgkmcnt(0)
	v_cmp_ne_u16_sdwa s[18:19], v4, v23 src0_sel:BYTE_0 src1_sel:DWORD
	s_or_b64 s[40:41], vcc, s[18:19]
	s_and_b64 s[40:41], exec, s[40:41]
	s_or_b64 s[36:37], s[40:41], s[36:37]
	s_andn2_b64 s[38:39], s[38:39], exec
	s_and_b64 s[18:19], s[18:19], exec
	s_or_b64 s[38:39], s[38:39], s[18:19]
	s_barrier
	s_andn2_b64 exec, exec, s[36:37]
	s_cbranch_execz .LBB2_166
.LBB2_160:                              ;   Parent Loop BB2_8 Depth=1
                                        ; =>  This Inner Loop Header: Depth=2
	v_cmp_gt_i32_e32 vcc, s68, v3
	v_mov_b32_e32 v4, 0
	s_and_saveexec_b64 s[40:41], vcc
	s_cbranch_execz .LBB2_162
; %bb.161:                              ;   in Loop: Header=BB2_160 Depth=2
	v_ashrrev_i32_e32 v5, 31, v2
	v_mov_b32_e32 v25, s81
	v_add_co_u32_e64 v4, s[18:19], s80, v2
	v_addc_co_u32_e64 v5, s[18:19], v25, v5, s[18:19]
	global_load_ubyte v4, v[4:5], off
.LBB2_162:                              ;   in Loop: Header=BB2_160 Depth=2
	s_or_b64 exec, exec, s[40:41]
	s_waitcnt vmcnt(0)
	v_and_b32_e32 v5, s17, v4
	v_cmp_eq_u32_sdwa s[18:19], v5, s93 src0_sel:BYTE_0 src1_sel:DWORD
	s_and_b64 s[40:41], vcc, s[18:19]
	s_and_saveexec_b64 s[18:19], s[40:41]
	s_cbranch_execz .LBB2_159
; %bb.163:                              ;   in Loop: Header=BB2_160 Depth=2
	v_lshlrev_b16_e32 v4, 8, v4
	v_or_b32_e32 v4, 1, v4
	ds_write_b16 v23, v4 offset:3072
	s_branch .LBB2_159
.LBB2_164:                              ;   in Loop: Header=BB2_8 Depth=1
                                        ; implicit-def: $sgpr34_sgpr35
                                        ; implicit-def: $sgpr38_sgpr39
                                        ; implicit-def: $sgpr36_sgpr37
	s_branch .LBB2_177
.LBB2_165:                              ;   in Loop: Header=BB2_8 Depth=1
	s_mov_b64 s[34:35], -1
	s_mov_b64 s[18:19], 0
                                        ; implicit-def: $sgpr36_sgpr37
                                        ; implicit-def: $vgpr25
	s_mov_b64 s[38:39], s[34:35]
	s_cbranch_execnz .LBB2_168
	s_branch .LBB2_177
.LBB2_166:                              ;   in Loop: Header=BB2_8 Depth=1
	s_or_b64 exec, exec, s[36:37]
	v_lshrrev_b16_e32 v25, 8, v4
	s_and_b64 s[18:19], s[38:39], exec
.LBB2_167:                              ;   in Loop: Header=BB2_8 Depth=1
	s_or_b64 exec, exec, s[34:35]
	s_mov_b64 s[36:37], -1
	s_mov_b64 s[34:35], 0
	s_mov_b64 s[38:39], s[34:35]
	s_branch .LBB2_177
.LBB2_168:                              ;   in Loop: Header=BB2_8 Depth=1
	v_readlane_b32 s1, v42, 31
	s_add_i32 s1, s0, s1
	s_abs_i32 s18, s1
	s_mul_hi_u32 s19, s18, s89
	s_mul_i32 s19, s19, s70
	s_sub_i32 s18, s18, s19
	s_ashr_i32 s8, s1, 31
	s_sub_i32 s19, s18, s70
	s_cmp_ge_u32 s18, s70
	s_cselect_b32 s18, s19, s18
	s_sub_i32 s19, s18, s70
	s_cmp_ge_u32 s18, s70
	s_cselect_b32 s18, s19, s18
	s_xor_b32 s18, s18, s8
	s_sub_i32 s8, s8, s18
	s_add_i32 s1, s1, s8
	v_cmp_gt_i32_e32 vcc, s1, v0
	s_mov_b64 s[18:19], 0
                                        ; implicit-def: $vgpr25
	s_and_saveexec_b64 s[34:35], vcc
	s_cbranch_execz .LBB2_176
; %bb.169:                              ;   in Loop: Header=BB2_8 Depth=1
	v_mov_b32_e32 v2, v0
                                        ; implicit-def: $sgpr36_sgpr37
	s_branch .LBB2_171
.LBB2_170:                              ;   in Loop: Header=BB2_171 Depth=2
	s_or_b64 exec, exec, s[38:39]
	s_waitcnt lgkmcnt(0)
	s_barrier
	ds_read_u16 v3, v23 offset:3072
	v_add_u32_e32 v2, s70, v2
	v_cmp_le_i32_e32 vcc, s1, v2
	s_waitcnt lgkmcnt(0)
	s_barrier
	v_cmp_ne_u16_sdwa s[38:39], v3, v23 src0_sel:BYTE_0 src1_sel:DWORD
	s_or_b64 s[40:41], vcc, s[38:39]
	s_and_b64 s[40:41], exec, s[40:41]
	s_or_b64 s[18:19], s[40:41], s[18:19]
	s_andn2_b64 s[36:37], s[36:37], exec
	s_and_b64 s[38:39], s[38:39], exec
	s_or_b64 s[36:37], s[36:37], s[38:39]
	s_andn2_b64 exec, exec, s[18:19]
	s_cbranch_execz .LBB2_175
.LBB2_171:                              ;   Parent Loop BB2_8 Depth=1
                                        ; =>  This Inner Loop Header: Depth=2
	v_cmp_gt_i32_e32 vcc, s0, v2
	v_mov_b32_e32 v3, 0
	s_and_saveexec_b64 s[38:39], vcc
	s_cbranch_execz .LBB2_173
; %bb.172:                              ;   in Loop: Header=BB2_171 Depth=2
	ds_read_u8 v3, v2
.LBB2_173:                              ;   in Loop: Header=BB2_171 Depth=2
	s_or_b64 exec, exec, s[38:39]
	s_waitcnt lgkmcnt(0)
	v_and_b32_e32 v4, s17, v3
	v_cmp_eq_u32_sdwa s[38:39], v4, s93 src0_sel:BYTE_0 src1_sel:DWORD
	s_and_b64 s[40:41], vcc, s[38:39]
	s_and_saveexec_b64 s[38:39], s[40:41]
	s_cbranch_execz .LBB2_170
; %bb.174:                              ;   in Loop: Header=BB2_171 Depth=2
	v_lshlrev_b16_e32 v3, 8, v3
	v_or_b32_e32 v3, 1, v3
	ds_write_b16 v23, v3 offset:3072
	s_branch .LBB2_170
.LBB2_175:                              ;   in Loop: Header=BB2_8 Depth=1
	s_or_b64 exec, exec, s[18:19]
	v_lshrrev_b16_e32 v25, 8, v3
	s_and_b64 s[18:19], s[36:37], exec
.LBB2_176:                              ;   in Loop: Header=BB2_8 Depth=1
	s_or_b64 exec, exec, s[34:35]
	s_mov_b64 s[38:39], -1
	s_mov_b64 s[34:35], 0
	s_mov_b64 s[36:37], 0
.LBB2_177:                              ;   in Loop: Header=BB2_8 Depth=1
	s_mov_b64 s[44:45], 0
                                        ; implicit-def: $sgpr57
	s_and_saveexec_b64 s[40:41], s[18:19]
	s_cbranch_execz .LBB2_230
; %bb.178:                              ;   in Loop: Header=BB2_8 Depth=1
	s_xor_b64 s[0:1], s[42:43], -1
	s_mov_b64 s[18:19], 0
	s_andn2_b64 vcc, exec, s[0:1]
	s_mov_b32 s56, 1
	s_cbranch_vccnz .LBB2_189
; %bb.179:                              ;   in Loop: Header=BB2_8 Depth=1
	s_cmp_gt_i32 s49, s46
	s_mov_b64 s[18:19], -1
                                        ; implicit-def: $sgpr57
                                        ; implicit-def: $sgpr0
                                        ; implicit-def: $sgpr1
	s_cbranch_scc1 .LBB2_185
; %bb.180:                              ;   in Loop: Header=BB2_8 Depth=1
	ds_read_b32 v2, v23 offset:4096
	s_waitcnt lgkmcnt(0)
	v_cmp_ne_u32_e32 vcc, 0, v2
	s_cbranch_vccnz .LBB2_184
; %bb.181:                              ;   in Loop: Header=BB2_8 Depth=1
	s_mov_b64 s[18:19], exec
	v_readlane_b32 s0, v42, 18
	v_readlane_b32 s1, v42, 19
	s_and_b64 s[0:1], s[18:19], s[0:1]
	s_mov_b64 exec, s[0:1]
	s_cbranch_execz .LBB2_183
; %bb.182:                              ;   in Loop: Header=BB2_8 Depth=1
	v_mov_b32_e32 v2, s46
	ds_write_b32 v23, v2 offset:4100
.LBB2_183:                              ;   in Loop: Header=BB2_8 Depth=1
	s_or_b64 exec, exec, s[18:19]
	s_waitcnt lgkmcnt(0)
	s_barrier
.LBB2_184:                              ;   in Loop: Header=BB2_8 Depth=1
	s_lshl_b32 s0, 2, s47
	s_and_b32 s1, s93, s48
	s_or_b32 s0, s1, s0
	s_or_b32 s1, s17, s55
	s_mov_b64 s[18:19], 0
	s_mov_b32 s57, 8
.LBB2_185:                              ;   in Loop: Header=BB2_8 Depth=1
	s_andn2_b64 vcc, exec, s[18:19]
	s_cbranch_vccnz .LBB2_187
; %bb.186:                              ;   in Loop: Header=BB2_8 Depth=1
	s_sub_i32 s49, s49, s46
	s_mov_b64 s[18:19], -1
	s_mov_b32 s57, 0
	s_mov_b32 s0, s93
	;; [unrolled: 1-line block ×3, first 2 shown]
.LBB2_187:                              ;   in Loop: Header=BB2_8 Depth=1
	s_mov_b32 s17, s1
	s_mov_b32 s93, s0
	;; [unrolled: 1-line block ×3, first 2 shown]
	s_andn2_b64 vcc, exec, s[18:19]
	s_mov_b64 s[52:53], -1
	s_cbranch_vccz .LBB2_190
.LBB2_188:                              ;   in Loop: Header=BB2_8 Depth=1
                                        ; implicit-def: $sgpr18_sgpr19
                                        ; implicit-def: $sgpr46_sgpr47
                                        ; implicit-def: $sgpr44_sgpr45
	s_branch .LBB2_229
.LBB2_189:                              ;   in Loop: Header=BB2_8 Depth=1
	s_mov_b32 s57, 1
	s_andn2_b64 vcc, exec, s[18:19]
	s_mov_b64 s[52:53], -1
	s_cbranch_vccnz .LBB2_188
.LBB2_190:                              ;   in Loop: Header=BB2_8 Depth=1
	s_cmp_eq_u32 s54, 1
	s_cselect_b64 s[0:1], -1, 0
	s_cmp_eq_u32 s56, 1
	s_cselect_b64 s[18:19], -1, 0
	s_and_b64 s[42:43], s[0:1], s[18:19]
	s_mov_b64 s[48:49], -1
	s_and_b64 vcc, exec, s[42:43]
	s_cbranch_vccz .LBB2_201
; %bb.191:                              ;   in Loop: Header=BB2_8 Depth=1
	ds_read_b32 v2, v23 offset:4096
	s_waitcnt lgkmcnt(0)
	s_barrier
	v_readfirstlane_b32 s0, v2
	s_and_saveexec_b64 s[18:19], s[4:5]
	s_cbranch_execz .LBB2_193
; %bb.192:                              ;   in Loop: Header=BB2_8 Depth=1
	ds_write_b8 v0, v23 offset:3072
.LBB2_193:                              ;   in Loop: Header=BB2_8 Depth=1
	s_or_b64 exec, exec, s[18:19]
	s_or_b32 s93, s93, s55
	s_or_b32 s17, s17, s55
	s_cmp_gt_i32 s0, 0
	s_waitcnt lgkmcnt(0)
	s_barrier
	s_cbranch_scc1 .LBB2_202
; %bb.194:                              ;   in Loop: Header=BB2_8 Depth=1
	s_mov_b64 s[48:49], 0
                                        ; implicit-def: $vgpr25
	s_mov_b64 s[44:45], exec
	v_readlane_b32 s18, v42, 54
	v_readlane_b32 s19, v42, 55
	s_and_b64 s[18:19], s[44:45], s[18:19]
	s_mov_b64 exec, s[18:19]
	s_cbranch_execz .LBB2_204
; %bb.195:                              ;   in Loop: Header=BB2_8 Depth=1
	s_mov_b64 s[46:47], 0
	v_mov_b32_e32 v2, v9
	v_mov_b32_e32 v3, v0
                                        ; implicit-def: $sgpr48_sgpr49
	s_branch .LBB2_197
.LBB2_196:                              ;   in Loop: Header=BB2_197 Depth=2
	s_or_b64 exec, exec, s[18:19]
	s_waitcnt lgkmcnt(0)
	s_barrier
	ds_read_u16 v4, v23 offset:3072
	v_add_u32_e32 v3, s70, v3
	v_cmp_le_i32_e32 vcc, s9, v3
	v_add_u32_e32 v2, s92, v2
	s_waitcnt lgkmcnt(0)
	v_cmp_ne_u16_sdwa s[18:19], v4, v23 src0_sel:BYTE_0 src1_sel:DWORD
	s_or_b64 s[50:51], vcc, s[18:19]
	s_and_b64 s[50:51], exec, s[50:51]
	s_or_b64 s[46:47], s[50:51], s[46:47]
	s_andn2_b64 s[48:49], s[48:49], exec
	s_and_b64 s[18:19], s[18:19], exec
	s_or_b64 s[48:49], s[48:49], s[18:19]
	s_barrier
	s_andn2_b64 exec, exec, s[46:47]
	s_cbranch_execz .LBB2_203
.LBB2_197:                              ;   Parent Loop BB2_8 Depth=1
                                        ; =>  This Inner Loop Header: Depth=2
	v_cmp_gt_i32_e32 vcc, s68, v3
	v_mov_b32_e32 v4, 0
	s_and_saveexec_b64 s[50:51], vcc
	s_cbranch_execz .LBB2_199
; %bb.198:                              ;   in Loop: Header=BB2_197 Depth=2
	v_ashrrev_i32_e32 v5, 31, v2
	v_mov_b32_e32 v25, s81
	v_add_co_u32_e64 v4, s[18:19], s80, v2
	v_addc_co_u32_e64 v5, s[18:19], v25, v5, s[18:19]
	global_load_ubyte v4, v[4:5], off
.LBB2_199:                              ;   in Loop: Header=BB2_197 Depth=2
	s_or_b64 exec, exec, s[50:51]
	s_waitcnt vmcnt(0)
	v_and_b32_e32 v5, s17, v4
	v_cmp_eq_u32_sdwa s[18:19], v5, s93 src0_sel:BYTE_0 src1_sel:DWORD
	s_and_b64 s[50:51], vcc, s[18:19]
	s_and_saveexec_b64 s[18:19], s[50:51]
	s_cbranch_execz .LBB2_196
; %bb.200:                              ;   in Loop: Header=BB2_197 Depth=2
	v_lshlrev_b16_e32 v4, 8, v4
	v_or_b32_e32 v4, 1, v4
	ds_write_b16 v23, v4 offset:3072
	s_branch .LBB2_196
.LBB2_201:                              ;   in Loop: Header=BB2_8 Depth=1
                                        ; implicit-def: $sgpr18_sgpr19
                                        ; implicit-def: $sgpr46_sgpr47
                                        ; implicit-def: $sgpr44_sgpr45
	s_branch .LBB2_214
.LBB2_202:                              ;   in Loop: Header=BB2_8 Depth=1
	s_mov_b64 s[18:19], -1
	s_mov_b64 s[48:49], 0
                                        ; implicit-def: $sgpr44_sgpr45
                                        ; implicit-def: $vgpr25
	s_mov_b64 s[46:47], s[18:19]
	s_cbranch_execnz .LBB2_205
	s_branch .LBB2_214
.LBB2_203:                              ;   in Loop: Header=BB2_8 Depth=1
	s_or_b64 exec, exec, s[46:47]
	v_lshrrev_b16_e32 v25, 8, v4
	s_and_b64 s[48:49], s[48:49], exec
.LBB2_204:                              ;   in Loop: Header=BB2_8 Depth=1
	s_or_b64 exec, exec, s[44:45]
	s_mov_b64 s[44:45], -1
	s_mov_b64 s[18:19], 0
	s_mov_b64 s[46:47], s[18:19]
	s_branch .LBB2_214
.LBB2_205:                              ;   in Loop: Header=BB2_8 Depth=1
	v_readlane_b32 s1, v42, 31
	s_add_i32 s1, s0, s1
	s_abs_i32 s18, s1
	s_mul_hi_u32 s19, s18, s89
	s_mul_i32 s19, s19, s70
	s_sub_i32 s18, s18, s19
	s_ashr_i32 s8, s1, 31
	s_sub_i32 s19, s18, s70
	s_cmp_ge_u32 s18, s70
	s_cselect_b32 s18, s19, s18
	s_sub_i32 s19, s18, s70
	s_cmp_ge_u32 s18, s70
	s_cselect_b32 s18, s19, s18
	s_xor_b32 s18, s18, s8
	s_sub_i32 s8, s8, s18
	s_add_i32 s1, s1, s8
	v_cmp_gt_i32_e32 vcc, s1, v0
	s_mov_b64 s[48:49], 0
                                        ; implicit-def: $vgpr25
	s_and_saveexec_b64 s[18:19], vcc
	s_cbranch_execz .LBB2_213
; %bb.206:                              ;   in Loop: Header=BB2_8 Depth=1
	s_mov_b64 s[44:45], 0
	v_mov_b32_e32 v2, v0
                                        ; implicit-def: $sgpr46_sgpr47
	s_branch .LBB2_208
.LBB2_207:                              ;   in Loop: Header=BB2_208 Depth=2
	s_or_b64 exec, exec, s[48:49]
	s_waitcnt lgkmcnt(0)
	s_barrier
	ds_read_u16 v3, v23 offset:3072
	v_add_u32_e32 v2, s70, v2
	v_cmp_le_i32_e32 vcc, s1, v2
	s_waitcnt lgkmcnt(0)
	s_barrier
	v_cmp_ne_u16_sdwa s[48:49], v3, v23 src0_sel:BYTE_0 src1_sel:DWORD
	s_or_b64 s[50:51], vcc, s[48:49]
	s_and_b64 s[50:51], exec, s[50:51]
	s_or_b64 s[44:45], s[50:51], s[44:45]
	s_andn2_b64 s[46:47], s[46:47], exec
	s_and_b64 s[48:49], s[48:49], exec
	s_or_b64 s[46:47], s[46:47], s[48:49]
	s_andn2_b64 exec, exec, s[44:45]
	s_cbranch_execz .LBB2_212
.LBB2_208:                              ;   Parent Loop BB2_8 Depth=1
                                        ; =>  This Inner Loop Header: Depth=2
	v_cmp_gt_i32_e32 vcc, s0, v2
	v_mov_b32_e32 v3, 0
	s_and_saveexec_b64 s[48:49], vcc
	s_cbranch_execz .LBB2_210
; %bb.209:                              ;   in Loop: Header=BB2_208 Depth=2
	ds_read_u8 v3, v2
.LBB2_210:                              ;   in Loop: Header=BB2_208 Depth=2
	s_or_b64 exec, exec, s[48:49]
	s_waitcnt lgkmcnt(0)
	v_and_b32_e32 v4, s17, v3
	v_cmp_eq_u32_sdwa s[48:49], v4, s93 src0_sel:BYTE_0 src1_sel:DWORD
	s_and_b64 s[50:51], vcc, s[48:49]
	s_and_saveexec_b64 s[48:49], s[50:51]
	s_cbranch_execz .LBB2_207
; %bb.211:                              ;   in Loop: Header=BB2_208 Depth=2
	v_lshlrev_b16_e32 v3, 8, v3
	v_or_b32_e32 v3, 1, v3
	ds_write_b16 v23, v3 offset:3072
	s_branch .LBB2_207
.LBB2_212:                              ;   in Loop: Header=BB2_8 Depth=1
	s_or_b64 exec, exec, s[44:45]
	v_lshrrev_b16_e32 v25, 8, v3
	s_and_b64 s[48:49], s[46:47], exec
.LBB2_213:                              ;   in Loop: Header=BB2_8 Depth=1
	s_or_b64 exec, exec, s[18:19]
	s_mov_b64 s[46:47], -1
	s_mov_b64 s[18:19], 0
	s_mov_b64 s[44:45], 0
.LBB2_214:                              ;   in Loop: Header=BB2_8 Depth=1
	s_mov_b64 s[52:53], 0
                                        ; implicit-def: $sgpr57
	s_and_saveexec_b64 s[50:51], s[48:49]
	s_cbranch_execz .LBB2_228
; %bb.215:                              ;   in Loop: Header=BB2_8 Depth=1
	s_xor_b64 s[0:1], s[42:43], -1
	s_andn2_b64 vcc, exec, s[0:1]
	s_mov_b32 s57, 1
	s_cbranch_vccnz .LBB2_222
; %bb.216:                              ;   in Loop: Header=BB2_8 Depth=1
	s_cmp_gt_i32 s56, s54
	s_cbranch_scc1 .LBB2_223
; %bb.217:                              ;   in Loop: Header=BB2_8 Depth=1
	ds_read_b32 v2, v23 offset:4096
	s_waitcnt lgkmcnt(0)
	v_cmp_ne_u32_e32 vcc, 0, v2
	s_cbranch_vccnz .LBB2_221
; %bb.218:                              ;   in Loop: Header=BB2_8 Depth=1
	s_mov_b64 s[42:43], exec
	v_readlane_b32 s0, v42, 18
	v_readlane_b32 s1, v42, 19
	s_and_b64 s[0:1], s[42:43], s[0:1]
	s_mov_b64 exec, s[0:1]
	s_cbranch_execz .LBB2_220
; %bb.219:                              ;   in Loop: Header=BB2_8 Depth=1
	v_mov_b32_e32 v2, s54
	ds_write_b32 v23, v2 offset:4100
.LBB2_220:                              ;   in Loop: Header=BB2_8 Depth=1
	s_or_b64 exec, exec, s[42:43]
	s_waitcnt lgkmcnt(0)
	s_barrier
.LBB2_221:                              ;   in Loop: Header=BB2_8 Depth=1
	s_or_b32 s0, s93, s55
	s_or_b32 s1, s17, s55
	s_mov_b64 s[42:43], 0
	s_mov_b32 s57, 8
	s_branch .LBB2_224
.LBB2_222:                              ;   in Loop: Header=BB2_8 Depth=1
	s_mov_b32 s56, 1
	s_branch .LBB2_227
.LBB2_223:                              ;   in Loop: Header=BB2_8 Depth=1
	s_mov_b64 s[42:43], -1
                                        ; implicit-def: $sgpr57
                                        ; implicit-def: $sgpr0
                                        ; implicit-def: $sgpr1
.LBB2_224:                              ;   in Loop: Header=BB2_8 Depth=1
	s_andn2_b64 vcc, exec, s[42:43]
	s_cbranch_vccnz .LBB2_226
; %bb.225:                              ;   in Loop: Header=BB2_8 Depth=1
	s_sub_i32 s56, s56, s54
	s_mov_b32 s57, 8
	s_mov_b32 s0, s93
	;; [unrolled: 1-line block ×3, first 2 shown]
.LBB2_226:                              ;   in Loop: Header=BB2_8 Depth=1
	s_mov_b32 s93, s0
	s_mov_b32 s17, s1
.LBB2_227:                              ;   in Loop: Header=BB2_8 Depth=1
	s_mov_b64 s[52:53], exec
.LBB2_228:                              ;   in Loop: Header=BB2_8 Depth=1
	s_or_b64 exec, exec, s[50:51]
.LBB2_229:                              ;   in Loop: Header=BB2_8 Depth=1
	s_andn2_b64 s[0:1], s[34:35], exec
	s_and_b64 s[18:19], s[18:19], exec
	s_or_b64 s[34:35], s[0:1], s[18:19]
	s_andn2_b64 s[0:1], s[38:39], exec
	s_and_b64 s[18:19], s[46:47], exec
	s_or_b64 s[38:39], s[0:1], s[18:19]
	;; [unrolled: 3-line block ×3, first 2 shown]
	s_and_b64 s[44:45], s[52:53], exec
	s_mov_b32 s49, s56
.LBB2_230:                              ;   in Loop: Header=BB2_8 Depth=1
	s_or_b64 exec, exec, s[40:41]
.LBB2_231:                              ;   in Loop: Header=BB2_8 Depth=1
	s_andn2_b64 s[0:1], s[26:27], exec
	s_and_b64 s[18:19], s[34:35], exec
	s_or_b64 s[26:27], s[0:1], s[18:19]
	s_andn2_b64 s[0:1], s[28:29], exec
	s_and_b64 s[18:19], s[38:39], exec
	s_or_b64 s[28:29], s[0:1], s[18:19]
	;; [unrolled: 3-line block ×3, first 2 shown]
	s_and_b64 s[36:37], s[44:45], exec
	s_mov_b32 s39, s49
.LBB2_232:                              ;   in Loop: Header=BB2_8 Depth=1
	s_or_b64 exec, exec, s[30:31]
	s_and_saveexec_b64 s[0:1], s[36:37]
	s_xor_b64 s[18:19], exec, s[0:1]
	s_cbranch_execz .LBB2_6
.LBB2_233:                              ;   in Loop: Header=BB2_8 Depth=1
	s_and_b32 s0, s57, -9
	s_cmp_eq_u32 s0, 0
	s_cbranch_scc1 .LBB2_4
; %bb.234:                              ;   in Loop: Header=BB2_8 Depth=1
	s_mov_b64 s[22:23], -1
                                        ; implicit-def: $sgpr17
                                        ; implicit-def: $sgpr39
                                        ; implicit-def: $sgpr91
                                        ; implicit-def: $sgpr16
	s_mov_b64 s[30:31], -1
	s_branch .LBB2_5
.LBB2_235:
	s_or_b64 exec, exec, s[60:61]
	s_xor_b64 s[8:9], s[66:67], -1
	s_xor_b64 s[0:1], s[62:63], -1
	;; [unrolled: 1-line block ×3, first 2 shown]
	s_mov_b64 s[4:5], 0
	s_and_saveexec_b64 s[2:3], s[0:1]
	s_xor_b64 s[2:3], exec, s[2:3]
	s_cbranch_execnz .LBB2_240
; %bb.236:
	s_andn2_saveexec_b64 s[0:1], s[2:3]
	s_cbranch_execnz .LBB2_260
.LBB2_237:
	s_or_b64 exec, exec, s[0:1]
	s_and_saveexec_b64 s[0:1], s[4:5]
.LBB2_238:
	; divergent unreachable
.LBB2_239:
	s_endpgm
.LBB2_240:
	s_and_saveexec_b64 s[0:1], s[8:9]
	s_xor_b64 s[4:5], exec, s[0:1]
	s_cbranch_execz .LBB2_258
; %bb.241:
	s_and_saveexec_b64 s[0:1], s[6:7]
	s_xor_b64 s[6:7], exec, s[0:1]
; %bb.242:
	v_mov_b32_e32 v25, v2
; %bb.243:
	s_or_b64 exec, exec, s[6:7]
	s_mov_b64 s[6:7], exec
	v_readlane_b32 s0, v42, 18
	v_readlane_b32 s1, v42, 19
	;; [unrolled: 1-line block ×4, first 2 shown]
	s_and_b64 s[0:1], s[6:7], s[0:1]
	v_readlane_b32 s19, v42, 23
	v_readlane_b32 s21, v42, 28
	v_readlane_b32 s22, v42, 20
	v_readlane_b32 s23, v42, 25
	v_readlane_b32 s24, v42, 30
	s_mov_b64 exec, s[0:1]
	s_cbranch_execz .LBB2_245
; %bb.244:
	v_mov_b32_e32 v1, 0
	v_mov_b32_e32 v2, s68
	ds_write_b32 v1, v2 offset:4108
.LBB2_245:
	s_or_b64 exec, exec, s[6:7]
	v_mov_b32_e32 v1, 0
	s_waitcnt lgkmcnt(0)
	s_barrier
	ds_read_b32 v1, v1 offset:4108
	s_waitcnt lgkmcnt(0)
	v_min_i32_e32 v2, s68, v1
	v_cmp_lt_i32_e32 vcc, v0, v2
	s_and_saveexec_b64 s[6:7], vcc
	s_cbranch_execz .LBB2_255
; %bb.246:
	s_mov_b64 s[8:9], 0
	v_mov_b32_e32 v3, s81
                                        ; implicit-def: $sgpr10_sgpr11
                                        ; implicit-def: $sgpr14_sgpr15
                                        ; implicit-def: $sgpr12_sgpr13
	s_branch .LBB2_248
.LBB2_247:                              ;   in Loop: Header=BB2_248 Depth=1
	s_or_b64 exec, exec, s[16:17]
	s_and_b64 s[0:1], exec, s[14:15]
	s_or_b64 s[8:9], s[0:1], s[8:9]
	s_andn2_b64 s[0:1], s[10:11], exec
	s_and_b64 s[10:11], s[12:13], exec
	s_or_b64 s[10:11], s[0:1], s[10:11]
	s_andn2_b64 exec, exec, s[8:9]
	s_cbranch_execz .LBB2_250
.LBB2_248:                              ; =>This Inner Loop Header: Depth=1
	v_ashrrev_i32_e32 v1, 31, v9
	v_add_co_u32_e32 v4, vcc, s80, v9
	v_addc_co_u32_e32 v5, vcc, v3, v1, vcc
	global_load_ubyte v4, v[4:5], off
	v_mov_b32_e32 v1, v0
	s_or_b64 s[12:13], s[12:13], exec
	s_or_b64 s[14:15], s[14:15], exec
                                        ; implicit-def: $vgpr0
	s_waitcnt vmcnt(0)
	v_cmp_ne_u16_sdwa s[0:1], v4, v25 src0_sel:DWORD src1_sel:BYTE_0
	s_and_saveexec_b64 s[16:17], s[0:1]
	s_cbranch_execz .LBB2_247
; %bb.249:                              ;   in Loop: Header=BB2_248 Depth=1
	v_add_u32_e32 v0, s70, v1
	v_cmp_ge_i32_e32 vcc, v0, v2
	s_andn2_b64 s[0:1], s[14:15], exec
	s_and_b64 s[14:15], vcc, exec
	v_add_u32_e32 v9, s92, v9
	s_andn2_b64 s[12:13], s[12:13], exec
	s_or_b64 s[14:15], s[0:1], s[14:15]
	s_branch .LBB2_247
.LBB2_250:
	s_or_b64 exec, exec, s[8:9]
	s_and_saveexec_b64 s[0:1], s[10:11]
	s_xor_b64 s[0:1], exec, s[0:1]
	s_cbranch_execz .LBB2_255
; %bb.251:
	s_mov_b64 s[8:9], exec
	s_brev_b32 s0, -2
.LBB2_252:                              ; =>This Inner Loop Header: Depth=1
	s_ff1_i32_b64 s1, s[8:9]
	v_readlane_b32 s12, v1, s1
	s_lshl_b64 s[10:11], 1, s1
	s_min_i32 s0, s0, s12
	s_andn2_b64 s[8:9], s[8:9], s[10:11]
	s_cmp_lg_u64 s[8:9], 0
	s_cbranch_scc1 .LBB2_252
; %bb.253:
	v_mbcnt_lo_u32_b32 v0, exec_lo, 0
	v_mbcnt_hi_u32_b32 v0, exec_hi, v0
	v_cmp_eq_u32_e32 vcc, 0, v0
	s_and_saveexec_b64 s[8:9], vcc
	s_xor_b64 s[8:9], exec, s[8:9]
	s_cbranch_execz .LBB2_255
; %bb.254:
	v_mov_b32_e32 v0, 0
	v_mov_b32_e32 v1, s0
	ds_min_i32 v0, v1 offset:4108
.LBB2_255:
	s_or_b64 exec, exec, s[6:7]
	s_waitcnt lgkmcnt(0)
	s_barrier
	s_mov_b64 s[6:7], exec
	v_readlane_b32 s0, v42, 18
	v_readlane_b32 s1, v42, 19
	s_and_b64 s[0:1], s[6:7], s[0:1]
	s_mov_b64 exec, s[0:1]
	s_cbranch_execz .LBB2_257
; %bb.256:
	v_readlane_b32 s8, v42, 0
	s_mul_i32 s0, s22, s19
	v_readlane_b32 s10, v42, 2
	s_sub_i32 s0, s24, s0
	v_readlane_b32 s9, v42, 1
	v_readlane_b32 s11, v42, 3
	s_mov_b32 s14, s10
	s_mov_b64 s[12:13], s[8:9]
	s_mul_i32 s0, s0, s14
	v_readlane_b32 s1, v42, 21
	v_readlane_b32 s8, v42, 24
	;; [unrolled: 1-line block ×4, first 2 shown]
	s_xor_b32 s1, s1, s8
	s_mul_i32 s8, s14, s11
	v_readlane_b32 s9, v42, 13
	s_sub_i32 s8, s9, s8
	s_add_i32 s9, s14, 1
	s_sub_i32 s10, s8, s11
	s_cmp_ge_u32 s8, s11
	s_cselect_b32 s9, s9, s14
	s_cselect_b32 s8, s10, s8
	s_add_i32 s10, s9, 1
	s_cmp_ge_u32 s8, s11
	s_cselect_b32 s8, s10, s9
	s_xor_b32 s8, s8, s1
	s_sub_i32 s1, s8, s1
	s_mul_i32 s8, s1, s18
	s_sub_i32 s8, s22, s8
	s_mul_i32 s8, s8, s13
	s_add_i32 s0, s8, s0
	s_mul_i32 s1, s1, s12
	v_readlane_b32 s8, v42, 4
	s_add_i32 s1, s0, s1
	s_mul_i32 s0, s23, s21
	v_readlane_b32 s10, v42, 6
	s_sub_i32 s0, s24, s0
	v_readlane_b32 s9, v42, 5
	s_mov_b32 s14, s10
	s_mov_b64 s[12:13], s[8:9]
	s_mul_i32 s0, s0, s14
	v_readlane_b32 s8, v42, 26
	v_readlane_b32 s9, v42, 29
	;; [unrolled: 1-line block ×4, first 2 shown]
	s_xor_b32 s8, s8, s9
	s_mul_i32 s9, s15, s14
	v_readlane_b32 s10, v42, 16
	v_readlane_b32 s11, v42, 7
	s_sub_i32 s9, s10, s9
	s_add_i32 s10, s15, 1
	s_sub_i32 s11, s9, s14
	s_cmp_ge_u32 s9, s14
	s_cselect_b32 s10, s10, s15
	s_cselect_b32 s9, s11, s9
	s_add_i32 s11, s10, 1
	s_cmp_ge_u32 s9, s14
	s_cselect_b32 s9, s11, s10
	s_xor_b32 s9, s9, s8
	s_sub_i32 s8, s9, s8
	s_mul_i32 s9, s8, s20
	s_sub_i32 s9, s23, s9
	s_mul_i32 s9, s9, s13
	s_add_i32 s0, s9, s0
	s_mul_i32 s8, s8, s12
	v_mov_b32_e32 v2, 0
	s_add_i32 s0, s0, s8
	s_ashr_i32 s9, s1, 31
	v_readlane_b32 s10, v42, 11
	ds_read_b32 v0, v2 offset:4108
	v_readlane_b32 s11, v42, 12
	s_add_u32 s8, s10, s1
	s_addc_u32 s9, s11, s9
	s_ashr_i32 s1, s0, 31
	s_lshl_b64 s[0:1], s[0:1], 3
	v_readlane_b32 s10, v42, 8
	v_readlane_b32 s11, v42, 9
	s_add_u32 s0, s10, s0
	s_addc_u32 s1, s11, s1
	s_waitcnt lgkmcnt(0)
	v_ashrrev_i32_e32 v1, 31, v0
	global_store_dwordx2 v2, v[0:1], s[0:1]
	global_store_byte v2, v25, s[8:9]
.LBB2_257:
	s_or_b64 exec, exec, s[6:7]
.LBB2_258:
	s_or_saveexec_b64 s[0:1], s[4:5]
	s_mov_b64 s[4:5], 0
	s_xor_b64 exec, exec, s[0:1]
	s_cbranch_execnz .LBB2_261
.LBB2_259:
	s_or_b64 exec, exec, s[0:1]
	s_and_b64 s[4:5], s[4:5], exec
	s_andn2_saveexec_b64 s[0:1], s[2:3]
	s_cbranch_execz .LBB2_237
.LBB2_260:
	s_or_b64 s[4:5], s[4:5], exec
	s_trap 2
	s_or_b64 exec, exec, s[0:1]
	s_and_saveexec_b64 s[0:1], s[4:5]
	s_cbranch_execnz .LBB2_238
	s_branch .LBB2_239
.LBB2_261:
	s_mov_b64 s[4:5], exec
	s_trap 2
	s_branch .LBB2_259
	.section	.rodata,"a",@progbits
	.p2align	6, 0x0
	.amdhsa_kernel _ZN2at6native12_GLOBAL__N_114gatherKthValueIhiLi3EEEvNS_4cuda6detail10TensorInfoIKT_T0_EES8_S8_S8_S8_NS5_IS6_S8_EENS5_IlS8_EE
		.amdhsa_group_segment_fixed_size 4112
		.amdhsa_private_segment_fixed_size 0
		.amdhsa_kernarg_size 920
		.amdhsa_user_sgpr_count 6
		.amdhsa_user_sgpr_private_segment_buffer 1
		.amdhsa_user_sgpr_dispatch_ptr 0
		.amdhsa_user_sgpr_queue_ptr 0
		.amdhsa_user_sgpr_kernarg_segment_ptr 1
		.amdhsa_user_sgpr_dispatch_id 0
		.amdhsa_user_sgpr_flat_scratch_init 0
		.amdhsa_user_sgpr_kernarg_preload_length 0
		.amdhsa_user_sgpr_kernarg_preload_offset 0
		.amdhsa_user_sgpr_private_segment_size 0
		.amdhsa_uses_dynamic_stack 0
		.amdhsa_system_sgpr_private_segment_wavefront_offset 0
		.amdhsa_system_sgpr_workgroup_id_x 1
		.amdhsa_system_sgpr_workgroup_id_y 1
		.amdhsa_system_sgpr_workgroup_id_z 1
		.amdhsa_system_sgpr_workgroup_info 0
		.amdhsa_system_vgpr_workitem_id 0
		.amdhsa_next_free_vgpr 43
		.amdhsa_next_free_sgpr 96
		.amdhsa_accum_offset 44
		.amdhsa_reserve_vcc 1
		.amdhsa_reserve_flat_scratch 0
		.amdhsa_float_round_mode_32 0
		.amdhsa_float_round_mode_16_64 0
		.amdhsa_float_denorm_mode_32 3
		.amdhsa_float_denorm_mode_16_64 3
		.amdhsa_dx10_clamp 1
		.amdhsa_ieee_mode 1
		.amdhsa_fp16_overflow 0
		.amdhsa_tg_split 0
		.amdhsa_exception_fp_ieee_invalid_op 0
		.amdhsa_exception_fp_denorm_src 0
		.amdhsa_exception_fp_ieee_div_zero 0
		.amdhsa_exception_fp_ieee_overflow 0
		.amdhsa_exception_fp_ieee_underflow 0
		.amdhsa_exception_fp_ieee_inexact 0
		.amdhsa_exception_int_div_zero 0
	.end_amdhsa_kernel
	.section	.text._ZN2at6native12_GLOBAL__N_114gatherKthValueIhiLi3EEEvNS_4cuda6detail10TensorInfoIKT_T0_EES8_S8_S8_S8_NS5_IS6_S8_EENS5_IlS8_EE,"axG",@progbits,_ZN2at6native12_GLOBAL__N_114gatherKthValueIhiLi3EEEvNS_4cuda6detail10TensorInfoIKT_T0_EES8_S8_S8_S8_NS5_IS6_S8_EENS5_IlS8_EE,comdat
.Lfunc_end2:
	.size	_ZN2at6native12_GLOBAL__N_114gatherKthValueIhiLi3EEEvNS_4cuda6detail10TensorInfoIKT_T0_EES8_S8_S8_S8_NS5_IS6_S8_EENS5_IlS8_EE, .Lfunc_end2-_ZN2at6native12_GLOBAL__N_114gatherKthValueIhiLi3EEEvNS_4cuda6detail10TensorInfoIKT_T0_EES8_S8_S8_S8_NS5_IS6_S8_EENS5_IlS8_EE
                                        ; -- End function
	.section	.AMDGPU.csdata,"",@progbits
; Kernel info:
; codeLenInByte = 10536
; NumSgprs: 100
; NumVgprs: 43
; NumAgprs: 0
; TotalNumVgprs: 43
; ScratchSize: 0
; MemoryBound: 0
; FloatMode: 240
; IeeeMode: 1
; LDSByteSize: 4112 bytes/workgroup (compile time only)
; SGPRBlocks: 12
; VGPRBlocks: 5
; NumSGPRsForWavesPerEU: 100
; NumVGPRsForWavesPerEU: 43
; AccumOffset: 44
; Occupancy: 8
; WaveLimiterHint : 1
; COMPUTE_PGM_RSRC2:SCRATCH_EN: 0
; COMPUTE_PGM_RSRC2:USER_SGPR: 6
; COMPUTE_PGM_RSRC2:TRAP_HANDLER: 0
; COMPUTE_PGM_RSRC2:TGID_X_EN: 1
; COMPUTE_PGM_RSRC2:TGID_Y_EN: 1
; COMPUTE_PGM_RSRC2:TGID_Z_EN: 1
; COMPUTE_PGM_RSRC2:TIDIG_COMP_CNT: 0
; COMPUTE_PGM_RSRC3_GFX90A:ACCUM_OFFSET: 10
; COMPUTE_PGM_RSRC3_GFX90A:TG_SPLIT: 0
	.section	.text._ZN2at6native12_GLOBAL__N_114gatherKthValueIhiLin1EEEvNS_4cuda6detail10TensorInfoIKT_T0_EES8_S8_S8_S8_NS5_IS6_S8_EENS5_IlS8_EE,"axG",@progbits,_ZN2at6native12_GLOBAL__N_114gatherKthValueIhiLin1EEEvNS_4cuda6detail10TensorInfoIKT_T0_EES8_S8_S8_S8_NS5_IS6_S8_EENS5_IlS8_EE,comdat
	.globl	_ZN2at6native12_GLOBAL__N_114gatherKthValueIhiLin1EEEvNS_4cuda6detail10TensorInfoIKT_T0_EES8_S8_S8_S8_NS5_IS6_S8_EENS5_IlS8_EE ; -- Begin function _ZN2at6native12_GLOBAL__N_114gatherKthValueIhiLin1EEEvNS_4cuda6detail10TensorInfoIKT_T0_EES8_S8_S8_S8_NS5_IS6_S8_EENS5_IlS8_EE
	.p2align	8
	.type	_ZN2at6native12_GLOBAL__N_114gatherKthValueIhiLin1EEEvNS_4cuda6detail10TensorInfoIKT_T0_EES8_S8_S8_S8_NS5_IS6_S8_EENS5_IlS8_EE,@function
_ZN2at6native12_GLOBAL__N_114gatherKthValueIhiLin1EEEvNS_4cuda6detail10TensorInfoIKT_T0_EES8_S8_S8_S8_NS5_IS6_S8_EENS5_IlS8_EE: ; @_ZN2at6native12_GLOBAL__N_114gatherKthValueIhiLin1EEEvNS_4cuda6detail10TensorInfoIKT_T0_EES8_S8_S8_S8_NS5_IS6_S8_EENS5_IlS8_EE
; %bb.0:
	s_load_dwordx2 s[12:13], s[4:5], 0x298
	s_load_dwordx4 s[60:63], s[4:5], 0xd8
	s_add_u32 s10, s4, 0x298
	s_addc_u32 s11, s5, 0
	s_waitcnt lgkmcnt(0)
	s_mul_i32 s0, s13, s8
	s_add_i32 s0, s0, s7
	s_mul_i32 s0, s0, s12
	s_add_i32 s33, s0, s6
	s_cmp_ge_i32 s33, s62
	s_cbranch_scc1 .LBB3_248
; %bb.1:
	s_load_dword s0, s[4:5], 0xd0
	s_mov_b32 s3, 0
	s_mov_b32 s2, s33
	s_waitcnt lgkmcnt(0)
	s_cmp_lt_i32 s0, 2
	s_cbranch_scc1 .LBB3_4
; %bb.2:
	s_add_i32 s2, s0, -1
	s_add_i32 s7, s0, 1
	s_lshl_b64 s[0:1], s[2:3], 2
	s_add_u32 s0, s0, s4
	s_addc_u32 s1, s1, s5
	s_add_u32 s0, s0, 8
	s_addc_u32 s1, s1, 0
	s_mov_b32 s2, s33
.LBB3_3:                                ; =>This Inner Loop Header: Depth=1
	s_load_dword s8, s[0:1], 0x0
	s_load_dword s13, s[0:1], 0x64
	s_mov_b32 s9, s2
	s_abs_i32 s2, s2
	s_waitcnt lgkmcnt(0)
	s_abs_i32 s15, s8
	v_cvt_f32_u32_e32 v1, s15
	s_sub_i32 s16, 0, s15
	s_xor_b32 s14, s9, s8
	s_ashr_i32 s14, s14, 31
	v_rcp_iflag_f32_e32 v1, v1
	v_mul_f32_e32 v1, 0x4f7ffffe, v1
	v_cvt_u32_f32_e32 v1, v1
	v_readfirstlane_b32 s17, v1
	s_mul_i32 s16, s16, s17
	s_mul_hi_u32 s16, s17, s16
	s_add_i32 s17, s17, s16
	s_mul_hi_u32 s16, s2, s17
	s_mul_i32 s17, s16, s15
	s_sub_i32 s2, s2, s17
	s_add_i32 s18, s16, 1
	s_sub_i32 s17, s2, s15
	s_cmp_ge_u32 s2, s15
	s_cselect_b32 s16, s18, s16
	s_cselect_b32 s2, s17, s2
	s_add_i32 s17, s16, 1
	s_cmp_ge_u32 s2, s15
	s_cselect_b32 s2, s17, s16
	s_xor_b32 s2, s2, s14
	s_sub_i32 s2, s2, s14
	s_mul_i32 s8, s2, s8
	s_sub_i32 s8, s9, s8
	s_mul_i32 s8, s13, s8
	s_add_i32 s7, s7, -1
	s_add_i32 s3, s8, s3
	s_add_u32 s0, s0, -4
	s_addc_u32 s1, s1, -1
	s_cmp_gt_u32 s7, 2
	s_cbranch_scc1 .LBB3_3
.LBB3_4:
	s_load_dword s8, s[4:5], 0x1b8
	s_add_u32 s0, s4, 0xe8
	s_addc_u32 s1, s5, 0
	s_mov_b32 s65, 0
	s_mov_b32 s62, s33
	s_waitcnt lgkmcnt(0)
	s_cmp_lt_i32 s8, 2
	s_cbranch_scc1 .LBB3_7
; %bb.5:
	s_add_i32 s64, s8, -1
	s_add_i32 s7, s8, 1
	s_lshl_b64 s[8:9], s[64:65], 2
	s_add_u32 s8, s8, s0
	s_addc_u32 s9, s9, s1
	s_add_u32 s8, s8, 8
	s_addc_u32 s9, s9, 0
	s_mov_b32 s62, s33
.LBB3_6:                                ; =>This Inner Loop Header: Depth=1
	s_load_dword s13, s[8:9], 0x0
	s_load_dword s15, s[8:9], 0x64
	s_abs_i32 s16, s62
	s_mov_b32 s14, s62
	s_waitcnt lgkmcnt(0)
	s_abs_i32 s18, s13
	v_cvt_f32_u32_e32 v1, s18
	s_sub_i32 s19, 0, s18
	s_xor_b32 s17, s62, s13
	s_ashr_i32 s17, s17, 31
	v_rcp_iflag_f32_e32 v1, v1
	v_mul_f32_e32 v1, 0x4f7ffffe, v1
	v_cvt_u32_f32_e32 v1, v1
	v_readfirstlane_b32 s20, v1
	s_mul_i32 s19, s19, s20
	s_mul_hi_u32 s19, s20, s19
	s_add_i32 s20, s20, s19
	s_mul_hi_u32 s19, s16, s20
	s_mul_i32 s20, s19, s18
	s_sub_i32 s16, s16, s20
	s_add_i32 s21, s19, 1
	s_sub_i32 s20, s16, s18
	s_cmp_ge_u32 s16, s18
	s_cselect_b32 s19, s21, s19
	s_cselect_b32 s16, s20, s16
	s_add_i32 s20, s19, 1
	s_cmp_ge_u32 s16, s18
	s_cselect_b32 s16, s20, s19
	s_xor_b32 s16, s16, s17
	s_sub_i32 s62, s16, s17
	s_mul_i32 s13, s62, s13
	s_sub_i32 s13, s14, s13
	s_mul_i32 s13, s15, s13
	s_add_i32 s7, s7, -1
	s_add_i32 s65, s13, s65
	s_add_u32 s8, s8, -4
	s_addc_u32 s9, s9, -1
	s_cmp_gt_u32 s7, 2
	s_cbranch_scc1 .LBB3_6
.LBB3_7:
	s_load_dword s7, s[4:5], 0x6c
	s_load_dword s14, s[4:5], 0x290
	s_add_u32 s8, s4, 0x1c0
	s_addc_u32 s9, s5, 0
	s_mov_b32 s67, 0
	s_waitcnt lgkmcnt(0)
	s_cmp_lt_i32 s14, 2
	s_cbranch_scc1 .LBB3_10
; %bb.8:
	s_add_i32 s66, s14, -1
	s_add_i32 s13, s14, 1
	s_lshl_b64 s[14:15], s[66:67], 2
	s_add_u32 s8, s14, s8
	s_addc_u32 s9, s15, s9
	s_add_u32 s8, s8, 8
	s_addc_u32 s9, s9, 0
.LBB3_9:                                ; =>This Inner Loop Header: Depth=1
	s_load_dword s14, s[8:9], 0x0
	s_load_dword s16, s[8:9], 0x64
	s_abs_i32 s17, s33
	s_mov_b32 s15, s33
	s_waitcnt lgkmcnt(0)
	s_abs_i32 s19, s14
	v_cvt_f32_u32_e32 v1, s19
	s_sub_i32 s20, 0, s19
	s_xor_b32 s18, s33, s14
	s_ashr_i32 s18, s18, 31
	v_rcp_iflag_f32_e32 v1, v1
	v_mul_f32_e32 v1, 0x4f7ffffe, v1
	v_cvt_u32_f32_e32 v1, v1
	v_readfirstlane_b32 s21, v1
	s_mul_i32 s20, s20, s21
	s_mul_hi_u32 s20, s21, s20
	s_add_i32 s21, s21, s20
	s_mul_hi_u32 s20, s17, s21
	s_mul_i32 s21, s20, s19
	s_sub_i32 s17, s17, s21
	s_add_i32 s22, s20, 1
	s_sub_i32 s21, s17, s19
	s_cmp_ge_u32 s17, s19
	s_cselect_b32 s20, s22, s20
	s_cselect_b32 s17, s21, s17
	s_add_i32 s21, s20, 1
	s_cmp_ge_u32 s17, s19
	s_cselect_b32 s17, s21, s20
	s_xor_b32 s17, s17, s18
	s_sub_i32 s33, s17, s18
	s_mul_i32 s14, s33, s14
	s_sub_i32 s14, s15, s14
	s_mul_i32 s14, s16, s14
	s_add_i32 s13, s13, -1
	s_add_i32 s67, s14, s67
	s_add_u32 s8, s8, -4
	s_addc_u32 s9, s9, -1
	s_cmp_gt_u32 s13, 2
	s_cbranch_scc1 .LBB3_9
.LBB3_10:
	s_load_dword s0, s[0:1], 0x6c
                                        ; implicit-def: $vgpr42 : SGPR spill to VGPR lane
	s_mov_b32 s74, 0
	s_waitcnt lgkmcnt(0)
	v_writelane_b32 v42, s0, 0
	s_load_dwordx2 s[8:9], s[4:5], 0x0
	s_load_dwordx2 s[0:1], s[4:5], 0xe8
	s_waitcnt lgkmcnt(0)
	v_writelane_b32 v42, s0, 1
	v_writelane_b32 v42, s1, 2
	s_load_dwordx2 s[0:1], s[4:5], 0x1c0
	s_waitcnt lgkmcnt(0)
	v_writelane_b32 v42, s0, 3
	v_writelane_b32 v42, s1, 4
	v_cmp_eq_u32_e64 s[0:1], 0, v0
	s_mov_b64 s[14:15], exec
	v_writelane_b32 v42, s0, 5
	v_writelane_b32 v42, s1, 6
	s_and_b64 s[0:1], s[14:15], s[0:1]
	s_mov_b64 exec, s[0:1]
	s_cbranch_execz .LBB3_12
; %bb.11:
	v_mov_b32_e32 v2, 0
	v_mov_b32_e32 v3, s60
	;; [unrolled: 1-line block ×3, first 2 shown]
	ds_write_b96 v2, v[2:4] offset:4096
.LBB3_12:
	s_or_b64 exec, exec, s[14:15]
	s_load_dword s0, s[4:5], 0x22c
	s_waitcnt lgkmcnt(0)
	s_barrier
	s_load_dword s1, s[10:11], 0xc
	v_writelane_b32 v42, s0, 7
	s_mul_i32 s0, s7, s2
	s_add_i32 s0, s0, s3
	s_ashr_i32 s2, s0, 31
	s_add_u32 s72, s8, s0
	v_mbcnt_lo_u32_b32 v1, -1, 0
	s_addc_u32 s73, s9, s2
	s_waitcnt lgkmcnt(0)
	s_and_b32 s64, s1, 0xffff
	v_mbcnt_hi_u32_b32 v12, -1, v1
	v_cmp_gt_u32_e32 vcc, 64, v0
	v_cmp_gt_i32_e64 s[2:3], 4, v12
	s_add_i32 s0, s64, -1
	s_lshl_b32 s66, s64, 2
	s_bfe_u32 s7, s1, 0xa0006
	s_and_b64 s[76:77], vcc, s[2:3]
	s_add_i32 s17, s0, s60
	s_cmpk_gt_i32 s60, 0xc00
	v_writelane_b32 v42, s0, 8
	s_cselect_b64 s[0:1], -1, 0
	v_writelane_b32 v42, s0, 9
	s_cmp_gt_u32 s64, 63
	v_writelane_b32 v42, s1, 10
	s_cselect_b64 s[0:1], -1, 0
	v_writelane_b32 v42, s0, 11
	s_cmp_lt_u32 s6, s12
	v_writelane_b32 v42, s1, 12
	s_cselect_b32 s0, 12, 18
	s_add_u32 s0, s10, s0
	s_addc_u32 s1, s11, 0
	v_writelane_b32 v42, s0, 13
	v_writelane_b32 v42, s1, 14
	s_add_i32 s0, s7, -2
	s_lshr_b32 s1, s0, 1
	s_add_i32 s1, s1, 1
	s_cmpk_gt_u32 s64, 0x7f
	s_cselect_b64 s[2:3], -1, 0
	v_writelane_b32 v42, s2, 15
	v_writelane_b32 v42, s3, 16
	v_cmp_gt_u32_e64 s[8:9], s60, v0
	v_writelane_b32 v42, s8, 17
	v_writelane_b32 v42, s9, 18
	v_cmp_gt_i32_e64 s[8:9], s60, v0
	v_lshlrev_b64 v[2:3], v12, -1
	v_writelane_b32 v42, s8, 19
	v_not_b32_e32 v8, v2
	v_cvt_f32_u32_e32 v2, s66
	v_writelane_b32 v42, s9, 20
	s_and_b32 s6, s7, 0x3fe
	s_and_b32 s8, s1, 7
	s_cmp_gt_u32 s0, 13
	s_cselect_b64 s[10:11], -1, 0
	v_writelane_b32 v42, s10, 21
	v_rcp_iflag_f32_e32 v2, v2
	v_writelane_b32 v42, s11, 22
	s_and_b32 s0, s1, -8
	v_writelane_b32 v42, s0, 23
	s_cmp_lg_u32 s8, 0
	v_writelane_b32 v42, s8, 24
	s_cselect_b64 s[0:1], -1, 0
	v_writelane_b32 v42, s0, 25
	v_mul_f32_e32 v2, 0x4f7ffffe, v2
	v_writelane_b32 v42, s1, 26
	v_cvt_u32_f32_e32 v2, v2
	v_writelane_b32 v42, s7, 27
	s_cmp_lg_u32 s6, s7
	v_writelane_b32 v42, s6, 28
	s_cselect_b64 s[0:1], -1, 0
	v_writelane_b32 v42, s0, 29
	v_writelane_b32 v42, s1, 30
	s_sub_i32 s0, 0, s66
	v_readfirstlane_b32 s1, v2
	s_mul_i32 s0, s0, s1
	s_mul_hi_u32 s0, s1, s0
	s_add_i32 s8, s1, s0
	s_mul_hi_u32 s0, s60, s8
	s_mul_i32 s0, s0, s66
	v_cvt_f32_u32_e32 v2, s64
	s_sub_i32 s0, s60, s0
	s_sub_i32 s1, s0, s66
	s_cmp_ge_u32 s0, s66
	s_cselect_b32 s0, s1, s0
	v_rcp_iflag_f32_e32 v2, v2
	s_sub_i32 s1, s0, s66
	s_cmp_ge_u32 s0, s66
	s_cselect_b32 s0, s1, s0
	v_lshlrev_b32_e32 v13, 2, v0
	s_sub_i32 s9, s60, s0
	v_mul_f32_e32 v2, 0x4f7ffffe, v2
	v_cmp_gt_i32_e64 s[6:7], s9, v13
	v_cvt_u32_f32_e32 v2, v2
	v_writelane_b32 v42, s6, 31
	v_add_u32_e32 v16, s9, v0
	v_writelane_b32 v42, s7, 32
	v_cmp_gt_u32_e64 s[6:7], s60, v16
	v_writelane_b32 v42, s6, 33
	v_writelane_b32 v42, s7, 34
	s_sub_i32 s7, 0, s64
	v_readfirstlane_b32 s10, v2
	s_mul_i32 s7, s7, s10
	s_mul_hi_u32 s7, s10, s7
	s_abs_i32 s6, s17
	s_add_i32 s7, s10, s7
	v_writelane_b32 v42, s7, 35
	s_mul_hi_u32 s7, s6, s7
	s_mul_i32 s7, s7, s64
	s_sub_i32 s6, s6, s7
	s_ashr_i32 s1, s17, 31
	s_sub_i32 s7, s6, s64
	s_cmp_ge_u32 s6, s64
	s_cselect_b32 s6, s7, s6
	s_sub_i32 s7, s6, s64
	s_cmp_ge_u32 s6, s64
	s_cselect_b32 s6, s7, s6
	v_mul_lo_u32 v9, v0, s63
	s_xor_b32 s6, s6, s1
	v_mul_lo_u32 v2, s63, v13
	v_mov_b32_e32 v1, s73
	v_add_co_u32_e32 v6, vcc, s72, v9
	s_sub_i32 s1, s1, s6
	v_add_u32_e32 v17, s63, v2
	v_or_b32_e32 v2, 2, v13
	v_addc_co_u32_e32 v7, vcc, 0, v1, vcc
	v_lshrrev_b32_e32 v1, 4, v0
	s_add_i32 s17, s17, s1
	v_mul_lo_u32 v18, s63, v2
	v_or_b32_e32 v2, 3, v13
	s_add_i32 s1, s64, s60
	v_and_b32_e32 v14, 60, v1
	v_not_b32_e32 v1, v3
	v_mul_lo_u32 v3, v16, s63
	v_mul_lo_u32 v19, s63, v2
	v_add_u32_e32 v2, s1, v0
	v_lshlrev_b32_e32 v4, 2, v12
	v_ashrrev_i32_e32 v5, 31, v3
	v_mov_b32_e32 v11, s73
	v_add_co_u32_e32 v10, vcc, s72, v3
	v_cmp_gt_i32_e64 s[6:7], s17, v0
	s_mul_i32 s82, s63, s64
	v_subrev_u32_e32 v2, s0, v2
	v_cmp_eq_u32_e64 s[2:3], 0, v12
	v_cmp_gt_u32_e64 s[4:5], 2, v0
	v_and_b32_e32 v15, 0x100, v4
	v_addc_co_u32_e32 v11, vcc, v11, v5, vcc
	v_cmp_gt_i32_e64 s[14:15], s60, v16
	v_writelane_b32 v42, s6, 36
	s_lshl_b32 s83, s82, 2
	v_lshlrev_b32_e32 v20, 2, v9
	v_mul_lo_u32 v21, s63, v2
	v_or_b32_e32 v22, 0xc00, v4
	s_mov_b32 s16, 6
	s_mov_b64 s[92:93], 0
	v_mov_b32_e32 v23, 0
	v_mov_b32_e32 v24, 0xc00
	;; [unrolled: 1-line block ×3, first 2 shown]
	s_mov_b32 s0, 0
	s_mov_b32 s78, 0
	;; [unrolled: 1-line block ×3, first 2 shown]
	v_writelane_b32 v42, s7, 37
                                        ; implicit-def: $sgpr94_sgpr95
                                        ; implicit-def: $sgpr70_sgpr71
                                        ; implicit-def: $sgpr68_sgpr69
                                        ; implicit-def: $sgpr86_sgpr87
                                        ; implicit-def: $sgpr88_sgpr89
                                        ; implicit-def: $sgpr90_sgpr91
	s_branch .LBB3_17
.LBB3_13:                               ;   in Loop: Header=BB3_17 Depth=1
	s_xor_b32 s0, s0, 1
	s_add_i32 s10, s16, -2
	s_cmp_eq_u32 s16, 0
	s_mov_b64 s[18:19], 0
	s_cselect_b64 s[22:23], -1, 0
	s_mov_b32 s16, s10
.LBB3_14:                               ;   in Loop: Header=BB3_17 Depth=1
	s_andn2_b64 s[10:11], s[26:27], exec
	s_and_b64 s[12:13], s[18:19], exec
	s_or_b64 s[26:27], s[10:11], s[12:13]
	s_andn2_b64 s[28:29], s[28:29], exec
	s_andn2_b64 s[24:25], s[24:25], exec
	s_orn2_b64 s[22:23], s[22:23], exec
	s_mov_b32 s61, s37
.LBB3_15:                               ;   in Loop: Header=BB3_17 Depth=1
	s_or_b64 exec, exec, s[6:7]
	s_andn2_b64 s[6:7], s[90:91], exec
	s_and_b64 s[10:11], s[26:27], exec
	s_or_b64 s[90:91], s[6:7], s[10:11]
	s_andn2_b64 s[6:7], s[88:89], exec
	s_and_b64 s[10:11], s[28:29], exec
	s_or_b64 s[88:89], s[6:7], s[10:11]
	;; [unrolled: 3-line block ×3, first 2 shown]
	s_orn2_b64 s[22:23], s[22:23], exec
.LBB3_16:                               ;   in Loop: Header=BB3_17 Depth=1
	s_or_b64 exec, exec, s[20:21]
	s_and_b64 s[6:7], exec, s[22:23]
	s_or_b64 s[92:93], s[6:7], s[92:93]
	s_andn2_b64 s[6:7], s[68:69], exec
	s_and_b64 s[10:11], s[90:91], exec
	s_or_b64 s[68:69], s[6:7], s[10:11]
	s_andn2_b64 s[6:7], s[70:71], exec
	s_and_b64 s[10:11], s[88:89], exec
	s_or_b64 s[70:71], s[6:7], s[10:11]
	s_andn2_b64 s[6:7], s[94:95], exec
	s_and_b64 s[10:11], s[86:87], exec
	v_mov_b32_e32 v2, s78
	s_or_b64 s[94:95], s[6:7], s[10:11]
	s_andn2_b64 exec, exec, s[92:93]
	s_cbranch_execz .LBB3_244
.LBB3_17:                               ; =>This Loop Header: Depth=1
                                        ;     Child Loop BB3_22 Depth 2
                                        ;     Child Loop BB3_41 Depth 2
	;; [unrolled: 1-line block ×17, first 2 shown]
	ds_read_b64 v[2:3], v23 offset:4096
	s_waitcnt lgkmcnt(0)
	v_readfirstlane_b32 s75, v2
	s_cmp_gt_i32 s75, 0
	s_cbranch_scc1 .LBB3_48
; %bb.18:                               ;   in Loop: Header=BB3_17 Depth=1
	v_readlane_b32 s6, v42, 9
	v_readlane_b32 s7, v42, 10
	s_and_b64 vcc, exec, s[6:7]
	s_cbranch_vccz .LBB3_30
; %bb.19:                               ;   in Loop: Header=BB3_17 Depth=1
	s_movk_i32 s10, 0xc01
	v_cmp_gt_i32_e32 vcc, s10, v3
	s_mov_b64 s[6:7], 0
	s_mov_b64 s[18:19], 0
	s_cbranch_vccz .LBB3_35
; %bb.20:                               ;   in Loop: Header=BB3_17 Depth=1
	v_readlane_b32 s10, v42, 13
	v_readlane_b32 s11, v42, 14
	s_nop 4
	global_load_ushort v2, v23, s[10:11]
	global_load_ubyte v5, v[6:7], off
	v_mov_b32_e32 v26, v0
	s_waitcnt vmcnt(1)
	v_add_u32_e32 v4, v0, v2
	v_mul_lo_u32 v3, s63, v2
	v_mul_lo_u32 v4, s63, v4
	s_branch .LBB3_22
.LBB3_21:                               ;   in Loop: Header=BB3_22 Depth=2
	s_or_b64 exec, exec, s[22:23]
	v_cmp_le_i32_e32 vcc, s60, v26
	v_add_u32_e32 v4, v4, v3
	s_or_b64 s[18:19], vcc, s[18:19]
	v_mov_b32_e32 v5, v27
	s_andn2_b64 exec, exec, s[18:19]
	s_cbranch_execz .LBB3_31
.LBB3_22:                               ;   Parent Loop BB3_17 Depth=1
                                        ; =>  This Inner Loop Header: Depth=2
	v_add_u32_e32 v26, v26, v2
	v_cmp_gt_u32_e32 vcc, s60, v26
	s_waitcnt lgkmcnt(0)
	v_mov_b32_e32 v28, 0
	v_mov_b32_e32 v27, 0
	s_and_saveexec_b64 s[20:21], vcc
	s_cbranch_execz .LBB3_24
; %bb.23:                               ;   in Loop: Header=BB3_22 Depth=2
	global_load_ubyte v27, v4, s[72:73]
.LBB3_24:                               ;   in Loop: Header=BB3_22 Depth=2
	s_or_b64 exec, exec, s[20:21]
	s_waitcnt vmcnt(0)
	v_and_b32_e32 v29, s1, v5
	v_cmp_eq_u32_sdwa s[20:21], v29, s78 src0_sel:BYTE_0 src1_sel:DWORD
	s_cmp_lg_u64 s[20:21], 0
	s_cselect_b64 s[10:11], -1, 0
	s_and_b64 s[10:11], s[2:3], s[10:11]
	s_and_saveexec_b64 s[22:23], s[10:11]
	s_cbranch_execz .LBB3_28
; %bb.25:                               ;   in Loop: Header=BB3_22 Depth=2
	s_mov_b64 s[26:27], exec
	v_mbcnt_lo_u32_b32 v28, s26, 0
	v_mbcnt_hi_u32_b32 v28, s27, v28
	s_bcnt1_i32_b64 s10, s[20:21]
	v_cmp_eq_u32_e32 vcc, 0, v28
                                        ; implicit-def: $vgpr29
	s_and_saveexec_b64 s[24:25], vcc
	s_cbranch_execz .LBB3_27
; %bb.26:                               ;   in Loop: Header=BB3_22 Depth=2
	s_bcnt1_i32_b64 s11, s[26:27]
	s_mul_i32 s11, s10, s11
	v_mov_b32_e32 v29, s11
	ds_add_rtn_u32 v29, v23, v29 offset:4104
.LBB3_27:                               ;   in Loop: Header=BB3_22 Depth=2
	s_or_b64 exec, exec, s[24:25]
	s_waitcnt lgkmcnt(0)
	v_readfirstlane_b32 s11, v29
	v_mov_b32_e32 v29, s11
	v_mad_u32_u24 v28, s10, v28, v29
.LBB3_28:                               ;   in Loop: Header=BB3_22 Depth=2
	s_or_b64 exec, exec, s[22:23]
	ds_bpermute_b32 v28, v15, v28
	s_and_saveexec_b64 s[22:23], s[20:21]
	s_cbranch_execz .LBB3_21
; %bb.29:                               ;   in Loop: Header=BB3_22 Depth=2
	v_and_b32_e32 v30, s20, v8
	v_and_b32_e32 v29, s21, v1
	v_bcnt_u32_b32 v30, v30, 0
	v_bcnt_u32_b32 v29, v29, v30
	s_waitcnt lgkmcnt(0)
	v_add_u32_e32 v28, v28, v29
	ds_write_b8 v28, v5
	s_branch .LBB3_21
.LBB3_30:                               ;   in Loop: Header=BB3_17 Depth=1
	s_mov_b64 s[6:7], -1
	s_mov_b64 s[18:19], 0
	s_branch .LBB3_34
.LBB3_31:                               ;   in Loop: Header=BB3_17 Depth=1
	s_or_b64 exec, exec, s[18:19]
	s_waitcnt lgkmcnt(0)
	s_barrier
	s_mov_b64 s[18:19], exec
	v_readlane_b32 s10, v42, 5
	v_readlane_b32 s11, v42, 6
	s_and_b64 s[10:11], s[18:19], s[10:11]
	s_mov_b64 exec, s[10:11]
	s_cbranch_execz .LBB3_33
; %bb.32:                               ;   in Loop: Header=BB3_17 Depth=1
	ds_read_b32 v2, v23 offset:4104
	s_waitcnt lgkmcnt(0)
	ds_write_b32 v23, v2 offset:4096
.LBB3_33:                               ;   in Loop: Header=BB3_17 Depth=1
	s_or_b64 exec, exec, s[18:19]
	s_waitcnt lgkmcnt(0)
	s_barrier
	s_mov_b64 s[18:19], -1
.LBB3_34:                               ;   in Loop: Header=BB3_17 Depth=1
                                        ; implicit-def: $sgpr75
.LBB3_35:                               ;   in Loop: Header=BB3_17 Depth=1
	s_and_b64 vcc, exec, s[6:7]
	s_cbranch_vccz .LBB3_46
; %bb.36:                               ;   in Loop: Header=BB3_17 Depth=1
	v_mov_b32_e32 v2, 0
	s_mov_b64 s[6:7], exec
	v_readlane_b32 s10, v42, 17
	v_readlane_b32 s11, v42, 18
	s_and_b64 s[10:11], s[6:7], s[10:11]
	s_mov_b64 exec, s[10:11]
	s_cbranch_execz .LBB3_38
; %bb.37:                               ;   in Loop: Header=BB3_17 Depth=1
	global_load_ubyte v2, v[6:7], off
.LBB3_38:                               ;   in Loop: Header=BB3_17 Depth=1
	s_or_b64 exec, exec, s[6:7]
	s_mov_b64 s[6:7], exec
	v_readlane_b32 s10, v42, 19
	v_readlane_b32 s11, v42, 20
	s_and_b64 s[10:11], s[6:7], s[10:11]
	s_mov_b64 exec, s[10:11]
	s_cbranch_execz .LBB3_43
; %bb.39:                               ;   in Loop: Header=BB3_17 Depth=1
	v_readlane_b32 s10, v42, 13
	v_readlane_b32 s11, v42, 14
	s_mov_b64 s[18:19], 0
	v_mov_b32_e32 v26, v0
	s_nop 2
	global_load_ushort v3, v23, s[10:11]
	s_waitcnt vmcnt(0)
	v_add_u32_e32 v5, v0, v3
	v_mul_lo_u32 v4, s63, v3
	v_mul_lo_u32 v5, s63, v5
	s_branch .LBB3_41
.LBB3_40:                               ;   in Loop: Header=BB3_41 Depth=2
	s_or_b64 exec, exec, s[20:21]
	v_cmp_le_i32_e32 vcc, s60, v27
	ds_write_b8 v26, v2
	v_add_u32_e32 v5, v5, v4
	s_or_b64 s[18:19], vcc, s[18:19]
	s_waitcnt vmcnt(0)
	v_mov_b32_e32 v2, v28
	v_mov_b32_e32 v26, v27
	s_andn2_b64 exec, exec, s[18:19]
	s_cbranch_execz .LBB3_43
.LBB3_41:                               ;   Parent Loop BB3_17 Depth=1
                                        ; =>  This Inner Loop Header: Depth=2
	v_add_u32_e32 v27, v26, v3
	v_cmp_gt_u32_e32 vcc, s60, v27
	v_mov_b32_e32 v28, 0
	s_and_saveexec_b64 s[20:21], vcc
	s_cbranch_execz .LBB3_40
; %bb.42:                               ;   in Loop: Header=BB3_41 Depth=2
	global_load_ubyte v28, v5, s[72:73]
	s_branch .LBB3_40
.LBB3_43:                               ;   in Loop: Header=BB3_17 Depth=1
	s_or_b64 exec, exec, s[6:7]
	s_waitcnt lgkmcnt(0)
	s_barrier
	s_mov_b64 s[6:7], exec
	v_readlane_b32 s10, v42, 5
	v_readlane_b32 s11, v42, 6
	s_and_b64 s[10:11], s[6:7], s[10:11]
	s_mov_b64 exec, s[10:11]
	s_cbranch_execz .LBB3_45
; %bb.44:                               ;   in Loop: Header=BB3_17 Depth=1
	s_waitcnt vmcnt(0)
	v_mov_b32_e32 v2, s60
	ds_write_b32 v23, v2 offset:4096
.LBB3_45:                               ;   in Loop: Header=BB3_17 Depth=1
	s_or_b64 exec, exec, s[6:7]
	s_mov_b64 s[18:19], -1
	s_waitcnt lgkmcnt(0)
	s_barrier
                                        ; implicit-def: $sgpr75
.LBB3_46:                               ;   in Loop: Header=BB3_17 Depth=1
	s_and_b64 vcc, exec, s[18:19]
	s_cbranch_vccz .LBB3_48
; %bb.47:                               ;   in Loop: Header=BB3_17 Depth=1
	s_waitcnt vmcnt(0)
	ds_read_b32 v2, v23 offset:4096
	s_waitcnt lgkmcnt(0)
	v_readfirstlane_b32 s75, v2
.LBB3_48:                               ;   in Loop: Header=BB3_17 Depth=1
	s_cmp_lt_i32 s75, 1
	s_cbranch_scc0 .LBB3_60
; %bb.49:                               ;   in Loop: Header=BB3_17 Depth=1
	s_waitcnt vmcnt(0)
	v_mov_b32_e32 v2, 0
	s_mov_b32 s79, 0
	v_mov_b32_e32 v3, 0
	v_mov_b32_e32 v4, v2
	;; [unrolled: 1-line block ×3, first 2 shown]
	s_mov_b64 s[84:85], exec
	v_readlane_b32 s6, v42, 31
	v_readlane_b32 s7, v42, 32
	s_and_b64 s[6:7], s[84:85], s[6:7]
	s_mov_b64 exec, s[6:7]
	s_cbranch_execz .LBB3_53
; %bb.50:                               ;   in Loop: Header=BB3_17 Depth=1
	s_and_b32 s80, s16, 0xfe
	s_mov_b64 s[6:7], 0
	s_mov_b32 s81, 0
	s_mov_b32 s10, 0
	;; [unrolled: 1-line block ×4, first 2 shown]
	v_mov_b32_e32 v26, v13
.LBB3_51:                               ;   Parent Loop BB3_17 Depth=1
                                        ; =>  This Inner Loop Header: Depth=2
	v_add_u32_e32 v3, s79, v20
	v_add_u32_e32 v2, s79, v17
	v_mov_b32_e32 v27, s73
	v_add_u32_e32 v4, s79, v18
	v_add_u32_e32 v5, s79, v19
	v_ashrrev_i32_e32 v29, 31, v3
	v_ashrrev_i32_e32 v32, 31, v2
	v_add_co_u32_e64 v2, s[18:19], s72, v2
	v_add_co_u32_e64 v30, s[24:25], s72, v3
	v_ashrrev_i32_e32 v33, 31, v4
	v_add_co_u32_e64 v4, s[20:21], s72, v4
	v_ashrrev_i32_e32 v34, 31, v5
	v_add_co_u32_e64 v28, s[22:23], s72, v5
	v_addc_co_u32_e64 v31, s[24:25], v27, v29, s[24:25]
	v_addc_co_u32_e64 v3, s[18:19], v27, v32, s[18:19]
	;; [unrolled: 1-line block ×4, first 2 shown]
	global_load_ubyte v27, v[30:31], off
	s_nop 0
	global_load_ubyte v2, v[2:3], off
	s_nop 0
	;; [unrolled: 2-line block ×3, first 2 shown]
	global_load_ubyte v4, v[28:29], off
	v_add_u32_e32 v26, s66, v26
	s_add_i32 s79, s79, s83
	v_cmp_le_i32_e32 vcc, s9, v26
	s_waitcnt vmcnt(3)
	v_and_b32_e32 v5, s1, v27
	v_bfe_u32 v27, v27, s80, 2
	s_waitcnt vmcnt(2)
	v_and_b32_e32 v28, s1, v2
	v_bfe_u32 v2, v2, s80, 2
	v_cmp_eq_u32_e64 s[18:19], s78, v5
	v_cmp_eq_u32_e64 s[26:27], 0, v27
	s_waitcnt vmcnt(1)
	v_and_b32_e32 v29, s1, v3
	v_bfe_u32 v3, v3, s80, 2
	v_cmp_eq_u32_e64 s[20:21], s78, v28
	v_cmp_eq_u32_e64 s[28:29], 0, v2
	s_and_b64 s[26:27], s[18:19], s[26:27]
	s_waitcnt vmcnt(0)
	v_and_b32_e32 v30, s1, v4
	v_bfe_u32 v4, v4, s80, 2
	v_cmp_eq_u32_e64 s[22:23], s78, v29
	v_cmp_eq_u32_e64 s[30:31], 0, v3
	;; [unrolled: 1-line block ×5, first 2 shown]
	v_cndmask_b32_e64 v2, 0, 1, s[26:27]
	s_and_b64 s[26:27], s[20:21], s[28:29]
	v_cmp_eq_u32_e64 s[24:25], s78, v30
	v_cmp_eq_u32_e64 s[34:35], 0, v4
	;; [unrolled: 1-line block ×5, first 2 shown]
	v_cndmask_b32_e64 v3, 0, 1, s[26:27]
	s_and_b64 s[26:27], s[22:23], s[30:31]
	v_cmp_eq_u32_e64 s[36:37], 1, v27
	v_cmp_eq_u32_e64 s[42:43], 1, v4
	;; [unrolled: 1-line block ×4, first 2 shown]
	v_cndmask_b32_e64 v4, 0, 1, s[26:27]
	s_and_b64 s[26:27], s[24:25], s[34:35]
	v_cndmask_b32_e64 v5, 0, 1, s[26:27]
	s_and_b64 s[26:27], s[18:19], s[36:37]
	v_cmp_eq_u32_e64 s[44:45], 2, v27
	v_cmp_eq_u32_e64 s[52:53], 3, v27
	v_cndmask_b32_e64 v27, 0, 1, s[26:27]
	s_and_b64 s[26:27], s[20:21], s[38:39]
	v_cndmask_b32_e64 v28, 0, 1, s[26:27]
	s_and_b64 s[26:27], s[22:23], s[40:41]
	;; [unrolled: 2-line block ×4, first 2 shown]
	s_and_b64 s[18:19], s[18:19], s[52:53]
	v_cndmask_b32_e64 v31, 0, 1, s[26:27]
	s_and_b64 s[26:27], s[20:21], s[46:47]
	v_cndmask_b32_e64 v35, 0, 1, s[18:19]
	;; [unrolled: 2-line block ×7, first 2 shown]
	v_cndmask_b32_e64 v38, 0, 1, s[18:19]
	v_cmp_ne_u32_e64 s[18:19], 0, v2
	v_cmp_ne_u32_e64 s[20:21], 0, v3
	;; [unrolled: 1-line block ×11, first 2 shown]
	s_bcnt1_i32_b64 s13, s[18:19]
	s_bcnt1_i32_b64 s18, s[20:21]
	s_bcnt1_i32_b64 s19, s[22:23]
	s_bcnt1_i32_b64 s20, s[24:25]
	s_bcnt1_i32_b64 s21, s[26:27]
	s_bcnt1_i32_b64 s22, s[28:29]
	s_bcnt1_i32_b64 s25, s[36:37]
	s_bcnt1_i32_b64 s29, s[44:45]
	v_cmp_ne_u32_e64 s[40:41], 0, v33
	v_cmp_ne_u32_e64 s[48:49], 0, v37
	s_bcnt1_i32_b64 s23, s[30:31]
	s_bcnt1_i32_b64 s26, s[38:39]
	;; [unrolled: 1-line block ×3, first 2 shown]
	s_add_i32 s12, s12, s13
	s_add_i32 s11, s11, s21
	;; [unrolled: 1-line block ×4, first 2 shown]
	v_cmp_ne_u32_e64 s[34:35], 0, v30
	v_cmp_ne_u32_e64 s[42:43], 0, v34
	;; [unrolled: 1-line block ×3, first 2 shown]
	s_bcnt1_i32_b64 s27, s[40:41]
	s_bcnt1_i32_b64 s31, s[48:49]
	s_add_i32 s12, s12, s18
	s_add_i32 s11, s11, s22
	;; [unrolled: 1-line block ×4, first 2 shown]
	s_bcnt1_i32_b64 s24, s[34:35]
	s_bcnt1_i32_b64 s28, s[42:43]
	;; [unrolled: 1-line block ×3, first 2 shown]
	s_add_i32 s12, s12, s19
	s_add_i32 s11, s11, s23
	;; [unrolled: 1-line block ×8, first 2 shown]
	s_or_b64 s[6:7], vcc, s[6:7]
	v_mov_b32_e32 v2, s12
	v_mov_b32_e32 v3, s11
	;; [unrolled: 1-line block ×4, first 2 shown]
	s_andn2_b64 exec, exec, s[6:7]
	s_cbranch_execnz .LBB3_51
; %bb.52:                               ;   in Loop: Header=BB3_17 Depth=1
	s_or_b64 exec, exec, s[6:7]
.LBB3_53:                               ;   in Loop: Header=BB3_17 Depth=1
	s_or_b64 exec, exec, s[84:85]
	v_mov_b32_e32 v28, 0
	s_mov_b64 s[6:7], exec
	v_readlane_b32 s10, v42, 33
	v_readlane_b32 s11, v42, 34
	s_and_b64 s[10:11], s[6:7], s[10:11]
	s_mov_b64 exec, s[10:11]
	s_cbranch_execz .LBB3_55
; %bb.54:                               ;   in Loop: Header=BB3_17 Depth=1
	global_load_ubyte v28, v[10:11], off
.LBB3_55:                               ;   in Loop: Header=BB3_17 Depth=1
	s_or_b64 exec, exec, s[6:7]
	s_and_saveexec_b64 s[6:7], s[14:15]
	s_cbranch_execz .LBB3_62
; %bb.56:                               ;   in Loop: Header=BB3_17 Depth=1
	s_and_b32 s10, s16, 0xfe
	s_mov_b64 s[20:21], 0
	v_mov_b32_e32 v26, v21
	v_mov_b32_e32 v27, v16
	s_branch .LBB3_58
.LBB3_57:                               ;   in Loop: Header=BB3_58 Depth=2
	s_or_b64 exec, exec, s[18:19]
	s_waitcnt vmcnt(0)
	v_and_b32_e32 v28, 0xff, v28
	v_and_b32_e32 v30, s1, v28
	v_bfe_u32 v28, v28, s10, 2
	v_cmp_eq_u32_e32 vcc, s78, v30
	v_cmp_eq_u32_e64 s[18:19], 0, v28
	s_and_b64 s[12:13], vcc, s[18:19]
	v_cndmask_b32_e64 v30, 0, 1, s[12:13]
	v_cmp_ne_u32_e64 s[18:19], 0, v30
	s_bcnt1_i32_b64 s11, s[18:19]
	v_cmp_eq_u32_e64 s[18:19], 1, v28
	s_and_b64 s[12:13], vcc, s[18:19]
	v_cndmask_b32_e64 v30, 0, 1, s[12:13]
	v_cmp_ne_u32_e64 s[18:19], 0, v30
	v_add_u32_e32 v2, s11, v2
	s_bcnt1_i32_b64 s11, s[18:19]
	v_cmp_eq_u32_e64 s[18:19], 2, v28
	s_and_b64 s[12:13], vcc, s[18:19]
	v_cndmask_b32_e64 v30, 0, 1, s[12:13]
	v_cmp_ne_u32_e64 s[18:19], 0, v30
	v_add_u32_e32 v3, s11, v3
	s_bcnt1_i32_b64 s11, s[18:19]
	v_cmp_eq_u32_e64 s[18:19], 3, v28
	s_and_b64 s[12:13], vcc, s[18:19]
	v_cndmask_b32_e64 v28, 0, 1, s[12:13]
	v_cmp_ne_u32_e32 vcc, 0, v28
	v_add_u32_e32 v4, s11, v4
	s_bcnt1_i32_b64 s11, vcc
	v_cmp_le_i32_e32 vcc, s60, v27
	v_add_u32_e32 v5, s11, v5
	v_add_u32_e32 v26, s82, v26
	s_or_b64 s[20:21], vcc, s[20:21]
	v_mov_b32_e32 v28, v29
	s_andn2_b64 exec, exec, s[20:21]
	s_cbranch_execz .LBB3_61
.LBB3_58:                               ;   Parent Loop BB3_17 Depth=1
                                        ; =>  This Inner Loop Header: Depth=2
	v_add_u32_e32 v27, s64, v27
	v_cmp_gt_u32_e32 vcc, s60, v27
	v_mov_b32_e32 v29, 0
	s_and_saveexec_b64 s[18:19], vcc
	s_cbranch_execz .LBB3_57
; %bb.59:                               ;   in Loop: Header=BB3_58 Depth=2
	v_ashrrev_i32_e32 v29, 31, v26
	v_mov_b32_e32 v31, s73
	v_add_co_u32_e32 v30, vcc, s72, v26
	v_addc_co_u32_e32 v31, vcc, v31, v29, vcc
	global_load_ubyte v29, v[30:31], off
	s_branch .LBB3_57
.LBB3_60:                               ;   in Loop: Header=BB3_17 Depth=1
                                        ; implicit-def: $vgpr5
	s_cbranch_execnz .LBB3_63
	s_branch .LBB3_72
.LBB3_61:                               ;   in Loop: Header=BB3_17 Depth=1
	s_or_b64 exec, exec, s[20:21]
.LBB3_62:                               ;   in Loop: Header=BB3_17 Depth=1
	s_or_b64 exec, exec, s[6:7]
	s_branch .LBB3_72
.LBB3_63:                               ;   in Loop: Header=BB3_17 Depth=1
	s_mul_hi_u32 s6, s75, s8
	s_mul_i32 s6, s6, s66
	s_sub_i32 s6, s75, s6
	s_sub_i32 s7, s6, s66
	s_cmp_ge_u32 s6, s66
	s_cselect_b32 s6, s7, s6
	s_sub_i32 s7, s6, s66
	s_cmp_ge_u32 s6, s66
	s_cselect_b32 s6, s7, s6
	s_sub_i32 s79, s75, s6
	v_cmp_gt_u32_e32 vcc, s79, v13
	s_mov_b32 s11, 0
	s_waitcnt vmcnt(0)
	v_mov_b32_e32 v2, 0
	v_mov_b32_e32 v3, 0
	;; [unrolled: 1-line block ×4, first 2 shown]
	s_and_saveexec_b64 s[6:7], vcc
	s_cbranch_execz .LBB3_67
; %bb.64:                               ;   in Loop: Header=BB3_17 Depth=1
	s_and_b32 s10, s16, 0xfe
	s_mov_b64 s[84:85], 0
	s_mov_b32 s12, 0
	s_mov_b32 s13, 0
	s_mov_b32 s80, 0
	v_mov_b32_e32 v26, v13
.LBB3_65:                               ;   Parent Loop BB3_17 Depth=1
                                        ; =>  This Inner Loop Header: Depth=2
	ds_read_b32 v2, v26
	v_add_u32_e32 v26, s66, v26
	v_cmp_le_i32_e32 vcc, s79, v26
	s_waitcnt lgkmcnt(0)
	v_and_b32_e32 v4, 0xff, v2
	v_bfe_u32 v5, v2, 8, 8
	v_and_b32_e32 v27, s1, v4
	v_bfe_u32 v4, v4, s10, 2
	v_lshrrev_b32_e32 v3, 24, v2
	v_bfe_u32 v2, v2, 16, 8
	v_and_b32_e32 v28, s1, v5
	v_bfe_u32 v5, v5, s10, 2
	v_cmp_eq_u32_e64 s[18:19], s78, v27
	v_cmp_eq_u32_e64 s[26:27], 0, v4
	v_and_b32_e32 v29, s1, v2
	v_bfe_u32 v2, v2, s10, 2
	v_cmp_eq_u32_e64 s[20:21], s78, v28
	v_cmp_eq_u32_e64 s[28:29], 0, v5
	s_and_b64 s[26:27], s[18:19], s[26:27]
	v_and_b32_e32 v30, s1, v3
	v_bfe_u32 v3, v3, s10, 2
	v_cmp_eq_u32_e64 s[22:23], s78, v29
	v_cmp_eq_u32_e64 s[30:31], 0, v2
	;; [unrolled: 1-line block ×5, first 2 shown]
	v_cndmask_b32_e64 v2, 0, 1, s[26:27]
	s_and_b64 s[26:27], s[20:21], s[28:29]
	v_cmp_eq_u32_e64 s[24:25], s78, v30
	v_cmp_eq_u32_e64 s[34:35], 0, v3
	v_cmp_eq_u32_e64 s[42:43], 1, v3
	v_cmp_eq_u32_e64 s[50:51], 2, v3
	v_cmp_eq_u32_e64 s[58:59], 3, v3
	v_cndmask_b32_e64 v3, 0, 1, s[26:27]
	s_and_b64 s[26:27], s[22:23], s[30:31]
	v_cmp_eq_u32_e64 s[36:37], 1, v4
	v_cmp_eq_u32_e64 s[44:45], 2, v4
	v_cmp_eq_u32_e64 s[52:53], 3, v4
	v_cndmask_b32_e64 v4, 0, 1, s[26:27]
	s_and_b64 s[26:27], s[24:25], s[34:35]
	v_cmp_eq_u32_e64 s[38:39], 1, v5
	v_cmp_eq_u32_e64 s[46:47], 2, v5
	;; [unrolled: 1-line block ×3, first 2 shown]
	v_cndmask_b32_e64 v5, 0, 1, s[26:27]
	s_and_b64 s[26:27], s[18:19], s[36:37]
	v_cndmask_b32_e64 v27, 0, 1, s[26:27]
	s_and_b64 s[26:27], s[20:21], s[38:39]
	v_cndmask_b32_e64 v28, 0, 1, s[26:27]
	s_and_b64 s[26:27], s[22:23], s[40:41]
	v_cndmask_b32_e64 v29, 0, 1, s[26:27]
	s_and_b64 s[26:27], s[24:25], s[42:43]
	v_cndmask_b32_e64 v30, 0, 1, s[26:27]
	s_and_b64 s[26:27], s[18:19], s[44:45]
	s_and_b64 s[18:19], s[18:19], s[52:53]
	v_cndmask_b32_e64 v31, 0, 1, s[26:27]
	s_and_b64 s[26:27], s[20:21], s[46:47]
	v_cndmask_b32_e64 v35, 0, 1, s[18:19]
	;; [unrolled: 2-line block ×7, first 2 shown]
	v_cndmask_b32_e64 v38, 0, 1, s[18:19]
	v_cmp_ne_u32_e64 s[18:19], 0, v2
	v_cmp_ne_u32_e64 s[20:21], 0, v3
	;; [unrolled: 1-line block ×11, first 2 shown]
	s_bcnt1_i32_b64 s18, s[18:19]
	s_bcnt1_i32_b64 s19, s[20:21]
	;; [unrolled: 1-line block ×8, first 2 shown]
	v_cmp_ne_u32_e64 s[34:35], 0, v30
	v_cmp_ne_u32_e64 s[40:41], 0, v33
	;; [unrolled: 1-line block ×3, first 2 shown]
	s_bcnt1_i32_b64 s23, s[28:29]
	s_bcnt1_i32_b64 s27, s[38:39]
	;; [unrolled: 1-line block ×3, first 2 shown]
	s_add_i32 s18, s80, s18
	s_add_i32 s13, s13, s22
	;; [unrolled: 1-line block ×4, first 2 shown]
	v_cmp_ne_u32_e64 s[42:43], 0, v34
	v_cmp_ne_u32_e64 s[50:51], 0, v38
	s_bcnt1_i32_b64 s25, s[34:35]
	s_bcnt1_i32_b64 s28, s[40:41]
	;; [unrolled: 1-line block ×3, first 2 shown]
	s_add_i32 s18, s18, s19
	s_add_i32 s13, s13, s23
	;; [unrolled: 1-line block ×4, first 2 shown]
	s_bcnt1_i32_b64 s29, s[42:43]
	s_bcnt1_i32_b64 s35, s[50:51]
	s_add_i32 s18, s18, s20
	s_add_i32 s13, s13, s24
	;; [unrolled: 1-line block ×8, first 2 shown]
	s_or_b64 s[84:85], vcc, s[84:85]
	v_mov_b32_e32 v2, s80
	v_mov_b32_e32 v3, s13
	;; [unrolled: 1-line block ×4, first 2 shown]
	s_andn2_b64 exec, exec, s[84:85]
	s_cbranch_execnz .LBB3_65
; %bb.66:                               ;   in Loop: Header=BB3_17 Depth=1
	s_or_b64 exec, exec, s[84:85]
.LBB3_67:                               ;   in Loop: Header=BB3_17 Depth=1
	s_or_b64 exec, exec, s[6:7]
	v_add_u32_e32 v26, s79, v0
	v_cmp_gt_i32_e32 vcc, s75, v26
	s_and_saveexec_b64 s[6:7], vcc
	s_cbranch_execz .LBB3_71
; %bb.68:                               ;   in Loop: Header=BB3_17 Depth=1
	s_and_b32 s10, s16, 0xfe
	s_mov_b64 s[28:29], 0
.LBB3_69:                               ;   Parent Loop BB3_17 Depth=1
                                        ; =>  This Inner Loop Header: Depth=2
	ds_read_u8 v27, v26
	v_add_u32_e32 v26, s64, v26
	v_cmp_le_i32_e32 vcc, s75, v26
	s_waitcnt lgkmcnt(0)
	v_and_b32_e32 v28, s1, v27
	v_bfe_u32 v27, v27, s10, 2
	v_cmp_eq_u32_e64 s[18:19], s78, v28
	v_cmp_eq_u32_e64 s[20:21], 0, v27
	v_cmp_eq_u32_e64 s[22:23], 1, v27
	s_and_b64 s[12:13], s[18:19], s[20:21]
	v_cmp_eq_u32_e64 s[24:25], 2, v27
	v_cmp_eq_u32_e64 s[26:27], 3, v27
	v_cndmask_b32_e64 v27, 0, 1, s[12:13]
	s_and_b64 s[12:13], s[18:19], s[22:23]
	v_cndmask_b32_e64 v28, 0, 1, s[12:13]
	s_and_b64 s[12:13], s[18:19], s[24:25]
	;; [unrolled: 2-line block ×3, first 2 shown]
	v_cndmask_b32_e64 v30, 0, 1, s[12:13]
	v_cmp_ne_u32_e64 s[18:19], 0, v27
	v_cmp_ne_u32_e64 s[20:21], 0, v28
	;; [unrolled: 1-line block ×4, first 2 shown]
	s_bcnt1_i32_b64 s11, s[18:19]
	s_bcnt1_i32_b64 s12, s[20:21]
	;; [unrolled: 1-line block ×4, first 2 shown]
	v_add_u32_e32 v2, s11, v2
	v_add_u32_e32 v3, s12, v3
	;; [unrolled: 1-line block ×3, first 2 shown]
	s_or_b64 s[28:29], vcc, s[28:29]
	v_add_u32_e32 v5, s18, v5
	s_andn2_b64 exec, exec, s[28:29]
	s_cbranch_execnz .LBB3_69
; %bb.70:                               ;   in Loop: Header=BB3_17 Depth=1
	s_or_b64 exec, exec, s[28:29]
.LBB3_71:                               ;   in Loop: Header=BB3_17 Depth=1
	s_or_b64 exec, exec, s[6:7]
.LBB3_72:                               ;   in Loop: Header=BB3_17 Depth=1
	s_lshl_b32 s10, s0, 6
	s_and_saveexec_b64 s[6:7], s[2:3]
	s_cbranch_execz .LBB3_74
; %bb.73:                               ;   in Loop: Header=BB3_17 Depth=1
	v_or_b32_e32 v26, s10, v14
	v_lshlrev_b32_e32 v26, 2, v26
	s_waitcnt vmcnt(0)
	ds_write_b128 v26, v[2:5] offset:3072
.LBB3_74:                               ;   in Loop: Header=BB3_17 Depth=1
	s_or_b64 exec, exec, s[6:7]
	s_waitcnt lgkmcnt(0)
	s_barrier
	s_and_saveexec_b64 s[6:7], s[76:77]
	s_cbranch_execz .LBB3_88
; %bb.75:                               ;   in Loop: Header=BB3_17 Depth=1
	v_readlane_b32 s12, v42, 11
	v_readlane_b32 s13, v42, 12
	v_add_u32_e32 v4, s10, v12
	s_andn2_b64 vcc, exec, s[12:13]
	s_waitcnt vmcnt(0)
	v_mov_b32_e32 v2, 0
	s_cbranch_vccnz .LBB3_87
; %bb.76:                               ;   in Loop: Header=BB3_17 Depth=1
	v_readlane_b32 s12, v42, 15
	v_readlane_b32 s13, v42, 16
	s_mov_b32 s11, 0
	s_and_b64 vcc, exec, s[12:13]
	v_mov_b32_e32 v2, 0
	s_cbranch_vccz .LBB3_80
; %bb.77:                               ;   in Loop: Header=BB3_17 Depth=1
	v_readlane_b32 s12, v42, 21
	v_readlane_b32 s13, v42, 22
	v_lshl_add_u32 v5, v4, 2, v24
	s_andn2_b64 vcc, exec, s[12:13]
	s_cbranch_vccnz .LBB3_81
; %bb.78:                               ;   in Loop: Header=BB3_17 Depth=1
	s_mov_b32 s19, 1
	s_mov_b32 s18, 0
	v_mov_b32_e32 v2, 0
	v_readlane_b32 s11, v42, 23
	v_mov_b32_e32 v3, 0
.LBB3_79:                               ;   Parent Loop BB3_17 Depth=1
                                        ; =>  This Inner Loop Header: Depth=2
	v_lshl_add_u32 v38, s18, 4, v5
	v_lshl_add_u32 v40, s19, 4, v5
	ds_read2_b32 v[26:27], v38 offset1:8
	ds_read2_b32 v[28:29], v40 offset1:8
	ds_read2_b32 v[30:31], v38 offset0:16 offset1:24
	ds_read2_b32 v[32:33], v40 offset0:16 offset1:24
	;; [unrolled: 1-line block ×6, first 2 shown]
	s_waitcnt lgkmcnt(7)
	v_add3_u32 v2, v26, v2, v27
	s_waitcnt lgkmcnt(6)
	v_add3_u32 v3, v28, v3, v29
	;; [unrolled: 2-line block ×3, first 2 shown]
	v_add3_u32 v2, v30, v2, v31
	s_add_i32 s19, s19, 16
	s_add_i32 s18, s18, 16
	s_add_i32 s11, s11, -8
	s_waitcnt lgkmcnt(3)
	v_add3_u32 v2, v34, v2, v35
	s_waitcnt lgkmcnt(2)
	v_add3_u32 v3, v36, v3, v37
	s_cmp_lg_u32 s11, 0
	s_waitcnt lgkmcnt(0)
	v_add3_u32 v3, v40, v3, v41
	v_add3_u32 v2, v38, v2, v39
	s_cbranch_scc1 .LBB3_79
	s_branch .LBB3_82
.LBB3_80:                               ;   in Loop: Header=BB3_17 Depth=1
	s_cbranch_execnz .LBB3_85
	s_branch .LBB3_87
.LBB3_81:                               ;   in Loop: Header=BB3_17 Depth=1
	s_mov_b32 s75, s74
	v_pk_mov_b32 v[2:3], s[74:75], s[74:75] op_sel:[0,1]
	s_mov_b32 s75, 1
	s_mov_b64 s[18:19], s[74:75]
.LBB3_82:                               ;   in Loop: Header=BB3_17 Depth=1
	v_readlane_b32 s12, v42, 25
	v_readlane_b32 s13, v42, 26
	s_andn2_b64 vcc, exec, s[12:13]
	v_readlane_b32 s11, v42, 24
	s_cbranch_vccnz .LBB3_84
.LBB3_83:                               ;   Parent Loop BB3_17 Depth=1
                                        ; =>  This Inner Loop Header: Depth=2
	v_lshl_add_u32 v26, s18, 4, v5
	v_lshl_add_u32 v27, s19, 4, v5
	ds_read_b32 v27, v27
	ds_read_b32 v26, v26
	s_add_i32 s19, s19, 2
	s_add_i32 s18, s18, 2
	s_add_i32 s11, s11, -1
	s_cmp_lg_u32 s11, 0
	s_waitcnt lgkmcnt(1)
	v_add_u32_e32 v3, v27, v3
	s_waitcnt lgkmcnt(0)
	v_add_u32_e32 v2, v26, v2
	s_cbranch_scc1 .LBB3_83
.LBB3_84:                               ;   in Loop: Header=BB3_17 Depth=1
	v_readlane_b32 s18, v42, 29
	v_add_u32_e32 v2, v2, v3
	v_readlane_b32 s11, v42, 28
	v_readlane_b32 s19, v42, 30
	s_and_b64 vcc, exec, s[18:19]
	s_cbranch_vccz .LBB3_87
.LBB3_85:                               ;   in Loop: Header=BB3_17 Depth=1
	s_lshl_b32 s12, s0, 8
	s_lshl_b32 s13, s11, 4
	s_add_i32 s12, s12, s13
	v_add_u32_e32 v3, s12, v22
	v_readlane_b32 s12, v42, 27
	s_sub_i32 s11, s12, s11
.LBB3_86:                               ;   Parent Loop BB3_17 Depth=1
                                        ; =>  This Inner Loop Header: Depth=2
	ds_read_b32 v5, v3
	s_add_i32 s11, s11, -1
	v_add_u32_e32 v3, 16, v3
	s_cmp_eq_u32 s11, 0
	s_waitcnt lgkmcnt(0)
	v_add_u32_e32 v2, v5, v2
	s_cbranch_scc0 .LBB3_86
.LBB3_87:                               ;   in Loop: Header=BB3_17 Depth=1
	v_lshlrev_b32_e32 v3, 2, v4
	ds_write_b32 v3, v2 offset:3072
.LBB3_88:                               ;   in Loop: Header=BB3_17 Depth=1
	s_or_b64 exec, exec, s[6:7]
	s_lshl_b32 s6, s10, 2
	s_waitcnt vmcnt(0)
	v_mov_b32_e32 v2, s6
	s_waitcnt lgkmcnt(0)
	s_barrier
	ds_read_b128 v[2:5], v2 offset:3072
	s_and_b32 s45, s16, 0xfe
	s_lshl_b32 s53, 3, s45
	s_not_b32 s46, s53
	s_mov_b64 s[22:23], -1
	s_waitcnt lgkmcnt(0)
	v_readfirstlane_b32 s30, v2
	s_cmp_eq_u32 s30, 1
	s_cselect_b64 s[6:7], -1, 0
	s_cmp_eq_u32 s61, 1
	s_cselect_b64 s[10:11], -1, 0
	s_and_b64 s[24:25], s[6:7], s[10:11]
	v_readfirstlane_b32 s36, v3
	v_readfirstlane_b32 s44, v4
	;; [unrolled: 1-line block ×3, first 2 shown]
	s_and_b64 vcc, exec, s[24:25]
	s_cbranch_vccz .LBB3_99
; %bb.89:                               ;   in Loop: Header=BB3_17 Depth=1
	ds_read_b32 v2, v23 offset:4096
	s_waitcnt lgkmcnt(0)
	s_barrier
	v_readfirstlane_b32 s10, v2
	s_and_saveexec_b64 s[6:7], s[4:5]
	s_cbranch_execz .LBB3_91
; %bb.90:                               ;   in Loop: Header=BB3_17 Depth=1
	ds_write_b8 v0, v23 offset:3072
.LBB3_91:                               ;   in Loop: Header=BB3_17 Depth=1
	s_or_b64 exec, exec, s[6:7]
	s_and_b32 s78, s78, s46
	s_or_b32 s1, s1, s53
	s_cmp_lt_i32 s10, 1
	s_waitcnt lgkmcnt(0)
	s_barrier
	s_cbranch_scc0 .LBB3_100
; %bb.92:                               ;   in Loop: Header=BB3_17 Depth=1
	s_mov_b64 s[6:7], 0
                                        ; implicit-def: $vgpr25
	s_mov_b64 s[20:21], exec
	v_readlane_b32 s12, v42, 36
	v_readlane_b32 s13, v42, 37
	s_and_b64 s[12:13], s[20:21], s[12:13]
	s_mov_b64 exec, s[12:13]
	s_cbranch_execz .LBB3_102
; %bb.93:                               ;   in Loop: Header=BB3_17 Depth=1
	v_mov_b32_e32 v2, v9
	v_mov_b32_e32 v3, v0
                                        ; implicit-def: $sgpr26_sgpr27
	s_branch .LBB3_95
.LBB3_94:                               ;   in Loop: Header=BB3_95 Depth=2
	s_or_b64 exec, exec, s[18:19]
	s_waitcnt lgkmcnt(0)
	s_barrier
	ds_read_u16 v4, v23 offset:3072
	v_add_u32_e32 v3, s64, v3
	v_cmp_le_i32_e32 vcc, s17, v3
	v_add_u32_e32 v2, s82, v2
	s_waitcnt lgkmcnt(0)
	v_cmp_ne_u16_sdwa s[12:13], v4, v23 src0_sel:BYTE_0 src1_sel:DWORD
	s_or_b64 s[18:19], vcc, s[12:13]
	s_and_b64 s[18:19], exec, s[18:19]
	s_or_b64 s[6:7], s[18:19], s[6:7]
	s_andn2_b64 s[18:19], s[26:27], exec
	s_and_b64 s[12:13], s[12:13], exec
	s_or_b64 s[26:27], s[18:19], s[12:13]
	s_barrier
	s_andn2_b64 exec, exec, s[6:7]
	s_cbranch_execz .LBB3_101
.LBB3_95:                               ;   Parent Loop BB3_17 Depth=1
                                        ; =>  This Inner Loop Header: Depth=2
	v_cmp_gt_i32_e32 vcc, s60, v3
	v_mov_b32_e32 v4, 0
	s_and_saveexec_b64 s[28:29], vcc
	s_cbranch_execz .LBB3_97
; %bb.96:                               ;   in Loop: Header=BB3_95 Depth=2
	v_ashrrev_i32_e32 v5, 31, v2
	v_mov_b32_e32 v25, s73
	v_add_co_u32_e64 v4, s[18:19], s72, v2
	v_addc_co_u32_e64 v5, s[18:19], v25, v5, s[18:19]
	global_load_ubyte v4, v[4:5], off
.LBB3_97:                               ;   in Loop: Header=BB3_95 Depth=2
	s_or_b64 exec, exec, s[28:29]
	s_waitcnt vmcnt(0)
	v_and_b32_e32 v5, s1, v4
	v_cmp_eq_u32_sdwa s[12:13], v5, s78 src0_sel:BYTE_0 src1_sel:DWORD
	s_and_b64 s[12:13], vcc, s[12:13]
	s_and_saveexec_b64 s[18:19], s[12:13]
	s_cbranch_execz .LBB3_94
; %bb.98:                               ;   in Loop: Header=BB3_95 Depth=2
	v_lshlrev_b16_e32 v4, 8, v4
	v_or_b32_e32 v4, 1, v4
	ds_write_b16 v23, v4 offset:3072
	s_branch .LBB3_94
.LBB3_99:                               ;   in Loop: Header=BB3_17 Depth=1
	s_mov_b64 s[6:7], -1
                                        ; implicit-def: $sgpr18_sgpr19
                                        ; implicit-def: $sgpr26_sgpr27
                                        ; implicit-def: $sgpr20_sgpr21
	s_branch .LBB3_112
.LBB3_100:                              ;   in Loop: Header=BB3_17 Depth=1
	s_mov_b64 s[18:19], -1
	s_mov_b64 s[6:7], 0
                                        ; implicit-def: $sgpr20_sgpr21
                                        ; implicit-def: $vgpr25
	s_mov_b64 s[26:27], s[18:19]
	s_cbranch_execnz .LBB3_103
	s_branch .LBB3_112
.LBB3_101:                              ;   in Loop: Header=BB3_17 Depth=1
	s_or_b64 exec, exec, s[6:7]
	v_lshrrev_b16_e32 v25, 8, v4
	s_and_b64 s[6:7], s[26:27], exec
.LBB3_102:                              ;   in Loop: Header=BB3_17 Depth=1
	s_or_b64 exec, exec, s[20:21]
	s_mov_b64 s[20:21], -1
	s_mov_b64 s[18:19], 0
	s_mov_b64 s[26:27], s[18:19]
	s_branch .LBB3_112
.LBB3_103:                              ;   in Loop: Header=BB3_17 Depth=1
	v_readlane_b32 s6, v42, 8
	s_add_i32 s11, s10, s6
	s_abs_i32 s7, s11
	v_readlane_b32 s12, v42, 35
	s_mul_hi_u32 s12, s7, s12
	s_mul_i32 s12, s12, s64
	s_sub_i32 s7, s7, s12
	s_ashr_i32 s6, s11, 31
	s_sub_i32 s12, s7, s64
	s_cmp_ge_u32 s7, s64
	s_cselect_b32 s7, s12, s7
	s_sub_i32 s12, s7, s64
	s_cmp_ge_u32 s7, s64
	s_cselect_b32 s7, s12, s7
	s_xor_b32 s7, s7, s6
	s_sub_i32 s6, s6, s7
	s_add_i32 s11, s11, s6
	v_cmp_gt_i32_e32 vcc, s11, v0
	s_mov_b64 s[6:7], 0
                                        ; implicit-def: $vgpr25
	s_and_saveexec_b64 s[18:19], vcc
	s_cbranch_execz .LBB3_111
; %bb.104:                              ;   in Loop: Header=BB3_17 Depth=1
	v_mov_b32_e32 v2, v0
                                        ; implicit-def: $sgpr20_sgpr21
	s_branch .LBB3_106
.LBB3_105:                              ;   in Loop: Header=BB3_106 Depth=2
	s_or_b64 exec, exec, s[26:27]
	s_waitcnt lgkmcnt(0)
	s_barrier
	ds_read_u16 v3, v23 offset:3072
	v_add_u32_e32 v2, s64, v2
	v_cmp_le_i32_e32 vcc, s11, v2
	s_waitcnt lgkmcnt(0)
	s_barrier
	v_cmp_ne_u16_sdwa s[12:13], v3, v23 src0_sel:BYTE_0 src1_sel:DWORD
	s_or_b64 s[26:27], vcc, s[12:13]
	s_and_b64 s[26:27], exec, s[26:27]
	s_or_b64 s[6:7], s[26:27], s[6:7]
	s_andn2_b64 s[20:21], s[20:21], exec
	s_and_b64 s[12:13], s[12:13], exec
	s_or_b64 s[20:21], s[20:21], s[12:13]
	s_andn2_b64 exec, exec, s[6:7]
	s_cbranch_execz .LBB3_110
.LBB3_106:                              ;   Parent Loop BB3_17 Depth=1
                                        ; =>  This Inner Loop Header: Depth=2
	v_cmp_gt_i32_e32 vcc, s10, v2
	v_mov_b32_e32 v3, 0
	s_and_saveexec_b64 s[26:27], vcc
	s_cbranch_execz .LBB3_108
; %bb.107:                              ;   in Loop: Header=BB3_106 Depth=2
	ds_read_u8 v3, v2
.LBB3_108:                              ;   in Loop: Header=BB3_106 Depth=2
	s_or_b64 exec, exec, s[26:27]
	s_waitcnt lgkmcnt(0)
	v_and_b32_e32 v4, s1, v3
	v_cmp_eq_u32_sdwa s[12:13], v4, s78 src0_sel:BYTE_0 src1_sel:DWORD
	s_and_b64 s[12:13], vcc, s[12:13]
	s_and_saveexec_b64 s[26:27], s[12:13]
	s_cbranch_execz .LBB3_105
; %bb.109:                              ;   in Loop: Header=BB3_106 Depth=2
	v_lshlrev_b16_e32 v3, 8, v3
	v_or_b32_e32 v3, 1, v3
	ds_write_b16 v23, v3 offset:3072
	s_branch .LBB3_105
.LBB3_110:                              ;   in Loop: Header=BB3_17 Depth=1
	s_or_b64 exec, exec, s[6:7]
	v_lshrrev_b16_e32 v25, 8, v3
	s_and_b64 s[6:7], s[20:21], exec
.LBB3_111:                              ;   in Loop: Header=BB3_17 Depth=1
	s_or_b64 exec, exec, s[18:19]
	s_mov_b64 s[26:27], -1
	s_mov_b64 s[18:19], 0
	s_mov_b64 s[20:21], 0
.LBB3_112:                              ;   in Loop: Header=BB3_17 Depth=1
	s_andn2_b64 s[10:11], s[90:91], exec
	s_and_b64 s[12:13], s[18:19], exec
	s_or_b64 s[90:91], s[10:11], s[12:13]
	s_andn2_b64 s[10:11], s[88:89], exec
	s_and_b64 s[12:13], s[26:27], exec
	s_or_b64 s[88:89], s[10:11], s[12:13]
	;; [unrolled: 3-line block ×3, first 2 shown]
	s_and_saveexec_b64 s[20:21], s[6:7]
	s_cbranch_execz .LBB3_16
; %bb.113:                              ;   in Loop: Header=BB3_17 Depth=1
	s_xor_b64 s[10:11], s[24:25], -1
	s_mov_b64 s[6:7], 0
	s_andn2_b64 vcc, exec, s[10:11]
	s_mov_b32 s37, 1
	s_cbranch_vccnz .LBB3_124
; %bb.114:                              ;   in Loop: Header=BB3_17 Depth=1
	s_cmp_gt_i32 s61, s30
	s_mov_b64 s[6:7], -1
                                        ; implicit-def: $sgpr55
                                        ; implicit-def: $sgpr10
                                        ; implicit-def: $sgpr11
	s_cbranch_scc1 .LBB3_120
; %bb.115:                              ;   in Loop: Header=BB3_17 Depth=1
	ds_read_b32 v2, v23 offset:4096
	s_waitcnt lgkmcnt(0)
	v_cmp_ne_u32_e32 vcc, 0, v2
	s_cbranch_vccnz .LBB3_119
; %bb.116:                              ;   in Loop: Header=BB3_17 Depth=1
	s_mov_b64 s[6:7], exec
	v_readlane_b32 s10, v42, 5
	v_readlane_b32 s11, v42, 6
	s_and_b64 s[10:11], s[6:7], s[10:11]
	s_mov_b64 exec, s[10:11]
	s_cbranch_execz .LBB3_118
; %bb.117:                              ;   in Loop: Header=BB3_17 Depth=1
	v_mov_b32_e32 v2, s30
	ds_write_b32 v23, v2 offset:4100
.LBB3_118:                              ;   in Loop: Header=BB3_17 Depth=1
	s_or_b64 exec, exec, s[6:7]
	s_waitcnt lgkmcnt(0)
	s_barrier
.LBB3_119:                              ;   in Loop: Header=BB3_17 Depth=1
	s_and_b32 s10, s78, s46
	s_or_b32 s11, s1, s53
	s_mov_b64 s[6:7], 0
	s_mov_b32 s55, 8
.LBB3_120:                              ;   in Loop: Header=BB3_17 Depth=1
	s_andn2_b64 vcc, exec, s[6:7]
	s_cbranch_vccnz .LBB3_122
; %bb.121:                              ;   in Loop: Header=BB3_17 Depth=1
	s_sub_i32 s61, s61, s30
	s_mov_b64 s[6:7], -1
	s_mov_b32 s55, 0
	s_mov_b32 s10, s78
	;; [unrolled: 1-line block ×3, first 2 shown]
.LBB3_122:                              ;   in Loop: Header=BB3_17 Depth=1
	s_mov_b32 s1, s11
	s_mov_b32 s78, s10
	;; [unrolled: 1-line block ×3, first 2 shown]
	s_mov_b64 s[22:23], -1
	s_and_b64 vcc, exec, s[6:7]
	s_cbranch_vccnz .LBB3_125
.LBB3_123:                              ;   in Loop: Header=BB3_17 Depth=1
	s_mov_b64 s[18:19], -1
                                        ; implicit-def: $sgpr24_sgpr25
                                        ; implicit-def: $sgpr28_sgpr29
                                        ; implicit-def: $sgpr26_sgpr27
	s_and_saveexec_b64 s[6:7], s[18:19]
	s_xor_b64 s[6:7], exec, s[6:7]
	s_cbranch_execz .LBB3_15
	s_branch .LBB3_242
.LBB3_124:                              ;   in Loop: Header=BB3_17 Depth=1
	s_mov_b32 s55, 1
	s_mov_b64 s[22:23], -1
	s_and_b64 vcc, exec, s[6:7]
	s_cbranch_vccz .LBB3_123
.LBB3_125:                              ;   in Loop: Header=BB3_17 Depth=1
	s_cmp_eq_u32 s36, 1
	s_cselect_b64 s[6:7], -1, 0
	s_cmp_eq_u32 s37, 1
	s_cselect_b64 s[10:11], -1, 0
	s_and_b64 s[34:35], s[6:7], s[10:11]
	s_mov_b64 s[6:7], -1
	s_and_b64 vcc, exec, s[34:35]
	s_cbranch_vccz .LBB3_136
; %bb.126:                              ;   in Loop: Header=BB3_17 Depth=1
	ds_read_b32 v2, v23 offset:4096
	s_waitcnt lgkmcnt(0)
	s_barrier
	v_readfirstlane_b32 s10, v2
	s_and_saveexec_b64 s[6:7], s[4:5]
	s_cbranch_execz .LBB3_128
; %bb.127:                              ;   in Loop: Header=BB3_17 Depth=1
	ds_write_b8 v0, v23 offset:3072
.LBB3_128:                              ;   in Loop: Header=BB3_17 Depth=1
	s_or_b64 exec, exec, s[6:7]
	s_lshl_b32 s6, 1, s45
	s_and_b32 s7, s78, s46
	s_or_b32 s78, s7, s6
	s_or_b32 s1, s1, s53
	s_cmp_gt_i32 s10, 0
	s_waitcnt lgkmcnt(0)
	s_barrier
	s_cbranch_scc1 .LBB3_137
; %bb.129:                              ;   in Loop: Header=BB3_17 Depth=1
	s_mov_b64 s[6:7], 0
                                        ; implicit-def: $vgpr25
	s_mov_b64 s[24:25], exec
	v_readlane_b32 s12, v42, 36
	v_readlane_b32 s13, v42, 37
	s_and_b64 s[12:13], s[24:25], s[12:13]
	s_mov_b64 exec, s[12:13]
	s_cbranch_execz .LBB3_139
; %bb.130:                              ;   in Loop: Header=BB3_17 Depth=1
	v_mov_b32_e32 v2, v9
	v_mov_b32_e32 v3, v0
                                        ; implicit-def: $sgpr26_sgpr27
	s_branch .LBB3_132
.LBB3_131:                              ;   in Loop: Header=BB3_132 Depth=2
	s_or_b64 exec, exec, s[18:19]
	s_waitcnt lgkmcnt(0)
	s_barrier
	ds_read_u16 v4, v23 offset:3072
	v_add_u32_e32 v3, s64, v3
	v_cmp_le_i32_e32 vcc, s17, v3
	v_add_u32_e32 v2, s82, v2
	s_waitcnt lgkmcnt(0)
	v_cmp_ne_u16_sdwa s[12:13], v4, v23 src0_sel:BYTE_0 src1_sel:DWORD
	s_or_b64 s[18:19], vcc, s[12:13]
	s_and_b64 s[18:19], exec, s[18:19]
	s_or_b64 s[6:7], s[18:19], s[6:7]
	s_andn2_b64 s[18:19], s[26:27], exec
	s_and_b64 s[12:13], s[12:13], exec
	s_or_b64 s[26:27], s[18:19], s[12:13]
	s_barrier
	s_andn2_b64 exec, exec, s[6:7]
	s_cbranch_execz .LBB3_138
.LBB3_132:                              ;   Parent Loop BB3_17 Depth=1
                                        ; =>  This Inner Loop Header: Depth=2
	v_cmp_gt_i32_e32 vcc, s60, v3
	v_mov_b32_e32 v4, 0
	s_and_saveexec_b64 s[28:29], vcc
	s_cbranch_execz .LBB3_134
; %bb.133:                              ;   in Loop: Header=BB3_132 Depth=2
	v_ashrrev_i32_e32 v5, 31, v2
	v_mov_b32_e32 v25, s73
	v_add_co_u32_e64 v4, s[18:19], s72, v2
	v_addc_co_u32_e64 v5, s[18:19], v25, v5, s[18:19]
	global_load_ubyte v4, v[4:5], off
.LBB3_134:                              ;   in Loop: Header=BB3_132 Depth=2
	s_or_b64 exec, exec, s[28:29]
	s_waitcnt vmcnt(0)
	v_and_b32_e32 v5, s1, v4
	v_cmp_eq_u32_sdwa s[12:13], v5, s78 src0_sel:BYTE_0 src1_sel:DWORD
	s_and_b64 s[12:13], vcc, s[12:13]
	s_and_saveexec_b64 s[18:19], s[12:13]
	s_cbranch_execz .LBB3_131
; %bb.135:                              ;   in Loop: Header=BB3_132 Depth=2
	v_lshlrev_b16_e32 v4, 8, v4
	v_or_b32_e32 v4, 1, v4
	ds_write_b16 v23, v4 offset:3072
	s_branch .LBB3_131
.LBB3_136:                              ;   in Loop: Header=BB3_17 Depth=1
                                        ; implicit-def: $sgpr26_sgpr27
                                        ; implicit-def: $sgpr28_sgpr29
                                        ; implicit-def: $sgpr24_sgpr25
	s_branch .LBB3_149
.LBB3_137:                              ;   in Loop: Header=BB3_17 Depth=1
	s_mov_b64 s[26:27], -1
	s_mov_b64 s[6:7], 0
                                        ; implicit-def: $sgpr24_sgpr25
                                        ; implicit-def: $vgpr25
	s_mov_b64 s[28:29], s[26:27]
	s_cbranch_execnz .LBB3_140
	s_branch .LBB3_149
.LBB3_138:                              ;   in Loop: Header=BB3_17 Depth=1
	s_or_b64 exec, exec, s[6:7]
	v_lshrrev_b16_e32 v25, 8, v4
	s_and_b64 s[6:7], s[26:27], exec
.LBB3_139:                              ;   in Loop: Header=BB3_17 Depth=1
	s_or_b64 exec, exec, s[24:25]
	s_mov_b64 s[24:25], -1
	s_mov_b64 s[26:27], 0
	s_mov_b64 s[28:29], s[26:27]
	s_branch .LBB3_149
.LBB3_140:                              ;   in Loop: Header=BB3_17 Depth=1
	v_readlane_b32 s6, v42, 8
	s_add_i32 s11, s10, s6
	s_abs_i32 s7, s11
	v_readlane_b32 s12, v42, 35
	s_mul_hi_u32 s12, s7, s12
	s_mul_i32 s12, s12, s64
	s_sub_i32 s7, s7, s12
	s_ashr_i32 s6, s11, 31
	s_sub_i32 s12, s7, s64
	s_cmp_ge_u32 s7, s64
	s_cselect_b32 s7, s12, s7
	s_sub_i32 s12, s7, s64
	s_cmp_ge_u32 s7, s64
	s_cselect_b32 s7, s12, s7
	s_xor_b32 s7, s7, s6
	s_sub_i32 s6, s6, s7
	s_add_i32 s11, s11, s6
	v_cmp_gt_i32_e32 vcc, s11, v0
	s_mov_b64 s[6:7], 0
                                        ; implicit-def: $vgpr25
	s_and_saveexec_b64 s[18:19], vcc
	s_cbranch_execz .LBB3_148
; %bb.141:                              ;   in Loop: Header=BB3_17 Depth=1
	v_mov_b32_e32 v2, v0
                                        ; implicit-def: $sgpr24_sgpr25
	s_branch .LBB3_143
.LBB3_142:                              ;   in Loop: Header=BB3_143 Depth=2
	s_or_b64 exec, exec, s[26:27]
	s_waitcnt lgkmcnt(0)
	s_barrier
	ds_read_u16 v3, v23 offset:3072
	v_add_u32_e32 v2, s64, v2
	v_cmp_le_i32_e32 vcc, s11, v2
	s_waitcnt lgkmcnt(0)
	s_barrier
	v_cmp_ne_u16_sdwa s[12:13], v3, v23 src0_sel:BYTE_0 src1_sel:DWORD
	s_or_b64 s[26:27], vcc, s[12:13]
	s_and_b64 s[26:27], exec, s[26:27]
	s_or_b64 s[6:7], s[26:27], s[6:7]
	s_andn2_b64 s[24:25], s[24:25], exec
	s_and_b64 s[12:13], s[12:13], exec
	s_or_b64 s[24:25], s[24:25], s[12:13]
	s_andn2_b64 exec, exec, s[6:7]
	s_cbranch_execz .LBB3_147
.LBB3_143:                              ;   Parent Loop BB3_17 Depth=1
                                        ; =>  This Inner Loop Header: Depth=2
	v_cmp_gt_i32_e32 vcc, s10, v2
	v_mov_b32_e32 v3, 0
	s_and_saveexec_b64 s[26:27], vcc
	s_cbranch_execz .LBB3_145
; %bb.144:                              ;   in Loop: Header=BB3_143 Depth=2
	ds_read_u8 v3, v2
.LBB3_145:                              ;   in Loop: Header=BB3_143 Depth=2
	s_or_b64 exec, exec, s[26:27]
	s_waitcnt lgkmcnt(0)
	v_and_b32_e32 v4, s1, v3
	v_cmp_eq_u32_sdwa s[12:13], v4, s78 src0_sel:BYTE_0 src1_sel:DWORD
	s_and_b64 s[12:13], vcc, s[12:13]
	s_and_saveexec_b64 s[26:27], s[12:13]
	s_cbranch_execz .LBB3_142
; %bb.146:                              ;   in Loop: Header=BB3_143 Depth=2
	v_lshlrev_b16_e32 v3, 8, v3
	v_or_b32_e32 v3, 1, v3
	ds_write_b16 v23, v3 offset:3072
	s_branch .LBB3_142
.LBB3_147:                              ;   in Loop: Header=BB3_17 Depth=1
	s_or_b64 exec, exec, s[6:7]
	v_lshrrev_b16_e32 v25, 8, v3
	s_and_b64 s[6:7], s[24:25], exec
.LBB3_148:                              ;   in Loop: Header=BB3_17 Depth=1
	s_or_b64 exec, exec, s[18:19]
	s_mov_b64 s[28:29], -1
	s_mov_b64 s[26:27], 0
	s_mov_b64 s[24:25], 0
.LBB3_149:                              ;   in Loop: Header=BB3_17 Depth=1
	s_mov_b64 s[18:19], 0
                                        ; implicit-def: $sgpr55
	s_and_saveexec_b64 s[30:31], s[6:7]
	s_cbranch_execz .LBB3_241
; %bb.150:                              ;   in Loop: Header=BB3_17 Depth=1
	s_xor_b64 s[10:11], s[34:35], -1
	s_mov_b64 s[6:7], 0
	s_andn2_b64 vcc, exec, s[10:11]
	s_mov_b32 s47, 1
	s_cbranch_vccnz .LBB3_161
; %bb.151:                              ;   in Loop: Header=BB3_17 Depth=1
	s_cmp_gt_i32 s37, s36
	s_mov_b64 s[6:7], -1
                                        ; implicit-def: $sgpr55
                                        ; implicit-def: $sgpr10
                                        ; implicit-def: $sgpr11
	s_cbranch_scc1 .LBB3_157
; %bb.152:                              ;   in Loop: Header=BB3_17 Depth=1
	ds_read_b32 v2, v23 offset:4096
	s_waitcnt lgkmcnt(0)
	v_cmp_ne_u32_e32 vcc, 0, v2
	s_cbranch_vccnz .LBB3_156
; %bb.153:                              ;   in Loop: Header=BB3_17 Depth=1
	s_mov_b64 s[6:7], exec
	v_readlane_b32 s10, v42, 5
	v_readlane_b32 s11, v42, 6
	s_and_b64 s[10:11], s[6:7], s[10:11]
	s_mov_b64 exec, s[10:11]
	s_cbranch_execz .LBB3_155
; %bb.154:                              ;   in Loop: Header=BB3_17 Depth=1
	v_mov_b32_e32 v2, s36
	ds_write_b32 v23, v2 offset:4100
.LBB3_155:                              ;   in Loop: Header=BB3_17 Depth=1
	s_or_b64 exec, exec, s[6:7]
	s_waitcnt lgkmcnt(0)
	s_barrier
.LBB3_156:                              ;   in Loop: Header=BB3_17 Depth=1
	s_lshl_b32 s6, 1, s45
	s_and_b32 s7, s78, s46
	s_or_b32 s10, s7, s6
	s_or_b32 s11, s1, s53
	s_mov_b64 s[6:7], 0
	s_mov_b32 s55, 8
.LBB3_157:                              ;   in Loop: Header=BB3_17 Depth=1
	s_andn2_b64 vcc, exec, s[6:7]
	s_cbranch_vccnz .LBB3_159
; %bb.158:                              ;   in Loop: Header=BB3_17 Depth=1
	s_sub_i32 s37, s37, s36
	s_mov_b64 s[6:7], -1
	s_mov_b32 s55, 0
	s_mov_b32 s10, s78
	;; [unrolled: 1-line block ×3, first 2 shown]
.LBB3_159:                              ;   in Loop: Header=BB3_17 Depth=1
	s_mov_b32 s1, s11
	s_mov_b32 s78, s10
	;; [unrolled: 1-line block ×3, first 2 shown]
	s_andn2_b64 vcc, exec, s[6:7]
	s_mov_b64 s[18:19], -1
	s_cbranch_vccz .LBB3_162
.LBB3_160:                              ;   in Loop: Header=BB3_17 Depth=1
                                        ; implicit-def: $sgpr36_sgpr37
                                        ; implicit-def: $sgpr38_sgpr39
                                        ; implicit-def: $sgpr34_sgpr35
	s_branch .LBB3_240
.LBB3_161:                              ;   in Loop: Header=BB3_17 Depth=1
	s_mov_b32 s55, 1
	s_andn2_b64 vcc, exec, s[6:7]
	s_mov_b64 s[18:19], -1
	s_cbranch_vccnz .LBB3_160
.LBB3_162:                              ;   in Loop: Header=BB3_17 Depth=1
	s_cmp_eq_u32 s44, 1
	s_cselect_b64 s[6:7], -1, 0
	s_cmp_eq_u32 s47, 1
	s_cselect_b64 s[10:11], -1, 0
	s_and_b64 s[42:43], s[6:7], s[10:11]
	s_mov_b64 s[6:7], -1
	s_and_b64 vcc, exec, s[42:43]
	s_cbranch_vccz .LBB3_173
; %bb.163:                              ;   in Loop: Header=BB3_17 Depth=1
	ds_read_b32 v2, v23 offset:4096
	s_waitcnt lgkmcnt(0)
	s_barrier
	v_readfirstlane_b32 s10, v2
	s_and_saveexec_b64 s[6:7], s[4:5]
	s_cbranch_execz .LBB3_165
; %bb.164:                              ;   in Loop: Header=BB3_17 Depth=1
	ds_write_b8 v0, v23 offset:3072
.LBB3_165:                              ;   in Loop: Header=BB3_17 Depth=1
	s_or_b64 exec, exec, s[6:7]
	s_lshl_b32 s6, 2, s45
	s_and_b32 s7, s78, s46
	s_or_b32 s78, s7, s6
	s_or_b32 s1, s1, s53
	s_cmp_gt_i32 s10, 0
	s_waitcnt lgkmcnt(0)
	s_barrier
	s_cbranch_scc1 .LBB3_174
; %bb.166:                              ;   in Loop: Header=BB3_17 Depth=1
	s_mov_b64 s[6:7], 0
                                        ; implicit-def: $vgpr25
	s_mov_b64 s[34:35], exec
	v_readlane_b32 s12, v42, 36
	v_readlane_b32 s13, v42, 37
	s_and_b64 s[12:13], s[34:35], s[12:13]
	s_mov_b64 exec, s[12:13]
	s_cbranch_execz .LBB3_176
; %bb.167:                              ;   in Loop: Header=BB3_17 Depth=1
	v_mov_b32_e32 v2, v9
	v_mov_b32_e32 v3, v0
                                        ; implicit-def: $sgpr36_sgpr37
	s_branch .LBB3_169
.LBB3_168:                              ;   in Loop: Header=BB3_169 Depth=2
	s_or_b64 exec, exec, s[18:19]
	s_waitcnt lgkmcnt(0)
	s_barrier
	ds_read_u16 v4, v23 offset:3072
	v_add_u32_e32 v3, s64, v3
	v_cmp_le_i32_e32 vcc, s17, v3
	v_add_u32_e32 v2, s82, v2
	s_waitcnt lgkmcnt(0)
	v_cmp_ne_u16_sdwa s[12:13], v4, v23 src0_sel:BYTE_0 src1_sel:DWORD
	s_or_b64 s[18:19], vcc, s[12:13]
	s_and_b64 s[18:19], exec, s[18:19]
	s_or_b64 s[6:7], s[18:19], s[6:7]
	s_andn2_b64 s[18:19], s[36:37], exec
	s_and_b64 s[12:13], s[12:13], exec
	s_or_b64 s[36:37], s[18:19], s[12:13]
	s_barrier
	s_andn2_b64 exec, exec, s[6:7]
	s_cbranch_execz .LBB3_175
.LBB3_169:                              ;   Parent Loop BB3_17 Depth=1
                                        ; =>  This Inner Loop Header: Depth=2
	v_cmp_gt_i32_e32 vcc, s60, v3
	v_mov_b32_e32 v4, 0
	s_and_saveexec_b64 s[38:39], vcc
	s_cbranch_execz .LBB3_171
; %bb.170:                              ;   in Loop: Header=BB3_169 Depth=2
	v_ashrrev_i32_e32 v5, 31, v2
	v_mov_b32_e32 v25, s73
	v_add_co_u32_e64 v4, s[18:19], s72, v2
	v_addc_co_u32_e64 v5, s[18:19], v25, v5, s[18:19]
	global_load_ubyte v4, v[4:5], off
.LBB3_171:                              ;   in Loop: Header=BB3_169 Depth=2
	s_or_b64 exec, exec, s[38:39]
	s_waitcnt vmcnt(0)
	v_and_b32_e32 v5, s1, v4
	v_cmp_eq_u32_sdwa s[12:13], v5, s78 src0_sel:BYTE_0 src1_sel:DWORD
	s_and_b64 s[12:13], vcc, s[12:13]
	s_and_saveexec_b64 s[18:19], s[12:13]
	s_cbranch_execz .LBB3_168
; %bb.172:                              ;   in Loop: Header=BB3_169 Depth=2
	v_lshlrev_b16_e32 v4, 8, v4
	v_or_b32_e32 v4, 1, v4
	ds_write_b16 v23, v4 offset:3072
	s_branch .LBB3_168
.LBB3_173:                              ;   in Loop: Header=BB3_17 Depth=1
                                        ; implicit-def: $sgpr34_sgpr35
                                        ; implicit-def: $sgpr38_sgpr39
                                        ; implicit-def: $sgpr36_sgpr37
	s_branch .LBB3_186
.LBB3_174:                              ;   in Loop: Header=BB3_17 Depth=1
	s_mov_b64 s[34:35], -1
	s_mov_b64 s[6:7], 0
                                        ; implicit-def: $sgpr36_sgpr37
                                        ; implicit-def: $vgpr25
	s_mov_b64 s[38:39], s[34:35]
	s_cbranch_execnz .LBB3_177
	s_branch .LBB3_186
.LBB3_175:                              ;   in Loop: Header=BB3_17 Depth=1
	s_or_b64 exec, exec, s[6:7]
	v_lshrrev_b16_e32 v25, 8, v4
	s_and_b64 s[6:7], s[36:37], exec
.LBB3_176:                              ;   in Loop: Header=BB3_17 Depth=1
	s_or_b64 exec, exec, s[34:35]
	s_mov_b64 s[36:37], -1
	s_mov_b64 s[34:35], 0
	s_mov_b64 s[38:39], s[34:35]
	s_branch .LBB3_186
.LBB3_177:                              ;   in Loop: Header=BB3_17 Depth=1
	v_readlane_b32 s6, v42, 8
	s_add_i32 s11, s10, s6
	s_abs_i32 s7, s11
	v_readlane_b32 s12, v42, 35
	s_mul_hi_u32 s12, s7, s12
	s_mul_i32 s12, s12, s64
	s_sub_i32 s7, s7, s12
	s_ashr_i32 s6, s11, 31
	s_sub_i32 s12, s7, s64
	s_cmp_ge_u32 s7, s64
	s_cselect_b32 s7, s12, s7
	s_sub_i32 s12, s7, s64
	s_cmp_ge_u32 s7, s64
	s_cselect_b32 s7, s12, s7
	s_xor_b32 s7, s7, s6
	s_sub_i32 s6, s6, s7
	s_add_i32 s11, s11, s6
	v_cmp_gt_i32_e32 vcc, s11, v0
	s_mov_b64 s[6:7], 0
                                        ; implicit-def: $vgpr25
	s_and_saveexec_b64 s[18:19], vcc
	s_cbranch_execz .LBB3_185
; %bb.178:                              ;   in Loop: Header=BB3_17 Depth=1
	v_mov_b32_e32 v2, v0
                                        ; implicit-def: $sgpr34_sgpr35
	s_branch .LBB3_180
.LBB3_179:                              ;   in Loop: Header=BB3_180 Depth=2
	s_or_b64 exec, exec, s[36:37]
	s_waitcnt lgkmcnt(0)
	s_barrier
	ds_read_u16 v3, v23 offset:3072
	v_add_u32_e32 v2, s64, v2
	v_cmp_le_i32_e32 vcc, s11, v2
	s_waitcnt lgkmcnt(0)
	s_barrier
	v_cmp_ne_u16_sdwa s[12:13], v3, v23 src0_sel:BYTE_0 src1_sel:DWORD
	s_or_b64 s[36:37], vcc, s[12:13]
	s_and_b64 s[36:37], exec, s[36:37]
	s_or_b64 s[6:7], s[36:37], s[6:7]
	s_andn2_b64 s[34:35], s[34:35], exec
	s_and_b64 s[12:13], s[12:13], exec
	s_or_b64 s[34:35], s[34:35], s[12:13]
	s_andn2_b64 exec, exec, s[6:7]
	s_cbranch_execz .LBB3_184
.LBB3_180:                              ;   Parent Loop BB3_17 Depth=1
                                        ; =>  This Inner Loop Header: Depth=2
	v_cmp_gt_i32_e32 vcc, s10, v2
	v_mov_b32_e32 v3, 0
	s_and_saveexec_b64 s[36:37], vcc
	s_cbranch_execz .LBB3_182
; %bb.181:                              ;   in Loop: Header=BB3_180 Depth=2
	ds_read_u8 v3, v2
.LBB3_182:                              ;   in Loop: Header=BB3_180 Depth=2
	s_or_b64 exec, exec, s[36:37]
	s_waitcnt lgkmcnt(0)
	v_and_b32_e32 v4, s1, v3
	v_cmp_eq_u32_sdwa s[12:13], v4, s78 src0_sel:BYTE_0 src1_sel:DWORD
	s_and_b64 s[12:13], vcc, s[12:13]
	s_and_saveexec_b64 s[36:37], s[12:13]
	s_cbranch_execz .LBB3_179
; %bb.183:                              ;   in Loop: Header=BB3_180 Depth=2
	v_lshlrev_b16_e32 v3, 8, v3
	v_or_b32_e32 v3, 1, v3
	ds_write_b16 v23, v3 offset:3072
	s_branch .LBB3_179
.LBB3_184:                              ;   in Loop: Header=BB3_17 Depth=1
	s_or_b64 exec, exec, s[6:7]
	v_lshrrev_b16_e32 v25, 8, v3
	s_and_b64 s[6:7], s[34:35], exec
.LBB3_185:                              ;   in Loop: Header=BB3_17 Depth=1
	s_or_b64 exec, exec, s[18:19]
	s_mov_b64 s[38:39], -1
	s_mov_b64 s[34:35], 0
	s_mov_b64 s[36:37], 0
.LBB3_186:                              ;   in Loop: Header=BB3_17 Depth=1
	s_mov_b64 s[18:19], 0
                                        ; implicit-def: $sgpr55
	s_and_saveexec_b64 s[40:41], s[6:7]
	s_cbranch_execz .LBB3_239
; %bb.187:                              ;   in Loop: Header=BB3_17 Depth=1
	s_xor_b64 s[10:11], s[42:43], -1
	s_mov_b64 s[6:7], 0
	s_andn2_b64 vcc, exec, s[10:11]
	s_mov_b32 s54, 1
	s_cbranch_vccnz .LBB3_198
; %bb.188:                              ;   in Loop: Header=BB3_17 Depth=1
	s_cmp_gt_i32 s47, s44
	s_mov_b64 s[6:7], -1
                                        ; implicit-def: $sgpr55
                                        ; implicit-def: $sgpr10
                                        ; implicit-def: $sgpr11
	s_cbranch_scc1 .LBB3_194
; %bb.189:                              ;   in Loop: Header=BB3_17 Depth=1
	ds_read_b32 v2, v23 offset:4096
	s_waitcnt lgkmcnt(0)
	v_cmp_ne_u32_e32 vcc, 0, v2
	s_cbranch_vccnz .LBB3_193
; %bb.190:                              ;   in Loop: Header=BB3_17 Depth=1
	s_mov_b64 s[6:7], exec
	v_readlane_b32 s10, v42, 5
	v_readlane_b32 s11, v42, 6
	s_and_b64 s[10:11], s[6:7], s[10:11]
	s_mov_b64 exec, s[10:11]
	s_cbranch_execz .LBB3_192
; %bb.191:                              ;   in Loop: Header=BB3_17 Depth=1
	v_mov_b32_e32 v2, s44
	ds_write_b32 v23, v2 offset:4100
.LBB3_192:                              ;   in Loop: Header=BB3_17 Depth=1
	s_or_b64 exec, exec, s[6:7]
	s_waitcnt lgkmcnt(0)
	s_barrier
.LBB3_193:                              ;   in Loop: Header=BB3_17 Depth=1
	s_lshl_b32 s6, 2, s45
	s_and_b32 s7, s78, s46
	s_or_b32 s10, s7, s6
	s_or_b32 s11, s1, s53
	s_mov_b64 s[6:7], 0
	s_mov_b32 s55, 8
.LBB3_194:                              ;   in Loop: Header=BB3_17 Depth=1
	s_andn2_b64 vcc, exec, s[6:7]
	s_cbranch_vccnz .LBB3_196
; %bb.195:                              ;   in Loop: Header=BB3_17 Depth=1
	s_sub_i32 s47, s47, s44
	s_mov_b64 s[6:7], -1
	s_mov_b32 s55, 0
	s_mov_b32 s10, s78
	;; [unrolled: 1-line block ×3, first 2 shown]
.LBB3_196:                              ;   in Loop: Header=BB3_17 Depth=1
	s_mov_b32 s1, s11
	s_mov_b32 s78, s10
	;; [unrolled: 1-line block ×3, first 2 shown]
	s_andn2_b64 vcc, exec, s[6:7]
	s_mov_b64 s[50:51], -1
	s_cbranch_vccz .LBB3_199
.LBB3_197:                              ;   in Loop: Header=BB3_17 Depth=1
                                        ; implicit-def: $sgpr18_sgpr19
                                        ; implicit-def: $sgpr44_sgpr45
                                        ; implicit-def: $sgpr42_sgpr43
	s_branch .LBB3_238
.LBB3_198:                              ;   in Loop: Header=BB3_17 Depth=1
	s_mov_b32 s55, 1
	s_andn2_b64 vcc, exec, s[6:7]
	s_mov_b64 s[50:51], -1
	s_cbranch_vccnz .LBB3_197
.LBB3_199:                              ;   in Loop: Header=BB3_17 Depth=1
	s_cmp_eq_u32 s52, 1
	s_cselect_b64 s[6:7], -1, 0
	s_cmp_eq_u32 s54, 1
	s_cselect_b64 s[10:11], -1, 0
	s_and_b64 s[6:7], s[6:7], s[10:11]
	s_mov_b64 s[46:47], -1
	s_and_b64 vcc, exec, s[6:7]
	s_cbranch_vccz .LBB3_210
; %bb.200:                              ;   in Loop: Header=BB3_17 Depth=1
	ds_read_b32 v2, v23 offset:4096
	s_waitcnt lgkmcnt(0)
	s_barrier
	v_readfirstlane_b32 s10, v2
	s_and_saveexec_b64 s[18:19], s[4:5]
	s_cbranch_execz .LBB3_202
; %bb.201:                              ;   in Loop: Header=BB3_17 Depth=1
	ds_write_b8 v0, v23 offset:3072
.LBB3_202:                              ;   in Loop: Header=BB3_17 Depth=1
	s_or_b64 exec, exec, s[18:19]
	s_or_b32 s78, s78, s53
	s_or_b32 s1, s1, s53
	s_cmp_gt_i32 s10, 0
	s_waitcnt lgkmcnt(0)
	s_barrier
	s_cbranch_scc1 .LBB3_211
; %bb.203:                              ;   in Loop: Header=BB3_17 Depth=1
	s_mov_b64 s[46:47], 0
                                        ; implicit-def: $vgpr25
	s_mov_b64 s[42:43], exec
	v_readlane_b32 s12, v42, 36
	v_readlane_b32 s13, v42, 37
	s_and_b64 s[12:13], s[42:43], s[12:13]
	s_mov_b64 exec, s[12:13]
	s_cbranch_execz .LBB3_213
; %bb.204:                              ;   in Loop: Header=BB3_17 Depth=1
	s_mov_b64 s[44:45], 0
	v_mov_b32_e32 v2, v9
	v_mov_b32_e32 v3, v0
                                        ; implicit-def: $sgpr46_sgpr47
	s_branch .LBB3_206
.LBB3_205:                              ;   in Loop: Header=BB3_206 Depth=2
	s_or_b64 exec, exec, s[18:19]
	s_waitcnt lgkmcnt(0)
	s_barrier
	ds_read_u16 v4, v23 offset:3072
	v_add_u32_e32 v3, s64, v3
	v_cmp_le_i32_e32 vcc, s17, v3
	v_add_u32_e32 v2, s82, v2
	s_waitcnt lgkmcnt(0)
	v_cmp_ne_u16_sdwa s[12:13], v4, v23 src0_sel:BYTE_0 src1_sel:DWORD
	s_or_b64 s[18:19], vcc, s[12:13]
	s_and_b64 s[18:19], exec, s[18:19]
	s_or_b64 s[44:45], s[18:19], s[44:45]
	s_andn2_b64 s[18:19], s[46:47], exec
	s_and_b64 s[12:13], s[12:13], exec
	s_or_b64 s[46:47], s[18:19], s[12:13]
	s_barrier
	s_andn2_b64 exec, exec, s[44:45]
	s_cbranch_execz .LBB3_212
.LBB3_206:                              ;   Parent Loop BB3_17 Depth=1
                                        ; =>  This Inner Loop Header: Depth=2
	v_cmp_gt_i32_e32 vcc, s60, v3
	v_mov_b32_e32 v4, 0
	s_and_saveexec_b64 s[48:49], vcc
	s_cbranch_execz .LBB3_208
; %bb.207:                              ;   in Loop: Header=BB3_206 Depth=2
	v_ashrrev_i32_e32 v5, 31, v2
	v_mov_b32_e32 v25, s73
	v_add_co_u32_e64 v4, s[18:19], s72, v2
	v_addc_co_u32_e64 v5, s[18:19], v25, v5, s[18:19]
	global_load_ubyte v4, v[4:5], off
.LBB3_208:                              ;   in Loop: Header=BB3_206 Depth=2
	s_or_b64 exec, exec, s[48:49]
	s_waitcnt vmcnt(0)
	v_and_b32_e32 v5, s1, v4
	v_cmp_eq_u32_sdwa s[12:13], v5, s78 src0_sel:BYTE_0 src1_sel:DWORD
	s_and_b64 s[12:13], vcc, s[12:13]
	s_and_saveexec_b64 s[18:19], s[12:13]
	s_cbranch_execz .LBB3_205
; %bb.209:                              ;   in Loop: Header=BB3_206 Depth=2
	v_lshlrev_b16_e32 v4, 8, v4
	v_or_b32_e32 v4, 1, v4
	ds_write_b16 v23, v4 offset:3072
	s_branch .LBB3_205
.LBB3_210:                              ;   in Loop: Header=BB3_17 Depth=1
                                        ; implicit-def: $sgpr18_sgpr19
                                        ; implicit-def: $sgpr44_sgpr45
                                        ; implicit-def: $sgpr42_sgpr43
	s_branch .LBB3_223
.LBB3_211:                              ;   in Loop: Header=BB3_17 Depth=1
	s_mov_b64 s[18:19], -1
	s_mov_b64 s[46:47], 0
                                        ; implicit-def: $sgpr42_sgpr43
                                        ; implicit-def: $vgpr25
	s_mov_b64 s[44:45], s[18:19]
	s_cbranch_execnz .LBB3_214
	s_branch .LBB3_223
.LBB3_212:                              ;   in Loop: Header=BB3_17 Depth=1
	s_or_b64 exec, exec, s[44:45]
	v_lshrrev_b16_e32 v25, 8, v4
	s_and_b64 s[46:47], s[46:47], exec
.LBB3_213:                              ;   in Loop: Header=BB3_17 Depth=1
	s_or_b64 exec, exec, s[42:43]
	s_mov_b64 s[42:43], -1
	s_mov_b64 s[18:19], 0
	s_mov_b64 s[44:45], s[18:19]
	s_branch .LBB3_223
.LBB3_214:                              ;   in Loop: Header=BB3_17 Depth=1
	v_readlane_b32 s11, v42, 8
	s_add_i32 s11, s10, s11
	s_abs_i32 s13, s11
	v_readlane_b32 s18, v42, 35
	s_mul_hi_u32 s18, s13, s18
	s_mul_i32 s18, s18, s64
	s_sub_i32 s13, s13, s18
	s_ashr_i32 s12, s11, 31
	s_sub_i32 s18, s13, s64
	s_cmp_ge_u32 s13, s64
	s_cselect_b32 s13, s18, s13
	s_sub_i32 s18, s13, s64
	s_cmp_ge_u32 s13, s64
	s_cselect_b32 s13, s18, s13
	s_xor_b32 s13, s13, s12
	s_sub_i32 s12, s12, s13
	s_add_i32 s11, s11, s12
	v_cmp_gt_i32_e32 vcc, s11, v0
	s_mov_b64 s[46:47], 0
                                        ; implicit-def: $vgpr25
	s_and_saveexec_b64 s[18:19], vcc
	s_cbranch_execz .LBB3_222
; %bb.215:                              ;   in Loop: Header=BB3_17 Depth=1
	s_mov_b64 s[42:43], 0
	v_mov_b32_e32 v2, v0
                                        ; implicit-def: $sgpr44_sgpr45
	s_branch .LBB3_217
.LBB3_216:                              ;   in Loop: Header=BB3_217 Depth=2
	s_or_b64 exec, exec, s[46:47]
	s_waitcnt lgkmcnt(0)
	s_barrier
	ds_read_u16 v3, v23 offset:3072
	v_add_u32_e32 v2, s64, v2
	v_cmp_le_i32_e32 vcc, s11, v2
	s_waitcnt lgkmcnt(0)
	s_barrier
	v_cmp_ne_u16_sdwa s[12:13], v3, v23 src0_sel:BYTE_0 src1_sel:DWORD
	s_or_b64 s[46:47], vcc, s[12:13]
	s_and_b64 s[46:47], exec, s[46:47]
	s_or_b64 s[42:43], s[46:47], s[42:43]
	s_andn2_b64 s[44:45], s[44:45], exec
	s_and_b64 s[12:13], s[12:13], exec
	s_or_b64 s[44:45], s[44:45], s[12:13]
	s_andn2_b64 exec, exec, s[42:43]
	s_cbranch_execz .LBB3_221
.LBB3_217:                              ;   Parent Loop BB3_17 Depth=1
                                        ; =>  This Inner Loop Header: Depth=2
	v_cmp_gt_i32_e32 vcc, s10, v2
	v_mov_b32_e32 v3, 0
	s_and_saveexec_b64 s[46:47], vcc
	s_cbranch_execz .LBB3_219
; %bb.218:                              ;   in Loop: Header=BB3_217 Depth=2
	ds_read_u8 v3, v2
.LBB3_219:                              ;   in Loop: Header=BB3_217 Depth=2
	s_or_b64 exec, exec, s[46:47]
	s_waitcnt lgkmcnt(0)
	v_and_b32_e32 v4, s1, v3
	v_cmp_eq_u32_sdwa s[12:13], v4, s78 src0_sel:BYTE_0 src1_sel:DWORD
	s_and_b64 s[12:13], vcc, s[12:13]
	s_and_saveexec_b64 s[46:47], s[12:13]
	s_cbranch_execz .LBB3_216
; %bb.220:                              ;   in Loop: Header=BB3_217 Depth=2
	v_lshlrev_b16_e32 v3, 8, v3
	v_or_b32_e32 v3, 1, v3
	ds_write_b16 v23, v3 offset:3072
	s_branch .LBB3_216
.LBB3_221:                              ;   in Loop: Header=BB3_17 Depth=1
	s_or_b64 exec, exec, s[42:43]
	v_lshrrev_b16_e32 v25, 8, v3
	s_and_b64 s[46:47], s[44:45], exec
.LBB3_222:                              ;   in Loop: Header=BB3_17 Depth=1
	s_or_b64 exec, exec, s[18:19]
	s_mov_b64 s[44:45], -1
	s_mov_b64 s[18:19], 0
	s_mov_b64 s[42:43], 0
.LBB3_223:                              ;   in Loop: Header=BB3_17 Depth=1
	s_mov_b64 s[50:51], 0
                                        ; implicit-def: $sgpr55
	s_and_saveexec_b64 s[48:49], s[46:47]
	s_cbranch_execz .LBB3_237
; %bb.224:                              ;   in Loop: Header=BB3_17 Depth=1
	s_xor_b64 s[6:7], s[6:7], -1
	s_andn2_b64 vcc, exec, s[6:7]
	s_mov_b32 s55, 1
	s_cbranch_vccnz .LBB3_231
; %bb.225:                              ;   in Loop: Header=BB3_17 Depth=1
	s_cmp_gt_i32 s54, s52
	s_cbranch_scc1 .LBB3_232
; %bb.226:                              ;   in Loop: Header=BB3_17 Depth=1
	ds_read_b32 v2, v23 offset:4096
	s_waitcnt lgkmcnt(0)
	v_cmp_ne_u32_e32 vcc, 0, v2
	s_cbranch_vccnz .LBB3_230
; %bb.227:                              ;   in Loop: Header=BB3_17 Depth=1
	s_mov_b64 s[6:7], exec
	v_readlane_b32 s10, v42, 5
	v_readlane_b32 s11, v42, 6
	s_and_b64 s[10:11], s[6:7], s[10:11]
	s_mov_b64 exec, s[10:11]
	s_cbranch_execz .LBB3_229
; %bb.228:                              ;   in Loop: Header=BB3_17 Depth=1
	v_mov_b32_e32 v2, s52
	ds_write_b32 v23, v2 offset:4100
.LBB3_229:                              ;   in Loop: Header=BB3_17 Depth=1
	s_or_b64 exec, exec, s[6:7]
	s_waitcnt lgkmcnt(0)
	s_barrier
.LBB3_230:                              ;   in Loop: Header=BB3_17 Depth=1
	s_or_b32 s10, s78, s53
	s_or_b32 s11, s1, s53
	s_mov_b64 s[6:7], 0
	s_mov_b32 s55, 8
	s_branch .LBB3_233
.LBB3_231:                              ;   in Loop: Header=BB3_17 Depth=1
	s_mov_b32 s54, 1
	s_branch .LBB3_236
.LBB3_232:                              ;   in Loop: Header=BB3_17 Depth=1
	s_mov_b64 s[6:7], -1
                                        ; implicit-def: $sgpr55
                                        ; implicit-def: $sgpr10
                                        ; implicit-def: $sgpr11
.LBB3_233:                              ;   in Loop: Header=BB3_17 Depth=1
	s_andn2_b64 vcc, exec, s[6:7]
	s_cbranch_vccnz .LBB3_235
; %bb.234:                              ;   in Loop: Header=BB3_17 Depth=1
	s_sub_i32 s54, s54, s52
	s_mov_b32 s55, 8
	s_mov_b32 s10, s78
	s_mov_b32 s11, s1
.LBB3_235:                              ;   in Loop: Header=BB3_17 Depth=1
	s_mov_b32 s78, s10
	s_mov_b32 s1, s11
.LBB3_236:                              ;   in Loop: Header=BB3_17 Depth=1
	s_mov_b64 s[50:51], exec
.LBB3_237:                              ;   in Loop: Header=BB3_17 Depth=1
	s_or_b64 exec, exec, s[48:49]
.LBB3_238:                              ;   in Loop: Header=BB3_17 Depth=1
	s_andn2_b64 s[6:7], s[34:35], exec
	s_and_b64 s[10:11], s[18:19], exec
	s_or_b64 s[34:35], s[6:7], s[10:11]
	s_andn2_b64 s[6:7], s[38:39], exec
	s_and_b64 s[10:11], s[44:45], exec
	s_or_b64 s[38:39], s[6:7], s[10:11]
	;; [unrolled: 3-line block ×3, first 2 shown]
	s_and_b64 s[18:19], s[50:51], exec
	s_mov_b32 s47, s54
.LBB3_239:                              ;   in Loop: Header=BB3_17 Depth=1
	s_or_b64 exec, exec, s[40:41]
.LBB3_240:                              ;   in Loop: Header=BB3_17 Depth=1
	s_andn2_b64 s[6:7], s[26:27], exec
	s_and_b64 s[10:11], s[34:35], exec
	s_or_b64 s[26:27], s[6:7], s[10:11]
	s_andn2_b64 s[6:7], s[28:29], exec
	s_and_b64 s[10:11], s[38:39], exec
	s_or_b64 s[28:29], s[6:7], s[10:11]
	;; [unrolled: 3-line block ×3, first 2 shown]
	s_and_b64 s[18:19], s[18:19], exec
	s_mov_b32 s37, s47
.LBB3_241:                              ;   in Loop: Header=BB3_17 Depth=1
	s_or_b64 exec, exec, s[30:31]
	s_and_saveexec_b64 s[6:7], s[18:19]
	s_xor_b64 s[6:7], exec, s[6:7]
	s_cbranch_execz .LBB3_15
.LBB3_242:                              ;   in Loop: Header=BB3_17 Depth=1
	s_and_b32 s10, s55, -9
	s_cmp_eq_u32 s10, 0
	s_cbranch_scc1 .LBB3_13
; %bb.243:                              ;   in Loop: Header=BB3_17 Depth=1
	s_mov_b64 s[18:19], -1
                                        ; implicit-def: $sgpr1
                                        ; implicit-def: $sgpr37
                                        ; implicit-def: $sgpr16
                                        ; implicit-def: $sgpr0
	s_mov_b64 s[22:23], -1
	s_branch .LBB3_14
.LBB3_244:
	s_or_b64 exec, exec, s[92:93]
	s_xor_b64 s[8:9], s[70:71], -1
	s_xor_b64 s[0:1], s[94:95], -1
	;; [unrolled: 1-line block ×3, first 2 shown]
	s_mov_b64 s[4:5], 0
	s_and_saveexec_b64 s[2:3], s[0:1]
	s_xor_b64 s[2:3], exec, s[2:3]
	s_cbranch_execnz .LBB3_249
; %bb.245:
	s_andn2_saveexec_b64 s[0:1], s[2:3]
	s_cbranch_execnz .LBB3_269
.LBB3_246:
	s_or_b64 exec, exec, s[0:1]
	s_and_saveexec_b64 s[0:1], s[4:5]
.LBB3_247:
	; divergent unreachable
.LBB3_248:
	s_endpgm
.LBB3_249:
	s_and_saveexec_b64 s[0:1], s[8:9]
	s_xor_b64 s[4:5], exec, s[0:1]
	s_cbranch_execz .LBB3_267
; %bb.250:
	s_and_saveexec_b64 s[0:1], s[6:7]
	s_xor_b64 s[6:7], exec, s[0:1]
; %bb.251:
	v_mov_b32_e32 v25, v2
; %bb.252:
	s_or_b64 exec, exec, s[6:7]
	s_mov_b64 s[6:7], exec
	v_readlane_b32 s0, v42, 5
	v_readlane_b32 s1, v42, 6
	s_and_b64 s[0:1], s[6:7], s[0:1]
	s_mov_b64 exec, s[0:1]
	s_cbranch_execz .LBB3_254
; %bb.253:
	v_mov_b32_e32 v1, 0
	v_mov_b32_e32 v2, s60
	ds_write_b32 v1, v2 offset:4108
.LBB3_254:
	s_or_b64 exec, exec, s[6:7]
	v_mov_b32_e32 v1, 0
	s_waitcnt lgkmcnt(0)
	s_barrier
	ds_read_b32 v1, v1 offset:4108
	s_waitcnt lgkmcnt(0)
	v_min_i32_e32 v2, s60, v1
	v_cmp_lt_i32_e32 vcc, v0, v2
	s_and_saveexec_b64 s[6:7], vcc
	s_cbranch_execz .LBB3_264
; %bb.255:
	s_mov_b64 s[8:9], 0
	v_mov_b32_e32 v3, s73
                                        ; implicit-def: $sgpr10_sgpr11
                                        ; implicit-def: $sgpr14_sgpr15
                                        ; implicit-def: $sgpr12_sgpr13
	s_branch .LBB3_257
.LBB3_256:                              ;   in Loop: Header=BB3_257 Depth=1
	s_or_b64 exec, exec, s[16:17]
	s_and_b64 s[0:1], exec, s[14:15]
	s_or_b64 s[8:9], s[0:1], s[8:9]
	s_andn2_b64 s[0:1], s[10:11], exec
	s_and_b64 s[10:11], s[12:13], exec
	s_or_b64 s[10:11], s[0:1], s[10:11]
	s_andn2_b64 exec, exec, s[8:9]
	s_cbranch_execz .LBB3_259
.LBB3_257:                              ; =>This Inner Loop Header: Depth=1
	v_ashrrev_i32_e32 v1, 31, v9
	v_add_co_u32_e32 v4, vcc, s72, v9
	v_addc_co_u32_e32 v5, vcc, v3, v1, vcc
	global_load_ubyte v4, v[4:5], off
	v_mov_b32_e32 v1, v0
	s_or_b64 s[12:13], s[12:13], exec
	s_or_b64 s[14:15], s[14:15], exec
                                        ; implicit-def: $vgpr0
	s_waitcnt vmcnt(0)
	v_cmp_ne_u16_sdwa s[0:1], v4, v25 src0_sel:DWORD src1_sel:BYTE_0
	s_and_saveexec_b64 s[16:17], s[0:1]
	s_cbranch_execz .LBB3_256
; %bb.258:                              ;   in Loop: Header=BB3_257 Depth=1
	v_add_u32_e32 v0, s64, v1
	v_cmp_ge_i32_e32 vcc, v0, v2
	s_andn2_b64 s[0:1], s[14:15], exec
	s_and_b64 s[14:15], vcc, exec
	v_add_u32_e32 v9, s82, v9
	s_andn2_b64 s[12:13], s[12:13], exec
	s_or_b64 s[14:15], s[0:1], s[14:15]
	s_branch .LBB3_256
.LBB3_259:
	s_or_b64 exec, exec, s[8:9]
	s_and_saveexec_b64 s[0:1], s[10:11]
	s_xor_b64 s[0:1], exec, s[0:1]
	s_cbranch_execz .LBB3_264
; %bb.260:
	s_mov_b64 s[8:9], exec
	s_brev_b32 s0, -2
.LBB3_261:                              ; =>This Inner Loop Header: Depth=1
	s_ff1_i32_b64 s1, s[8:9]
	v_readlane_b32 s12, v1, s1
	s_lshl_b64 s[10:11], 1, s1
	s_min_i32 s0, s0, s12
	s_andn2_b64 s[8:9], s[8:9], s[10:11]
	s_cmp_lg_u64 s[8:9], 0
	s_cbranch_scc1 .LBB3_261
; %bb.262:
	v_mbcnt_lo_u32_b32 v0, exec_lo, 0
	v_mbcnt_hi_u32_b32 v0, exec_hi, v0
	v_cmp_eq_u32_e32 vcc, 0, v0
	s_and_saveexec_b64 s[8:9], vcc
	s_xor_b64 s[8:9], exec, s[8:9]
	s_cbranch_execz .LBB3_264
; %bb.263:
	v_mov_b32_e32 v0, 0
	v_mov_b32_e32 v1, s0
	ds_min_i32 v0, v1 offset:4108
.LBB3_264:
	s_or_b64 exec, exec, s[6:7]
	s_waitcnt lgkmcnt(0)
	s_barrier
	s_mov_b64 s[6:7], exec
	v_readlane_b32 s0, v42, 5
	v_readlane_b32 s1, v42, 6
	s_and_b64 s[0:1], s[6:7], s[0:1]
	s_mov_b64 exec, s[0:1]
	s_cbranch_execz .LBB3_266
; %bb.265:
	v_readlane_b32 s0, v42, 0
	s_mul_i32 s0, s0, s62
	s_add_i32 s1, s0, s65
	v_readlane_b32 s0, v42, 7
	s_mul_i32 s0, s0, s33
	v_mov_b32_e32 v2, 0
	s_add_i32 s0, s0, s67
	s_ashr_i32 s9, s1, 31
	v_readlane_b32 s10, v42, 1
	ds_read_b32 v0, v2 offset:4108
	v_readlane_b32 s11, v42, 2
	s_add_u32 s8, s10, s1
	s_addc_u32 s9, s11, s9
	s_ashr_i32 s1, s0, 31
	s_lshl_b64 s[0:1], s[0:1], 3
	v_readlane_b32 s10, v42, 3
	v_readlane_b32 s11, v42, 4
	s_add_u32 s0, s10, s0
	s_addc_u32 s1, s11, s1
	s_waitcnt lgkmcnt(0)
	v_ashrrev_i32_e32 v1, 31, v0
	global_store_dwordx2 v2, v[0:1], s[0:1]
	global_store_byte v2, v25, s[8:9]
.LBB3_266:
	s_or_b64 exec, exec, s[6:7]
.LBB3_267:
	s_or_saveexec_b64 s[0:1], s[4:5]
	s_mov_b64 s[4:5], 0
	s_xor_b64 exec, exec, s[0:1]
	s_cbranch_execnz .LBB3_270
.LBB3_268:
	s_or_b64 exec, exec, s[0:1]
	s_and_b64 s[4:5], s[4:5], exec
	s_andn2_saveexec_b64 s[0:1], s[2:3]
	s_cbranch_execz .LBB3_246
.LBB3_269:
	s_or_b64 s[4:5], s[4:5], exec
	s_trap 2
	s_or_b64 exec, exec, s[0:1]
	s_and_saveexec_b64 s[0:1], s[4:5]
	s_cbranch_execnz .LBB3_247
	s_branch .LBB3_248
.LBB3_270:
	s_mov_b64 s[4:5], exec
	s_trap 2
	s_branch .LBB3_268
	.section	.rodata,"a",@progbits
	.p2align	6, 0x0
	.amdhsa_kernel _ZN2at6native12_GLOBAL__N_114gatherKthValueIhiLin1EEEvNS_4cuda6detail10TensorInfoIKT_T0_EES8_S8_S8_S8_NS5_IS6_S8_EENS5_IlS8_EE
		.amdhsa_group_segment_fixed_size 4112
		.amdhsa_private_segment_fixed_size 0
		.amdhsa_kernarg_size 920
		.amdhsa_user_sgpr_count 6
		.amdhsa_user_sgpr_private_segment_buffer 1
		.amdhsa_user_sgpr_dispatch_ptr 0
		.amdhsa_user_sgpr_queue_ptr 0
		.amdhsa_user_sgpr_kernarg_segment_ptr 1
		.amdhsa_user_sgpr_dispatch_id 0
		.amdhsa_user_sgpr_flat_scratch_init 0
		.amdhsa_user_sgpr_kernarg_preload_length 0
		.amdhsa_user_sgpr_kernarg_preload_offset 0
		.amdhsa_user_sgpr_private_segment_size 0
		.amdhsa_uses_dynamic_stack 0
		.amdhsa_system_sgpr_private_segment_wavefront_offset 0
		.amdhsa_system_sgpr_workgroup_id_x 1
		.amdhsa_system_sgpr_workgroup_id_y 1
		.amdhsa_system_sgpr_workgroup_id_z 1
		.amdhsa_system_sgpr_workgroup_info 0
		.amdhsa_system_vgpr_workitem_id 0
		.amdhsa_next_free_vgpr 43
		.amdhsa_next_free_sgpr 96
		.amdhsa_accum_offset 44
		.amdhsa_reserve_vcc 1
		.amdhsa_reserve_flat_scratch 0
		.amdhsa_float_round_mode_32 0
		.amdhsa_float_round_mode_16_64 0
		.amdhsa_float_denorm_mode_32 3
		.amdhsa_float_denorm_mode_16_64 3
		.amdhsa_dx10_clamp 1
		.amdhsa_ieee_mode 1
		.amdhsa_fp16_overflow 0
		.amdhsa_tg_split 0
		.amdhsa_exception_fp_ieee_invalid_op 0
		.amdhsa_exception_fp_denorm_src 0
		.amdhsa_exception_fp_ieee_div_zero 0
		.amdhsa_exception_fp_ieee_overflow 0
		.amdhsa_exception_fp_ieee_underflow 0
		.amdhsa_exception_fp_ieee_inexact 0
		.amdhsa_exception_int_div_zero 0
	.end_amdhsa_kernel
	.section	.text._ZN2at6native12_GLOBAL__N_114gatherKthValueIhiLin1EEEvNS_4cuda6detail10TensorInfoIKT_T0_EES8_S8_S8_S8_NS5_IS6_S8_EENS5_IlS8_EE,"axG",@progbits,_ZN2at6native12_GLOBAL__N_114gatherKthValueIhiLin1EEEvNS_4cuda6detail10TensorInfoIKT_T0_EES8_S8_S8_S8_NS5_IS6_S8_EENS5_IlS8_EE,comdat
.Lfunc_end3:
	.size	_ZN2at6native12_GLOBAL__N_114gatherKthValueIhiLin1EEEvNS_4cuda6detail10TensorInfoIKT_T0_EES8_S8_S8_S8_NS5_IS6_S8_EENS5_IlS8_EE, .Lfunc_end3-_ZN2at6native12_GLOBAL__N_114gatherKthValueIhiLin1EEEvNS_4cuda6detail10TensorInfoIKT_T0_EES8_S8_S8_S8_NS5_IS6_S8_EENS5_IlS8_EE
                                        ; -- End function
	.section	.AMDGPU.csdata,"",@progbits
; Kernel info:
; codeLenInByte = 10144
; NumSgprs: 100
; NumVgprs: 43
; NumAgprs: 0
; TotalNumVgprs: 43
; ScratchSize: 0
; MemoryBound: 0
; FloatMode: 240
; IeeeMode: 1
; LDSByteSize: 4112 bytes/workgroup (compile time only)
; SGPRBlocks: 12
; VGPRBlocks: 5
; NumSGPRsForWavesPerEU: 100
; NumVGPRsForWavesPerEU: 43
; AccumOffset: 44
; Occupancy: 8
; WaveLimiterHint : 1
; COMPUTE_PGM_RSRC2:SCRATCH_EN: 0
; COMPUTE_PGM_RSRC2:USER_SGPR: 6
; COMPUTE_PGM_RSRC2:TRAP_HANDLER: 0
; COMPUTE_PGM_RSRC2:TGID_X_EN: 1
; COMPUTE_PGM_RSRC2:TGID_Y_EN: 1
; COMPUTE_PGM_RSRC2:TGID_Z_EN: 1
; COMPUTE_PGM_RSRC2:TIDIG_COMP_CNT: 0
; COMPUTE_PGM_RSRC3_GFX90A:ACCUM_OFFSET: 10
; COMPUTE_PGM_RSRC3_GFX90A:TG_SPLIT: 0
	.section	.text._ZN2at6native12_GLOBAL__N_114gatherKthValueIhlLi1EEEvNS_4cuda6detail10TensorInfoIKT_T0_EES8_S8_S8_S8_NS5_IS6_S8_EENS5_IlS8_EE,"axG",@progbits,_ZN2at6native12_GLOBAL__N_114gatherKthValueIhlLi1EEEvNS_4cuda6detail10TensorInfoIKT_T0_EES8_S8_S8_S8_NS5_IS6_S8_EENS5_IlS8_EE,comdat
	.globl	_ZN2at6native12_GLOBAL__N_114gatherKthValueIhlLi1EEEvNS_4cuda6detail10TensorInfoIKT_T0_EES8_S8_S8_S8_NS5_IS6_S8_EENS5_IlS8_EE ; -- Begin function _ZN2at6native12_GLOBAL__N_114gatherKthValueIhlLi1EEEvNS_4cuda6detail10TensorInfoIKT_T0_EES8_S8_S8_S8_NS5_IS6_S8_EENS5_IlS8_EE
	.p2align	8
	.type	_ZN2at6native12_GLOBAL__N_114gatherKthValueIhlLi1EEEvNS_4cuda6detail10TensorInfoIKT_T0_EES8_S8_S8_S8_NS5_IS6_S8_EENS5_IlS8_EE,@function
_ZN2at6native12_GLOBAL__N_114gatherKthValueIhlLi1EEEvNS_4cuda6detail10TensorInfoIKT_T0_EES8_S8_S8_S8_NS5_IS6_S8_EENS5_IlS8_EE: ; @_ZN2at6native12_GLOBAL__N_114gatherKthValueIhlLi1EEEvNS_4cuda6detail10TensorInfoIKT_T0_EES8_S8_S8_S8_NS5_IS6_S8_EENS5_IlS8_EE
; %bb.0:
	s_load_dwordx8 s[52:59], s[4:5], 0x1a0
	s_load_dwordx2 s[10:11], s[4:5], 0x500
	s_add_u32 s0, s4, 0x500
	s_addc_u32 s1, s5, 0
	s_mov_b32 s15, 0
	s_waitcnt lgkmcnt(0)
	v_mov_b32_e32 v2, s56
	s_mul_i32 s2, s11, s8
	s_add_i32 s2, s2, s7
	s_mul_i32 s2, s2, s10
	v_mov_b32_e32 v3, s57
	s_add_i32 s14, s2, s6
	v_cmp_ge_i64_e32 vcc, s[14:15], v[2:3]
	s_cbranch_vccnz .LBB4_271
; %bb.1:
	s_load_dwordx2 s[2:3], s[4:5], 0x430
                                        ; implicit-def: $vgpr48 : SGPR spill to VGPR lane
	v_cmp_eq_u32_e64 s[12:13], 0, v0
	s_waitcnt lgkmcnt(0)
	v_writelane_b32 v48, s2, 0
	v_writelane_b32 v48, s3, 1
	s_load_dwordx2 s[2:3], s[4:5], 0x360
	s_waitcnt lgkmcnt(0)
	v_writelane_b32 v48, s2, 2
	v_writelane_b32 v48, s3, 3
	s_load_dwordx2 s[2:3], s[4:5], 0x290
	;; [unrolled: 4-line block ×4, first 2 shown]
	s_load_dwordx2 s[2:3], s[4:5], 0x0
	s_mov_b64 s[4:5], exec
	v_writelane_b32 v48, s12, 8
	v_writelane_b32 v48, s13, 9
	s_and_b64 s[12:13], s[4:5], s[12:13]
	s_mov_b64 exec, s[12:13]
	s_cbranch_execz .LBB4_3
; %bb.2:
	v_mov_b32_e32 v2, 0
	v_mov_b32_e32 v4, s52
	;; [unrolled: 1-line block ×4, first 2 shown]
	ds_write_b32 v2, v2 offset:5136
	ds_write_b128 v2, v[2:5] offset:5120
.LBB4_3:
	s_or_b64 exec, exec, s[4:5]
	s_waitcnt lgkmcnt(0)
	s_mul_i32 s4, s9, s14
	s_mul_hi_u32 s5, s8, s14
	s_add_i32 s5, s5, s4
	s_mov_b32 s4, s14
	v_writelane_b32 v48, s4, 10
	v_writelane_b32 v48, s5, 11
	s_mul_i32 s4, s8, s14
	v_mbcnt_lo_u32_b32 v1, -1, 0
	s_add_u32 s68, s2, s4
	v_mbcnt_hi_u32_b32 v32, -1, v1
	s_addc_u32 s69, s3, s5
	v_cmp_gt_u32_e32 vcc, 64, v0
	v_cmp_gt_i32_e64 s[2:3], 4, v32
	s_and_b64 s[48:49], vcc, s[2:3]
	v_cmp_gt_u32_e64 s[2:3], 2, v0
	v_mov_b32_e32 v2, 0xc00
	v_writelane_b32 v48, s2, 12
	v_mov_b32_e32 v3, 0
	v_writelane_b32 v48, s3, 13
	v_cmp_gt_i64_e64 s[2:3], s[52:53], v[2:3]
	v_writelane_b32 v48, s2, 14
	v_pk_mov_b32 v[4:5], s[68:69], s[68:69] op_sel:[0,1]
	v_writelane_b32 v48, s3, 15
	v_mad_u64_u32 v[2:3], s[2:3], v0, s58, 0
	v_mad_u64_u32 v[10:11], s[2:3], v0, s58, v[4:5]
	s_barrier
	s_load_dword s2, s[0:1], 0xc
	v_lshrrev_b32_e32 v4, 4, v0
	v_and_b32_e32 v33, 60, v4
	v_lshlrev_b32_e32 v4, 2, v32
	v_lshlrev_b32_e32 v14, 2, v0
	s_waitcnt lgkmcnt(0)
	s_and_b32 s33, s2, 0xffff
	s_bfe_u32 s7, s2, 0xa0006
	v_cmp_gt_u16_e64 s[2:3], s2, 63
	v_writelane_b32 v48, s2, 16
	v_writelane_b32 v48, s3, 17
	s_add_u32 s2, s33, -1
	s_addc_u32 s3, 0, -1
	v_writelane_b32 v48, s2, 18
	s_add_u32 s2, s2, s52
	s_addc_u32 s77, s3, s53
	s_cmp_lt_u32 s6, s10
	v_writelane_b32 v48, s2, 19
	s_cselect_b32 s2, 12, 18
	s_add_u32 s50, s0, s2
	s_addc_u32 s51, s1, 0
	s_add_i32 s0, s7, -1
	s_bfe_u32 s1, s33, 0x30006
	s_cmp_gt_u32 s0, 6
	v_writelane_b32 v48, s3, 20
	s_cselect_b64 s[8:9], -1, 0
	v_writelane_b32 v48, s8, 21
	s_and_b32 s2, s7, 0x3f8
	v_writelane_b32 v48, s9, 22
	s_cmp_lg_u32 s1, 0
	v_and_b32_e32 v34, 0x100, v4
	v_lshlrev_b64 v[4:5], v32, -1
	v_writelane_b32 v48, s1, 23
	s_cselect_b64 s[0:1], -1, 0
	v_not_b32_e32 v17, v5
	v_writelane_b32 v48, s0, 24
	v_or_b32_e32 v5, 3, v14
	v_writelane_b32 v48, s1, 25
	v_mad_u64_u32 v[18:19], s[0:1], s58, v5, 0
	v_not_b32_e32 v16, v4
	v_mov_b32_e32 v4, v19
	v_mad_u64_u32 v[4:5], s[0:1], s59, v5, v[4:5]
	s_lshl_b64 s[0:1], s[58:59], 2
	v_writelane_b32 v48, s0, 26
	v_or_b32_e32 v5, 2, v14
	v_writelane_b32 v48, s1, 27
	v_mad_u64_u32 v[20:21], s[0:1], s58, v5, 0
	v_mov_b32_e32 v19, v4
	v_mov_b32_e32 v4, v21
	v_mad_u64_u32 v[4:5], s[0:1], s59, v5, v[4:5]
	v_mov_b32_e32 v21, v4
	v_pk_mov_b32 v[4:5], s[58:59], s[58:59] op_sel:[0,1]
	v_mul_lo_u32 v6, v0, s59
	v_mad_u64_u32 v[22:23], s[0:1], s58, v14, v[4:5]
	v_writelane_b32 v48, s68, 28
	v_add_u32_e32 v3, v3, v6
	v_mov_b32_e32 v4, v23
	v_writelane_b32 v48, s69, 29
	v_mov_b32_e32 v13, 0
	v_mad_u64_u32 v[4:5], s[0:1], s59, v14, v[4:5]
	v_lshlrev_b64 v[24:25], 2, v[2:3]
	v_mov_b32_e32 v2, s53
	v_add_co_u32_e32 v35, vcc, s52, v0
	v_writelane_b32 v48, s48, 30
	s_mov_b32 s71, 0
	v_mov_b32_e32 v1, v13
	v_addc_co_u32_e32 v36, vcc, 0, v2, vcc
	v_mov_b32_e32 v2, 0xc00
	s_mul_i32 s0, s59, s33
	s_mul_hi_u32 s1, s58, s33
	v_writelane_b32 v48, s49, 31
	v_cmp_eq_u32_e64 s[4:5], 0, v32
	v_add_u32_e32 v11, v6, v11
	v_cmp_gt_i64_e64 s[78:79], s[52:53], v[0:1]
	v_mov_b32_e32 v15, v13
	s_mov_b32 s26, s71
	s_mov_b32 s3, 6
	v_mov_b32_e32 v23, v4
	v_lshl_or_b32 v37, v32, 3, v2
	s_add_i32 s27, s1, s0
	s_mul_i32 s84, s58, s33
	s_mov_b64 s[86:87], 0
	v_cvt_f32_ubyte0_e32 v38, 0
	v_mov_b32_e32 v39, 0
	s_mov_b32 s85, 0
	s_mov_b32 s73, 0
	;; [unrolled: 1-line block ×3, first 2 shown]
	v_writelane_b32 v48, s50, 32
                                        ; implicit-def: $sgpr90_sgpr91
                                        ; implicit-def: $sgpr94_sgpr95
                                        ; implicit-def: $sgpr92_sgpr93
                                        ; implicit-def: $sgpr60_sgpr61
                                        ; implicit-def: $sgpr62_sgpr63
                                        ; implicit-def: $sgpr64_sgpr65
	v_writelane_b32 v48, s51, 33
	s_branch .LBB4_8
.LBB4_4:                                ;   in Loop: Header=BB4_8 Depth=1
	s_xor_b32 s85, s85, 1
	s_add_i32 s12, s3, -2
	s_cmp_eq_u32 s3, 0
	s_mov_b64 s[6:7], 0
	s_cselect_b64 s[8:9], -1, 0
	s_mov_b32 s3, s12
.LBB4_5:                                ;   in Loop: Header=BB4_8 Depth=1
	s_andn2_b64 s[12:13], s[18:19], exec
	s_and_b64 s[6:7], s[6:7], exec
	s_or_b64 s[18:19], s[12:13], s[6:7]
	s_andn2_b64 s[20:21], s[20:21], exec
	s_andn2_b64 s[16:17], s[16:17], exec
	s_orn2_b64 s[12:13], s[8:9], exec
.LBB4_6:                                ;   in Loop: Header=BB4_8 Depth=1
	s_or_b64 exec, exec, s[0:1]
	s_andn2_b64 s[0:1], s[64:65], exec
	s_and_b64 s[6:7], s[18:19], exec
	s_or_b64 s[64:65], s[0:1], s[6:7]
	s_andn2_b64 s[0:1], s[62:63], exec
	s_and_b64 s[6:7], s[20:21], exec
	s_or_b64 s[62:63], s[0:1], s[6:7]
	;; [unrolled: 3-line block ×3, first 2 shown]
	s_orn2_b64 s[16:17], s[12:13], exec
.LBB4_7:                                ;   in Loop: Header=BB4_8 Depth=1
	s_or_b64 exec, exec, s[10:11]
	s_and_b64 s[0:1], exec, s[16:17]
	s_or_b64 s[86:87], s[0:1], s[86:87]
	s_andn2_b64 s[0:1], s[92:93], exec
	s_and_b64 s[6:7], s[64:65], exec
	s_or_b64 s[92:93], s[0:1], s[6:7]
	s_andn2_b64 s[0:1], s[94:95], exec
	s_and_b64 s[6:7], s[62:63], exec
	;; [unrolled: 3-line block ×3, first 2 shown]
	v_mov_b32_e32 v2, s73
	s_or_b64 s[90:91], s[0:1], s[6:7]
	s_andn2_b64 exec, exec, s[86:87]
	s_cbranch_execz .LBB4_267
.LBB4_8:                                ; =>This Loop Header: Depth=1
                                        ;     Child Loop BB4_13 Depth 2
                                        ;     Child Loop BB4_32 Depth 2
	;; [unrolled: 1-line block ×16, first 2 shown]
	ds_read_b128 v[2:5], v13 offset:5120
	s_waitcnt lgkmcnt(0)
	v_readfirstlane_b32 s67, v3
	v_readfirstlane_b32 s66, v2
	v_cmp_gt_i64_e64 s[0:1], s[66:67], 0
	s_and_b64 vcc, exec, s[0:1]
	s_cbranch_vccnz .LBB4_39
; %bb.9:                                ;   in Loop: Header=BB4_8 Depth=1
	v_readlane_b32 s0, v48, 14
	v_readlane_b32 s1, v48, 15
	s_and_b64 vcc, exec, s[0:1]
	s_cbranch_vccz .LBB4_21
; %bb.10:                               ;   in Loop: Header=BB4_8 Depth=1
	s_mov_b64 s[0:1], 0xc01
	v_cmp_gt_i64_e32 vcc, s[0:1], v[4:5]
	s_mov_b64 s[0:1], 0
	s_mov_b64 s[6:7], 0
	s_cbranch_vccz .LBB4_26
; %bb.11:                               ;   in Loop: Header=BB4_8 Depth=1
	global_load_ushort v6, v13, s[50:51]
	global_load_ubyte v7, v[10:11], off
	v_pk_mov_b32 v[2:3], s[68:69], s[68:69] op_sel:[0,1]
	s_mov_b64 s[8:9], 0
	s_waitcnt vmcnt(1)
	v_readfirstlane_b32 s6, v6
	s_and_b32 s6, 0xffff, s6
	v_add_u32_e32 v5, s6, v0
	s_mul_i32 s10, s59, s6
	s_mul_hi_u32 s11, s58, s6
	s_mul_i32 s18, s58, s6
	v_mad_u64_u32 v[2:3], s[6:7], s58, v5, v[2:3]
	v_mov_b32_e32 v4, v3
	v_mad_u64_u32 v[4:5], s[6:7], s59, v5, v[4:5]
	s_add_i32 s19, s11, s10
	v_mov_b32_e32 v3, v4
	v_pk_mov_b32 v[4:5], v[0:1], v[0:1] op_sel:[0,1]
	s_branch .LBB4_13
.LBB4_12:                               ;   in Loop: Header=BB4_13 Depth=2
	s_or_b64 exec, exec, s[6:7]
	v_mov_b32_e32 v7, s19
	v_add_co_u32_e32 v2, vcc, s18, v2
	v_addc_co_u32_e32 v3, vcc, v3, v7, vcc
	v_mov_b32_e32 v7, v8
	s_andn2_b64 exec, exec, s[8:9]
	s_cbranch_execz .LBB4_22
.LBB4_13:                               ;   Parent Loop BB4_8 Depth=1
                                        ; =>  This Inner Loop Header: Depth=2
	v_add_co_u32_sdwa v4, vcc, v4, v6 dst_sel:DWORD dst_unused:UNUSED_PAD src0_sel:DWORD src1_sel:WORD_0
	v_addc_co_u32_e32 v5, vcc, 0, v5, vcc
	v_cmp_gt_i64_e64 s[6:7], s[52:53], v[4:5]
	v_cmp_le_i64_e32 vcc, s[52:53], v[4:5]
	s_waitcnt lgkmcnt(0)
	v_mov_b32_e32 v9, 0
	v_mov_b32_e32 v8, 0
	s_and_saveexec_b64 s[10:11], s[6:7]
	s_cbranch_execz .LBB4_15
; %bb.14:                               ;   in Loop: Header=BB4_13 Depth=2
	global_load_ubyte v8, v[2:3], off
.LBB4_15:                               ;   in Loop: Header=BB4_13 Depth=2
	s_or_b64 exec, exec, s[10:11]
	s_waitcnt vmcnt(0)
	v_and_b32_e32 v12, s72, v7
	v_cmp_eq_u32_sdwa s[10:11], v12, s73 src0_sel:BYTE_0 src1_sel:DWORD
	s_cmp_lg_u64 s[10:11], 0
	s_cselect_b64 s[6:7], -1, 0
	s_and_b64 s[6:7], s[4:5], s[6:7]
	s_and_saveexec_b64 s[12:13], s[6:7]
	s_cbranch_execz .LBB4_19
; %bb.16:                               ;   in Loop: Header=BB4_13 Depth=2
	s_mov_b64 s[16:17], exec
	v_mbcnt_lo_u32_b32 v9, s16, 0
	v_mbcnt_hi_u32_b32 v9, s17, v9
	s_bcnt1_i32_b64 s20, s[10:11]
	v_cmp_eq_u32_e64 s[6:7], 0, v9
                                        ; implicit-def: $vgpr12
	s_and_saveexec_b64 s[14:15], s[6:7]
	s_cbranch_execz .LBB4_18
; %bb.17:                               ;   in Loop: Header=BB4_13 Depth=2
	s_bcnt1_i32_b64 s6, s[16:17]
	s_mul_i32 s6, s20, s6
	v_mov_b32_e32 v12, s6
	ds_add_rtn_u32 v12, v13, v12 offset:5136
.LBB4_18:                               ;   in Loop: Header=BB4_13 Depth=2
	s_or_b64 exec, exec, s[14:15]
	s_waitcnt lgkmcnt(0)
	v_readfirstlane_b32 s6, v12
	v_mov_b32_e32 v12, s6
	v_mad_u32_u24 v9, s20, v9, v12
.LBB4_19:                               ;   in Loop: Header=BB4_13 Depth=2
	s_or_b64 exec, exec, s[12:13]
	ds_bpermute_b32 v9, v34, v9
	s_and_b64 s[6:7], exec, vcc
	s_or_b64 s[8:9], s[6:7], s[8:9]
	s_and_saveexec_b64 s[6:7], s[10:11]
	s_cbranch_execz .LBB4_12
; %bb.20:                               ;   in Loop: Header=BB4_13 Depth=2
	v_and_b32_e32 v26, s10, v16
	v_and_b32_e32 v12, s11, v17
	v_bcnt_u32_b32 v26, v26, 0
	v_bcnt_u32_b32 v12, v12, v26
	s_waitcnt lgkmcnt(0)
	v_add_u32_e32 v9, v9, v12
	ds_write_b8 v9, v7
	s_branch .LBB4_12
.LBB4_21:                               ;   in Loop: Header=BB4_8 Depth=1
	s_mov_b64 s[0:1], -1
	s_mov_b64 s[6:7], 0
	s_branch .LBB4_25
.LBB4_22:                               ;   in Loop: Header=BB4_8 Depth=1
	s_or_b64 exec, exec, s[8:9]
	s_waitcnt lgkmcnt(0)
	s_barrier
	s_mov_b64 s[6:7], exec
	v_readlane_b32 s8, v48, 8
	v_readlane_b32 s9, v48, 9
	s_and_b64 s[8:9], s[6:7], s[8:9]
	s_mov_b64 exec, s[8:9]
	s_cbranch_execz .LBB4_24
; %bb.23:                               ;   in Loop: Header=BB4_8 Depth=1
	ds_read_b32 v2, v13 offset:5136
	s_waitcnt lgkmcnt(0)
	v_ashrrev_i32_e32 v3, 31, v2
	ds_write_b64 v13, v[2:3] offset:5120
.LBB4_24:                               ;   in Loop: Header=BB4_8 Depth=1
	s_or_b64 exec, exec, s[6:7]
	s_waitcnt lgkmcnt(0)
	s_barrier
	s_mov_b64 s[6:7], -1
.LBB4_25:                               ;   in Loop: Header=BB4_8 Depth=1
                                        ; implicit-def: $sgpr66_sgpr67
.LBB4_26:                               ;   in Loop: Header=BB4_8 Depth=1
	s_and_b64 vcc, exec, s[0:1]
	s_cbranch_vccz .LBB4_37
; %bb.27:                               ;   in Loop: Header=BB4_8 Depth=1
	v_mov_b32_e32 v6, 0
	s_and_saveexec_b64 s[0:1], s[78:79]
	s_cbranch_execz .LBB4_29
; %bb.28:                               ;   in Loop: Header=BB4_8 Depth=1
	global_load_ubyte v6, v[10:11], off
.LBB4_29:                               ;   in Loop: Header=BB4_8 Depth=1
	s_or_b64 exec, exec, s[0:1]
	s_and_saveexec_b64 s[0:1], s[78:79]
	s_cbranch_execz .LBB4_34
; %bb.30:                               ;   in Loop: Header=BB4_8 Depth=1
	global_load_ushort v7, v13, s[50:51]
	v_pk_mov_b32 v[2:3], s[68:69], s[68:69] op_sel:[0,1]
	s_mov_b64 s[8:9], 0
	v_mov_b32_e32 v8, v0
	s_waitcnt vmcnt(0)
	v_readfirstlane_b32 s6, v7
	s_and_b32 s12, 0xffff, s6
	v_add_u32_e32 v5, s12, v0
	v_mad_u64_u32 v[2:3], s[6:7], s58, v5, v[2:3]
	v_mov_b32_e32 v4, v3
	s_mul_i32 s10, s59, s12
	s_mul_hi_u32 s11, s58, s12
	v_mad_u64_u32 v[4:5], s[6:7], s59, v5, v[4:5]
	s_mul_i32 s13, s58, s12
	s_add_i32 s14, s11, s10
	v_mov_b32_e32 v3, v4
	v_pk_mov_b32 v[4:5], v[0:1], v[0:1] op_sel:[0,1]
	s_branch .LBB4_32
.LBB4_31:                               ;   in Loop: Header=BB4_32 Depth=2
	s_or_b64 exec, exec, s[10:11]
	s_and_b64 s[6:7], exec, vcc
	ds_write_b8 v8, v6
	v_mov_b32_e32 v6, s14
	v_add_co_u32_e32 v2, vcc, s13, v2
	s_or_b64 s[8:9], s[6:7], s[8:9]
	v_add_u32_e32 v8, s12, v8
	v_addc_co_u32_e32 v3, vcc, v3, v6, vcc
	s_waitcnt vmcnt(0)
	v_mov_b32_e32 v6, v9
	s_andn2_b64 exec, exec, s[8:9]
	s_cbranch_execz .LBB4_34
.LBB4_32:                               ;   Parent Loop BB4_8 Depth=1
                                        ; =>  This Inner Loop Header: Depth=2
	v_add_co_u32_sdwa v4, vcc, v4, v7 dst_sel:DWORD dst_unused:UNUSED_PAD src0_sel:DWORD src1_sel:WORD_0
	v_addc_co_u32_e32 v5, vcc, 0, v5, vcc
	v_cmp_gt_i64_e64 s[6:7], s[52:53], v[4:5]
	v_cmp_le_i64_e32 vcc, s[52:53], v[4:5]
	v_mov_b32_e32 v9, 0
	s_and_saveexec_b64 s[10:11], s[6:7]
	s_cbranch_execz .LBB4_31
; %bb.33:                               ;   in Loop: Header=BB4_32 Depth=2
	global_load_ubyte v9, v[2:3], off
	s_branch .LBB4_31
.LBB4_34:                               ;   in Loop: Header=BB4_8 Depth=1
	s_or_b64 exec, exec, s[0:1]
	s_waitcnt lgkmcnt(0)
	s_barrier
	s_mov_b64 s[0:1], exec
	v_readlane_b32 s6, v48, 8
	v_readlane_b32 s7, v48, 9
	s_and_b64 s[6:7], s[0:1], s[6:7]
	s_mov_b64 exec, s[6:7]
	s_cbranch_execz .LBB4_36
; %bb.35:                               ;   in Loop: Header=BB4_8 Depth=1
	v_pk_mov_b32 v[2:3], s[52:53], s[52:53] op_sel:[0,1]
	ds_write_b64 v13, v[2:3] offset:5120
.LBB4_36:                               ;   in Loop: Header=BB4_8 Depth=1
	s_or_b64 exec, exec, s[0:1]
	s_mov_b64 s[6:7], -1
	s_waitcnt lgkmcnt(0)
	s_barrier
                                        ; implicit-def: $sgpr66_sgpr67
.LBB4_37:                               ;   in Loop: Header=BB4_8 Depth=1
	s_and_b64 vcc, exec, s[6:7]
	s_cbranch_vccz .LBB4_39
; %bb.38:                               ;   in Loop: Header=BB4_8 Depth=1
	ds_read_b64 v[2:3], v13 offset:5120
	s_waitcnt lgkmcnt(0)
	v_readfirstlane_b32 s66, v2
.LBB4_39:                               ;   in Loop: Header=BB4_8 Depth=1
	s_cmp_lt_i32 s66, 1
	s_cbranch_scc0 .LBB4_54
; %bb.40:                               ;   in Loop: Header=BB4_8 Depth=1
	global_load_ushort v2, v13, s[50:51]
	s_mov_b32 s0, s71
	s_waitcnt vmcnt(0)
	v_readfirstlane_b32 s1, v2
	s_and_b32 s67, s1, 0xffff
	s_lshl_b32 s70, s67, 2
	s_mov_b32 s1, s53
	s_cmp_lg_u64 s[0:1], 0
	s_cbranch_scc0 .LBB4_74
; %bb.41:                               ;   in Loop: Header=BB4_8 Depth=1
	v_cvt_f32_u32_e32 v2, s70
	s_sub_u32 s0, 0, s70
	s_subb_u32 s1, 0, 0
	v_mac_f32_e32 v2, 0x4f800000, v38
	v_rcp_f32_e32 v2, v2
	v_mul_f32_e32 v2, 0x5f7ffffc, v2
	v_mul_f32_e32 v3, 0x2f800000, v2
	v_trunc_f32_e32 v3, v3
	v_mac_f32_e32 v2, 0xcf800000, v3
	v_cvt_u32_f32_e32 v3, v3
	v_cvt_u32_f32_e32 v2, v2
	v_readfirstlane_b32 s6, v3
	v_readfirstlane_b32 s7, v2
	s_mul_i32 s8, s0, s6
	s_mul_hi_u32 s10, s0, s7
	s_mul_i32 s9, s1, s7
	s_add_i32 s8, s10, s8
	s_mul_i32 s11, s0, s7
	s_add_i32 s8, s8, s9
	s_mul_hi_u32 s10, s7, s11
	s_mul_hi_u32 s9, s7, s8
	s_mul_i32 s7, s7, s8
	s_add_u32 s7, s10, s7
	s_addc_u32 s9, 0, s9
	s_mul_hi_u32 s12, s6, s11
	s_mul_i32 s11, s6, s11
	s_add_u32 s7, s7, s11
	s_mul_hi_u32 s10, s6, s8
	s_addc_u32 s7, s9, s12
	s_addc_u32 s9, s10, 0
	s_mul_i32 s8, s6, s8
	s_add_u32 s7, s7, s8
	s_addc_u32 s8, 0, s9
	v_add_co_u32_e32 v2, vcc, s7, v2
	s_cmp_lg_u64 vcc, 0
	s_addc_u32 s6, s6, s8
	v_readfirstlane_b32 s8, v2
	s_mul_i32 s7, s0, s6
	s_mul_hi_u32 s9, s0, s8
	s_add_i32 s7, s9, s7
	s_mul_i32 s1, s1, s8
	s_add_i32 s7, s7, s1
	s_mul_i32 s0, s0, s8
	s_mul_hi_u32 s9, s6, s0
	s_mul_i32 s10, s6, s0
	s_mul_i32 s12, s8, s7
	s_mul_hi_u32 s0, s8, s0
	s_mul_hi_u32 s11, s8, s7
	s_add_u32 s0, s0, s12
	s_addc_u32 s8, 0, s11
	s_add_u32 s0, s0, s10
	s_mul_hi_u32 s1, s6, s7
	s_addc_u32 s0, s8, s9
	s_addc_u32 s1, s1, 0
	s_mul_i32 s7, s6, s7
	s_add_u32 s0, s0, s7
	s_addc_u32 s1, 0, s1
	v_add_co_u32_e32 v2, vcc, s0, v2
	s_cmp_lg_u64 vcc, 0
	s_addc_u32 s8, s6, s1
	s_ashr_i32 s0, s53, 31
	s_add_u32 s6, s52, s0
	s_mov_b32 s1, s0
	s_addc_u32 s7, s53, s0
	s_xor_b64 s[6:7], s[6:7], s[0:1]
	v_readfirstlane_b32 s10, v2
	s_mul_i32 s9, s6, s8
	s_mul_hi_u32 s11, s6, s10
	s_mul_hi_u32 s1, s6, s8
	s_add_u32 s9, s11, s9
	s_addc_u32 s1, 0, s1
	s_mul_hi_u32 s12, s7, s10
	s_mul_i32 s10, s7, s10
	s_add_u32 s9, s9, s10
	s_mul_hi_u32 s11, s7, s8
	s_addc_u32 s1, s1, s12
	s_addc_u32 s9, s11, 0
	s_mul_i32 s8, s7, s8
	s_add_u32 s1, s1, s8
	s_addc_u32 s8, 0, s9
	s_mul_hi_u32 s9, s70, s1
	s_mul_i32 s1, s70, s1
	s_mul_i32 s8, s70, s8
	v_mov_b32_e32 v2, s1
	s_add_i32 s9, s9, s8
	v_sub_co_u32_e32 v2, vcc, s6, v2
	s_cmp_lg_u64 vcc, 0
	s_subb_u32 s1, s7, s9
	v_subrev_co_u32_e32 v3, vcc, s70, v2
	s_cmp_lg_u64 vcc, 0
	s_subb_u32 s6, s1, 0
	v_subrev_co_u32_e32 v4, vcc, s70, v3
	s_cmp_lg_u64 vcc, 0
	s_subb_u32 s7, s6, 0
	v_cmp_le_u32_e32 vcc, s70, v3
	s_cmp_eq_u32 s6, 0
	v_cndmask_b32_e64 v5, 0, -1, vcc
	s_cselect_b64 vcc, -1, 0
	v_cndmask_b32_e32 v5, -1, v5, vcc
	v_mov_b32_e32 v6, s6
	v_mov_b32_e32 v7, s7
	v_cmp_ne_u32_e32 vcc, 0, v5
	v_cndmask_b32_e32 v5, v6, v7, vcc
	v_cndmask_b32_e32 v3, v3, v4, vcc
	v_cmp_le_u32_e32 vcc, s70, v2
	s_cmp_eq_u32 s1, 0
	v_cndmask_b32_e64 v4, 0, -1, vcc
	s_cselect_b64 vcc, -1, 0
	v_cndmask_b32_e32 v4, -1, v4, vcc
	v_cmp_ne_u32_e32 vcc, 0, v4
	v_mov_b32_e32 v6, s1
	v_cndmask_b32_e32 v2, v2, v3, vcc
	v_cndmask_b32_e32 v4, v6, v5, vcc
	v_xor_b32_e32 v2, s0, v2
	v_xor_b32_e32 v3, s0, v4
	v_mov_b32_e32 v4, s0
	v_subrev_co_u32_e32 v26, vcc, s0, v2
	v_subb_co_u32_e32 v27, vcc, v3, v4, vcc
	s_cbranch_execnz .LBB4_43
.LBB4_42:                               ;   in Loop: Header=BB4_8 Depth=1
	v_cvt_f32_u32_e32 v2, s70
	s_sub_i32 s0, 0, s70
	v_rcp_iflag_f32_e32 v2, v2
	v_mul_f32_e32 v2, 0x4f7ffffe, v2
	v_cvt_u32_f32_e32 v2, v2
	v_mul_lo_u32 v3, s0, v2
	v_mul_hi_u32 v3, v2, v3
	v_add_u32_e32 v2, v2, v3
	v_mul_hi_u32 v2, s52, v2
	v_mul_lo_u32 v2, v2, s70
	v_sub_u32_e32 v2, s52, v2
	v_subrev_u32_e32 v3, s70, v2
	v_cmp_le_u32_e32 vcc, s70, v2
	v_cndmask_b32_e32 v2, v2, v3, vcc
	v_subrev_u32_e32 v3, s70, v2
	v_cmp_le_u32_e32 vcc, s70, v2
	v_cndmask_b32_e32 v12, v2, v3, vcc
	v_pk_mov_b32 v[26:27], v[12:13], v[12:13] op_sel:[0,1]
.LBB4_43:                               ;   in Loop: Header=BB4_8 Depth=1
	v_mov_b32_e32 v2, s53
	v_sub_co_u32_e32 v28, vcc, s52, v26
	v_subb_co_u32_e32 v29, vcc, v2, v27, vcc
	v_pk_mov_b32 v[2:3], 0, 0
	v_cmp_gt_i64_e32 vcc, v[28:29], v[14:15]
	s_mov_b64 s[80:81], 0
	v_pk_mov_b32 v[4:5], v[2:3], v[2:3] op_sel:[0,1]
	v_pk_mov_b32 v[6:7], v[2:3], v[2:3] op_sel:[0,1]
	;; [unrolled: 1-line block ×3, first 2 shown]
	s_and_saveexec_b64 s[88:89], vcc
	s_cbranch_execz .LBB4_47
; %bb.44:                               ;   in Loop: Header=BB4_8 Depth=1
	v_readlane_b32 s6, v48, 26
	v_readlane_b32 s7, v48, 27
	s_mul_i32 s0, s7, s67
	s_mul_hi_u32 s1, s6, s67
	s_and_b32 s76, s3, 0xfe
	s_add_i32 s82, s1, s0
	s_mul_i32 s83, s6, s67
	s_mov_b64 s[56:57], 0
	s_mov_b64 s[0:1], 0
	;; [unrolled: 1-line block ×4, first 2 shown]
	v_pk_mov_b32 v[30:31], v[14:15], v[14:15] op_sel:[0,1]
.LBB4_45:                               ;   Parent Loop BB4_8 Depth=1
                                        ; =>  This Inner Loop Header: Depth=2
	v_add_co_u32_e64 v30, s[6:7], s70, v30
	v_addc_co_u32_e64 v31, s[6:7], 0, v31, s[6:7]
	v_mov_b32_e32 v7, s69
	v_add_co_u32_e32 v2, vcc, s68, v22
	v_add_co_u32_e64 v8, s[6:7], s68, v24
	v_add_co_u32_e64 v4, s[10:11], s68, v20
	;; [unrolled: 1-line block ×3, first 2 shown]
	v_addc_co_u32_e64 v9, s[6:7], v7, v25, s[6:7]
	v_addc_co_u32_e32 v3, vcc, v7, v23, vcc
	v_addc_co_u32_e64 v5, vcc, v7, v21, s[10:11]
	v_addc_co_u32_e64 v7, vcc, v7, v19, s[12:13]
	global_load_ubyte v8, v[8:9], off
	s_nop 0
	global_load_ubyte v2, v[2:3], off
	s_nop 0
	;; [unrolled: 2-line block ×3, first 2 shown]
	global_load_ubyte v4, v[6:7], off
	v_cmp_ge_i64_e32 vcc, v[30:31], v[28:29]
	s_waitcnt vmcnt(3)
	v_and_b32_e32 v5, s72, v8
	v_bfe_u32 v8, v8, s76, 2
	s_waitcnt vmcnt(2)
	v_and_b32_e32 v6, s72, v2
	v_bfe_u32 v2, v2, s76, 2
	v_cmp_eq_u32_e64 s[16:17], s73, v5
	v_cmp_eq_u32_e64 s[6:7], 0, v8
	s_waitcnt vmcnt(1)
	v_and_b32_e32 v7, s72, v3
	v_bfe_u32 v3, v3, s76, 2
	v_cmp_eq_u32_e64 s[14:15], s73, v6
	v_cmp_eq_u32_e64 s[28:29], 0, v2
	s_and_b64 s[6:7], s[16:17], s[6:7]
	s_waitcnt vmcnt(0)
	v_and_b32_e32 v9, s72, v4
	v_bfe_u32 v4, v4, s76, 2
	v_cmp_eq_u32_e64 s[12:13], s73, v7
	v_cmp_eq_u32_e64 s[30:31], 0, v3
	;; [unrolled: 1-line block ×5, first 2 shown]
	v_cndmask_b32_e64 v2, 0, 1, s[6:7]
	s_and_b64 s[6:7], s[14:15], s[28:29]
	v_cmp_eq_u32_e64 s[10:11], s73, v9
	v_cmp_eq_u32_e64 s[34:35], 0, v4
	;; [unrolled: 1-line block ×5, first 2 shown]
	v_cndmask_b32_e64 v3, 0, 1, s[6:7]
	s_and_b64 s[6:7], s[12:13], s[30:31]
	v_cmp_eq_u32_e64 s[42:43], 1, v4
	v_cmp_eq_u32_e64 s[50:51], 2, v4
	v_cmp_eq_u32_e64 s[18:19], 3, v4
	v_cndmask_b32_e64 v4, 0, 1, s[6:7]
	s_and_b64 s[6:7], s[10:11], s[34:35]
	v_cndmask_b32_e64 v5, 0, 1, s[6:7]
	v_cmp_ne_u32_e64 s[6:7], 0, v2
	v_cmp_ne_u32_e64 s[28:29], 0, v3
	;; [unrolled: 1-line block ×4, first 2 shown]
	s_bcnt1_i32_b64 s6, s[6:7]
	s_bcnt1_i32_b64 s7, s[28:29]
	;; [unrolled: 1-line block ×4, first 2 shown]
	s_add_u32 s6, s6, s74
	s_addc_u32 s30, 0, s75
	s_add_u32 s6, s6, s7
	s_addc_u32 s7, s30, 0
	;; [unrolled: 2-line block ×3, first 2 shown]
	v_cmp_eq_u32_e64 s[36:37], 1, v8
	s_add_u32 s74, s6, s29
	s_addc_u32 s75, s7, 0
	s_and_b64 s[6:7], s[16:17], s[36:37]
	v_cndmask_b32_e64 v4, 0, 1, s[6:7]
	s_and_b64 s[6:7], s[14:15], s[38:39]
	v_cndmask_b32_e64 v5, 0, 1, s[6:7]
	;; [unrolled: 2-line block ×4, first 2 shown]
	v_cmp_ne_u32_e64 s[6:7], 0, v4
	v_cmp_ne_u32_e64 s[28:29], 0, v5
	;; [unrolled: 1-line block ×4, first 2 shown]
	s_bcnt1_i32_b64 s6, s[6:7]
	s_bcnt1_i32_b64 s7, s[28:29]
	;; [unrolled: 1-line block ×4, first 2 shown]
	s_add_u32 s6, s6, s8
	s_addc_u32 s8, 0, s9
	s_add_u32 s6, s6, s7
	s_addc_u32 s7, s8, 0
	;; [unrolled: 2-line block ×3, first 2 shown]
	v_cmp_eq_u32_e64 s[44:45], 2, v8
	s_add_u32 s8, s6, s29
	s_addc_u32 s9, s7, 0
	s_and_b64 s[6:7], s[16:17], s[44:45]
	v_cndmask_b32_e64 v6, 0, 1, s[6:7]
	s_and_b64 s[6:7], s[14:15], s[46:47]
	v_cndmask_b32_e64 v7, 0, 1, s[6:7]
	s_and_b64 s[6:7], s[12:13], s[48:49]
	v_cmp_eq_u32_e64 s[24:25], 3, v8
	v_cndmask_b32_e64 v8, 0, 1, s[6:7]
	s_and_b64 s[6:7], s[10:11], s[50:51]
	v_cndmask_b32_e64 v9, 0, 1, s[6:7]
	v_cmp_ne_u32_e64 s[6:7], 0, v6
	v_cmp_ne_u32_e64 s[28:29], 0, v7
	;; [unrolled: 1-line block ×4, first 2 shown]
	s_bcnt1_i32_b64 s6, s[6:7]
	s_bcnt1_i32_b64 s7, s[28:29]
	;; [unrolled: 1-line block ×4, first 2 shown]
	s_add_u32 s0, s6, s0
	s_addc_u32 s1, 0, s1
	s_add_u32 s0, s0, s7
	s_addc_u32 s1, s1, 0
	;; [unrolled: 2-line block ×4, first 2 shown]
	s_and_b64 s[6:7], s[16:17], s[24:25]
	v_cndmask_b32_e64 v8, 0, 1, s[6:7]
	s_and_b64 s[6:7], s[14:15], s[22:23]
	v_cndmask_b32_e64 v9, 0, 1, s[6:7]
	;; [unrolled: 2-line block ×4, first 2 shown]
	v_cmp_ne_u32_e64 s[6:7], 0, v8
	v_cmp_ne_u32_e64 s[10:11], 0, v9
	;; [unrolled: 1-line block ×4, first 2 shown]
	s_bcnt1_i32_b64 s6, s[6:7]
	s_bcnt1_i32_b64 s7, s[10:11]
	;; [unrolled: 1-line block ×4, first 2 shown]
	s_add_u32 s6, s6, s56
	s_addc_u32 s12, 0, s57
	s_add_u32 s6, s6, s7
	s_addc_u32 s7, s12, 0
	;; [unrolled: 2-line block ×5, first 2 shown]
	v_pk_mov_b32 v[2:3], s[74:75], s[74:75] op_sel:[0,1]
	v_pk_mov_b32 v[4:5], s[8:9], s[8:9] op_sel:[0,1]
	;; [unrolled: 1-line block ×3, first 2 shown]
	s_or_b64 s[80:81], vcc, s[80:81]
	v_pk_mov_b32 v[8:9], s[56:57], s[56:57] op_sel:[0,1]
	s_andn2_b64 exec, exec, s[80:81]
	s_cbranch_execnz .LBB4_45
; %bb.46:                               ;   in Loop: Header=BB4_8 Depth=1
	s_or_b64 exec, exec, s[80:81]
	v_readlane_b32 s68, v48, 28
	v_readlane_b32 s48, v48, 30
	v_readlane_b32 s50, v48, 32
	v_readlane_b32 s69, v48, 29
	v_readlane_b32 s49, v48, 31
	v_readlane_b32 s51, v48, 33
.LBB4_47:                               ;   in Loop: Header=BB4_8 Depth=1
	s_or_b64 exec, exec, s[88:89]
	v_add_co_u32_e32 v28, vcc, v28, v0
	v_addc_co_u32_e32 v29, vcc, 0, v29, vcc
	v_cmp_gt_i64_e32 vcc, s[52:53], v[28:29]
	v_mov_b32_e32 v12, 0
	s_and_saveexec_b64 s[0:1], vcc
	s_cbranch_execz .LBB4_49
; %bb.48:                               ;   in Loop: Header=BB4_8 Depth=1
	v_pk_mov_b32 v[30:31], s[68:69], s[68:69] op_sel:[0,1]
	v_mad_u64_u32 v[30:31], s[6:7], v28, s58, v[30:31]
	v_mul_lo_u32 v12, v28, s59
	v_mul_lo_u32 v40, v29, s58
	v_add3_u32 v31, v40, v31, v12
	global_load_ubyte v12, v[30:31], off
.LBB4_49:                               ;   in Loop: Header=BB4_8 Depth=1
	s_or_b64 exec, exec, s[0:1]
	s_and_saveexec_b64 s[0:1], vcc
	s_cbranch_execz .LBB4_56
; %bb.50:                               ;   in Loop: Header=BB4_8 Depth=1
	v_mov_b32_e32 v30, s71
	v_add_co_u32_e32 v31, vcc, s67, v35
	v_addc_co_u32_e32 v30, vcc, v36, v30, vcc
	v_sub_co_u32_e32 v31, vcc, v31, v26
	v_subb_co_u32_e32 v26, vcc, v30, v27, vcc
	v_mul_lo_u32 v30, s58, v26
	v_pk_mov_b32 v[26:27], s[68:69], s[68:69] op_sel:[0,1]
	v_mad_u64_u32 v[26:27], s[6:7], s58, v31, v[26:27]
	v_mul_lo_u32 v40, s59, v31
	s_mul_i32 s6, s59, s67
	s_mul_hi_u32 s7, s58, s67
	s_and_b32 s12, s3, 0xfe
	v_add3_u32 v27, v40, v27, v30
	s_add_i32 s13, s7, s6
	s_mul_i32 s14, s58, s67
	s_mov_b64 s[8:9], 0
	s_branch .LBB4_52
.LBB4_51:                               ;   in Loop: Header=BB4_52 Depth=2
	s_or_b64 exec, exec, s[10:11]
	s_waitcnt vmcnt(0)
	v_and_b32_e32 v12, 0xff, v12
	s_and_b64 s[6:7], exec, vcc
	v_and_b32_e32 v31, s72, v12
	v_bfe_u32 v12, v12, s12, 2
	s_or_b64 s[8:9], s[6:7], s[8:9]
	v_cmp_eq_u32_e32 vcc, s73, v31
	v_cmp_eq_u32_e64 s[6:7], 0, v12
	s_and_b64 s[6:7], vcc, s[6:7]
	v_cndmask_b32_e64 v31, 0, 1, s[6:7]
	v_cmp_ne_u32_e64 s[6:7], 0, v31
	s_bcnt1_i32_b64 s6, s[6:7]
	v_add_co_u32_e64 v2, s[6:7], s6, v2
	v_addc_co_u32_e64 v3, s[6:7], 0, v3, s[6:7]
	v_cmp_eq_u32_e64 s[6:7], 1, v12
	s_and_b64 s[6:7], vcc, s[6:7]
	v_cndmask_b32_e64 v31, 0, 1, s[6:7]
	v_cmp_ne_u32_e64 s[6:7], 0, v31
	s_bcnt1_i32_b64 s6, s[6:7]
	v_add_co_u32_e64 v4, s[6:7], s6, v4
	v_addc_co_u32_e64 v5, s[6:7], 0, v5, s[6:7]
	;; [unrolled: 7-line block ×3, first 2 shown]
	v_cmp_eq_u32_e64 s[6:7], 3, v12
	s_and_b64 s[6:7], vcc, s[6:7]
	v_cndmask_b32_e64 v12, 0, 1, s[6:7]
	v_cmp_ne_u32_e32 vcc, 0, v12
	s_bcnt1_i32_b64 s6, vcc
	v_add_co_u32_e32 v8, vcc, s6, v8
	v_addc_co_u32_e32 v9, vcc, 0, v9, vcc
	v_mov_b32_e32 v12, s13
	v_add_co_u32_e32 v26, vcc, s14, v26
	v_addc_co_u32_e32 v27, vcc, v27, v12, vcc
	v_mov_b32_e32 v12, v30
	s_andn2_b64 exec, exec, s[8:9]
	s_cbranch_execz .LBB4_55
.LBB4_52:                               ;   Parent Loop BB4_8 Depth=1
                                        ; =>  This Inner Loop Header: Depth=2
	v_mov_b32_e32 v30, s71
	v_add_co_u32_e32 v28, vcc, s67, v28
	v_addc_co_u32_e32 v29, vcc, v29, v30, vcc
	v_cmp_gt_i64_e64 s[6:7], s[52:53], v[28:29]
	v_cmp_le_i64_e32 vcc, s[52:53], v[28:29]
	v_mov_b32_e32 v30, 0
	s_and_saveexec_b64 s[10:11], s[6:7]
	s_cbranch_execz .LBB4_51
; %bb.53:                               ;   in Loop: Header=BB4_52 Depth=2
	global_load_ubyte v30, v[26:27], off
	s_branch .LBB4_51
.LBB4_54:                               ;   in Loop: Header=BB4_8 Depth=1
                                        ; implicit-def: $vgpr8_vgpr9
                                        ; implicit-def: $vgpr4_vgpr5
	s_cbranch_execnz .LBB4_57
	s_branch .LBB4_66
.LBB4_55:                               ;   in Loop: Header=BB4_8 Depth=1
	s_or_b64 exec, exec, s[8:9]
.LBB4_56:                               ;   in Loop: Header=BB4_8 Depth=1
	s_or_b64 exec, exec, s[0:1]
	s_branch .LBB4_66
.LBB4_57:                               ;   in Loop: Header=BB4_8 Depth=1
	global_load_ushort v12, v13, s[50:51]
	s_mov_b64 s[80:81], 0
	s_waitcnt vmcnt(0)
	v_readfirstlane_b32 s0, v12
	s_and_b32 s0, 0xffff, s0
	s_lshl_b32 s67, s0, 2
	v_cvt_f32_u32_e32 v2, s67
	s_sub_i32 s0, 0, s67
	v_rcp_iflag_f32_e32 v4, v2
	v_pk_mov_b32 v[2:3], 0, 0
	v_pk_mov_b32 v[6:7], v[2:3], v[2:3] op_sel:[0,1]
	v_mul_f32_e32 v4, 0x4f7ffffe, v4
	v_cvt_u32_f32_e32 v8, v4
	v_pk_mov_b32 v[4:5], v[2:3], v[2:3] op_sel:[0,1]
	v_readfirstlane_b32 s1, v8
	s_mul_i32 s0, s0, s1
	s_mul_hi_u32 s0, s1, s0
	s_add_i32 s1, s1, s0
	s_mul_hi_u32 s0, s66, s1
	s_mul_i32 s0, s0, s67
	s_sub_i32 s0, s66, s0
	s_sub_i32 s1, s0, s67
	s_cmp_ge_u32 s0, s67
	s_cselect_b32 s0, s1, s0
	s_sub_i32 s1, s0, s67
	s_cmp_ge_u32 s0, s67
	s_cselect_b32 s0, s1, s0
	s_sub_i32 s70, s66, s0
	v_cmp_gt_u32_e32 vcc, s70, v14
	v_pk_mov_b32 v[8:9], v[2:3], v[2:3] op_sel:[0,1]
	s_and_saveexec_b64 s[0:1], vcc
	s_cbranch_execz .LBB4_61
; %bb.58:                               ;   in Loop: Header=BB4_8 Depth=1
	s_and_b32 s76, s3, 0xfe
	v_mov_b32_e32 v28, v14
	s_mov_b64 s[8:9], 0
	s_mov_b64 s[56:57], 0
	;; [unrolled: 1-line block ×4, first 2 shown]
	v_pk_mov_b32 v[26:27], v[14:15], v[14:15] op_sel:[0,1]
.LBB4_59:                               ;   Parent Loop BB4_8 Depth=1
                                        ; =>  This Inner Loop Header: Depth=2
	ds_read_b32 v2, v28
	v_add_co_u32_e32 v26, vcc, s67, v26
	v_addc_co_u32_e32 v27, vcc, 0, v27, vcc
	s_waitcnt lgkmcnt(0)
	v_and_b32_e32 v4, 0xff, v2
	v_bfe_u32 v5, v2, 8, 8
	v_and_b32_e32 v6, s72, v4
	v_bfe_u32 v4, v4, s76, 2
	v_lshrrev_b32_e32 v3, 24, v2
	v_bfe_u32 v2, v2, 16, 8
	v_and_b32_e32 v7, s72, v5
	v_bfe_u32 v5, v5, s76, 2
	v_cmp_eq_u32_e64 s[16:17], s73, v6
	v_cmp_eq_u32_e64 s[6:7], 0, v4
	v_and_b32_e32 v8, s72, v2
	v_bfe_u32 v2, v2, s76, 2
	v_cmp_eq_u32_e64 s[14:15], s73, v7
	v_cmp_eq_u32_e64 s[28:29], 0, v5
	s_and_b64 s[6:7], s[16:17], s[6:7]
	v_and_b32_e32 v9, s72, v3
	v_bfe_u32 v3, v3, s76, 2
	v_cmp_eq_u32_e64 s[12:13], s73, v8
	v_cmp_eq_u32_e64 s[30:31], 0, v2
	;; [unrolled: 1-line block ×5, first 2 shown]
	v_cndmask_b32_e64 v2, 0, 1, s[6:7]
	s_and_b64 s[6:7], s[14:15], s[28:29]
	v_cmp_eq_u32_e64 s[10:11], s73, v9
	v_cmp_eq_u32_e64 s[34:35], 0, v3
	;; [unrolled: 1-line block ×5, first 2 shown]
	v_cndmask_b32_e64 v3, 0, 1, s[6:7]
	s_and_b64 s[6:7], s[12:13], s[30:31]
	v_cmp_eq_u32_e64 s[36:37], 1, v4
	v_cmp_eq_u32_e64 s[44:45], 2, v4
	v_cmp_eq_u32_e64 s[24:25], 3, v4
	v_cndmask_b32_e64 v4, 0, 1, s[6:7]
	s_and_b64 s[6:7], s[10:11], s[34:35]
	v_cmp_eq_u32_e64 s[38:39], 1, v5
	v_cmp_eq_u32_e64 s[46:47], 2, v5
	;; [unrolled: 1-line block ×3, first 2 shown]
	v_cndmask_b32_e64 v5, 0, 1, s[6:7]
	v_cmp_ne_u32_e64 s[6:7], 0, v2
	v_cmp_ne_u32_e64 s[28:29], 0, v3
	v_cmp_ne_u32_e64 s[30:31], 0, v4
	v_cmp_ne_u32_e64 s[34:35], 0, v5
	s_bcnt1_i32_b64 s6, s[6:7]
	s_bcnt1_i32_b64 s7, s[28:29]
	s_bcnt1_i32_b64 s28, s[30:31]
	s_bcnt1_i32_b64 s29, s[34:35]
	s_add_u32 s6, s6, s74
	s_addc_u32 s30, 0, s75
	s_add_u32 s6, s6, s7
	s_addc_u32 s7, s30, 0
	s_add_u32 s6, s6, s28
	s_addc_u32 s7, s7, 0
	s_add_u32 s74, s6, s29
	s_addc_u32 s75, s7, 0
	s_and_b64 s[6:7], s[16:17], s[36:37]
	v_cndmask_b32_e64 v4, 0, 1, s[6:7]
	s_and_b64 s[6:7], s[14:15], s[38:39]
	v_cndmask_b32_e64 v5, 0, 1, s[6:7]
	s_and_b64 s[6:7], s[12:13], s[40:41]
	v_cndmask_b32_e64 v6, 0, 1, s[6:7]
	s_and_b64 s[6:7], s[10:11], s[42:43]
	v_cndmask_b32_e64 v7, 0, 1, s[6:7]
	v_cmp_ne_u32_e64 s[6:7], 0, v4
	v_cmp_ne_u32_e64 s[28:29], 0, v5
	v_cmp_ne_u32_e64 s[30:31], 0, v6
	v_cmp_ne_u32_e64 s[34:35], 0, v7
	s_bcnt1_i32_b64 s6, s[6:7]
	s_bcnt1_i32_b64 s7, s[28:29]
	s_bcnt1_i32_b64 s28, s[30:31]
	s_bcnt1_i32_b64 s29, s[34:35]
	s_add_u32 s6, s6, s68
	s_addc_u32 s30, 0, s69
	s_add_u32 s6, s6, s7
	s_addc_u32 s7, s30, 0
	s_add_u32 s6, s6, s28
	s_addc_u32 s7, s7, 0
	s_add_u32 s68, s6, s29
	s_addc_u32 s69, s7, 0
	s_and_b64 s[6:7], s[16:17], s[44:45]
	v_cndmask_b32_e64 v6, 0, 1, s[6:7]
	s_and_b64 s[6:7], s[14:15], s[46:47]
	v_cndmask_b32_e64 v7, 0, 1, s[6:7]
	s_and_b64 s[6:7], s[12:13], s[48:49]
	v_cndmask_b32_e64 v8, 0, 1, s[6:7]
	s_and_b64 s[6:7], s[10:11], s[50:51]
	v_cndmask_b32_e64 v9, 0, 1, s[6:7]
	v_cmp_ne_u32_e64 s[6:7], 0, v6
	v_cmp_ne_u32_e64 s[28:29], 0, v7
	v_cmp_ne_u32_e64 s[30:31], 0, v8
	v_cmp_ne_u32_e64 s[34:35], 0, v9
	s_bcnt1_i32_b64 s6, s[6:7]
	s_bcnt1_i32_b64 s7, s[28:29]
	s_bcnt1_i32_b64 s28, s[30:31]
	s_bcnt1_i32_b64 s29, s[34:35]
	s_add_u32 s6, s6, s56
	s_addc_u32 s30, 0, s57
	s_add_u32 s6, s6, s7
	s_addc_u32 s7, s30, 0
	s_add_u32 s6, s6, s28
	s_addc_u32 s7, s7, 0
	s_add_u32 s56, s6, s29
	s_addc_u32 s57, s7, 0
	s_and_b64 s[6:7], s[16:17], s[24:25]
	v_cndmask_b32_e64 v8, 0, 1, s[6:7]
	s_and_b64 s[6:7], s[14:15], s[22:23]
	v_cndmask_b32_e64 v9, 0, 1, s[6:7]
	s_and_b64 s[6:7], s[12:13], s[20:21]
	v_cndmask_b32_e64 v29, 0, 1, s[6:7]
	s_and_b64 s[6:7], s[10:11], s[18:19]
	v_cndmask_b32_e64 v30, 0, 1, s[6:7]
	v_cmp_ne_u32_e64 s[6:7], 0, v8
	v_cmp_ne_u32_e64 s[10:11], 0, v9
	;; [unrolled: 1-line block ×4, first 2 shown]
	s_bcnt1_i32_b64 s6, s[6:7]
	s_bcnt1_i32_b64 s7, s[10:11]
	;; [unrolled: 1-line block ×4, first 2 shown]
	s_add_u32 s6, s6, s8
	s_addc_u32 s8, 0, s9
	s_add_u32 s6, s6, s7
	s_addc_u32 s7, s8, 0
	;; [unrolled: 2-line block ×3, first 2 shown]
	s_add_u32 s8, s6, s11
	v_cmp_le_u64_e32 vcc, s[70:71], v[26:27]
	s_addc_u32 s9, s7, 0
	v_add_u32_e32 v28, s67, v28
	v_pk_mov_b32 v[2:3], s[74:75], s[74:75] op_sel:[0,1]
	v_pk_mov_b32 v[4:5], s[68:69], s[68:69] op_sel:[0,1]
	;; [unrolled: 1-line block ×3, first 2 shown]
	s_or_b64 s[80:81], vcc, s[80:81]
	v_pk_mov_b32 v[8:9], s[8:9], s[8:9] op_sel:[0,1]
	s_andn2_b64 exec, exec, s[80:81]
	s_cbranch_execnz .LBB4_59
; %bb.60:                               ;   in Loop: Header=BB4_8 Depth=1
	s_or_b64 exec, exec, s[80:81]
	v_readlane_b32 s68, v48, 28
	v_readlane_b32 s48, v48, 30
	;; [unrolled: 1-line block ×6, first 2 shown]
.LBB4_61:                               ;   in Loop: Header=BB4_8 Depth=1
	s_or_b64 exec, exec, s[0:1]
	v_and_b32_e32 v28, 0xffff, v12
	v_add_u32_e32 v12, s70, v0
	v_cmp_gt_u32_e32 vcc, s66, v12
	s_and_saveexec_b64 s[0:1], vcc
	s_cbranch_execz .LBB4_65
; %bb.62:                               ;   in Loop: Header=BB4_8 Depth=1
	s_and_b32 s70, s66, 0x7fffffff
	s_and_b32 s18, s3, 0xfe
	s_mov_b64 s[8:9], 0
	v_pk_mov_b32 v[26:27], v[12:13], v[12:13] op_sel:[0,1]
.LBB4_63:                               ;   Parent Loop BB4_8 Depth=1
                                        ; =>  This Inner Loop Header: Depth=2
	ds_read_u8 v29, v12
	v_add_co_u32_e32 v26, vcc, v26, v28
	v_addc_co_u32_e32 v27, vcc, 0, v27, vcc
	s_waitcnt lgkmcnt(0)
	v_and_b32_e32 v30, s72, v29
	v_bfe_u32 v29, v29, s18, 2
	v_cmp_eq_u32_e64 s[6:7], s73, v30
	v_cmp_eq_u32_e64 s[10:11], 0, v29
	;; [unrolled: 1-line block ×3, first 2 shown]
	s_and_b64 s[10:11], s[6:7], s[10:11]
	v_cmp_eq_u32_e64 s[14:15], 2, v29
	v_cmp_eq_u32_e64 s[16:17], 3, v29
	v_cndmask_b32_e64 v29, 0, 1, s[10:11]
	s_and_b64 s[10:11], s[6:7], s[12:13]
	v_cndmask_b32_e64 v30, 0, 1, s[10:11]
	s_and_b64 s[10:11], s[6:7], s[14:15]
	s_and_b64 s[6:7], s[6:7], s[16:17]
	v_cndmask_b32_e64 v40, 0, 1, s[6:7]
	v_cmp_ne_u32_e64 s[6:7], 0, v29
	s_bcnt1_i32_b64 s6, s[6:7]
	v_cndmask_b32_e64 v31, 0, 1, s[10:11]
	v_cmp_ne_u32_e64 s[10:11], 0, v30
	v_add_co_u32_e64 v2, s[6:7], s6, v2
	s_bcnt1_i32_b64 s10, s[10:11]
	v_addc_co_u32_e64 v3, s[6:7], 0, v3, s[6:7]
	v_cmp_ne_u32_e64 s[12:13], 0, v31
	v_cmp_ne_u32_e64 s[14:15], 0, v40
	v_add_co_u32_e64 v4, s[6:7], s10, v4
	v_cmp_le_u64_e32 vcc, s[70:71], v[26:27]
	s_bcnt1_i32_b64 s11, s[12:13]
	s_bcnt1_i32_b64 s12, s[14:15]
	v_addc_co_u32_e64 v5, s[6:7], 0, v5, s[6:7]
	v_add_co_u32_e64 v6, s[6:7], s11, v6
	s_or_b64 s[8:9], vcc, s[8:9]
	v_add_co_u32_e32 v8, vcc, s12, v8
	v_add_u32_e32 v12, v12, v28
	v_addc_co_u32_e64 v7, s[6:7], 0, v7, s[6:7]
	v_addc_co_u32_e32 v9, vcc, 0, v9, vcc
	s_andn2_b64 exec, exec, s[8:9]
	s_cbranch_execnz .LBB4_63
; %bb.64:                               ;   in Loop: Header=BB4_8 Depth=1
	s_or_b64 exec, exec, s[8:9]
.LBB4_65:                               ;   in Loop: Header=BB4_8 Depth=1
	s_or_b64 exec, exec, s[0:1]
.LBB4_66:                               ;   in Loop: Header=BB4_8 Depth=1
	s_lshl_b32 s6, s85, 6
	s_and_saveexec_b64 s[0:1], s[4:5]
	s_cbranch_execz .LBB4_68
; %bb.67:                               ;   in Loop: Header=BB4_8 Depth=1
	s_waitcnt vmcnt(0)
	v_or_b32_e32 v12, s6, v33
	v_lshlrev_b32_e32 v12, 3, v12
	ds_write_b128 v12, v[2:5] offset:3072
	ds_write_b128 v12, v[6:9] offset:3088
.LBB4_68:                               ;   in Loop: Header=BB4_8 Depth=1
	s_or_b64 exec, exec, s[0:1]
	s_waitcnt lgkmcnt(0)
	s_barrier
	s_and_saveexec_b64 s[0:1], s[48:49]
	s_cbranch_execz .LBB4_80
; %bb.69:                               ;   in Loop: Header=BB4_8 Depth=1
	v_readlane_b32 s8, v48, 16
	v_readlane_b32 s9, v48, 17
	s_andn2_b64 vcc, exec, s[8:9]
	v_pk_mov_b32 v[2:3], 0, 0
	s_cbranch_vccnz .LBB4_79
; %bb.70:                               ;   in Loop: Header=BB4_8 Depth=1
	v_readlane_b32 s8, v48, 21
	v_readlane_b32 s9, v48, 22
	s_andn2_b64 vcc, exec, s[8:9]
	s_cbranch_vccnz .LBB4_75
; %bb.71:                               ;   in Loop: Header=BB4_8 Depth=1
	v_lshl_add_u32 v4, s85, 9, v37
	s_mov_b32 s7, 0
	v_pk_mov_b32 v[2:3], 0, 0
.LBB4_72:                               ;   Parent Loop BB4_8 Depth=1
                                        ; =>  This Inner Loop Header: Depth=2
	s_waitcnt vmcnt(0)
	ds_read2_b64 v[6:9], v4 offset1:4
	ds_read2_b64 v[26:29], v4 offset0:8 offset1:12
	ds_read2_b64 v[40:43], v4 offset0:16 offset1:20
	;; [unrolled: 1-line block ×3, first 2 shown]
	s_add_i32 s7, s7, 8
	s_waitcnt lgkmcnt(3)
	v_add_co_u32_e32 v2, vcc, v6, v2
	v_addc_co_u32_e32 v3, vcc, v7, v3, vcc
	v_add_co_u32_e32 v2, vcc, v8, v2
	v_addc_co_u32_e32 v3, vcc, v9, v3, vcc
	s_waitcnt lgkmcnt(2)
	v_add_co_u32_e32 v2, vcc, v26, v2
	v_addc_co_u32_e32 v3, vcc, v27, v3, vcc
	v_add_co_u32_e32 v2, vcc, v28, v2
	v_addc_co_u32_e32 v3, vcc, v29, v3, vcc
	;; [unrolled: 5-line block ×3, first 2 shown]
	s_waitcnt lgkmcnt(0)
	v_add_co_u32_e32 v2, vcc, v44, v2
	v_addc_co_u32_e32 v3, vcc, v45, v3, vcc
	v_add_co_u32_e32 v2, vcc, v46, v2
	v_add_u32_e32 v4, 0x100, v4
	s_cmp_eq_u32 s2, s7
	v_addc_co_u32_e32 v3, vcc, v47, v3, vcc
	s_cbranch_scc0 .LBB4_72
; %bb.73:                               ;   in Loop: Header=BB4_8 Depth=1
	s_mov_b32 s7, s2
	s_branch .LBB4_76
.LBB4_74:                               ;   in Loop: Header=BB4_8 Depth=1
                                        ; implicit-def: $vgpr26_vgpr27
	s_branch .LBB4_42
.LBB4_75:                               ;   in Loop: Header=BB4_8 Depth=1
	s_mov_b32 s7, 0
	v_pk_mov_b32 v[2:3], 0, 0
.LBB4_76:                               ;   in Loop: Header=BB4_8 Depth=1
	v_readlane_b32 s8, v48, 24
	v_readlane_b32 s9, v48, 25
	s_andn2_b64 vcc, exec, s[8:9]
	s_cbranch_vccnz .LBB4_79
; %bb.77:                               ;   in Loop: Header=BB4_8 Depth=1
	s_lshl_b32 s8, s85, 9
	s_lshl_b32 s7, s7, 5
	s_add_i32 s8, s8, s7
	v_add_u32_e32 v4, s8, v37
	v_readlane_b32 s7, v48, 23
.LBB4_78:                               ;   Parent Loop BB4_8 Depth=1
                                        ; =>  This Inner Loop Header: Depth=2
	s_waitcnt vmcnt(0)
	ds_read_b64 v[6:7], v4
	s_add_i32 s7, s7, -1
	v_add_u32_e32 v4, 32, v4
	s_cmp_lg_u32 s7, 0
	s_waitcnt lgkmcnt(0)
	v_add_co_u32_e32 v2, vcc, v6, v2
	v_addc_co_u32_e32 v3, vcc, v7, v3, vcc
	s_cbranch_scc1 .LBB4_78
.LBB4_79:                               ;   in Loop: Header=BB4_8 Depth=1
	v_add_lshl_u32 v4, s6, v32, 3
	ds_write_b64 v4, v[2:3] offset:3072
.LBB4_80:                               ;   in Loop: Header=BB4_8 Depth=1
	s_or_b64 exec, exec, s[0:1]
	s_lshl_b32 s0, s6, 3
	s_waitcnt vmcnt(0)
	v_mov_b32_e32 v6, s0
	s_waitcnt lgkmcnt(0)
	s_barrier
	ds_read_b128 v[2:5], v6 offset:3072
	ds_read_b128 v[6:9], v6 offset:3088
	s_and_b32 s38, s3, 0xfe
	s_lshl_b32 s46, 3, s38
	s_not_b32 s39, s46
	s_waitcnt lgkmcnt(1)
	v_readfirstlane_b32 s13, v3
	v_readfirstlane_b32 s12, v2
	s_cmp_eq_u64 s[12:13], 1
	s_cselect_b64 s[0:1], -1, 0
	s_cmp_eq_u64 s[54:55], 1
	s_cselect_b64 s[8:9], -1, 0
	s_and_b64 s[18:19], s[0:1], s[8:9]
	v_readfirstlane_b32 s24, v4
	v_readfirstlane_b32 s25, v5
	s_waitcnt lgkmcnt(0)
	v_readfirstlane_b32 s14, v6
	v_readfirstlane_b32 s15, v7
	;; [unrolled: 1-line block ×4, first 2 shown]
	s_mov_b64 s[16:17], -1
	s_and_b64 vcc, exec, s[18:19]
	s_cbranch_vccz .LBB4_94
; %bb.81:                               ;   in Loop: Header=BB4_8 Depth=1
	ds_read_b64 v[2:3], v13 offset:5120
	s_waitcnt lgkmcnt(0)
	s_barrier
	v_readfirstlane_b32 s10, v2
	v_readfirstlane_b32 s11, v3
	s_mov_b64 s[0:1], exec
	v_readlane_b32 s8, v48, 12
	v_readlane_b32 s9, v48, 13
	s_and_b64 s[8:9], s[0:1], s[8:9]
	s_mov_b64 exec, s[8:9]
	s_cbranch_execz .LBB4_83
; %bb.82:                               ;   in Loop: Header=BB4_8 Depth=1
	ds_write_b8 v0, v13 offset:3072
.LBB4_83:                               ;   in Loop: Header=BB4_8 Depth=1
	s_or_b64 exec, exec, s[0:1]
	v_cmp_lt_i64_e64 s[0:1], s[10:11], 1
	s_and_b32 s73, s73, s39
	s_or_b32 s72, s72, s46
	s_and_b64 vcc, exec, s[0:1]
	s_waitcnt lgkmcnt(0)
	s_barrier
	s_cbranch_vccz .LBB4_95
; %bb.84:                               ;   in Loop: Header=BB4_8 Depth=1
	s_mov_b32 s76, s71
	s_cmp_lg_u64 s[76:77], 0
	s_cbranch_scc0 .LBB4_138
; %bb.85:                               ;   in Loop: Header=BB4_8 Depth=1
	v_cvt_f32_u32_e32 v2, s33
	s_sub_u32 s0, 0, s33
	s_subb_u32 s1, 0, 0
	v_mac_f32_e32 v2, 0x4f800000, v38
	v_rcp_f32_e32 v2, v2
	v_mul_f32_e32 v2, 0x5f7ffffc, v2
	v_mul_f32_e32 v3, 0x2f800000, v2
	v_trunc_f32_e32 v3, v3
	v_mac_f32_e32 v2, 0xcf800000, v3
	v_cvt_u32_f32_e32 v3, v3
	v_cvt_u32_f32_e32 v2, v2
	v_readfirstlane_b32 s8, v3
	v_readfirstlane_b32 s9, v2
	s_mul_i32 s20, s0, s8
	s_mul_hi_u32 s22, s0, s9
	s_mul_i32 s21, s1, s9
	s_add_i32 s20, s22, s20
	s_mul_i32 s23, s0, s9
	s_add_i32 s20, s20, s21
	s_mul_hi_u32 s22, s9, s23
	s_mul_hi_u32 s21, s9, s20
	s_mul_i32 s9, s9, s20
	s_add_u32 s9, s22, s9
	s_addc_u32 s21, 0, s21
	s_mul_hi_u32 s28, s8, s23
	s_mul_i32 s23, s8, s23
	s_add_u32 s9, s9, s23
	s_mul_hi_u32 s22, s8, s20
	s_addc_u32 s9, s21, s28
	s_addc_u32 s21, s22, 0
	s_mul_i32 s20, s8, s20
	s_add_u32 s9, s9, s20
	s_addc_u32 s20, 0, s21
	v_add_co_u32_e32 v2, vcc, s9, v2
	s_cmp_lg_u64 vcc, 0
	s_addc_u32 s8, s8, s20
	v_readfirstlane_b32 s20, v2
	s_mul_i32 s9, s0, s8
	s_mul_hi_u32 s21, s0, s20
	s_add_i32 s9, s21, s9
	s_mul_i32 s1, s1, s20
	s_add_i32 s9, s9, s1
	s_mul_i32 s0, s0, s20
	s_mul_hi_u32 s21, s8, s0
	s_mul_i32 s22, s8, s0
	s_mul_i32 s28, s20, s9
	s_mul_hi_u32 s0, s20, s0
	s_mul_hi_u32 s23, s20, s9
	s_add_u32 s0, s0, s28
	s_addc_u32 s20, 0, s23
	s_add_u32 s0, s0, s22
	s_mul_hi_u32 s1, s8, s9
	s_addc_u32 s0, s20, s21
	s_addc_u32 s1, s1, 0
	s_mul_i32 s9, s8, s9
	s_add_u32 s0, s0, s9
	s_addc_u32 s1, 0, s1
	v_add_co_u32_e32 v2, vcc, s0, v2
	s_cmp_lg_u64 vcc, 0
	s_addc_u32 s20, s8, s1
	s_ashr_i32 s0, s77, 31
	v_readlane_b32 s8, v48, 19
	s_add_u32 s8, s8, s0
	s_mov_b32 s1, s0
	s_addc_u32 s9, s77, s0
	s_xor_b64 s[8:9], s[8:9], s[0:1]
	v_readfirstlane_b32 s22, v2
	s_mul_i32 s21, s8, s20
	s_mul_hi_u32 s23, s8, s22
	s_mul_hi_u32 s1, s8, s20
	s_add_u32 s21, s23, s21
	s_addc_u32 s1, 0, s1
	s_mul_hi_u32 s28, s9, s22
	s_mul_i32 s22, s9, s22
	s_add_u32 s21, s21, s22
	s_mul_hi_u32 s23, s9, s20
	s_addc_u32 s1, s1, s28
	s_addc_u32 s21, s23, 0
	s_mul_i32 s20, s9, s20
	s_add_u32 s1, s1, s20
	s_addc_u32 s20, 0, s21
	s_mul_hi_u32 s21, s33, s1
	s_mul_i32 s1, s33, s1
	s_mul_i32 s20, s33, s20
	v_mov_b32_e32 v2, s1
	s_add_i32 s21, s21, s20
	v_sub_co_u32_e32 v2, vcc, s8, v2
	s_cmp_lg_u64 vcc, 0
	s_subb_u32 s1, s9, s21
	v_subrev_co_u32_e32 v3, vcc, s33, v2
	s_cmp_lg_u64 vcc, 0
	s_subb_u32 s8, s1, 0
	v_subrev_co_u32_e32 v4, vcc, s33, v3
	s_cmp_lg_u64 vcc, 0
	s_subb_u32 s9, s8, 0
	v_cmp_le_u32_e32 vcc, s33, v3
	s_cmp_eq_u32 s8, 0
	v_cndmask_b32_e64 v5, 0, -1, vcc
	s_cselect_b64 vcc, -1, 0
	v_cndmask_b32_e32 v5, -1, v5, vcc
	v_mov_b32_e32 v6, s8
	v_mov_b32_e32 v7, s9
	v_cmp_ne_u32_e32 vcc, 0, v5
	v_cndmask_b32_e32 v5, v6, v7, vcc
	v_cndmask_b32_e32 v3, v3, v4, vcc
	v_cmp_le_u32_e32 vcc, s33, v2
	s_cmp_eq_u32 s1, 0
	v_cndmask_b32_e64 v4, 0, -1, vcc
	s_cselect_b64 vcc, -1, 0
	v_cndmask_b32_e32 v4, -1, v4, vcc
	v_cmp_ne_u32_e32 vcc, 0, v4
	v_mov_b32_e32 v6, s1
	v_cndmask_b32_e32 v2, v2, v3, vcc
	v_cndmask_b32_e32 v4, v6, v5, vcc
	v_xor_b32_e32 v2, s0, v2
	v_xor_b32_e32 v3, s0, v4
	v_mov_b32_e32 v4, s0
	v_subrev_co_u32_e32 v2, vcc, s0, v2
	v_subb_co_u32_e32 v3, vcc, v3, v4, vcc
	s_cbranch_execnz .LBB4_87
.LBB4_86:                               ;   in Loop: Header=BB4_8 Depth=1
	v_cvt_f32_u32_e32 v2, s33
	s_sub_i32 s0, 0, s33
	v_rcp_iflag_f32_e32 v2, v2
	v_mul_f32_e32 v2, 0x4f7ffffe, v2
	v_cvt_u32_f32_e32 v2, v2
	v_mul_lo_u32 v3, s0, v2
	v_mul_hi_u32 v3, v2, v3
	v_add_u32_e32 v2, v2, v3
	v_readlane_b32 s0, v48, 19
	v_mul_hi_u32 v2, s0, v2
	v_mul_lo_u32 v2, v2, s33
	v_sub_u32_e32 v2, s0, v2
	v_subrev_u32_e32 v3, s33, v2
	v_cmp_le_u32_e32 vcc, s33, v2
	v_cndmask_b32_e32 v2, v2, v3, vcc
	v_subrev_u32_e32 v3, s33, v2
	v_cmp_le_u32_e32 vcc, s33, v2
	v_cndmask_b32_e32 v12, v2, v3, vcc
	v_pk_mov_b32 v[2:3], v[12:13], v[12:13] op_sel:[0,1]
.LBB4_87:                               ;   in Loop: Header=BB4_8 Depth=1
	v_readlane_b32 s0, v48, 19
	v_mov_b32_e32 v4, s77
	v_sub_co_u32_e32 v2, vcc, s0, v2
	v_subb_co_u32_e32 v3, vcc, v4, v3, vcc
	v_cmp_gt_i64_e32 vcc, v[2:3], v[0:1]
	s_mov_b64 s[0:1], 0
                                        ; implicit-def: $vgpr39
	s_and_saveexec_b64 s[8:9], vcc
	s_cbranch_execz .LBB4_97
; %bb.88:                               ;   in Loop: Header=BB4_8 Depth=1
	v_pk_mov_b32 v[4:5], v[10:11], v[10:11] op_sel:[0,1]
	v_pk_mov_b32 v[6:7], v[0:1], v[0:1] op_sel:[0,1]
                                        ; implicit-def: $sgpr20_sgpr21
	s_branch .LBB4_90
.LBB4_89:                               ;   in Loop: Header=BB4_90 Depth=2
	s_or_b64 exec, exec, s[22:23]
	s_waitcnt lgkmcnt(0)
	s_barrier
	ds_read_u16 v8, v13 offset:3072
	v_mov_b32_e32 v9, s26
	v_add_co_u32_e32 v6, vcc, s33, v6
	v_addc_co_u32_e32 v7, vcc, v7, v9, vcc
	s_waitcnt lgkmcnt(0)
	v_cmp_ne_u16_sdwa s[22:23], v8, v13 src0_sel:BYTE_0 src1_sel:DWORD
	v_cmp_ge_i64_e32 vcc, v[6:7], v[2:3]
	s_or_b64 s[28:29], s[22:23], vcc
	s_and_b64 s[28:29], exec, s[28:29]
	s_or_b64 s[0:1], s[28:29], s[0:1]
	v_mov_b32_e32 v9, s27
	v_add_co_u32_e32 v4, vcc, s84, v4
	s_andn2_b64 s[20:21], s[20:21], exec
	s_and_b64 s[22:23], s[22:23], exec
	v_addc_co_u32_e32 v5, vcc, v5, v9, vcc
	s_or_b64 s[20:21], s[20:21], s[22:23]
	s_barrier
	s_andn2_b64 exec, exec, s[0:1]
	s_cbranch_execz .LBB4_96
.LBB4_90:                               ;   Parent Loop BB4_8 Depth=1
                                        ; =>  This Inner Loop Header: Depth=2
	v_cmp_gt_i64_e32 vcc, s[52:53], v[6:7]
	v_mov_b32_e32 v8, 0
	s_and_saveexec_b64 s[22:23], vcc
	s_cbranch_execz .LBB4_92
; %bb.91:                               ;   in Loop: Header=BB4_90 Depth=2
	global_load_ubyte v8, v[4:5], off
.LBB4_92:                               ;   in Loop: Header=BB4_90 Depth=2
	s_or_b64 exec, exec, s[22:23]
	s_waitcnt vmcnt(0)
	v_and_b32_e32 v9, s72, v8
	v_cmp_eq_u32_sdwa s[22:23], v9, s73 src0_sel:BYTE_0 src1_sel:DWORD
	s_and_b64 s[28:29], vcc, s[22:23]
	s_and_saveexec_b64 s[22:23], s[28:29]
	s_cbranch_execz .LBB4_89
; %bb.93:                               ;   in Loop: Header=BB4_90 Depth=2
	v_lshlrev_b16_e32 v8, 8, v8
	v_or_b32_e32 v8, 1, v8
	ds_write_b16 v13, v8 offset:3072
	s_branch .LBB4_89
.LBB4_94:                               ;   in Loop: Header=BB4_8 Depth=1
	s_mov_b64 s[0:1], -1
                                        ; implicit-def: $sgpr8_sgpr9
                                        ; implicit-def: $sgpr22_sgpr23
                                        ; implicit-def: $sgpr20_sgpr21
	s_branch .LBB4_110
.LBB4_95:                               ;   in Loop: Header=BB4_8 Depth=1
	s_mov_b64 s[8:9], -1
	s_mov_b64 s[0:1], 0
                                        ; implicit-def: $sgpr20_sgpr21
                                        ; implicit-def: $vgpr39
	s_mov_b64 s[22:23], s[8:9]
	s_cbranch_execnz .LBB4_98
	s_branch .LBB4_110
.LBB4_96:                               ;   in Loop: Header=BB4_8 Depth=1
	s_or_b64 exec, exec, s[0:1]
	v_lshrrev_b16_e32 v39, 8, v8
	s_and_b64 s[0:1], s[20:21], exec
.LBB4_97:                               ;   in Loop: Header=BB4_8 Depth=1
	s_or_b64 exec, exec, s[8:9]
	s_mov_b64 s[20:21], -1
	s_mov_b64 s[8:9], 0
	s_mov_b64 s[22:23], s[8:9]
	s_branch .LBB4_110
.LBB4_98:                               ;   in Loop: Header=BB4_8 Depth=1
	v_readlane_b32 s0, v48, 18
	s_add_u32 s20, s0, s10
	v_readlane_b32 s0, v48, 20
	s_addc_u32 s1, s0, s11
	s_mov_b32 s0, s71
	s_cmp_lg_u64 s[0:1], 0
	s_cbranch_scc0 .LBB4_139
; %bb.99:                               ;   in Loop: Header=BB4_8 Depth=1
	v_cvt_f32_u32_e32 v2, s33
	s_sub_u32 s0, 0, s33
	s_subb_u32 s8, 0, 0
	v_mac_f32_e32 v2, 0x4f800000, v38
	v_rcp_f32_e32 v2, v2
	v_mul_f32_e32 v2, 0x5f7ffffc, v2
	v_mul_f32_e32 v3, 0x2f800000, v2
	v_trunc_f32_e32 v3, v3
	v_mac_f32_e32 v2, 0xcf800000, v3
	v_cvt_u32_f32_e32 v3, v3
	v_cvt_u32_f32_e32 v2, v2
	v_readfirstlane_b32 s9, v3
	v_readfirstlane_b32 s21, v2
	s_mul_i32 s22, s0, s9
	s_mul_hi_u32 s28, s0, s21
	s_mul_i32 s23, s8, s21
	s_add_i32 s22, s28, s22
	s_mul_i32 s29, s0, s21
	s_add_i32 s22, s22, s23
	s_mul_hi_u32 s28, s21, s29
	s_mul_hi_u32 s23, s21, s22
	s_mul_i32 s21, s21, s22
	s_add_u32 s21, s28, s21
	s_addc_u32 s23, 0, s23
	s_mul_hi_u32 s30, s9, s29
	s_mul_i32 s29, s9, s29
	s_add_u32 s21, s21, s29
	s_mul_hi_u32 s28, s9, s22
	s_addc_u32 s21, s23, s30
	s_addc_u32 s23, s28, 0
	s_mul_i32 s22, s9, s22
	s_add_u32 s21, s21, s22
	s_addc_u32 s22, 0, s23
	v_add_co_u32_e32 v2, vcc, s21, v2
	s_cmp_lg_u64 vcc, 0
	s_addc_u32 s9, s9, s22
	v_readfirstlane_b32 s22, v2
	s_mul_i32 s21, s0, s9
	s_mul_hi_u32 s23, s0, s22
	s_add_i32 s21, s23, s21
	s_mul_i32 s8, s8, s22
	s_add_i32 s21, s21, s8
	s_mul_i32 s0, s0, s22
	s_mul_hi_u32 s23, s9, s0
	s_mul_i32 s28, s9, s0
	s_mul_i32 s30, s22, s21
	s_mul_hi_u32 s0, s22, s0
	s_mul_hi_u32 s29, s22, s21
	s_add_u32 s0, s0, s30
	s_addc_u32 s22, 0, s29
	s_add_u32 s0, s0, s28
	s_mul_hi_u32 s8, s9, s21
	s_addc_u32 s0, s22, s23
	s_addc_u32 s8, s8, 0
	s_mul_i32 s21, s9, s21
	s_add_u32 s0, s0, s21
	s_addc_u32 s8, 0, s8
	v_add_co_u32_e32 v2, vcc, s0, v2
	s_cmp_lg_u64 vcc, 0
	s_addc_u32 s0, s9, s8
	s_ashr_i32 s8, s1, 31
	s_add_u32 s22, s20, s8
	s_mov_b32 s9, s8
	s_addc_u32 s23, s1, s8
	s_xor_b64 s[22:23], s[22:23], s[8:9]
	v_readfirstlane_b32 s28, v2
	s_mul_i32 s21, s22, s0
	s_mul_hi_u32 s29, s22, s28
	s_mul_hi_u32 s9, s22, s0
	s_add_u32 s21, s29, s21
	s_addc_u32 s9, 0, s9
	s_mul_hi_u32 s30, s23, s28
	s_mul_i32 s28, s23, s28
	s_add_u32 s21, s21, s28
	s_mul_hi_u32 s29, s23, s0
	s_addc_u32 s9, s9, s30
	s_addc_u32 s21, s29, 0
	s_mul_i32 s0, s23, s0
	s_add_u32 s0, s9, s0
	s_addc_u32 s9, 0, s21
	s_mul_hi_u32 s21, s33, s0
	s_mul_i32 s0, s33, s0
	s_mul_i32 s9, s33, s9
	v_mov_b32_e32 v2, s0
	s_add_i32 s21, s21, s9
	v_sub_co_u32_e32 v2, vcc, s22, v2
	s_cmp_lg_u64 vcc, 0
	s_subb_u32 s0, s23, s21
	v_subrev_co_u32_e32 v3, vcc, s33, v2
	s_cmp_lg_u64 vcc, 0
	s_subb_u32 s9, s0, 0
	v_subrev_co_u32_e32 v4, vcc, s33, v3
	s_cmp_lg_u64 vcc, 0
	s_subb_u32 s21, s9, 0
	v_cmp_le_u32_e32 vcc, s33, v3
	s_cmp_eq_u32 s9, 0
	v_cndmask_b32_e64 v5, 0, -1, vcc
	s_cselect_b64 vcc, -1, 0
	v_cndmask_b32_e32 v5, -1, v5, vcc
	v_mov_b32_e32 v6, s9
	v_mov_b32_e32 v7, s21
	v_cmp_ne_u32_e32 vcc, 0, v5
	v_cndmask_b32_e32 v5, v6, v7, vcc
	v_cndmask_b32_e32 v3, v3, v4, vcc
	v_cmp_le_u32_e32 vcc, s33, v2
	s_cmp_eq_u32 s0, 0
	v_cndmask_b32_e64 v4, 0, -1, vcc
	s_cselect_b64 vcc, -1, 0
	v_cndmask_b32_e32 v4, -1, v4, vcc
	v_cmp_ne_u32_e32 vcc, 0, v4
	v_mov_b32_e32 v6, s0
	v_cndmask_b32_e32 v2, v2, v3, vcc
	v_cndmask_b32_e32 v4, v6, v5, vcc
	v_xor_b32_e32 v2, s8, v2
	v_xor_b32_e32 v3, s8, v4
	v_mov_b32_e32 v4, s8
	v_subrev_co_u32_e32 v2, vcc, s8, v2
	v_subb_co_u32_e32 v3, vcc, v3, v4, vcc
	s_cbranch_execnz .LBB4_101
.LBB4_100:                              ;   in Loop: Header=BB4_8 Depth=1
	v_cvt_f32_u32_e32 v2, s33
	s_sub_i32 s0, 0, s33
	v_rcp_iflag_f32_e32 v2, v2
	v_mul_f32_e32 v2, 0x4f7ffffe, v2
	v_cvt_u32_f32_e32 v2, v2
	v_mul_lo_u32 v3, s0, v2
	v_mul_hi_u32 v3, v2, v3
	v_add_u32_e32 v2, v2, v3
	v_mul_hi_u32 v2, s20, v2
	v_mul_lo_u32 v2, v2, s33
	v_sub_u32_e32 v2, s20, v2
	v_subrev_u32_e32 v3, s33, v2
	v_cmp_le_u32_e32 vcc, s33, v2
	v_cndmask_b32_e32 v2, v2, v3, vcc
	v_subrev_u32_e32 v3, s33, v2
	v_cmp_le_u32_e32 vcc, s33, v2
	v_cndmask_b32_e32 v12, v2, v3, vcc
	v_pk_mov_b32 v[2:3], v[12:13], v[12:13] op_sel:[0,1]
.LBB4_101:                              ;   in Loop: Header=BB4_8 Depth=1
	v_mov_b32_e32 v4, s1
	v_sub_co_u32_e32 v2, vcc, s20, v2
	v_subb_co_u32_e32 v3, vcc, v4, v3, vcc
	v_cmp_gt_i64_e32 vcc, v[2:3], v[0:1]
	s_mov_b64 s[0:1], 0
                                        ; implicit-def: $vgpr39
	s_and_saveexec_b64 s[8:9], vcc
	s_cbranch_execz .LBB4_109
; %bb.102:                              ;   in Loop: Header=BB4_8 Depth=1
	v_mov_b32_e32 v6, v0
	v_pk_mov_b32 v[4:5], v[0:1], v[0:1] op_sel:[0,1]
                                        ; implicit-def: $sgpr20_sgpr21
	s_branch .LBB4_104
.LBB4_103:                              ;   in Loop: Header=BB4_104 Depth=2
	s_or_b64 exec, exec, s[22:23]
	s_waitcnt lgkmcnt(0)
	s_barrier
	ds_read_u16 v7, v13 offset:3072
	v_mov_b32_e32 v8, s26
	v_add_co_u32_e32 v4, vcc, s33, v4
	v_addc_co_u32_e32 v5, vcc, v5, v8, vcc
	s_waitcnt lgkmcnt(0)
	v_cmp_ne_u16_sdwa s[22:23], v7, v13 src0_sel:BYTE_0 src1_sel:DWORD
	v_cmp_ge_i64_e32 vcc, v[4:5], v[2:3]
	s_or_b64 s[28:29], s[22:23], vcc
	s_and_b64 s[28:29], exec, s[28:29]
	s_or_b64 s[0:1], s[28:29], s[0:1]
	s_andn2_b64 s[20:21], s[20:21], exec
	s_and_b64 s[22:23], s[22:23], exec
	v_add_u32_e32 v6, s33, v6
	s_or_b64 s[20:21], s[20:21], s[22:23]
	s_barrier
	s_andn2_b64 exec, exec, s[0:1]
	s_cbranch_execz .LBB4_108
.LBB4_104:                              ;   Parent Loop BB4_8 Depth=1
                                        ; =>  This Inner Loop Header: Depth=2
	v_cmp_gt_i64_e32 vcc, s[10:11], v[4:5]
	v_mov_b32_e32 v7, 0
	s_and_saveexec_b64 s[22:23], vcc
	s_cbranch_execz .LBB4_106
; %bb.105:                              ;   in Loop: Header=BB4_104 Depth=2
	ds_read_u8 v7, v6
.LBB4_106:                              ;   in Loop: Header=BB4_104 Depth=2
	s_or_b64 exec, exec, s[22:23]
	s_waitcnt lgkmcnt(0)
	v_and_b32_e32 v8, s72, v7
	v_cmp_eq_u32_sdwa s[22:23], v8, s73 src0_sel:BYTE_0 src1_sel:DWORD
	s_and_b64 s[28:29], vcc, s[22:23]
	s_and_saveexec_b64 s[22:23], s[28:29]
	s_cbranch_execz .LBB4_103
; %bb.107:                              ;   in Loop: Header=BB4_104 Depth=2
	v_lshlrev_b16_e32 v7, 8, v7
	v_or_b32_e32 v7, 1, v7
	ds_write_b16 v13, v7 offset:3072
	s_branch .LBB4_103
.LBB4_108:                              ;   in Loop: Header=BB4_8 Depth=1
	s_or_b64 exec, exec, s[0:1]
	v_lshrrev_b16_e32 v39, 8, v7
	s_and_b64 s[0:1], s[20:21], exec
.LBB4_109:                              ;   in Loop: Header=BB4_8 Depth=1
	s_or_b64 exec, exec, s[8:9]
	s_mov_b64 s[22:23], -1
	s_mov_b64 s[8:9], 0
	s_mov_b64 s[20:21], 0
.LBB4_110:                              ;   in Loop: Header=BB4_8 Depth=1
	s_andn2_b64 s[10:11], s[64:65], exec
	s_and_b64 s[8:9], s[8:9], exec
	s_or_b64 s[64:65], s[10:11], s[8:9]
	s_andn2_b64 s[8:9], s[62:63], exec
	s_and_b64 s[10:11], s[22:23], exec
	s_or_b64 s[62:63], s[8:9], s[10:11]
	;; [unrolled: 3-line block ×3, first 2 shown]
	s_and_saveexec_b64 s[10:11], s[0:1]
	s_cbranch_execz .LBB4_7
; %bb.111:                              ;   in Loop: Header=BB4_8 Depth=1
	s_xor_b64 s[0:1], s[18:19], -1
	s_andn2_b64 vcc, exec, s[0:1]
	s_mov_b32 s47, 1
	s_cbranch_vccnz .LBB4_122
; %bb.112:                              ;   in Loop: Header=BB4_8 Depth=1
	v_pk_mov_b32 v[2:3], s[12:13], s[12:13] op_sel:[0,1]
	v_cmp_gt_i64_e32 vcc, s[54:55], v[2:3]
	s_mov_b64 s[0:1], -1
                                        ; implicit-def: $sgpr47
                                        ; implicit-def: $sgpr8
                                        ; implicit-def: $sgpr9
	s_cbranch_vccnz .LBB4_118
; %bb.113:                              ;   in Loop: Header=BB4_8 Depth=1
	ds_read_b64 v[2:3], v13 offset:5120
	s_waitcnt lgkmcnt(0)
	v_cmp_ne_u64_e32 vcc, 0, v[2:3]
	s_cbranch_vccnz .LBB4_117
; %bb.114:                              ;   in Loop: Header=BB4_8 Depth=1
	s_mov_b64 s[0:1], exec
	v_readlane_b32 s8, v48, 8
	v_readlane_b32 s9, v48, 9
	s_and_b64 s[8:9], s[0:1], s[8:9]
	s_mov_b64 exec, s[8:9]
	s_cbranch_execz .LBB4_116
; %bb.115:                              ;   in Loop: Header=BB4_8 Depth=1
	v_pk_mov_b32 v[2:3], s[12:13], s[12:13] op_sel:[0,1]
	ds_write_b64 v13, v[2:3] offset:5128
.LBB4_116:                              ;   in Loop: Header=BB4_8 Depth=1
	s_or_b64 exec, exec, s[0:1]
	s_waitcnt lgkmcnt(0)
	s_barrier
.LBB4_117:                              ;   in Loop: Header=BB4_8 Depth=1
	s_and_b32 s8, s73, s39
	s_or_b32 s9, s72, s46
	s_mov_b64 s[0:1], 0
	s_mov_b32 s47, 8
.LBB4_118:                              ;   in Loop: Header=BB4_8 Depth=1
	s_andn2_b64 vcc, exec, s[0:1]
	s_cbranch_vccnz .LBB4_120
; %bb.119:                              ;   in Loop: Header=BB4_8 Depth=1
	s_sub_u32 s54, s54, s12
	s_subb_u32 s55, s55, s13
	s_mov_b64 s[0:1], -1
	s_mov_b32 s47, 0
	s_mov_b32 s8, s73
	;; [unrolled: 1-line block ×3, first 2 shown]
.LBB4_120:                              ;   in Loop: Header=BB4_8 Depth=1
	s_mov_b32 s72, s9
	s_mov_b32 s73, s8
	s_mov_b64 s[12:13], -1
	s_and_b64 vcc, exec, s[0:1]
	s_cbranch_vccnz .LBB4_123
.LBB4_121:                              ;   in Loop: Header=BB4_8 Depth=1
	s_mov_b64 s[8:9], -1
                                        ; implicit-def: $sgpr16_sgpr17
                                        ; implicit-def: $sgpr20_sgpr21
                                        ; implicit-def: $sgpr18_sgpr19
	s_and_saveexec_b64 s[0:1], s[8:9]
	s_xor_b64 s[0:1], exec, s[0:1]
	s_cbranch_execz .LBB4_6
	s_branch .LBB4_263
.LBB4_122:                              ;   in Loop: Header=BB4_8 Depth=1
	s_mov_b64 s[54:55], 1
	s_mov_b64 s[12:13], -1
	s_branch .LBB4_121
.LBB4_123:                              ;   in Loop: Header=BB4_8 Depth=1
	s_cmp_eq_u64 s[24:25], 1
	s_cselect_b64 s[0:1], -1, 0
	s_cmp_eq_u64 s[54:55], 1
	s_cselect_b64 s[8:9], -1, 0
	s_and_b64 s[28:29], s[0:1], s[8:9]
	s_mov_b64 s[0:1], -1
	s_and_b64 vcc, exec, s[28:29]
	s_cbranch_vccz .LBB4_137
; %bb.124:                              ;   in Loop: Header=BB4_8 Depth=1
	ds_read_b64 v[2:3], v13 offset:5120
	s_waitcnt lgkmcnt(0)
	s_barrier
	v_readfirstlane_b32 s22, v2
	v_readfirstlane_b32 s23, v3
	s_mov_b64 s[0:1], exec
	v_readlane_b32 s8, v48, 12
	v_readlane_b32 s9, v48, 13
	s_and_b64 s[8:9], s[0:1], s[8:9]
	s_mov_b64 exec, s[8:9]
	s_cbranch_execz .LBB4_126
; %bb.125:                              ;   in Loop: Header=BB4_8 Depth=1
	ds_write_b8 v0, v13 offset:3072
.LBB4_126:                              ;   in Loop: Header=BB4_8 Depth=1
	s_or_b64 exec, exec, s[0:1]
	s_lshl_b32 s0, 1, s38
	s_and_b32 s1, s73, s39
	s_or_b32 s73, s1, s0
	v_cmp_gt_i64_e64 s[0:1], s[22:23], 0
	s_or_b32 s72, s72, s46
	s_and_b64 vcc, exec, s[0:1]
	s_waitcnt lgkmcnt(0)
	s_barrier
	s_cbranch_vccnz .LBB4_140
; %bb.127:                              ;   in Loop: Header=BB4_8 Depth=1
	s_mov_b32 s76, s71
	s_cmp_lg_u64 s[76:77], 0
	s_cbranch_scc0 .LBB4_183
; %bb.128:                              ;   in Loop: Header=BB4_8 Depth=1
	v_cvt_f32_u32_e32 v2, s33
	s_sub_u32 s0, 0, s33
	s_subb_u32 s1, 0, 0
	v_mac_f32_e32 v2, 0x4f800000, v38
	v_rcp_f32_e32 v2, v2
	v_mul_f32_e32 v2, 0x5f7ffffc, v2
	v_mul_f32_e32 v3, 0x2f800000, v2
	v_trunc_f32_e32 v3, v3
	v_mac_f32_e32 v2, 0xcf800000, v3
	v_cvt_u32_f32_e32 v3, v3
	v_cvt_u32_f32_e32 v2, v2
	v_readfirstlane_b32 s8, v3
	v_readfirstlane_b32 s9, v2
	s_mul_i32 s16, s0, s8
	s_mul_hi_u32 s18, s0, s9
	s_mul_i32 s17, s1, s9
	s_add_i32 s16, s18, s16
	s_mul_i32 s19, s0, s9
	s_add_i32 s16, s16, s17
	s_mul_hi_u32 s18, s9, s19
	s_mul_hi_u32 s17, s9, s16
	s_mul_i32 s9, s9, s16
	s_add_u32 s9, s18, s9
	s_addc_u32 s17, 0, s17
	s_mul_hi_u32 s20, s8, s19
	s_mul_i32 s19, s8, s19
	s_add_u32 s9, s9, s19
	s_mul_hi_u32 s18, s8, s16
	s_addc_u32 s9, s17, s20
	s_addc_u32 s17, s18, 0
	s_mul_i32 s16, s8, s16
	s_add_u32 s9, s9, s16
	s_addc_u32 s16, 0, s17
	v_add_co_u32_e32 v2, vcc, s9, v2
	s_cmp_lg_u64 vcc, 0
	s_addc_u32 s8, s8, s16
	v_readfirstlane_b32 s16, v2
	s_mul_i32 s9, s0, s8
	s_mul_hi_u32 s17, s0, s16
	s_add_i32 s9, s17, s9
	s_mul_i32 s1, s1, s16
	s_add_i32 s9, s9, s1
	s_mul_i32 s0, s0, s16
	s_mul_hi_u32 s17, s8, s0
	s_mul_i32 s18, s8, s0
	s_mul_i32 s20, s16, s9
	s_mul_hi_u32 s0, s16, s0
	s_mul_hi_u32 s19, s16, s9
	s_add_u32 s0, s0, s20
	s_addc_u32 s16, 0, s19
	s_add_u32 s0, s0, s18
	s_mul_hi_u32 s1, s8, s9
	s_addc_u32 s0, s16, s17
	s_addc_u32 s1, s1, 0
	s_mul_i32 s9, s8, s9
	s_add_u32 s0, s0, s9
	s_addc_u32 s1, 0, s1
	v_add_co_u32_e32 v2, vcc, s0, v2
	s_cmp_lg_u64 vcc, 0
	s_addc_u32 s16, s8, s1
	s_ashr_i32 s0, s77, 31
	v_readlane_b32 s8, v48, 19
	s_add_u32 s8, s8, s0
	s_mov_b32 s1, s0
	s_addc_u32 s9, s77, s0
	s_xor_b64 s[8:9], s[8:9], s[0:1]
	v_readfirstlane_b32 s18, v2
	s_mul_i32 s17, s8, s16
	s_mul_hi_u32 s19, s8, s18
	s_mul_hi_u32 s1, s8, s16
	s_add_u32 s17, s19, s17
	s_addc_u32 s1, 0, s1
	s_mul_hi_u32 s20, s9, s18
	s_mul_i32 s18, s9, s18
	s_add_u32 s17, s17, s18
	s_mul_hi_u32 s19, s9, s16
	s_addc_u32 s1, s1, s20
	s_addc_u32 s17, s19, 0
	s_mul_i32 s16, s9, s16
	s_add_u32 s1, s1, s16
	s_addc_u32 s16, 0, s17
	s_mul_hi_u32 s17, s33, s1
	s_mul_i32 s1, s33, s1
	s_mul_i32 s16, s33, s16
	v_mov_b32_e32 v2, s1
	s_add_i32 s17, s17, s16
	v_sub_co_u32_e32 v2, vcc, s8, v2
	s_cmp_lg_u64 vcc, 0
	s_subb_u32 s1, s9, s17
	v_subrev_co_u32_e32 v3, vcc, s33, v2
	s_cmp_lg_u64 vcc, 0
	s_subb_u32 s8, s1, 0
	v_subrev_co_u32_e32 v4, vcc, s33, v3
	s_cmp_lg_u64 vcc, 0
	s_subb_u32 s9, s8, 0
	v_cmp_le_u32_e32 vcc, s33, v3
	s_cmp_eq_u32 s8, 0
	v_cndmask_b32_e64 v5, 0, -1, vcc
	s_cselect_b64 vcc, -1, 0
	v_cndmask_b32_e32 v5, -1, v5, vcc
	v_mov_b32_e32 v6, s8
	v_mov_b32_e32 v7, s9
	v_cmp_ne_u32_e32 vcc, 0, v5
	v_cndmask_b32_e32 v5, v6, v7, vcc
	v_cndmask_b32_e32 v3, v3, v4, vcc
	v_cmp_le_u32_e32 vcc, s33, v2
	s_cmp_eq_u32 s1, 0
	v_cndmask_b32_e64 v4, 0, -1, vcc
	s_cselect_b64 vcc, -1, 0
	v_cndmask_b32_e32 v4, -1, v4, vcc
	v_cmp_ne_u32_e32 vcc, 0, v4
	v_mov_b32_e32 v6, s1
	v_cndmask_b32_e32 v2, v2, v3, vcc
	v_cndmask_b32_e32 v4, v6, v5, vcc
	v_xor_b32_e32 v2, s0, v2
	v_xor_b32_e32 v3, s0, v4
	v_mov_b32_e32 v4, s0
	v_subrev_co_u32_e32 v2, vcc, s0, v2
	v_subb_co_u32_e32 v3, vcc, v3, v4, vcc
	s_cbranch_execnz .LBB4_130
.LBB4_129:                              ;   in Loop: Header=BB4_8 Depth=1
	v_cvt_f32_u32_e32 v2, s33
	s_sub_i32 s0, 0, s33
	v_rcp_iflag_f32_e32 v2, v2
	v_mul_f32_e32 v2, 0x4f7ffffe, v2
	v_cvt_u32_f32_e32 v2, v2
	v_mul_lo_u32 v3, s0, v2
	v_mul_hi_u32 v3, v2, v3
	v_add_u32_e32 v2, v2, v3
	v_readlane_b32 s0, v48, 19
	v_mul_hi_u32 v2, s0, v2
	v_mul_lo_u32 v2, v2, s33
	v_sub_u32_e32 v2, s0, v2
	v_subrev_u32_e32 v3, s33, v2
	v_cmp_le_u32_e32 vcc, s33, v2
	v_cndmask_b32_e32 v2, v2, v3, vcc
	v_subrev_u32_e32 v3, s33, v2
	v_cmp_le_u32_e32 vcc, s33, v2
	v_cndmask_b32_e32 v12, v2, v3, vcc
	v_pk_mov_b32 v[2:3], v[12:13], v[12:13] op_sel:[0,1]
.LBB4_130:                              ;   in Loop: Header=BB4_8 Depth=1
	v_readlane_b32 s0, v48, 19
	v_mov_b32_e32 v4, s77
	v_sub_co_u32_e32 v2, vcc, s0, v2
	v_subb_co_u32_e32 v3, vcc, v4, v3, vcc
	v_cmp_gt_i64_e32 vcc, v[2:3], v[0:1]
	s_mov_b64 s[0:1], 0
                                        ; implicit-def: $vgpr39
	s_and_saveexec_b64 s[8:9], vcc
	s_cbranch_execz .LBB4_142
; %bb.131:                              ;   in Loop: Header=BB4_8 Depth=1
	v_pk_mov_b32 v[4:5], v[10:11], v[10:11] op_sel:[0,1]
	v_pk_mov_b32 v[6:7], v[0:1], v[0:1] op_sel:[0,1]
                                        ; implicit-def: $sgpr16_sgpr17
	s_branch .LBB4_133
.LBB4_132:                              ;   in Loop: Header=BB4_133 Depth=2
	s_or_b64 exec, exec, s[18:19]
	s_waitcnt lgkmcnt(0)
	s_barrier
	ds_read_u16 v8, v13 offset:3072
	v_mov_b32_e32 v9, s26
	v_add_co_u32_e32 v6, vcc, s33, v6
	v_addc_co_u32_e32 v7, vcc, v7, v9, vcc
	s_waitcnt lgkmcnt(0)
	v_cmp_ne_u16_sdwa s[18:19], v8, v13 src0_sel:BYTE_0 src1_sel:DWORD
	v_cmp_ge_i64_e32 vcc, v[6:7], v[2:3]
	s_or_b64 s[20:21], s[18:19], vcc
	s_and_b64 s[20:21], exec, s[20:21]
	s_or_b64 s[0:1], s[20:21], s[0:1]
	v_mov_b32_e32 v9, s27
	v_add_co_u32_e32 v4, vcc, s84, v4
	s_andn2_b64 s[16:17], s[16:17], exec
	s_and_b64 s[18:19], s[18:19], exec
	v_addc_co_u32_e32 v5, vcc, v5, v9, vcc
	s_or_b64 s[16:17], s[16:17], s[18:19]
	s_barrier
	s_andn2_b64 exec, exec, s[0:1]
	s_cbranch_execz .LBB4_141
.LBB4_133:                              ;   Parent Loop BB4_8 Depth=1
                                        ; =>  This Inner Loop Header: Depth=2
	v_cmp_gt_i64_e32 vcc, s[52:53], v[6:7]
	v_mov_b32_e32 v8, 0
	s_and_saveexec_b64 s[18:19], vcc
	s_cbranch_execz .LBB4_135
; %bb.134:                              ;   in Loop: Header=BB4_133 Depth=2
	global_load_ubyte v8, v[4:5], off
.LBB4_135:                              ;   in Loop: Header=BB4_133 Depth=2
	s_or_b64 exec, exec, s[18:19]
	s_waitcnt vmcnt(0)
	v_and_b32_e32 v9, s72, v8
	v_cmp_eq_u32_sdwa s[18:19], v9, s73 src0_sel:BYTE_0 src1_sel:DWORD
	s_and_b64 s[20:21], vcc, s[18:19]
	s_and_saveexec_b64 s[18:19], s[20:21]
	s_cbranch_execz .LBB4_132
; %bb.136:                              ;   in Loop: Header=BB4_133 Depth=2
	v_lshlrev_b16_e32 v8, 8, v8
	v_or_b32_e32 v8, 1, v8
	ds_write_b16 v13, v8 offset:3072
	s_branch .LBB4_132
.LBB4_137:                              ;   in Loop: Header=BB4_8 Depth=1
                                        ; implicit-def: $sgpr18_sgpr19
                                        ; implicit-def: $sgpr20_sgpr21
                                        ; implicit-def: $sgpr16_sgpr17
	s_branch .LBB4_155
.LBB4_138:                              ;   in Loop: Header=BB4_8 Depth=1
                                        ; implicit-def: $vgpr2_vgpr3
	s_branch .LBB4_86
.LBB4_139:                              ;   in Loop: Header=BB4_8 Depth=1
                                        ; implicit-def: $vgpr2_vgpr3
	s_branch .LBB4_100
.LBB4_140:                              ;   in Loop: Header=BB4_8 Depth=1
	s_mov_b64 s[18:19], -1
	s_mov_b64 s[0:1], 0
                                        ; implicit-def: $sgpr16_sgpr17
                                        ; implicit-def: $vgpr39
	s_mov_b64 s[20:21], s[18:19]
	s_cbranch_execnz .LBB4_143
	s_branch .LBB4_155
.LBB4_141:                              ;   in Loop: Header=BB4_8 Depth=1
	s_or_b64 exec, exec, s[0:1]
	v_lshrrev_b16_e32 v39, 8, v8
	s_and_b64 s[0:1], s[16:17], exec
.LBB4_142:                              ;   in Loop: Header=BB4_8 Depth=1
	s_or_b64 exec, exec, s[8:9]
	s_mov_b64 s[16:17], -1
	s_mov_b64 s[18:19], 0
	s_mov_b64 s[20:21], s[18:19]
	s_branch .LBB4_155
.LBB4_143:                              ;   in Loop: Header=BB4_8 Depth=1
	v_readlane_b32 s0, v48, 18
	s_add_u32 s16, s0, s22
	v_readlane_b32 s0, v48, 20
	s_addc_u32 s1, s0, s23
	s_mov_b32 s0, s71
	s_cmp_lg_u64 s[0:1], 0
	s_cbranch_scc0 .LBB4_184
; %bb.144:                              ;   in Loop: Header=BB4_8 Depth=1
	v_cvt_f32_u32_e32 v2, s33
	s_sub_u32 s0, 0, s33
	s_subb_u32 s8, 0, 0
	v_mac_f32_e32 v2, 0x4f800000, v38
	v_rcp_f32_e32 v2, v2
	v_mul_f32_e32 v2, 0x5f7ffffc, v2
	v_mul_f32_e32 v3, 0x2f800000, v2
	v_trunc_f32_e32 v3, v3
	v_mac_f32_e32 v2, 0xcf800000, v3
	v_cvt_u32_f32_e32 v3, v3
	v_cvt_u32_f32_e32 v2, v2
	v_readfirstlane_b32 s9, v3
	v_readfirstlane_b32 s17, v2
	s_mul_i32 s18, s0, s9
	s_mul_hi_u32 s20, s0, s17
	s_mul_i32 s19, s8, s17
	s_add_i32 s18, s20, s18
	s_mul_i32 s21, s0, s17
	s_add_i32 s18, s18, s19
	s_mul_hi_u32 s20, s17, s21
	s_mul_hi_u32 s19, s17, s18
	s_mul_i32 s17, s17, s18
	s_add_u32 s17, s20, s17
	s_addc_u32 s19, 0, s19
	s_mul_hi_u32 s30, s9, s21
	s_mul_i32 s21, s9, s21
	s_add_u32 s17, s17, s21
	s_mul_hi_u32 s20, s9, s18
	s_addc_u32 s17, s19, s30
	s_addc_u32 s19, s20, 0
	s_mul_i32 s18, s9, s18
	s_add_u32 s17, s17, s18
	s_addc_u32 s18, 0, s19
	v_add_co_u32_e32 v2, vcc, s17, v2
	s_cmp_lg_u64 vcc, 0
	s_addc_u32 s9, s9, s18
	v_readfirstlane_b32 s18, v2
	s_mul_i32 s17, s0, s9
	s_mul_hi_u32 s19, s0, s18
	s_add_i32 s17, s19, s17
	s_mul_i32 s8, s8, s18
	s_add_i32 s17, s17, s8
	s_mul_i32 s0, s0, s18
	s_mul_hi_u32 s19, s9, s0
	s_mul_i32 s20, s9, s0
	s_mul_i32 s30, s18, s17
	s_mul_hi_u32 s0, s18, s0
	s_mul_hi_u32 s21, s18, s17
	s_add_u32 s0, s0, s30
	s_addc_u32 s18, 0, s21
	s_add_u32 s0, s0, s20
	s_mul_hi_u32 s8, s9, s17
	s_addc_u32 s0, s18, s19
	s_addc_u32 s8, s8, 0
	s_mul_i32 s17, s9, s17
	s_add_u32 s0, s0, s17
	s_addc_u32 s8, 0, s8
	v_add_co_u32_e32 v2, vcc, s0, v2
	s_cmp_lg_u64 vcc, 0
	s_addc_u32 s0, s9, s8
	s_ashr_i32 s8, s1, 31
	s_add_u32 s18, s16, s8
	s_mov_b32 s9, s8
	s_addc_u32 s19, s1, s8
	s_xor_b64 s[18:19], s[18:19], s[8:9]
	v_readfirstlane_b32 s20, v2
	s_mul_i32 s17, s18, s0
	s_mul_hi_u32 s21, s18, s20
	s_mul_hi_u32 s9, s18, s0
	s_add_u32 s17, s21, s17
	s_addc_u32 s9, 0, s9
	s_mul_hi_u32 s30, s19, s20
	s_mul_i32 s20, s19, s20
	s_add_u32 s17, s17, s20
	s_mul_hi_u32 s21, s19, s0
	s_addc_u32 s9, s9, s30
	s_addc_u32 s17, s21, 0
	s_mul_i32 s0, s19, s0
	s_add_u32 s0, s9, s0
	s_addc_u32 s9, 0, s17
	s_mul_hi_u32 s17, s33, s0
	s_mul_i32 s0, s33, s0
	s_mul_i32 s9, s33, s9
	v_mov_b32_e32 v2, s0
	s_add_i32 s17, s17, s9
	v_sub_co_u32_e32 v2, vcc, s18, v2
	s_cmp_lg_u64 vcc, 0
	s_subb_u32 s0, s19, s17
	v_subrev_co_u32_e32 v3, vcc, s33, v2
	s_cmp_lg_u64 vcc, 0
	s_subb_u32 s9, s0, 0
	v_subrev_co_u32_e32 v4, vcc, s33, v3
	s_cmp_lg_u64 vcc, 0
	s_subb_u32 s17, s9, 0
	v_cmp_le_u32_e32 vcc, s33, v3
	s_cmp_eq_u32 s9, 0
	v_cndmask_b32_e64 v5, 0, -1, vcc
	s_cselect_b64 vcc, -1, 0
	v_cndmask_b32_e32 v5, -1, v5, vcc
	v_mov_b32_e32 v6, s9
	v_mov_b32_e32 v7, s17
	v_cmp_ne_u32_e32 vcc, 0, v5
	v_cndmask_b32_e32 v5, v6, v7, vcc
	v_cndmask_b32_e32 v3, v3, v4, vcc
	v_cmp_le_u32_e32 vcc, s33, v2
	s_cmp_eq_u32 s0, 0
	v_cndmask_b32_e64 v4, 0, -1, vcc
	s_cselect_b64 vcc, -1, 0
	v_cndmask_b32_e32 v4, -1, v4, vcc
	v_cmp_ne_u32_e32 vcc, 0, v4
	v_mov_b32_e32 v6, s0
	v_cndmask_b32_e32 v2, v2, v3, vcc
	v_cndmask_b32_e32 v4, v6, v5, vcc
	v_xor_b32_e32 v2, s8, v2
	v_xor_b32_e32 v3, s8, v4
	v_mov_b32_e32 v4, s8
	v_subrev_co_u32_e32 v2, vcc, s8, v2
	v_subb_co_u32_e32 v3, vcc, v3, v4, vcc
	s_cbranch_execnz .LBB4_146
.LBB4_145:                              ;   in Loop: Header=BB4_8 Depth=1
	v_cvt_f32_u32_e32 v2, s33
	s_sub_i32 s0, 0, s33
	v_rcp_iflag_f32_e32 v2, v2
	v_mul_f32_e32 v2, 0x4f7ffffe, v2
	v_cvt_u32_f32_e32 v2, v2
	v_mul_lo_u32 v3, s0, v2
	v_mul_hi_u32 v3, v2, v3
	v_add_u32_e32 v2, v2, v3
	v_mul_hi_u32 v2, s16, v2
	v_mul_lo_u32 v2, v2, s33
	v_sub_u32_e32 v2, s16, v2
	v_subrev_u32_e32 v3, s33, v2
	v_cmp_le_u32_e32 vcc, s33, v2
	v_cndmask_b32_e32 v2, v2, v3, vcc
	v_subrev_u32_e32 v3, s33, v2
	v_cmp_le_u32_e32 vcc, s33, v2
	v_cndmask_b32_e32 v12, v2, v3, vcc
	v_pk_mov_b32 v[2:3], v[12:13], v[12:13] op_sel:[0,1]
.LBB4_146:                              ;   in Loop: Header=BB4_8 Depth=1
	v_mov_b32_e32 v4, s1
	v_sub_co_u32_e32 v2, vcc, s16, v2
	v_subb_co_u32_e32 v3, vcc, v4, v3, vcc
	v_cmp_gt_i64_e32 vcc, v[2:3], v[0:1]
	s_mov_b64 s[0:1], 0
                                        ; implicit-def: $vgpr39
	s_and_saveexec_b64 s[8:9], vcc
	s_cbranch_execz .LBB4_154
; %bb.147:                              ;   in Loop: Header=BB4_8 Depth=1
	v_mov_b32_e32 v6, v0
	v_pk_mov_b32 v[4:5], v[0:1], v[0:1] op_sel:[0,1]
                                        ; implicit-def: $sgpr16_sgpr17
	s_branch .LBB4_149
.LBB4_148:                              ;   in Loop: Header=BB4_149 Depth=2
	s_or_b64 exec, exec, s[18:19]
	s_waitcnt lgkmcnt(0)
	s_barrier
	ds_read_u16 v7, v13 offset:3072
	v_mov_b32_e32 v8, s26
	v_add_co_u32_e32 v4, vcc, s33, v4
	v_addc_co_u32_e32 v5, vcc, v5, v8, vcc
	s_waitcnt lgkmcnt(0)
	v_cmp_ne_u16_sdwa s[18:19], v7, v13 src0_sel:BYTE_0 src1_sel:DWORD
	v_cmp_ge_i64_e32 vcc, v[4:5], v[2:3]
	s_or_b64 s[20:21], s[18:19], vcc
	s_and_b64 s[20:21], exec, s[20:21]
	s_or_b64 s[0:1], s[20:21], s[0:1]
	s_andn2_b64 s[16:17], s[16:17], exec
	s_and_b64 s[18:19], s[18:19], exec
	v_add_u32_e32 v6, s33, v6
	s_or_b64 s[16:17], s[16:17], s[18:19]
	s_barrier
	s_andn2_b64 exec, exec, s[0:1]
	s_cbranch_execz .LBB4_153
.LBB4_149:                              ;   Parent Loop BB4_8 Depth=1
                                        ; =>  This Inner Loop Header: Depth=2
	v_cmp_gt_i64_e32 vcc, s[22:23], v[4:5]
	v_mov_b32_e32 v7, 0
	s_and_saveexec_b64 s[18:19], vcc
	s_cbranch_execz .LBB4_151
; %bb.150:                              ;   in Loop: Header=BB4_149 Depth=2
	ds_read_u8 v7, v6
.LBB4_151:                              ;   in Loop: Header=BB4_149 Depth=2
	s_or_b64 exec, exec, s[18:19]
	s_waitcnt lgkmcnt(0)
	v_and_b32_e32 v8, s72, v7
	v_cmp_eq_u32_sdwa s[18:19], v8, s73 src0_sel:BYTE_0 src1_sel:DWORD
	s_and_b64 s[20:21], vcc, s[18:19]
	s_and_saveexec_b64 s[18:19], s[20:21]
	s_cbranch_execz .LBB4_148
; %bb.152:                              ;   in Loop: Header=BB4_149 Depth=2
	v_lshlrev_b16_e32 v7, 8, v7
	v_or_b32_e32 v7, 1, v7
	ds_write_b16 v13, v7 offset:3072
	s_branch .LBB4_148
.LBB4_153:                              ;   in Loop: Header=BB4_8 Depth=1
	s_or_b64 exec, exec, s[0:1]
	v_lshrrev_b16_e32 v39, 8, v7
	s_and_b64 s[0:1], s[16:17], exec
.LBB4_154:                              ;   in Loop: Header=BB4_8 Depth=1
	s_or_b64 exec, exec, s[8:9]
	s_mov_b64 s[20:21], -1
	s_mov_b64 s[18:19], 0
	s_mov_b64 s[16:17], 0
.LBB4_155:                              ;   in Loop: Header=BB4_8 Depth=1
	s_mov_b64 s[8:9], 0
                                        ; implicit-def: $sgpr47
	s_and_saveexec_b64 s[22:23], s[0:1]
	s_cbranch_execz .LBB4_262
; %bb.156:                              ;   in Loop: Header=BB4_8 Depth=1
	s_xor_b64 s[0:1], s[28:29], -1
	s_andn2_b64 vcc, exec, s[0:1]
	s_mov_b32 s47, 1
	s_cbranch_vccnz .LBB4_167
; %bb.157:                              ;   in Loop: Header=BB4_8 Depth=1
	v_pk_mov_b32 v[2:3], s[24:25], s[24:25] op_sel:[0,1]
	v_cmp_gt_i64_e32 vcc, s[54:55], v[2:3]
	s_mov_b64 s[0:1], -1
                                        ; implicit-def: $sgpr47
                                        ; implicit-def: $sgpr8
                                        ; implicit-def: $sgpr9
	s_cbranch_vccnz .LBB4_163
; %bb.158:                              ;   in Loop: Header=BB4_8 Depth=1
	ds_read_b64 v[2:3], v13 offset:5120
	s_waitcnt lgkmcnt(0)
	v_cmp_ne_u64_e32 vcc, 0, v[2:3]
	s_cbranch_vccnz .LBB4_162
; %bb.159:                              ;   in Loop: Header=BB4_8 Depth=1
	s_mov_b64 s[0:1], exec
	v_readlane_b32 s8, v48, 8
	v_readlane_b32 s9, v48, 9
	s_and_b64 s[8:9], s[0:1], s[8:9]
	s_mov_b64 exec, s[8:9]
	s_cbranch_execz .LBB4_161
; %bb.160:                              ;   in Loop: Header=BB4_8 Depth=1
	v_pk_mov_b32 v[2:3], s[24:25], s[24:25] op_sel:[0,1]
	ds_write_b64 v13, v[2:3] offset:5128
.LBB4_161:                              ;   in Loop: Header=BB4_8 Depth=1
	s_or_b64 exec, exec, s[0:1]
	s_waitcnt lgkmcnt(0)
	s_barrier
.LBB4_162:                              ;   in Loop: Header=BB4_8 Depth=1
	s_lshl_b32 s0, 1, s38
	s_and_b32 s1, s73, s39
	s_or_b32 s8, s1, s0
	s_or_b32 s9, s72, s46
	s_mov_b64 s[0:1], 0
	s_mov_b32 s47, 8
.LBB4_163:                              ;   in Loop: Header=BB4_8 Depth=1
	s_andn2_b64 vcc, exec, s[0:1]
	s_cbranch_vccnz .LBB4_165
; %bb.164:                              ;   in Loop: Header=BB4_8 Depth=1
	s_sub_u32 s54, s54, s24
	s_subb_u32 s55, s55, s25
	s_mov_b64 s[0:1], -1
	s_mov_b32 s47, 0
	s_mov_b32 s8, s73
	;; [unrolled: 1-line block ×3, first 2 shown]
.LBB4_165:                              ;   in Loop: Header=BB4_8 Depth=1
	s_mov_b32 s72, s9
	s_mov_b32 s73, s8
	s_andn2_b64 vcc, exec, s[0:1]
	s_mov_b64 s[8:9], -1
	s_cbranch_vccz .LBB4_168
.LBB4_166:                              ;   in Loop: Header=BB4_8 Depth=1
                                        ; implicit-def: $sgpr28_sgpr29
                                        ; implicit-def: $sgpr30_sgpr31
                                        ; implicit-def: $sgpr24_sgpr25
	s_branch .LBB4_261
.LBB4_167:                              ;   in Loop: Header=BB4_8 Depth=1
	s_mov_b64 s[54:55], 1
	s_mov_b64 s[8:9], -1
	s_cbranch_execnz .LBB4_166
.LBB4_168:                              ;   in Loop: Header=BB4_8 Depth=1
	s_cmp_eq_u64 s[14:15], 1
	s_cselect_b64 s[0:1], -1, 0
	s_cmp_eq_u64 s[54:55], 1
	s_cselect_b64 s[8:9], -1, 0
	s_and_b64 s[36:37], s[0:1], s[8:9]
	s_mov_b64 s[0:1], -1
	s_and_b64 vcc, exec, s[36:37]
	s_cbranch_vccz .LBB4_182
; %bb.169:                              ;   in Loop: Header=BB4_8 Depth=1
	ds_read_b64 v[2:3], v13 offset:5120
	s_waitcnt lgkmcnt(0)
	s_barrier
	v_readfirstlane_b32 s34, v2
	v_readfirstlane_b32 s35, v3
	s_mov_b64 s[0:1], exec
	v_readlane_b32 s8, v48, 12
	v_readlane_b32 s9, v48, 13
	s_and_b64 s[8:9], s[0:1], s[8:9]
	s_mov_b64 exec, s[8:9]
	s_cbranch_execz .LBB4_171
; %bb.170:                              ;   in Loop: Header=BB4_8 Depth=1
	ds_write_b8 v0, v13 offset:3072
.LBB4_171:                              ;   in Loop: Header=BB4_8 Depth=1
	s_or_b64 exec, exec, s[0:1]
	s_lshl_b32 s0, 2, s38
	s_and_b32 s1, s73, s39
	s_or_b32 s73, s1, s0
	v_cmp_gt_i64_e64 s[0:1], s[34:35], 0
	s_or_b32 s72, s72, s46
	s_and_b64 vcc, exec, s[0:1]
	s_waitcnt lgkmcnt(0)
	s_barrier
	s_cbranch_vccnz .LBB4_185
; %bb.172:                              ;   in Loop: Header=BB4_8 Depth=1
	s_mov_b32 s76, s71
	s_cmp_lg_u64 s[76:77], 0
	s_cbranch_scc0 .LBB4_228
; %bb.173:                              ;   in Loop: Header=BB4_8 Depth=1
	v_cvt_f32_u32_e32 v2, s33
	s_sub_u32 s0, 0, s33
	s_subb_u32 s1, 0, 0
	v_mac_f32_e32 v2, 0x4f800000, v38
	v_rcp_f32_e32 v2, v2
	v_mul_f32_e32 v2, 0x5f7ffffc, v2
	v_mul_f32_e32 v3, 0x2f800000, v2
	v_trunc_f32_e32 v3, v3
	v_mac_f32_e32 v2, 0xcf800000, v3
	v_cvt_u32_f32_e32 v3, v3
	v_cvt_u32_f32_e32 v2, v2
	v_readfirstlane_b32 s8, v3
	v_readfirstlane_b32 s9, v2
	s_mul_i32 s24, s0, s8
	s_mul_hi_u32 s28, s0, s9
	s_mul_i32 s25, s1, s9
	s_add_i32 s24, s28, s24
	s_mul_i32 s29, s0, s9
	s_add_i32 s24, s24, s25
	s_mul_hi_u32 s28, s9, s29
	s_mul_hi_u32 s25, s9, s24
	s_mul_i32 s9, s9, s24
	s_add_u32 s9, s28, s9
	s_addc_u32 s25, 0, s25
	s_mul_hi_u32 s30, s8, s29
	s_mul_i32 s29, s8, s29
	s_add_u32 s9, s9, s29
	s_mul_hi_u32 s28, s8, s24
	s_addc_u32 s9, s25, s30
	s_addc_u32 s25, s28, 0
	s_mul_i32 s24, s8, s24
	s_add_u32 s9, s9, s24
	s_addc_u32 s24, 0, s25
	v_add_co_u32_e32 v2, vcc, s9, v2
	s_cmp_lg_u64 vcc, 0
	s_addc_u32 s8, s8, s24
	v_readfirstlane_b32 s24, v2
	s_mul_i32 s9, s0, s8
	s_mul_hi_u32 s25, s0, s24
	s_add_i32 s9, s25, s9
	s_mul_i32 s1, s1, s24
	s_add_i32 s9, s9, s1
	s_mul_i32 s0, s0, s24
	s_mul_hi_u32 s25, s8, s0
	s_mul_i32 s28, s8, s0
	s_mul_i32 s30, s24, s9
	s_mul_hi_u32 s0, s24, s0
	s_mul_hi_u32 s29, s24, s9
	s_add_u32 s0, s0, s30
	s_addc_u32 s24, 0, s29
	s_add_u32 s0, s0, s28
	s_mul_hi_u32 s1, s8, s9
	s_addc_u32 s0, s24, s25
	s_addc_u32 s1, s1, 0
	s_mul_i32 s9, s8, s9
	s_add_u32 s0, s0, s9
	s_addc_u32 s1, 0, s1
	v_add_co_u32_e32 v2, vcc, s0, v2
	s_cmp_lg_u64 vcc, 0
	s_addc_u32 s24, s8, s1
	s_ashr_i32 s0, s77, 31
	v_readlane_b32 s8, v48, 19
	s_add_u32 s8, s8, s0
	s_mov_b32 s1, s0
	s_addc_u32 s9, s77, s0
	s_xor_b64 s[8:9], s[8:9], s[0:1]
	v_readfirstlane_b32 s28, v2
	s_mul_i32 s25, s8, s24
	s_mul_hi_u32 s29, s8, s28
	s_mul_hi_u32 s1, s8, s24
	s_add_u32 s25, s29, s25
	s_addc_u32 s1, 0, s1
	s_mul_hi_u32 s30, s9, s28
	s_mul_i32 s28, s9, s28
	s_add_u32 s25, s25, s28
	s_mul_hi_u32 s29, s9, s24
	s_addc_u32 s1, s1, s30
	s_addc_u32 s25, s29, 0
	s_mul_i32 s24, s9, s24
	s_add_u32 s1, s1, s24
	s_addc_u32 s24, 0, s25
	s_mul_hi_u32 s25, s33, s1
	s_mul_i32 s1, s33, s1
	s_mul_i32 s24, s33, s24
	v_mov_b32_e32 v2, s1
	s_add_i32 s25, s25, s24
	v_sub_co_u32_e32 v2, vcc, s8, v2
	s_cmp_lg_u64 vcc, 0
	s_subb_u32 s1, s9, s25
	v_subrev_co_u32_e32 v3, vcc, s33, v2
	s_cmp_lg_u64 vcc, 0
	s_subb_u32 s8, s1, 0
	v_subrev_co_u32_e32 v4, vcc, s33, v3
	s_cmp_lg_u64 vcc, 0
	s_subb_u32 s9, s8, 0
	v_cmp_le_u32_e32 vcc, s33, v3
	s_cmp_eq_u32 s8, 0
	v_cndmask_b32_e64 v5, 0, -1, vcc
	s_cselect_b64 vcc, -1, 0
	v_cndmask_b32_e32 v5, -1, v5, vcc
	v_mov_b32_e32 v6, s8
	v_mov_b32_e32 v7, s9
	v_cmp_ne_u32_e32 vcc, 0, v5
	v_cndmask_b32_e32 v5, v6, v7, vcc
	v_cndmask_b32_e32 v3, v3, v4, vcc
	v_cmp_le_u32_e32 vcc, s33, v2
	s_cmp_eq_u32 s1, 0
	v_cndmask_b32_e64 v4, 0, -1, vcc
	s_cselect_b64 vcc, -1, 0
	v_cndmask_b32_e32 v4, -1, v4, vcc
	v_cmp_ne_u32_e32 vcc, 0, v4
	v_mov_b32_e32 v6, s1
	v_cndmask_b32_e32 v2, v2, v3, vcc
	v_cndmask_b32_e32 v4, v6, v5, vcc
	v_xor_b32_e32 v2, s0, v2
	v_xor_b32_e32 v3, s0, v4
	v_mov_b32_e32 v4, s0
	v_subrev_co_u32_e32 v2, vcc, s0, v2
	v_subb_co_u32_e32 v3, vcc, v3, v4, vcc
	s_cbranch_execnz .LBB4_175
.LBB4_174:                              ;   in Loop: Header=BB4_8 Depth=1
	v_cvt_f32_u32_e32 v2, s33
	s_sub_i32 s0, 0, s33
	v_rcp_iflag_f32_e32 v2, v2
	v_mul_f32_e32 v2, 0x4f7ffffe, v2
	v_cvt_u32_f32_e32 v2, v2
	v_mul_lo_u32 v3, s0, v2
	v_mul_hi_u32 v3, v2, v3
	v_add_u32_e32 v2, v2, v3
	v_readlane_b32 s0, v48, 19
	v_mul_hi_u32 v2, s0, v2
	v_mul_lo_u32 v2, v2, s33
	v_sub_u32_e32 v2, s0, v2
	v_subrev_u32_e32 v3, s33, v2
	v_cmp_le_u32_e32 vcc, s33, v2
	v_cndmask_b32_e32 v2, v2, v3, vcc
	v_subrev_u32_e32 v3, s33, v2
	v_cmp_le_u32_e32 vcc, s33, v2
	v_cndmask_b32_e32 v12, v2, v3, vcc
	v_pk_mov_b32 v[2:3], v[12:13], v[12:13] op_sel:[0,1]
.LBB4_175:                              ;   in Loop: Header=BB4_8 Depth=1
	v_readlane_b32 s0, v48, 19
	v_mov_b32_e32 v4, s77
	v_sub_co_u32_e32 v2, vcc, s0, v2
	v_subb_co_u32_e32 v3, vcc, v4, v3, vcc
	v_cmp_gt_i64_e32 vcc, v[2:3], v[0:1]
	s_mov_b64 s[0:1], 0
                                        ; implicit-def: $vgpr39
	s_and_saveexec_b64 s[8:9], vcc
	s_cbranch_execz .LBB4_187
; %bb.176:                              ;   in Loop: Header=BB4_8 Depth=1
	v_pk_mov_b32 v[4:5], v[10:11], v[10:11] op_sel:[0,1]
	v_pk_mov_b32 v[6:7], v[0:1], v[0:1] op_sel:[0,1]
                                        ; implicit-def: $sgpr24_sgpr25
	s_branch .LBB4_178
.LBB4_177:                              ;   in Loop: Header=BB4_178 Depth=2
	s_or_b64 exec, exec, s[28:29]
	s_waitcnt lgkmcnt(0)
	s_barrier
	ds_read_u16 v8, v13 offset:3072
	v_mov_b32_e32 v9, s26
	v_add_co_u32_e32 v6, vcc, s33, v6
	v_addc_co_u32_e32 v7, vcc, v7, v9, vcc
	s_waitcnt lgkmcnt(0)
	v_cmp_ne_u16_sdwa s[28:29], v8, v13 src0_sel:BYTE_0 src1_sel:DWORD
	v_cmp_ge_i64_e32 vcc, v[6:7], v[2:3]
	s_or_b64 s[30:31], s[28:29], vcc
	s_and_b64 s[30:31], exec, s[30:31]
	s_or_b64 s[0:1], s[30:31], s[0:1]
	v_mov_b32_e32 v9, s27
	v_add_co_u32_e32 v4, vcc, s84, v4
	s_andn2_b64 s[24:25], s[24:25], exec
	s_and_b64 s[28:29], s[28:29], exec
	v_addc_co_u32_e32 v5, vcc, v5, v9, vcc
	s_or_b64 s[24:25], s[24:25], s[28:29]
	s_barrier
	s_andn2_b64 exec, exec, s[0:1]
	s_cbranch_execz .LBB4_186
.LBB4_178:                              ;   Parent Loop BB4_8 Depth=1
                                        ; =>  This Inner Loop Header: Depth=2
	v_cmp_gt_i64_e32 vcc, s[52:53], v[6:7]
	v_mov_b32_e32 v8, 0
	s_and_saveexec_b64 s[28:29], vcc
	s_cbranch_execz .LBB4_180
; %bb.179:                              ;   in Loop: Header=BB4_178 Depth=2
	global_load_ubyte v8, v[4:5], off
.LBB4_180:                              ;   in Loop: Header=BB4_178 Depth=2
	s_or_b64 exec, exec, s[28:29]
	s_waitcnt vmcnt(0)
	v_and_b32_e32 v9, s72, v8
	v_cmp_eq_u32_sdwa s[28:29], v9, s73 src0_sel:BYTE_0 src1_sel:DWORD
	s_and_b64 s[30:31], vcc, s[28:29]
	s_and_saveexec_b64 s[28:29], s[30:31]
	s_cbranch_execz .LBB4_177
; %bb.181:                              ;   in Loop: Header=BB4_178 Depth=2
	v_lshlrev_b16_e32 v8, 8, v8
	v_or_b32_e32 v8, 1, v8
	ds_write_b16 v13, v8 offset:3072
	s_branch .LBB4_177
.LBB4_182:                              ;   in Loop: Header=BB4_8 Depth=1
                                        ; implicit-def: $sgpr24_sgpr25
                                        ; implicit-def: $sgpr30_sgpr31
                                        ; implicit-def: $sgpr28_sgpr29
	s_branch .LBB4_200
.LBB4_183:                              ;   in Loop: Header=BB4_8 Depth=1
                                        ; implicit-def: $vgpr2_vgpr3
	s_branch .LBB4_129
.LBB4_184:                              ;   in Loop: Header=BB4_8 Depth=1
                                        ; implicit-def: $vgpr2_vgpr3
	s_branch .LBB4_145
.LBB4_185:                              ;   in Loop: Header=BB4_8 Depth=1
	s_mov_b64 s[24:25], -1
	s_mov_b64 s[0:1], 0
                                        ; implicit-def: $sgpr28_sgpr29
                                        ; implicit-def: $vgpr39
	s_mov_b64 s[30:31], s[24:25]
	s_cbranch_execnz .LBB4_188
	s_branch .LBB4_200
.LBB4_186:                              ;   in Loop: Header=BB4_8 Depth=1
	s_or_b64 exec, exec, s[0:1]
	v_lshrrev_b16_e32 v39, 8, v8
	s_and_b64 s[0:1], s[24:25], exec
.LBB4_187:                              ;   in Loop: Header=BB4_8 Depth=1
	s_or_b64 exec, exec, s[8:9]
	s_mov_b64 s[28:29], -1
	s_mov_b64 s[24:25], 0
	s_mov_b64 s[30:31], s[24:25]
	s_branch .LBB4_200
.LBB4_188:                              ;   in Loop: Header=BB4_8 Depth=1
	v_readlane_b32 s0, v48, 18
	s_add_u32 s24, s0, s34
	v_readlane_b32 s0, v48, 20
	s_addc_u32 s1, s0, s35
	s_mov_b32 s0, s71
	s_cmp_lg_u64 s[0:1], 0
	s_cbranch_scc0 .LBB4_229
; %bb.189:                              ;   in Loop: Header=BB4_8 Depth=1
	v_cvt_f32_u32_e32 v2, s33
	s_sub_u32 s0, 0, s33
	s_subb_u32 s8, 0, 0
	v_mac_f32_e32 v2, 0x4f800000, v38
	v_rcp_f32_e32 v2, v2
	v_mul_f32_e32 v2, 0x5f7ffffc, v2
	v_mul_f32_e32 v3, 0x2f800000, v2
	v_trunc_f32_e32 v3, v3
	v_mac_f32_e32 v2, 0xcf800000, v3
	v_cvt_u32_f32_e32 v3, v3
	v_cvt_u32_f32_e32 v2, v2
	v_readfirstlane_b32 s9, v3
	v_readfirstlane_b32 s25, v2
	s_mul_i32 s28, s0, s9
	s_mul_hi_u32 s30, s0, s25
	s_mul_i32 s29, s8, s25
	s_add_i32 s28, s30, s28
	s_mul_i32 s31, s0, s25
	s_add_i32 s28, s28, s29
	s_mul_hi_u32 s30, s25, s31
	s_mul_hi_u32 s29, s25, s28
	s_mul_i32 s25, s25, s28
	s_add_u32 s25, s30, s25
	s_addc_u32 s29, 0, s29
	s_mul_hi_u32 s40, s9, s31
	s_mul_i32 s31, s9, s31
	s_add_u32 s25, s25, s31
	s_mul_hi_u32 s30, s9, s28
	s_addc_u32 s25, s29, s40
	s_addc_u32 s29, s30, 0
	s_mul_i32 s28, s9, s28
	s_add_u32 s25, s25, s28
	s_addc_u32 s28, 0, s29
	v_add_co_u32_e32 v2, vcc, s25, v2
	s_cmp_lg_u64 vcc, 0
	s_addc_u32 s9, s9, s28
	v_readfirstlane_b32 s28, v2
	s_mul_i32 s25, s0, s9
	s_mul_hi_u32 s29, s0, s28
	s_add_i32 s25, s29, s25
	s_mul_i32 s8, s8, s28
	s_add_i32 s25, s25, s8
	s_mul_i32 s0, s0, s28
	s_mul_hi_u32 s29, s9, s0
	s_mul_i32 s30, s9, s0
	s_mul_i32 s40, s28, s25
	s_mul_hi_u32 s0, s28, s0
	s_mul_hi_u32 s31, s28, s25
	s_add_u32 s0, s0, s40
	s_addc_u32 s28, 0, s31
	s_add_u32 s0, s0, s30
	s_mul_hi_u32 s8, s9, s25
	s_addc_u32 s0, s28, s29
	s_addc_u32 s8, s8, 0
	s_mul_i32 s25, s9, s25
	s_add_u32 s0, s0, s25
	s_addc_u32 s8, 0, s8
	v_add_co_u32_e32 v2, vcc, s0, v2
	s_cmp_lg_u64 vcc, 0
	s_addc_u32 s0, s9, s8
	s_ashr_i32 s8, s1, 31
	s_add_u32 s28, s24, s8
	s_mov_b32 s9, s8
	s_addc_u32 s29, s1, s8
	s_xor_b64 s[28:29], s[28:29], s[8:9]
	v_readfirstlane_b32 s30, v2
	s_mul_i32 s25, s28, s0
	s_mul_hi_u32 s31, s28, s30
	s_mul_hi_u32 s9, s28, s0
	s_add_u32 s25, s31, s25
	s_addc_u32 s9, 0, s9
	s_mul_hi_u32 s40, s29, s30
	s_mul_i32 s30, s29, s30
	s_add_u32 s25, s25, s30
	s_mul_hi_u32 s31, s29, s0
	s_addc_u32 s9, s9, s40
	s_addc_u32 s25, s31, 0
	s_mul_i32 s0, s29, s0
	s_add_u32 s0, s9, s0
	s_addc_u32 s9, 0, s25
	s_mul_hi_u32 s25, s33, s0
	s_mul_i32 s0, s33, s0
	s_mul_i32 s9, s33, s9
	v_mov_b32_e32 v2, s0
	s_add_i32 s25, s25, s9
	v_sub_co_u32_e32 v2, vcc, s28, v2
	s_cmp_lg_u64 vcc, 0
	s_subb_u32 s0, s29, s25
	v_subrev_co_u32_e32 v3, vcc, s33, v2
	s_cmp_lg_u64 vcc, 0
	s_subb_u32 s9, s0, 0
	v_subrev_co_u32_e32 v4, vcc, s33, v3
	s_cmp_lg_u64 vcc, 0
	s_subb_u32 s25, s9, 0
	v_cmp_le_u32_e32 vcc, s33, v3
	s_cmp_eq_u32 s9, 0
	v_cndmask_b32_e64 v5, 0, -1, vcc
	s_cselect_b64 vcc, -1, 0
	v_cndmask_b32_e32 v5, -1, v5, vcc
	v_mov_b32_e32 v6, s9
	v_mov_b32_e32 v7, s25
	v_cmp_ne_u32_e32 vcc, 0, v5
	v_cndmask_b32_e32 v5, v6, v7, vcc
	v_cndmask_b32_e32 v3, v3, v4, vcc
	v_cmp_le_u32_e32 vcc, s33, v2
	s_cmp_eq_u32 s0, 0
	v_cndmask_b32_e64 v4, 0, -1, vcc
	s_cselect_b64 vcc, -1, 0
	v_cndmask_b32_e32 v4, -1, v4, vcc
	v_cmp_ne_u32_e32 vcc, 0, v4
	v_mov_b32_e32 v6, s0
	v_cndmask_b32_e32 v2, v2, v3, vcc
	v_cndmask_b32_e32 v4, v6, v5, vcc
	v_xor_b32_e32 v2, s8, v2
	v_xor_b32_e32 v3, s8, v4
	v_mov_b32_e32 v4, s8
	v_subrev_co_u32_e32 v2, vcc, s8, v2
	v_subb_co_u32_e32 v3, vcc, v3, v4, vcc
	s_cbranch_execnz .LBB4_191
.LBB4_190:                              ;   in Loop: Header=BB4_8 Depth=1
	v_cvt_f32_u32_e32 v2, s33
	s_sub_i32 s0, 0, s33
	v_rcp_iflag_f32_e32 v2, v2
	v_mul_f32_e32 v2, 0x4f7ffffe, v2
	v_cvt_u32_f32_e32 v2, v2
	v_mul_lo_u32 v3, s0, v2
	v_mul_hi_u32 v3, v2, v3
	v_add_u32_e32 v2, v2, v3
	v_mul_hi_u32 v2, s24, v2
	v_mul_lo_u32 v2, v2, s33
	v_sub_u32_e32 v2, s24, v2
	v_subrev_u32_e32 v3, s33, v2
	v_cmp_le_u32_e32 vcc, s33, v2
	v_cndmask_b32_e32 v2, v2, v3, vcc
	v_subrev_u32_e32 v3, s33, v2
	v_cmp_le_u32_e32 vcc, s33, v2
	v_cndmask_b32_e32 v12, v2, v3, vcc
	v_pk_mov_b32 v[2:3], v[12:13], v[12:13] op_sel:[0,1]
.LBB4_191:                              ;   in Loop: Header=BB4_8 Depth=1
	v_mov_b32_e32 v4, s1
	v_sub_co_u32_e32 v2, vcc, s24, v2
	v_subb_co_u32_e32 v3, vcc, v4, v3, vcc
	v_cmp_gt_i64_e32 vcc, v[2:3], v[0:1]
	s_mov_b64 s[0:1], 0
                                        ; implicit-def: $vgpr39
	s_and_saveexec_b64 s[8:9], vcc
	s_cbranch_execz .LBB4_199
; %bb.192:                              ;   in Loop: Header=BB4_8 Depth=1
	v_mov_b32_e32 v6, v0
	v_pk_mov_b32 v[4:5], v[0:1], v[0:1] op_sel:[0,1]
                                        ; implicit-def: $sgpr24_sgpr25
	s_branch .LBB4_194
.LBB4_193:                              ;   in Loop: Header=BB4_194 Depth=2
	s_or_b64 exec, exec, s[28:29]
	s_waitcnt lgkmcnt(0)
	s_barrier
	ds_read_u16 v7, v13 offset:3072
	v_mov_b32_e32 v8, s26
	v_add_co_u32_e32 v4, vcc, s33, v4
	v_addc_co_u32_e32 v5, vcc, v5, v8, vcc
	s_waitcnt lgkmcnt(0)
	v_cmp_ne_u16_sdwa s[28:29], v7, v13 src0_sel:BYTE_0 src1_sel:DWORD
	v_cmp_ge_i64_e32 vcc, v[4:5], v[2:3]
	s_or_b64 s[30:31], s[28:29], vcc
	s_and_b64 s[30:31], exec, s[30:31]
	s_or_b64 s[0:1], s[30:31], s[0:1]
	s_andn2_b64 s[24:25], s[24:25], exec
	s_and_b64 s[28:29], s[28:29], exec
	v_add_u32_e32 v6, s33, v6
	s_or_b64 s[24:25], s[24:25], s[28:29]
	s_barrier
	s_andn2_b64 exec, exec, s[0:1]
	s_cbranch_execz .LBB4_198
.LBB4_194:                              ;   Parent Loop BB4_8 Depth=1
                                        ; =>  This Inner Loop Header: Depth=2
	v_cmp_gt_i64_e32 vcc, s[34:35], v[4:5]
	v_mov_b32_e32 v7, 0
	s_and_saveexec_b64 s[28:29], vcc
	s_cbranch_execz .LBB4_196
; %bb.195:                              ;   in Loop: Header=BB4_194 Depth=2
	ds_read_u8 v7, v6
.LBB4_196:                              ;   in Loop: Header=BB4_194 Depth=2
	s_or_b64 exec, exec, s[28:29]
	s_waitcnt lgkmcnt(0)
	v_and_b32_e32 v8, s72, v7
	v_cmp_eq_u32_sdwa s[28:29], v8, s73 src0_sel:BYTE_0 src1_sel:DWORD
	s_and_b64 s[30:31], vcc, s[28:29]
	s_and_saveexec_b64 s[28:29], s[30:31]
	s_cbranch_execz .LBB4_193
; %bb.197:                              ;   in Loop: Header=BB4_194 Depth=2
	v_lshlrev_b16_e32 v7, 8, v7
	v_or_b32_e32 v7, 1, v7
	ds_write_b16 v13, v7 offset:3072
	s_branch .LBB4_193
.LBB4_198:                              ;   in Loop: Header=BB4_8 Depth=1
	s_or_b64 exec, exec, s[0:1]
	v_lshrrev_b16_e32 v39, 8, v7
	s_and_b64 s[0:1], s[24:25], exec
.LBB4_199:                              ;   in Loop: Header=BB4_8 Depth=1
	s_or_b64 exec, exec, s[8:9]
	s_mov_b64 s[30:31], -1
	s_mov_b64 s[24:25], 0
	s_mov_b64 s[28:29], 0
.LBB4_200:                              ;   in Loop: Header=BB4_8 Depth=1
	s_mov_b64 s[8:9], 0
                                        ; implicit-def: $sgpr47
	s_and_saveexec_b64 s[34:35], s[0:1]
	s_cbranch_execz .LBB4_260
; %bb.201:                              ;   in Loop: Header=BB4_8 Depth=1
	s_xor_b64 s[0:1], s[36:37], -1
	s_andn2_b64 vcc, exec, s[0:1]
	s_mov_b32 s47, 1
	s_cbranch_vccnz .LBB4_212
; %bb.202:                              ;   in Loop: Header=BB4_8 Depth=1
	v_pk_mov_b32 v[2:3], s[14:15], s[14:15] op_sel:[0,1]
	v_cmp_gt_i64_e32 vcc, s[54:55], v[2:3]
	s_mov_b64 s[0:1], -1
                                        ; implicit-def: $sgpr47
                                        ; implicit-def: $sgpr8
                                        ; implicit-def: $sgpr9
	s_cbranch_vccnz .LBB4_208
; %bb.203:                              ;   in Loop: Header=BB4_8 Depth=1
	ds_read_b64 v[2:3], v13 offset:5120
	s_waitcnt lgkmcnt(0)
	v_cmp_ne_u64_e32 vcc, 0, v[2:3]
	s_cbranch_vccnz .LBB4_207
; %bb.204:                              ;   in Loop: Header=BB4_8 Depth=1
	s_mov_b64 s[0:1], exec
	v_readlane_b32 s8, v48, 8
	v_readlane_b32 s9, v48, 9
	s_and_b64 s[8:9], s[0:1], s[8:9]
	s_mov_b64 exec, s[8:9]
	s_cbranch_execz .LBB4_206
; %bb.205:                              ;   in Loop: Header=BB4_8 Depth=1
	v_pk_mov_b32 v[2:3], s[14:15], s[14:15] op_sel:[0,1]
	ds_write_b64 v13, v[2:3] offset:5128
.LBB4_206:                              ;   in Loop: Header=BB4_8 Depth=1
	s_or_b64 exec, exec, s[0:1]
	s_waitcnt lgkmcnt(0)
	s_barrier
.LBB4_207:                              ;   in Loop: Header=BB4_8 Depth=1
	s_lshl_b32 s0, 2, s38
	s_and_b32 s1, s73, s39
	s_or_b32 s8, s1, s0
	s_or_b32 s9, s72, s46
	s_mov_b64 s[0:1], 0
	s_mov_b32 s47, 8
.LBB4_208:                              ;   in Loop: Header=BB4_8 Depth=1
	s_andn2_b64 vcc, exec, s[0:1]
	s_cbranch_vccnz .LBB4_210
; %bb.209:                              ;   in Loop: Header=BB4_8 Depth=1
	s_sub_u32 s54, s54, s14
	s_subb_u32 s55, s55, s15
	s_mov_b64 s[0:1], -1
	s_mov_b32 s47, 0
	s_mov_b32 s8, s73
	;; [unrolled: 1-line block ×3, first 2 shown]
.LBB4_210:                              ;   in Loop: Header=BB4_8 Depth=1
	s_mov_b32 s72, s9
	s_mov_b32 s73, s8
	s_andn2_b64 vcc, exec, s[0:1]
	s_mov_b64 s[42:43], -1
	s_cbranch_vccz .LBB4_213
.LBB4_211:                              ;   in Loop: Header=BB4_8 Depth=1
                                        ; implicit-def: $sgpr0_sgpr1
                                        ; implicit-def: $sgpr38_sgpr39
                                        ; implicit-def: $sgpr8_sgpr9
	s_branch .LBB4_259
.LBB4_212:                              ;   in Loop: Header=BB4_8 Depth=1
	s_mov_b64 s[54:55], 1
	s_mov_b64 s[42:43], -1
	s_cbranch_execnz .LBB4_211
.LBB4_213:                              ;   in Loop: Header=BB4_8 Depth=1
	s_cmp_eq_u64 s[6:7], 1
	s_cselect_b64 s[0:1], -1, 0
	s_cmp_eq_u64 s[54:55], 1
	s_cselect_b64 s[8:9], -1, 0
	s_and_b64 s[14:15], s[0:1], s[8:9]
	s_mov_b64 s[40:41], -1
	s_and_b64 vcc, exec, s[14:15]
	s_cbranch_vccz .LBB4_227
; %bb.214:                              ;   in Loop: Header=BB4_8 Depth=1
	ds_read_b64 v[2:3], v13 offset:5120
	s_waitcnt lgkmcnt(0)
	s_barrier
	v_readfirstlane_b32 s36, v2
	v_readfirstlane_b32 s37, v3
	s_mov_b64 s[0:1], exec
	v_readlane_b32 s8, v48, 12
	v_readlane_b32 s9, v48, 13
	s_and_b64 s[8:9], s[0:1], s[8:9]
	s_mov_b64 exec, s[8:9]
	s_cbranch_execz .LBB4_216
; %bb.215:                              ;   in Loop: Header=BB4_8 Depth=1
	ds_write_b8 v0, v13 offset:3072
.LBB4_216:                              ;   in Loop: Header=BB4_8 Depth=1
	s_or_b64 exec, exec, s[0:1]
	v_cmp_gt_i64_e64 s[0:1], s[36:37], 0
	s_or_b32 s73, s73, s46
	s_or_b32 s72, s72, s46
	s_and_b64 vcc, exec, s[0:1]
	s_waitcnt lgkmcnt(0)
	s_barrier
	s_cbranch_vccnz .LBB4_230
; %bb.217:                              ;   in Loop: Header=BB4_8 Depth=1
	s_mov_b32 s76, s71
	s_cmp_lg_u64 s[76:77], 0
	s_cbranch_scc0 .LBB4_265
; %bb.218:                              ;   in Loop: Header=BB4_8 Depth=1
	v_cvt_f32_u32_e32 v2, s33
	s_sub_u32 s0, 0, s33
	s_subb_u32 s1, 0, 0
	v_mac_f32_e32 v2, 0x4f800000, v38
	v_rcp_f32_e32 v2, v2
	v_mul_f32_e32 v2, 0x5f7ffffc, v2
	v_mul_f32_e32 v3, 0x2f800000, v2
	v_trunc_f32_e32 v3, v3
	v_mac_f32_e32 v2, 0xcf800000, v3
	v_cvt_u32_f32_e32 v3, v3
	v_cvt_u32_f32_e32 v2, v2
	v_readfirstlane_b32 s8, v3
	v_readfirstlane_b32 s9, v2
	s_mul_i32 s38, s0, s8
	s_mul_hi_u32 s40, s0, s9
	s_mul_i32 s39, s1, s9
	s_add_i32 s38, s40, s38
	s_mul_i32 s41, s0, s9
	s_add_i32 s38, s38, s39
	s_mul_hi_u32 s40, s9, s41
	s_mul_hi_u32 s39, s9, s38
	s_mul_i32 s9, s9, s38
	s_add_u32 s9, s40, s9
	s_addc_u32 s39, 0, s39
	s_mul_hi_u32 s42, s8, s41
	s_mul_i32 s41, s8, s41
	s_add_u32 s9, s9, s41
	s_mul_hi_u32 s40, s8, s38
	s_addc_u32 s9, s39, s42
	s_addc_u32 s39, s40, 0
	s_mul_i32 s38, s8, s38
	s_add_u32 s9, s9, s38
	s_addc_u32 s38, 0, s39
	v_add_co_u32_e32 v2, vcc, s9, v2
	s_cmp_lg_u64 vcc, 0
	s_addc_u32 s8, s8, s38
	v_readfirstlane_b32 s38, v2
	s_mul_i32 s9, s0, s8
	s_mul_hi_u32 s39, s0, s38
	s_add_i32 s9, s39, s9
	s_mul_i32 s1, s1, s38
	s_add_i32 s9, s9, s1
	s_mul_i32 s0, s0, s38
	s_mul_hi_u32 s39, s8, s0
	s_mul_i32 s40, s8, s0
	s_mul_i32 s42, s38, s9
	s_mul_hi_u32 s0, s38, s0
	s_mul_hi_u32 s41, s38, s9
	s_add_u32 s0, s0, s42
	s_addc_u32 s38, 0, s41
	s_add_u32 s0, s0, s40
	s_mul_hi_u32 s1, s8, s9
	s_addc_u32 s0, s38, s39
	s_addc_u32 s1, s1, 0
	s_mul_i32 s9, s8, s9
	s_add_u32 s0, s0, s9
	s_addc_u32 s1, 0, s1
	v_add_co_u32_e32 v2, vcc, s0, v2
	s_cmp_lg_u64 vcc, 0
	s_addc_u32 s38, s8, s1
	s_ashr_i32 s0, s77, 31
	v_readlane_b32 s8, v48, 19
	s_add_u32 s8, s8, s0
	s_mov_b32 s1, s0
	s_addc_u32 s9, s77, s0
	s_xor_b64 s[8:9], s[8:9], s[0:1]
	v_readfirstlane_b32 s40, v2
	s_mul_i32 s39, s8, s38
	s_mul_hi_u32 s41, s8, s40
	s_mul_hi_u32 s1, s8, s38
	s_add_u32 s39, s41, s39
	s_addc_u32 s1, 0, s1
	s_mul_hi_u32 s42, s9, s40
	s_mul_i32 s40, s9, s40
	s_add_u32 s39, s39, s40
	s_mul_hi_u32 s41, s9, s38
	s_addc_u32 s1, s1, s42
	s_addc_u32 s39, s41, 0
	s_mul_i32 s38, s9, s38
	s_add_u32 s1, s1, s38
	s_addc_u32 s38, 0, s39
	s_mul_hi_u32 s39, s33, s1
	s_mul_i32 s1, s33, s1
	s_mul_i32 s38, s33, s38
	v_mov_b32_e32 v2, s1
	s_add_i32 s39, s39, s38
	v_sub_co_u32_e32 v2, vcc, s8, v2
	s_cmp_lg_u64 vcc, 0
	s_subb_u32 s1, s9, s39
	v_subrev_co_u32_e32 v3, vcc, s33, v2
	s_cmp_lg_u64 vcc, 0
	s_subb_u32 s8, s1, 0
	v_subrev_co_u32_e32 v4, vcc, s33, v3
	s_cmp_lg_u64 vcc, 0
	s_subb_u32 s9, s8, 0
	v_cmp_le_u32_e32 vcc, s33, v3
	s_cmp_eq_u32 s8, 0
	v_cndmask_b32_e64 v5, 0, -1, vcc
	s_cselect_b64 vcc, -1, 0
	v_cndmask_b32_e32 v5, -1, v5, vcc
	v_mov_b32_e32 v6, s8
	v_mov_b32_e32 v7, s9
	v_cmp_ne_u32_e32 vcc, 0, v5
	v_cndmask_b32_e32 v5, v6, v7, vcc
	v_cndmask_b32_e32 v3, v3, v4, vcc
	v_cmp_le_u32_e32 vcc, s33, v2
	s_cmp_eq_u32 s1, 0
	v_cndmask_b32_e64 v4, 0, -1, vcc
	s_cselect_b64 vcc, -1, 0
	v_cndmask_b32_e32 v4, -1, v4, vcc
	v_cmp_ne_u32_e32 vcc, 0, v4
	v_mov_b32_e32 v6, s1
	v_cndmask_b32_e32 v2, v2, v3, vcc
	v_cndmask_b32_e32 v4, v6, v5, vcc
	v_xor_b32_e32 v2, s0, v2
	v_xor_b32_e32 v3, s0, v4
	v_mov_b32_e32 v4, s0
	v_subrev_co_u32_e32 v2, vcc, s0, v2
	v_subb_co_u32_e32 v3, vcc, v3, v4, vcc
	s_cbranch_execnz .LBB4_220
.LBB4_219:                              ;   in Loop: Header=BB4_8 Depth=1
	v_cvt_f32_u32_e32 v2, s33
	s_sub_i32 s0, 0, s33
	v_rcp_iflag_f32_e32 v2, v2
	v_mul_f32_e32 v2, 0x4f7ffffe, v2
	v_cvt_u32_f32_e32 v2, v2
	v_mul_lo_u32 v3, s0, v2
	v_mul_hi_u32 v3, v2, v3
	v_add_u32_e32 v2, v2, v3
	v_readlane_b32 s0, v48, 19
	v_mul_hi_u32 v2, s0, v2
	v_mul_lo_u32 v2, v2, s33
	v_sub_u32_e32 v2, s0, v2
	v_subrev_u32_e32 v3, s33, v2
	v_cmp_le_u32_e32 vcc, s33, v2
	v_cndmask_b32_e32 v2, v2, v3, vcc
	v_subrev_u32_e32 v3, s33, v2
	v_cmp_le_u32_e32 vcc, s33, v2
	v_cndmask_b32_e32 v12, v2, v3, vcc
	v_pk_mov_b32 v[2:3], v[12:13], v[12:13] op_sel:[0,1]
.LBB4_220:                              ;   in Loop: Header=BB4_8 Depth=1
	v_readlane_b32 s0, v48, 19
	v_mov_b32_e32 v4, s77
	v_sub_co_u32_e32 v2, vcc, s0, v2
	v_subb_co_u32_e32 v3, vcc, v4, v3, vcc
	v_cmp_gt_i64_e32 vcc, v[2:3], v[0:1]
	s_mov_b64 s[40:41], 0
                                        ; implicit-def: $vgpr39
	s_and_saveexec_b64 s[0:1], vcc
	s_cbranch_execz .LBB4_232
; %bb.221:                              ;   in Loop: Header=BB4_8 Depth=1
	s_mov_b64 s[8:9], 0
	v_pk_mov_b32 v[4:5], v[10:11], v[10:11] op_sel:[0,1]
	v_pk_mov_b32 v[6:7], v[0:1], v[0:1] op_sel:[0,1]
                                        ; implicit-def: $sgpr38_sgpr39
	s_branch .LBB4_223
.LBB4_222:                              ;   in Loop: Header=BB4_223 Depth=2
	s_or_b64 exec, exec, s[40:41]
	s_waitcnt lgkmcnt(0)
	s_barrier
	ds_read_u16 v8, v13 offset:3072
	v_mov_b32_e32 v9, s26
	v_add_co_u32_e32 v6, vcc, s33, v6
	v_addc_co_u32_e32 v7, vcc, v7, v9, vcc
	s_waitcnt lgkmcnt(0)
	v_cmp_ne_u16_sdwa s[40:41], v8, v13 src0_sel:BYTE_0 src1_sel:DWORD
	v_cmp_ge_i64_e32 vcc, v[6:7], v[2:3]
	s_or_b64 s[42:43], s[40:41], vcc
	s_and_b64 s[42:43], exec, s[42:43]
	s_or_b64 s[8:9], s[42:43], s[8:9]
	v_mov_b32_e32 v9, s27
	v_add_co_u32_e32 v4, vcc, s84, v4
	s_andn2_b64 s[38:39], s[38:39], exec
	s_and_b64 s[40:41], s[40:41], exec
	v_addc_co_u32_e32 v5, vcc, v5, v9, vcc
	s_or_b64 s[38:39], s[38:39], s[40:41]
	s_barrier
	s_andn2_b64 exec, exec, s[8:9]
	s_cbranch_execz .LBB4_231
.LBB4_223:                              ;   Parent Loop BB4_8 Depth=1
                                        ; =>  This Inner Loop Header: Depth=2
	v_cmp_gt_i64_e32 vcc, s[52:53], v[6:7]
	v_mov_b32_e32 v8, 0
	s_and_saveexec_b64 s[40:41], vcc
	s_cbranch_execz .LBB4_225
; %bb.224:                              ;   in Loop: Header=BB4_223 Depth=2
	global_load_ubyte v8, v[4:5], off
.LBB4_225:                              ;   in Loop: Header=BB4_223 Depth=2
	s_or_b64 exec, exec, s[40:41]
	s_waitcnt vmcnt(0)
	v_and_b32_e32 v9, s72, v8
	v_cmp_eq_u32_sdwa s[40:41], v9, s73 src0_sel:BYTE_0 src1_sel:DWORD
	s_and_b64 s[42:43], vcc, s[40:41]
	s_and_saveexec_b64 s[40:41], s[42:43]
	s_cbranch_execz .LBB4_222
; %bb.226:                              ;   in Loop: Header=BB4_223 Depth=2
	v_lshlrev_b16_e32 v8, 8, v8
	v_or_b32_e32 v8, 1, v8
	ds_write_b16 v13, v8 offset:3072
	s_branch .LBB4_222
.LBB4_227:                              ;   in Loop: Header=BB4_8 Depth=1
                                        ; implicit-def: $sgpr0_sgpr1
                                        ; implicit-def: $sgpr38_sgpr39
                                        ; implicit-def: $sgpr8_sgpr9
	s_branch .LBB4_245
.LBB4_228:                              ;   in Loop: Header=BB4_8 Depth=1
                                        ; implicit-def: $vgpr2_vgpr3
	s_branch .LBB4_174
.LBB4_229:                              ;   in Loop: Header=BB4_8 Depth=1
                                        ; implicit-def: $vgpr2_vgpr3
	s_branch .LBB4_190
.LBB4_230:                              ;   in Loop: Header=BB4_8 Depth=1
	s_mov_b64 s[0:1], -1
	s_mov_b64 s[40:41], 0
                                        ; implicit-def: $sgpr8_sgpr9
                                        ; implicit-def: $vgpr39
	s_mov_b64 s[38:39], s[0:1]
	s_cbranch_execnz .LBB4_233
	s_branch .LBB4_245
.LBB4_231:                              ;   in Loop: Header=BB4_8 Depth=1
	s_or_b64 exec, exec, s[8:9]
	v_lshrrev_b16_e32 v39, 8, v8
	s_and_b64 s[40:41], s[38:39], exec
.LBB4_232:                              ;   in Loop: Header=BB4_8 Depth=1
	s_or_b64 exec, exec, s[0:1]
	s_mov_b64 s[8:9], -1
	s_mov_b64 s[0:1], 0
	s_mov_b64 s[38:39], s[0:1]
	s_branch .LBB4_245
.LBB4_233:                              ;   in Loop: Header=BB4_8 Depth=1
	v_readlane_b32 s0, v48, 18
	s_add_u32 s38, s0, s36
	v_readlane_b32 s0, v48, 20
	s_addc_u32 s1, s0, s37
	s_mov_b32 s0, s71
	s_cmp_lg_u64 s[0:1], 0
	s_cbranch_scc0 .LBB4_266
; %bb.234:                              ;   in Loop: Header=BB4_8 Depth=1
	v_cvt_f32_u32_e32 v2, s33
	s_sub_u32 s0, 0, s33
	s_subb_u32 s8, 0, 0
	v_mac_f32_e32 v2, 0x4f800000, v38
	v_rcp_f32_e32 v2, v2
	v_mul_f32_e32 v2, 0x5f7ffffc, v2
	v_mul_f32_e32 v3, 0x2f800000, v2
	v_trunc_f32_e32 v3, v3
	v_mac_f32_e32 v2, 0xcf800000, v3
	v_cvt_u32_f32_e32 v3, v3
	v_cvt_u32_f32_e32 v2, v2
	v_readfirstlane_b32 s9, v3
	v_readfirstlane_b32 s39, v2
	s_mul_i32 s40, s0, s9
	s_mul_hi_u32 s42, s0, s39
	s_mul_i32 s41, s8, s39
	s_add_i32 s40, s42, s40
	s_mul_i32 s43, s0, s39
	s_add_i32 s40, s40, s41
	s_mul_hi_u32 s42, s39, s43
	s_mul_hi_u32 s41, s39, s40
	s_mul_i32 s39, s39, s40
	s_add_u32 s39, s42, s39
	s_addc_u32 s41, 0, s41
	s_mul_hi_u32 s44, s9, s43
	s_mul_i32 s43, s9, s43
	s_add_u32 s39, s39, s43
	s_mul_hi_u32 s42, s9, s40
	s_addc_u32 s39, s41, s44
	s_addc_u32 s41, s42, 0
	s_mul_i32 s40, s9, s40
	s_add_u32 s39, s39, s40
	s_addc_u32 s40, 0, s41
	v_add_co_u32_e32 v2, vcc, s39, v2
	s_cmp_lg_u64 vcc, 0
	s_addc_u32 s9, s9, s40
	v_readfirstlane_b32 s40, v2
	s_mul_i32 s39, s0, s9
	s_mul_hi_u32 s41, s0, s40
	s_add_i32 s39, s41, s39
	s_mul_i32 s8, s8, s40
	s_add_i32 s39, s39, s8
	s_mul_i32 s0, s0, s40
	s_mul_hi_u32 s41, s9, s0
	s_mul_i32 s42, s9, s0
	s_mul_i32 s44, s40, s39
	s_mul_hi_u32 s0, s40, s0
	s_mul_hi_u32 s43, s40, s39
	s_add_u32 s0, s0, s44
	s_addc_u32 s40, 0, s43
	s_add_u32 s0, s0, s42
	s_mul_hi_u32 s8, s9, s39
	s_addc_u32 s0, s40, s41
	s_addc_u32 s8, s8, 0
	s_mul_i32 s39, s9, s39
	s_add_u32 s0, s0, s39
	s_addc_u32 s8, 0, s8
	v_add_co_u32_e32 v2, vcc, s0, v2
	s_cmp_lg_u64 vcc, 0
	s_addc_u32 s0, s9, s8
	s_ashr_i32 s8, s1, 31
	s_add_u32 s40, s38, s8
	s_mov_b32 s9, s8
	s_addc_u32 s41, s1, s8
	s_xor_b64 s[40:41], s[40:41], s[8:9]
	v_readfirstlane_b32 s42, v2
	s_mul_i32 s39, s40, s0
	s_mul_hi_u32 s43, s40, s42
	s_mul_hi_u32 s9, s40, s0
	s_add_u32 s39, s43, s39
	s_addc_u32 s9, 0, s9
	s_mul_hi_u32 s44, s41, s42
	s_mul_i32 s42, s41, s42
	s_add_u32 s39, s39, s42
	s_mul_hi_u32 s43, s41, s0
	s_addc_u32 s9, s9, s44
	s_addc_u32 s39, s43, 0
	s_mul_i32 s0, s41, s0
	s_add_u32 s0, s9, s0
	s_addc_u32 s9, 0, s39
	s_mul_hi_u32 s39, s33, s0
	s_mul_i32 s0, s33, s0
	s_mul_i32 s9, s33, s9
	v_mov_b32_e32 v2, s0
	s_add_i32 s39, s39, s9
	v_sub_co_u32_e32 v2, vcc, s40, v2
	s_cmp_lg_u64 vcc, 0
	s_subb_u32 s0, s41, s39
	v_subrev_co_u32_e32 v3, vcc, s33, v2
	s_cmp_lg_u64 vcc, 0
	s_subb_u32 s9, s0, 0
	v_subrev_co_u32_e32 v4, vcc, s33, v3
	s_cmp_lg_u64 vcc, 0
	s_subb_u32 s39, s9, 0
	v_cmp_le_u32_e32 vcc, s33, v3
	s_cmp_eq_u32 s9, 0
	v_cndmask_b32_e64 v5, 0, -1, vcc
	s_cselect_b64 vcc, -1, 0
	v_cndmask_b32_e32 v5, -1, v5, vcc
	v_mov_b32_e32 v6, s9
	v_mov_b32_e32 v7, s39
	v_cmp_ne_u32_e32 vcc, 0, v5
	v_cndmask_b32_e32 v5, v6, v7, vcc
	v_cndmask_b32_e32 v3, v3, v4, vcc
	v_cmp_le_u32_e32 vcc, s33, v2
	s_cmp_eq_u32 s0, 0
	v_cndmask_b32_e64 v4, 0, -1, vcc
	s_cselect_b64 vcc, -1, 0
	v_cndmask_b32_e32 v4, -1, v4, vcc
	v_cmp_ne_u32_e32 vcc, 0, v4
	v_mov_b32_e32 v6, s0
	v_cndmask_b32_e32 v2, v2, v3, vcc
	v_cndmask_b32_e32 v4, v6, v5, vcc
	v_xor_b32_e32 v2, s8, v2
	v_xor_b32_e32 v3, s8, v4
	v_mov_b32_e32 v4, s8
	v_subrev_co_u32_e32 v2, vcc, s8, v2
	v_subb_co_u32_e32 v3, vcc, v3, v4, vcc
	s_cbranch_execnz .LBB4_236
.LBB4_235:                              ;   in Loop: Header=BB4_8 Depth=1
	v_cvt_f32_u32_e32 v2, s33
	s_sub_i32 s0, 0, s33
	v_rcp_iflag_f32_e32 v2, v2
	v_mul_f32_e32 v2, 0x4f7ffffe, v2
	v_cvt_u32_f32_e32 v2, v2
	v_mul_lo_u32 v3, s0, v2
	v_mul_hi_u32 v3, v2, v3
	v_add_u32_e32 v2, v2, v3
	v_mul_hi_u32 v2, s38, v2
	v_mul_lo_u32 v2, v2, s33
	v_sub_u32_e32 v2, s38, v2
	v_subrev_u32_e32 v3, s33, v2
	v_cmp_le_u32_e32 vcc, s33, v2
	v_cndmask_b32_e32 v2, v2, v3, vcc
	v_subrev_u32_e32 v3, s33, v2
	v_cmp_le_u32_e32 vcc, s33, v2
	v_cndmask_b32_e32 v12, v2, v3, vcc
	v_pk_mov_b32 v[2:3], v[12:13], v[12:13] op_sel:[0,1]
.LBB4_236:                              ;   in Loop: Header=BB4_8 Depth=1
	v_mov_b32_e32 v4, s1
	v_sub_co_u32_e32 v2, vcc, s38, v2
	v_subb_co_u32_e32 v3, vcc, v4, v3, vcc
	v_cmp_gt_i64_e32 vcc, v[2:3], v[0:1]
	s_mov_b64 s[40:41], 0
                                        ; implicit-def: $vgpr39
	s_and_saveexec_b64 s[0:1], vcc
	s_cbranch_execz .LBB4_244
; %bb.237:                              ;   in Loop: Header=BB4_8 Depth=1
	s_mov_b64 s[8:9], 0
	v_mov_b32_e32 v6, v0
	v_pk_mov_b32 v[4:5], v[0:1], v[0:1] op_sel:[0,1]
                                        ; implicit-def: $sgpr38_sgpr39
	s_branch .LBB4_239
.LBB4_238:                              ;   in Loop: Header=BB4_239 Depth=2
	s_or_b64 exec, exec, s[40:41]
	s_waitcnt lgkmcnt(0)
	s_barrier
	ds_read_u16 v7, v13 offset:3072
	v_mov_b32_e32 v8, s26
	v_add_co_u32_e32 v4, vcc, s33, v4
	v_addc_co_u32_e32 v5, vcc, v5, v8, vcc
	s_waitcnt lgkmcnt(0)
	v_cmp_ne_u16_sdwa s[40:41], v7, v13 src0_sel:BYTE_0 src1_sel:DWORD
	v_cmp_ge_i64_e32 vcc, v[4:5], v[2:3]
	s_or_b64 s[42:43], s[40:41], vcc
	s_and_b64 s[42:43], exec, s[42:43]
	s_or_b64 s[8:9], s[42:43], s[8:9]
	s_andn2_b64 s[38:39], s[38:39], exec
	s_and_b64 s[40:41], s[40:41], exec
	v_add_u32_e32 v6, s33, v6
	s_or_b64 s[38:39], s[38:39], s[40:41]
	s_barrier
	s_andn2_b64 exec, exec, s[8:9]
	s_cbranch_execz .LBB4_243
.LBB4_239:                              ;   Parent Loop BB4_8 Depth=1
                                        ; =>  This Inner Loop Header: Depth=2
	v_cmp_gt_i64_e32 vcc, s[36:37], v[4:5]
	v_mov_b32_e32 v7, 0
	s_and_saveexec_b64 s[40:41], vcc
	s_cbranch_execz .LBB4_241
; %bb.240:                              ;   in Loop: Header=BB4_239 Depth=2
	ds_read_u8 v7, v6
.LBB4_241:                              ;   in Loop: Header=BB4_239 Depth=2
	s_or_b64 exec, exec, s[40:41]
	s_waitcnt lgkmcnt(0)
	v_and_b32_e32 v8, s72, v7
	v_cmp_eq_u32_sdwa s[40:41], v8, s73 src0_sel:BYTE_0 src1_sel:DWORD
	s_and_b64 s[42:43], vcc, s[40:41]
	s_and_saveexec_b64 s[40:41], s[42:43]
	s_cbranch_execz .LBB4_238
; %bb.242:                              ;   in Loop: Header=BB4_239 Depth=2
	v_lshlrev_b16_e32 v7, 8, v7
	v_or_b32_e32 v7, 1, v7
	ds_write_b16 v13, v7 offset:3072
	s_branch .LBB4_238
.LBB4_243:                              ;   in Loop: Header=BB4_8 Depth=1
	s_or_b64 exec, exec, s[8:9]
	v_lshrrev_b16_e32 v39, 8, v7
	s_and_b64 s[40:41], s[38:39], exec
.LBB4_244:                              ;   in Loop: Header=BB4_8 Depth=1
	s_or_b64 exec, exec, s[0:1]
	s_mov_b64 s[38:39], -1
	s_mov_b64 s[0:1], 0
	s_mov_b64 s[8:9], 0
.LBB4_245:                              ;   in Loop: Header=BB4_8 Depth=1
	s_mov_b64 s[42:43], 0
                                        ; implicit-def: $sgpr47
                                        ; implicit-def: $sgpr44_sgpr45
	s_and_saveexec_b64 s[36:37], s[40:41]
	s_cbranch_execz .LBB4_258
; %bb.246:                              ;   in Loop: Header=BB4_8 Depth=1
	s_xor_b64 s[14:15], s[14:15], -1
	s_mov_b64 s[44:45], 1
	s_andn2_b64 vcc, exec, s[14:15]
	s_mov_b32 s47, 1
	s_cbranch_vccnz .LBB4_257
; %bb.247:                              ;   in Loop: Header=BB4_8 Depth=1
	v_pk_mov_b32 v[2:3], s[6:7], s[6:7] op_sel:[0,1]
	v_cmp_gt_i64_e32 vcc, s[54:55], v[2:3]
	s_cbranch_vccnz .LBB4_253
; %bb.248:                              ;   in Loop: Header=BB4_8 Depth=1
	ds_read_b64 v[2:3], v13 offset:5120
	s_waitcnt lgkmcnt(0)
	v_cmp_ne_u64_e32 vcc, 0, v[2:3]
	s_cbranch_vccnz .LBB4_252
; %bb.249:                              ;   in Loop: Header=BB4_8 Depth=1
	s_mov_b64 s[14:15], exec
	v_readlane_b32 s40, v48, 8
	v_readlane_b32 s41, v48, 9
	s_and_b64 s[40:41], s[14:15], s[40:41]
	s_mov_b64 exec, s[40:41]
	s_cbranch_execz .LBB4_251
; %bb.250:                              ;   in Loop: Header=BB4_8 Depth=1
	v_pk_mov_b32 v[2:3], s[6:7], s[6:7] op_sel:[0,1]
	ds_write_b64 v13, v[2:3] offset:5128
.LBB4_251:                              ;   in Loop: Header=BB4_8 Depth=1
	s_or_b64 exec, exec, s[14:15]
	s_waitcnt lgkmcnt(0)
	s_barrier
.LBB4_252:                              ;   in Loop: Header=BB4_8 Depth=1
	s_or_b32 s40, s73, s46
	s_or_b32 s41, s72, s46
	s_mov_b64 s[14:15], 0
	s_mov_b32 s47, 8
	s_branch .LBB4_254
.LBB4_253:                              ;   in Loop: Header=BB4_8 Depth=1
	s_mov_b64 s[14:15], -1
                                        ; implicit-def: $sgpr47
                                        ; implicit-def: $sgpr40
                                        ; implicit-def: $sgpr41
.LBB4_254:                              ;   in Loop: Header=BB4_8 Depth=1
	s_andn2_b64 vcc, exec, s[14:15]
	s_cbranch_vccnz .LBB4_256
; %bb.255:                              ;   in Loop: Header=BB4_8 Depth=1
	s_sub_u32 s54, s54, s6
	s_subb_u32 s55, s55, s7
	s_mov_b32 s47, 8
	s_mov_b32 s40, s73
	;; [unrolled: 1-line block ×3, first 2 shown]
.LBB4_256:                              ;   in Loop: Header=BB4_8 Depth=1
	s_mov_b64 s[44:45], s[54:55]
	s_mov_b32 s73, s40
	s_mov_b32 s72, s41
.LBB4_257:                              ;   in Loop: Header=BB4_8 Depth=1
	s_mov_b64 s[42:43], exec
.LBB4_258:                              ;   in Loop: Header=BB4_8 Depth=1
	s_or_b64 exec, exec, s[36:37]
	s_mov_b64 s[54:55], s[44:45]
.LBB4_259:                              ;   in Loop: Header=BB4_8 Depth=1
	s_andn2_b64 s[6:7], s[24:25], exec
	s_and_b64 s[0:1], s[0:1], exec
	s_or_b64 s[24:25], s[6:7], s[0:1]
	s_andn2_b64 s[0:1], s[30:31], exec
	s_and_b64 s[6:7], s[38:39], exec
	s_or_b64 s[30:31], s[0:1], s[6:7]
	;; [unrolled: 3-line block ×3, first 2 shown]
	s_and_b64 s[8:9], s[42:43], exec
.LBB4_260:                              ;   in Loop: Header=BB4_8 Depth=1
	s_or_b64 exec, exec, s[34:35]
.LBB4_261:                              ;   in Loop: Header=BB4_8 Depth=1
	s_andn2_b64 s[0:1], s[18:19], exec
	s_and_b64 s[6:7], s[24:25], exec
	s_or_b64 s[18:19], s[0:1], s[6:7]
	s_andn2_b64 s[0:1], s[20:21], exec
	s_and_b64 s[6:7], s[30:31], exec
	s_or_b64 s[20:21], s[0:1], s[6:7]
	;; [unrolled: 3-line block ×3, first 2 shown]
	s_and_b64 s[8:9], s[8:9], exec
.LBB4_262:                              ;   in Loop: Header=BB4_8 Depth=1
	s_or_b64 exec, exec, s[22:23]
	s_and_saveexec_b64 s[0:1], s[8:9]
	s_xor_b64 s[0:1], exec, s[0:1]
	s_cbranch_execz .LBB4_6
.LBB4_263:                              ;   in Loop: Header=BB4_8 Depth=1
	s_and_b32 s6, s47, -9
	s_cmp_eq_u32 s6, 0
	s_cbranch_scc1 .LBB4_4
; %bb.264:                              ;   in Loop: Header=BB4_8 Depth=1
	s_mov_b64 s[6:7], -1
                                        ; implicit-def: $sgpr72
                                        ; implicit-def: $sgpr3
                                        ; implicit-def: $sgpr85
	s_mov_b64 s[8:9], -1
	s_branch .LBB4_5
.LBB4_265:                              ;   in Loop: Header=BB4_8 Depth=1
                                        ; implicit-def: $vgpr2_vgpr3
	s_branch .LBB4_219
.LBB4_266:                              ;   in Loop: Header=BB4_8 Depth=1
                                        ; implicit-def: $vgpr2_vgpr3
	s_branch .LBB4_235
.LBB4_267:
	s_or_b64 exec, exec, s[86:87]
	s_xor_b64 s[8:9], s[94:95], -1
	s_xor_b64 s[0:1], s[90:91], -1
	;; [unrolled: 1-line block ×3, first 2 shown]
	s_mov_b64 s[4:5], 0
	s_and_saveexec_b64 s[2:3], s[0:1]
	s_xor_b64 s[0:1], exec, s[2:3]
	s_cbranch_execnz .LBB4_272
; %bb.268:
	s_andn2_saveexec_b64 s[0:1], s[0:1]
	s_cbranch_execnz .LBB4_294
.LBB4_269:
	s_or_b64 exec, exec, s[0:1]
	s_and_saveexec_b64 s[0:1], s[4:5]
.LBB4_270:
	; divergent unreachable
.LBB4_271:
	s_endpgm
.LBB4_272:
	s_and_saveexec_b64 s[2:3], s[8:9]
	s_xor_b64 s[4:5], exec, s[2:3]
	s_cbranch_execz .LBB4_292
; %bb.273:
	s_and_saveexec_b64 s[2:3], s[6:7]
	s_xor_b64 s[6:7], exec, s[2:3]
; %bb.274:
	v_mov_b32_e32 v39, v2
; %bb.275:
	s_or_b64 exec, exec, s[6:7]
	s_mov_b64 s[6:7], exec
	v_readlane_b32 s2, v48, 8
	v_readlane_b32 s3, v48, 9
	s_and_b64 s[2:3], s[6:7], s[2:3]
	v_readlane_b32 s24, v48, 10
	v_readlane_b32 s25, v48, 11
	s_mov_b64 exec, s[2:3]
	s_cbranch_execz .LBB4_277
; %bb.276:
	v_mov_b32_e32 v2, 0
	v_mov_b32_e32 v3, s52
	ds_write_b32 v2, v3 offset:5140
.LBB4_277:
	s_or_b64 exec, exec, s[6:7]
	s_waitcnt lgkmcnt(0)
	s_barrier
	s_and_saveexec_b64 s[6:7], s[78:79]
	s_cbranch_execz .LBB4_289
; %bb.278:
	v_mov_b32_e32 v2, 0
	ds_read_b32 v4, v2 offset:5140
	s_mov_b64 s[2:3], 0
                                        ; implicit-def: $sgpr8_sgpr9
                                        ; implicit-def: $sgpr10_sgpr11
                                        ; implicit-def: $sgpr12_sgpr13
	s_waitcnt lgkmcnt(0)
	v_ashrrev_i32_e32 v5, 31, v4
	s_branch .LBB4_281
.LBB4_279:                              ;   in Loop: Header=BB4_281 Depth=1
	s_or_b64 exec, exec, s[18:19]
	s_andn2_b64 s[12:13], s[12:13], exec
	s_and_b64 s[16:17], s[16:17], exec
	s_or_b64 s[12:13], s[12:13], s[16:17]
	s_andn2_b64 s[10:11], s[10:11], exec
	s_and_b64 s[16:17], s[20:21], exec
	s_or_b64 s[10:11], s[10:11], s[16:17]
.LBB4_280:                              ;   in Loop: Header=BB4_281 Depth=1
	s_or_b64 exec, exec, s[14:15]
	s_and_b64 s[14:15], exec, s[10:11]
	s_or_b64 s[2:3], s[14:15], s[2:3]
	s_andn2_b64 s[8:9], s[8:9], exec
	s_and_b64 s[14:15], s[12:13], exec
	s_or_b64 s[8:9], s[8:9], s[14:15]
	s_andn2_b64 exec, exec, s[2:3]
	s_cbranch_execz .LBB4_284
.LBB4_281:                              ; =>This Inner Loop Header: Depth=1
	v_pk_mov_b32 v[2:3], v[0:1], v[0:1] op_sel:[0,1]
	v_cmp_lt_i64_e32 vcc, v[2:3], v[4:5]
	s_or_b64 s[12:13], s[12:13], exec
	s_or_b64 s[10:11], s[10:11], exec
                                        ; implicit-def: $vgpr0_vgpr1
	s_and_saveexec_b64 s[14:15], vcc
	s_cbranch_execz .LBB4_280
; %bb.282:                              ;   in Loop: Header=BB4_281 Depth=1
	global_load_ubyte v0, v[10:11], off
	s_mov_b64 s[20:21], -1
	s_mov_b64 s[16:17], 0
	s_waitcnt vmcnt(0)
	v_cmp_ne_u16_sdwa s[22:23], v0, v39 src0_sel:DWORD src1_sel:BYTE_0
                                        ; implicit-def: $vgpr0_vgpr1
	s_and_saveexec_b64 s[18:19], s[22:23]
	s_cbranch_execz .LBB4_279
; %bb.283:                              ;   in Loop: Header=BB4_281 Depth=1
	v_mov_b32_e32 v1, s26
	v_add_co_u32_e32 v0, vcc, s33, v2
	v_addc_co_u32_e32 v1, vcc, v3, v1, vcc
	v_mov_b32_e32 v3, s27
	v_add_co_u32_e32 v10, vcc, s84, v10
	v_addc_co_u32_e32 v11, vcc, v11, v3, vcc
	v_cmp_le_i64_e32 vcc, s[52:53], v[0:1]
	s_mov_b64 s[16:17], exec
	s_orn2_b64 s[20:21], vcc, exec
	s_branch .LBB4_279
.LBB4_284:
	s_or_b64 exec, exec, s[2:3]
	s_xor_b64 s[2:3], s[8:9], -1
	s_and_saveexec_b64 s[8:9], s[2:3]
	s_xor_b64 s[8:9], exec, s[8:9]
	s_cbranch_execz .LBB4_289
; %bb.285:
	s_mov_b64 s[2:3], exec
	s_brev_b32 s8, -2
.LBB4_286:                              ; =>This Inner Loop Header: Depth=1
	s_ff1_i32_b64 s9, s[2:3]
	v_readlane_b32 s12, v2, s9
	s_lshl_b64 s[10:11], 1, s9
	s_min_i32 s8, s8, s12
	s_andn2_b64 s[2:3], s[2:3], s[10:11]
	s_cmp_lg_u64 s[2:3], 0
	s_cbranch_scc1 .LBB4_286
; %bb.287:
	v_mbcnt_lo_u32_b32 v0, exec_lo, 0
	v_mbcnt_hi_u32_b32 v0, exec_hi, v0
	v_cmp_eq_u32_e32 vcc, 0, v0
	s_and_saveexec_b64 s[2:3], vcc
	s_xor_b64 s[2:3], exec, s[2:3]
	s_cbranch_execz .LBB4_289
; %bb.288:
	v_mov_b32_e32 v0, 0
	v_mov_b32_e32 v1, s8
	ds_min_i32 v0, v1 offset:5140
.LBB4_289:
	s_or_b64 exec, exec, s[6:7]
	s_waitcnt lgkmcnt(0)
	s_barrier
	s_mov_b64 s[2:3], exec
	v_readlane_b32 s6, v48, 8
	v_readlane_b32 s7, v48, 9
	s_and_b64 s[6:7], s[2:3], s[6:7]
	s_mov_b64 exec, s[6:7]
	s_cbranch_execz .LBB4_291
; %bb.290:
	v_readlane_b32 s8, v48, 4
	v_readlane_b32 s9, v48, 5
	;; [unrolled: 1-line block ×3, first 2 shown]
	s_mul_i32 s6, s9, s24
	s_mul_hi_u32 s7, s8, s24
	v_readlane_b32 s11, v48, 1
	v_mov_b32_e32 v2, 0
	s_add_i32 s9, s7, s6
	s_mul_i32 s6, s11, s24
	s_mul_hi_u32 s7, s10, s24
	ds_read_b32 v0, v2 offset:5140
	s_mul_i32 s8, s8, s24
	s_add_i32 s7, s7, s6
	s_mul_i32 s6, s10, s24
	v_readlane_b32 s10, v48, 6
	v_readlane_b32 s11, v48, 7
	s_add_u32 s8, s10, s8
	s_addc_u32 s9, s11, s9
	s_lshl_b64 s[6:7], s[6:7], 3
	v_readlane_b32 s10, v48, 2
	v_readlane_b32 s11, v48, 3
	s_add_u32 s6, s10, s6
	s_addc_u32 s7, s11, s7
	s_waitcnt lgkmcnt(0)
	v_ashrrev_i32_e32 v1, 31, v0
	global_store_dwordx2 v2, v[0:1], s[6:7]
	global_store_byte v2, v39, s[8:9]
.LBB4_291:
	s_or_b64 exec, exec, s[2:3]
.LBB4_292:
	s_or_saveexec_b64 s[2:3], s[4:5]
	s_mov_b64 s[4:5], 0
	s_xor_b64 exec, exec, s[2:3]
	s_cbranch_execnz .LBB4_295
.LBB4_293:
	s_or_b64 exec, exec, s[2:3]
	s_and_b64 s[4:5], s[4:5], exec
	s_andn2_saveexec_b64 s[0:1], s[0:1]
	s_cbranch_execz .LBB4_269
.LBB4_294:
	s_or_b64 s[4:5], s[4:5], exec
	s_trap 2
	s_or_b64 exec, exec, s[0:1]
	s_and_saveexec_b64 s[0:1], s[4:5]
	s_cbranch_execnz .LBB4_270
	s_branch .LBB4_271
.LBB4_295:
	s_mov_b64 s[4:5], exec
	s_trap 2
	s_branch .LBB4_293
	.section	.rodata,"a",@progbits
	.p2align	6, 0x0
	.amdhsa_kernel _ZN2at6native12_GLOBAL__N_114gatherKthValueIhlLi1EEEvNS_4cuda6detail10TensorInfoIKT_T0_EES8_S8_S8_S8_NS5_IS6_S8_EENS5_IlS8_EE
		.amdhsa_group_segment_fixed_size 5144
		.amdhsa_private_segment_fixed_size 0
		.amdhsa_kernarg_size 1536
		.amdhsa_user_sgpr_count 6
		.amdhsa_user_sgpr_private_segment_buffer 1
		.amdhsa_user_sgpr_dispatch_ptr 0
		.amdhsa_user_sgpr_queue_ptr 0
		.amdhsa_user_sgpr_kernarg_segment_ptr 1
		.amdhsa_user_sgpr_dispatch_id 0
		.amdhsa_user_sgpr_flat_scratch_init 0
		.amdhsa_user_sgpr_kernarg_preload_length 0
		.amdhsa_user_sgpr_kernarg_preload_offset 0
		.amdhsa_user_sgpr_private_segment_size 0
		.amdhsa_uses_dynamic_stack 0
		.amdhsa_system_sgpr_private_segment_wavefront_offset 0
		.amdhsa_system_sgpr_workgroup_id_x 1
		.amdhsa_system_sgpr_workgroup_id_y 1
		.amdhsa_system_sgpr_workgroup_id_z 1
		.amdhsa_system_sgpr_workgroup_info 0
		.amdhsa_system_vgpr_workitem_id 0
		.amdhsa_next_free_vgpr 49
		.amdhsa_next_free_sgpr 96
		.amdhsa_accum_offset 52
		.amdhsa_reserve_vcc 1
		.amdhsa_reserve_flat_scratch 0
		.amdhsa_float_round_mode_32 0
		.amdhsa_float_round_mode_16_64 0
		.amdhsa_float_denorm_mode_32 3
		.amdhsa_float_denorm_mode_16_64 3
		.amdhsa_dx10_clamp 1
		.amdhsa_ieee_mode 1
		.amdhsa_fp16_overflow 0
		.amdhsa_tg_split 0
		.amdhsa_exception_fp_ieee_invalid_op 0
		.amdhsa_exception_fp_denorm_src 0
		.amdhsa_exception_fp_ieee_div_zero 0
		.amdhsa_exception_fp_ieee_overflow 0
		.amdhsa_exception_fp_ieee_underflow 0
		.amdhsa_exception_fp_ieee_inexact 0
		.amdhsa_exception_int_div_zero 0
	.end_amdhsa_kernel
	.section	.text._ZN2at6native12_GLOBAL__N_114gatherKthValueIhlLi1EEEvNS_4cuda6detail10TensorInfoIKT_T0_EES8_S8_S8_S8_NS5_IS6_S8_EENS5_IlS8_EE,"axG",@progbits,_ZN2at6native12_GLOBAL__N_114gatherKthValueIhlLi1EEEvNS_4cuda6detail10TensorInfoIKT_T0_EES8_S8_S8_S8_NS5_IS6_S8_EENS5_IlS8_EE,comdat
.Lfunc_end4:
	.size	_ZN2at6native12_GLOBAL__N_114gatherKthValueIhlLi1EEEvNS_4cuda6detail10TensorInfoIKT_T0_EES8_S8_S8_S8_NS5_IS6_S8_EENS5_IlS8_EE, .Lfunc_end4-_ZN2at6native12_GLOBAL__N_114gatherKthValueIhlLi1EEEvNS_4cuda6detail10TensorInfoIKT_T0_EES8_S8_S8_S8_NS5_IS6_S8_EENS5_IlS8_EE
                                        ; -- End function
	.section	.AMDGPU.csdata,"",@progbits
; Kernel info:
; codeLenInByte = 15548
; NumSgprs: 100
; NumVgprs: 49
; NumAgprs: 0
; TotalNumVgprs: 49
; ScratchSize: 0
; MemoryBound: 0
; FloatMode: 240
; IeeeMode: 1
; LDSByteSize: 5144 bytes/workgroup (compile time only)
; SGPRBlocks: 12
; VGPRBlocks: 6
; NumSGPRsForWavesPerEU: 100
; NumVGPRsForWavesPerEU: 49
; AccumOffset: 52
; Occupancy: 8
; WaveLimiterHint : 1
; COMPUTE_PGM_RSRC2:SCRATCH_EN: 0
; COMPUTE_PGM_RSRC2:USER_SGPR: 6
; COMPUTE_PGM_RSRC2:TRAP_HANDLER: 0
; COMPUTE_PGM_RSRC2:TGID_X_EN: 1
; COMPUTE_PGM_RSRC2:TGID_Y_EN: 1
; COMPUTE_PGM_RSRC2:TGID_Z_EN: 1
; COMPUTE_PGM_RSRC2:TIDIG_COMP_CNT: 0
; COMPUTE_PGM_RSRC3_GFX90A:ACCUM_OFFSET: 12
; COMPUTE_PGM_RSRC3_GFX90A:TG_SPLIT: 0
	.section	.text._ZN2at6native12_GLOBAL__N_114gatherKthValueIhlLi2EEEvNS_4cuda6detail10TensorInfoIKT_T0_EES8_S8_S8_S8_NS5_IS6_S8_EENS5_IlS8_EE,"axG",@progbits,_ZN2at6native12_GLOBAL__N_114gatherKthValueIhlLi2EEEvNS_4cuda6detail10TensorInfoIKT_T0_EES8_S8_S8_S8_NS5_IS6_S8_EENS5_IlS8_EE,comdat
	.globl	_ZN2at6native12_GLOBAL__N_114gatherKthValueIhlLi2EEEvNS_4cuda6detail10TensorInfoIKT_T0_EES8_S8_S8_S8_NS5_IS6_S8_EENS5_IlS8_EE ; -- Begin function _ZN2at6native12_GLOBAL__N_114gatherKthValueIhlLi2EEEvNS_4cuda6detail10TensorInfoIKT_T0_EES8_S8_S8_S8_NS5_IS6_S8_EENS5_IlS8_EE
	.p2align	8
	.type	_ZN2at6native12_GLOBAL__N_114gatherKthValueIhlLi2EEEvNS_4cuda6detail10TensorInfoIKT_T0_EES8_S8_S8_S8_NS5_IS6_S8_EENS5_IlS8_EE,@function
_ZN2at6native12_GLOBAL__N_114gatherKthValueIhlLi2EEEvNS_4cuda6detail10TensorInfoIKT_T0_EES8_S8_S8_S8_NS5_IS6_S8_EENS5_IlS8_EE: ; @_ZN2at6native12_GLOBAL__N_114gatherKthValueIhlLi2EEEvNS_4cuda6detail10TensorInfoIKT_T0_EES8_S8_S8_S8_NS5_IS6_S8_EENS5_IlS8_EE
; %bb.0:
	s_load_dwordx8 s[52:59], s[4:5], 0x1a0
	s_load_dwordx2 s[14:15], s[4:5], 0x500
	s_add_u32 s12, s4, 0x500
	s_addc_u32 s13, s5, 0
	s_mov_b32 s29, 0
	s_waitcnt lgkmcnt(0)
	v_mov_b32_e32 v2, s56
	s_mul_i32 s0, s15, s8
	s_add_i32 s0, s0, s7
	s_mul_i32 s0, s0, s14
	v_mov_b32_e32 v3, s57
	s_add_i32 s28, s0, s6
	v_cmp_ge_i64_e32 vcc, s[28:29], v[2:3]
	s_cbranch_vccnz .LBB5_280
; %bb.1:
	s_load_dwordx2 s[2:3], s[4:5], 0x10
	s_load_dwordx2 s[24:25], s[4:5], 0x1d0
	s_mov_b32 s0, s29
                                        ; implicit-def: $vgpr46 : SGPR spill to VGPR lane
	s_waitcnt lgkmcnt(0)
	s_mov_b32 s1, s3
	s_cmp_lg_u64 s[0:1], 0
	v_writelane_b32 v46, s24, 0
	v_writelane_b32 v46, s25, 1
	s_cbranch_scc0 .LBB5_293
; %bb.2:
	s_ashr_i32 s8, s3, 31
	s_add_u32 s0, s2, s8
	s_mov_b32 s9, s8
	s_addc_u32 s1, s3, s8
	s_xor_b64 s[16:17], s[0:1], s[8:9]
	v_cvt_f32_u32_e32 v1, s16
	v_cvt_f32_u32_e32 v2, s17
	s_sub_u32 s0, 0, s16
	s_subb_u32 s1, 0, s17
	v_madmk_f32 v1, v2, 0x4f800000, v1
	v_rcp_f32_e32 v1, v1
	v_mul_f32_e32 v1, 0x5f7ffffc, v1
	v_mul_f32_e32 v2, 0x2f800000, v1
	v_trunc_f32_e32 v2, v2
	v_madmk_f32 v1, v2, 0xcf800000, v1
	v_cvt_u32_f32_e32 v2, v2
	v_cvt_u32_f32_e32 v1, v1
	v_readfirstlane_b32 s7, v2
	v_readfirstlane_b32 s15, v1
	s_mul_i32 s18, s0, s7
	s_mul_hi_u32 s20, s0, s15
	s_mul_i32 s19, s1, s15
	s_add_i32 s18, s20, s18
	s_add_i32 s18, s18, s19
	s_mul_i32 s21, s0, s15
	s_mul_hi_u32 s19, s15, s18
	s_mul_i32 s20, s15, s18
	s_mul_hi_u32 s15, s15, s21
	s_add_u32 s15, s15, s20
	s_addc_u32 s19, 0, s19
	s_mul_hi_u32 s22, s7, s21
	s_mul_i32 s21, s7, s21
	s_add_u32 s15, s15, s21
	s_mul_hi_u32 s20, s7, s18
	s_addc_u32 s15, s19, s22
	s_addc_u32 s19, s20, 0
	s_mul_i32 s18, s7, s18
	s_add_u32 s15, s15, s18
	s_addc_u32 s18, 0, s19
	v_add_co_u32_e32 v1, vcc, s15, v1
	s_cmp_lg_u64 vcc, 0
	s_addc_u32 s7, s7, s18
	v_readfirstlane_b32 s18, v1
	s_mul_i32 s15, s0, s7
	s_mul_hi_u32 s19, s0, s18
	s_add_i32 s15, s19, s15
	s_mul_i32 s1, s1, s18
	s_add_i32 s15, s15, s1
	s_mul_i32 s0, s0, s18
	s_mul_hi_u32 s19, s7, s0
	s_mul_i32 s20, s7, s0
	s_mul_i32 s22, s18, s15
	s_mul_hi_u32 s0, s18, s0
	s_mul_hi_u32 s21, s18, s15
	s_add_u32 s0, s0, s22
	s_addc_u32 s18, 0, s21
	s_add_u32 s0, s0, s20
	s_mul_hi_u32 s1, s7, s15
	s_addc_u32 s0, s18, s19
	s_addc_u32 s1, s1, 0
	s_mul_i32 s15, s7, s15
	s_add_u32 s0, s0, s15
	s_addc_u32 s1, 0, s1
	v_add_co_u32_e32 v1, vcc, s0, v1
	s_cmp_lg_u64 vcc, 0
	s_addc_u32 s7, s7, s1
	s_ashr_i32 s18, 0, 31
	s_add_u32 s0, s28, s18
	s_mov_b32 s19, s18
	s_addc_u32 s1, 0, s18
	s_xor_b64 s[20:21], s[0:1], s[18:19]
	v_readfirstlane_b32 s15, v1
	s_mul_i32 s1, s20, s7
	s_mul_hi_u32 s22, s20, s15
	s_mul_hi_u32 s0, s20, s7
	s_add_u32 s1, s22, s1
	s_addc_u32 s0, 0, s0
	s_mul_hi_u32 s23, s21, s15
	s_mul_i32 s15, s21, s15
	s_add_u32 s1, s1, s15
	s_mul_hi_u32 s22, s21, s7
	s_addc_u32 s0, s0, s23
	s_addc_u32 s1, s22, 0
	s_mul_i32 s7, s21, s7
	s_add_u32 s7, s0, s7
	s_addc_u32 s15, 0, s1
	s_mul_i32 s0, s16, s15
	s_mul_hi_u32 s1, s16, s7
	s_add_i32 s0, s1, s0
	s_mul_i32 s1, s17, s7
	s_add_i32 s22, s0, s1
	s_mul_i32 s1, s16, s7
	v_mov_b32_e32 v1, s1
	s_sub_i32 s0, s21, s22
	v_sub_co_u32_e32 v1, vcc, s20, v1
	s_cmp_lg_u64 vcc, 0
	s_subb_u32 s20, s0, s17
	v_subrev_co_u32_e64 v2, s[0:1], s16, v1
	s_cmp_lg_u64 s[0:1], 0
	s_subb_u32 s0, s20, 0
	s_cmp_ge_u32 s0, s17
	v_readfirstlane_b32 s20, v2
	s_cselect_b32 s1, -1, 0
	s_cmp_ge_u32 s20, s16
	s_cselect_b32 s20, -1, 0
	s_cmp_eq_u32 s0, s17
	s_cselect_b32 s0, s20, s1
	s_add_u32 s1, s7, 1
	s_addc_u32 s20, s15, 0
	s_add_u32 s23, s7, 2
	s_addc_u32 s24, s15, 0
	s_cmp_lg_u32 s0, 0
	s_cselect_b32 s0, s23, s1
	s_cselect_b32 s1, s24, s20
	s_cmp_lg_u64 vcc, 0
	s_subb_u32 s20, s21, s22
	s_cmp_ge_u32 s20, s17
	v_readfirstlane_b32 s22, v1
	s_cselect_b32 s21, -1, 0
	s_cmp_ge_u32 s22, s16
	s_cselect_b32 s16, -1, 0
	s_cmp_eq_u32 s20, s17
	s_cselect_b32 s16, s16, s21
	s_load_dwordx2 s[24:25], s[4:5], 0x1d0
	s_cmp_lg_u32 s16, 0
	s_cselect_b32 s1, s1, s15
	s_cselect_b32 s0, s0, s7
	s_xor_b64 s[8:9], s[18:19], s[8:9]
	s_xor_b64 s[0:1], s[0:1], s[8:9]
	s_sub_u32 s16, s0, s8
	s_subb_u32 s17, s1, s9
	s_cbranch_execnz .LBB5_4
.LBB5_3:
	v_cvt_f32_u32_e32 v1, s2
	s_sub_i32 s0, 0, s2
	s_mov_b32 s17, 0
	v_rcp_iflag_f32_e32 v1, v1
	v_mul_f32_e32 v1, 0x4f7ffffe, v1
	v_cvt_u32_f32_e32 v1, v1
	v_readfirstlane_b32 s1, v1
	s_mul_i32 s0, s0, s1
	s_mul_hi_u32 s0, s1, s0
	s_add_i32 s1, s1, s0
	s_mul_hi_u32 s0, s28, s1
	s_mul_i32 s7, s0, s2
	s_sub_i32 s7, s28, s7
	s_add_i32 s1, s0, 1
	s_sub_i32 s8, s7, s2
	s_cmp_ge_u32 s7, s2
	s_cselect_b32 s0, s1, s0
	s_cselect_b32 s7, s8, s7
	s_add_i32 s1, s0, 1
	s_cmp_ge_u32 s7, s2
	s_cselect_b32 s16, s1, s0
.LBB5_4:
	s_load_dwordx2 s[30:31], s[4:5], 0x370
	s_mov_b32 s0, 0
	s_waitcnt lgkmcnt(0)
	s_mov_b32 s1, s25
	s_cmp_lg_u64 s[0:1], 0
	s_cbranch_scc0 .LBB5_294
; %bb.5:
	s_ashr_i32 s8, s25, 31
	s_add_u32 s0, s24, s8
	s_mov_b32 s9, s8
	s_addc_u32 s1, s25, s8
	s_xor_b64 s[18:19], s[0:1], s[8:9]
	v_cvt_f32_u32_e32 v1, s18
	v_cvt_f32_u32_e32 v2, s19
	s_sub_u32 s0, 0, s18
	s_subb_u32 s1, 0, s19
	v_madmk_f32 v1, v2, 0x4f800000, v1
	v_rcp_f32_e32 v1, v1
	v_mul_f32_e32 v1, 0x5f7ffffc, v1
	v_mul_f32_e32 v2, 0x2f800000, v1
	v_trunc_f32_e32 v2, v2
	v_madmk_f32 v1, v2, 0xcf800000, v1
	v_cvt_u32_f32_e32 v2, v2
	v_cvt_u32_f32_e32 v1, v1
	v_readfirstlane_b32 s7, v2
	v_readfirstlane_b32 s15, v1
	s_mul_i32 s20, s0, s7
	s_mul_hi_u32 s22, s0, s15
	s_mul_i32 s21, s1, s15
	s_add_i32 s20, s22, s20
	s_add_i32 s20, s20, s21
	s_mul_i32 s23, s0, s15
	s_mul_hi_u32 s21, s15, s20
	s_mul_i32 s22, s15, s20
	s_mul_hi_u32 s15, s15, s23
	s_add_u32 s15, s15, s22
	s_addc_u32 s21, 0, s21
	s_mul_hi_u32 s24, s7, s23
	s_mul_i32 s23, s7, s23
	s_add_u32 s15, s15, s23
	s_mul_hi_u32 s22, s7, s20
	s_addc_u32 s15, s21, s24
	s_addc_u32 s21, s22, 0
	s_mul_i32 s20, s7, s20
	s_add_u32 s15, s15, s20
	s_addc_u32 s20, 0, s21
	v_add_co_u32_e32 v1, vcc, s15, v1
	s_cmp_lg_u64 vcc, 0
	s_addc_u32 s7, s7, s20
	v_readfirstlane_b32 s20, v1
	s_mul_i32 s15, s0, s7
	s_mul_hi_u32 s21, s0, s20
	s_add_i32 s15, s21, s15
	s_mul_i32 s1, s1, s20
	s_add_i32 s15, s15, s1
	s_mul_i32 s0, s0, s20
	s_mul_hi_u32 s21, s7, s0
	s_mul_i32 s22, s7, s0
	s_mul_i32 s24, s20, s15
	s_mul_hi_u32 s0, s20, s0
	s_mul_hi_u32 s23, s20, s15
	s_add_u32 s0, s0, s24
	s_addc_u32 s20, 0, s23
	s_add_u32 s0, s0, s22
	s_mul_hi_u32 s1, s7, s15
	s_addc_u32 s0, s20, s21
	s_addc_u32 s1, s1, 0
	s_mul_i32 s15, s7, s15
	s_add_u32 s0, s0, s15
	s_addc_u32 s1, 0, s1
	v_add_co_u32_e32 v1, vcc, s0, v1
	s_cmp_lg_u64 vcc, 0
	s_addc_u32 s7, s7, s1
	s_ashr_i32 s20, 0, 31
	s_add_u32 s0, s28, s20
	s_mov_b32 s21, s20
	s_addc_u32 s1, 0, s20
	s_xor_b64 s[22:23], s[0:1], s[20:21]
	v_readfirstlane_b32 s15, v1
	s_mul_i32 s1, s22, s7
	s_mul_hi_u32 s24, s22, s15
	s_mul_hi_u32 s0, s22, s7
	s_add_u32 s1, s24, s1
	s_addc_u32 s0, 0, s0
	s_mul_hi_u32 s25, s23, s15
	s_mul_i32 s15, s23, s15
	s_add_u32 s1, s1, s15
	s_mul_hi_u32 s24, s23, s7
	s_addc_u32 s0, s0, s25
	s_addc_u32 s1, s24, 0
	s_mul_i32 s7, s23, s7
	s_add_u32 s7, s0, s7
	s_addc_u32 s15, 0, s1
	s_mul_i32 s0, s18, s15
	s_mul_hi_u32 s1, s18, s7
	s_add_i32 s0, s1, s0
	s_mul_i32 s1, s19, s7
	s_add_i32 s24, s0, s1
	s_mul_i32 s1, s18, s7
	v_mov_b32_e32 v1, s1
	s_sub_i32 s0, s23, s24
	v_sub_co_u32_e32 v1, vcc, s22, v1
	s_cmp_lg_u64 vcc, 0
	s_subb_u32 s22, s0, s19
	v_subrev_co_u32_e64 v2, s[0:1], s18, v1
	s_cmp_lg_u64 s[0:1], 0
	s_subb_u32 s0, s22, 0
	s_cmp_ge_u32 s0, s19
	v_readfirstlane_b32 s22, v2
	s_cselect_b32 s1, -1, 0
	s_cmp_ge_u32 s22, s18
	s_cselect_b32 s22, -1, 0
	s_cmp_eq_u32 s0, s19
	s_cselect_b32 s0, s22, s1
	s_add_u32 s1, s7, 1
	s_addc_u32 s22, s15, 0
	s_add_u32 s25, s7, 2
	s_addc_u32 s26, s15, 0
	s_cmp_lg_u32 s0, 0
	s_cselect_b32 s0, s25, s1
	s_cselect_b32 s1, s26, s22
	s_cmp_lg_u64 vcc, 0
	s_subb_u32 s22, s23, s24
	s_cmp_ge_u32 s22, s19
	v_readfirstlane_b32 s24, v1
	s_cselect_b32 s23, -1, 0
	s_cmp_ge_u32 s24, s18
	s_cselect_b32 s18, -1, 0
	s_cmp_eq_u32 s22, s19
	s_cselect_b32 s18, s18, s23
	s_cmp_lg_u32 s18, 0
	s_cselect_b32 s1, s1, s15
	s_cselect_b32 s0, s0, s7
	s_xor_b64 s[8:9], s[20:21], s[8:9]
	s_load_dwordx2 s[24:25], s[4:5], 0x1d0
	s_xor_b64 s[0:1], s[0:1], s[8:9]
	s_sub_u32 s0, s0, s8
	s_subb_u32 s1, s1, s9
	v_writelane_b32 v46, s0, 2
	v_writelane_b32 v46, s1, 3
	s_cbranch_execnz .LBB5_7
.LBB5_6:
	s_waitcnt lgkmcnt(0)
	v_cvt_f32_u32_e32 v1, s24
	s_sub_i32 s0, 0, s24
	s_mov_b32 s9, 0
	v_rcp_iflag_f32_e32 v1, v1
	v_mul_f32_e32 v1, 0x4f7ffffe, v1
	v_cvt_u32_f32_e32 v1, v1
	v_readfirstlane_b32 s1, v1
	s_mul_i32 s0, s0, s1
	s_mul_hi_u32 s0, s1, s0
	s_add_i32 s1, s1, s0
	s_mul_hi_u32 s0, s28, s1
	s_mul_i32 s7, s0, s24
	s_sub_i32 s7, s28, s7
	s_add_i32 s1, s0, 1
	s_sub_i32 s8, s7, s24
	s_cmp_ge_u32 s7, s24
	s_cselect_b32 s0, s1, s0
	s_cselect_b32 s7, s8, s7
	s_add_i32 s1, s0, 1
	s_cmp_ge_u32 s7, s24
	s_cselect_b32 s8, s1, s0
	v_writelane_b32 v46, s8, 2
	v_writelane_b32 v46, s9, 3
.LBB5_7:
	s_mov_b32 s0, 0
	s_mov_b32 s1, s31
	s_cmp_lg_u64 s[0:1], 0
	s_cbranch_scc0 .LBB5_295
; %bb.8:
	s_ashr_i32 s10, s31, 31
	s_add_u32 s0, s30, s10
	s_mov_b32 s11, s10
	s_addc_u32 s1, s31, s10
	s_xor_b64 s[18:19], s[0:1], s[10:11]
	v_cvt_f32_u32_e32 v1, s18
	v_cvt_f32_u32_e32 v2, s19
	s_sub_u32 s0, 0, s18
	s_subb_u32 s1, 0, s19
	v_madmk_f32 v1, v2, 0x4f800000, v1
	v_rcp_f32_e32 v1, v1
	v_mul_f32_e32 v1, 0x5f7ffffc, v1
	v_mul_f32_e32 v2, 0x2f800000, v1
	v_trunc_f32_e32 v2, v2
	v_madmk_f32 v1, v2, 0xcf800000, v1
	v_cvt_u32_f32_e32 v2, v2
	v_cvt_u32_f32_e32 v1, v1
	v_readfirstlane_b32 s7, v2
	v_readfirstlane_b32 s15, v1
	s_mul_i32 s20, s0, s7
	s_mul_hi_u32 s22, s0, s15
	s_mul_i32 s21, s1, s15
	s_add_i32 s20, s22, s20
	s_add_i32 s20, s20, s21
	s_mul_i32 s23, s0, s15
	s_mul_hi_u32 s21, s15, s20
	s_mul_i32 s22, s15, s20
	s_mul_hi_u32 s15, s15, s23
	s_add_u32 s15, s15, s22
	s_addc_u32 s21, 0, s21
	s_waitcnt lgkmcnt(0)
	s_mul_hi_u32 s24, s7, s23
	s_mul_i32 s23, s7, s23
	s_add_u32 s15, s15, s23
	s_mul_hi_u32 s22, s7, s20
	s_addc_u32 s15, s21, s24
	s_addc_u32 s21, s22, 0
	s_mul_i32 s20, s7, s20
	s_add_u32 s15, s15, s20
	s_addc_u32 s20, 0, s21
	v_add_co_u32_e32 v1, vcc, s15, v1
	s_cmp_lg_u64 vcc, 0
	s_addc_u32 s7, s7, s20
	v_readfirstlane_b32 s20, v1
	s_mul_i32 s15, s0, s7
	s_mul_hi_u32 s21, s0, s20
	s_add_i32 s15, s21, s15
	s_mul_i32 s1, s1, s20
	s_add_i32 s15, s15, s1
	s_mul_i32 s0, s0, s20
	s_mul_hi_u32 s21, s7, s0
	s_mul_i32 s22, s7, s0
	s_mul_i32 s24, s20, s15
	s_mul_hi_u32 s0, s20, s0
	s_mul_hi_u32 s23, s20, s15
	s_add_u32 s0, s0, s24
	s_addc_u32 s20, 0, s23
	s_add_u32 s0, s0, s22
	s_mul_hi_u32 s1, s7, s15
	s_addc_u32 s0, s20, s21
	s_addc_u32 s1, s1, 0
	s_mul_i32 s15, s7, s15
	s_add_u32 s0, s0, s15
	s_addc_u32 s1, 0, s1
	v_add_co_u32_e32 v1, vcc, s0, v1
	s_cmp_lg_u64 vcc, 0
	s_addc_u32 s7, s7, s1
	s_ashr_i32 s20, 0, 31
	s_add_u32 s0, s28, s20
	s_mov_b32 s21, s20
	s_addc_u32 s1, 0, s20
	s_xor_b64 s[22:23], s[0:1], s[20:21]
	v_readfirstlane_b32 s15, v1
	s_mul_i32 s1, s22, s7
	s_mul_hi_u32 s24, s22, s15
	s_mul_hi_u32 s0, s22, s7
	s_add_u32 s1, s24, s1
	s_addc_u32 s0, 0, s0
	s_mul_hi_u32 s25, s23, s15
	s_mul_i32 s15, s23, s15
	s_add_u32 s1, s1, s15
	s_mul_hi_u32 s24, s23, s7
	s_addc_u32 s0, s0, s25
	s_addc_u32 s1, s24, 0
	s_mul_i32 s7, s23, s7
	s_add_u32 s7, s0, s7
	s_addc_u32 s15, 0, s1
	s_mul_i32 s0, s18, s15
	s_mul_hi_u32 s1, s18, s7
	s_add_i32 s0, s1, s0
	s_mul_i32 s1, s19, s7
	s_add_i32 s24, s0, s1
	s_mul_i32 s1, s18, s7
	v_mov_b32_e32 v1, s1
	s_sub_i32 s0, s23, s24
	v_sub_co_u32_e32 v1, vcc, s22, v1
	s_cmp_lg_u64 vcc, 0
	s_subb_u32 s22, s0, s19
	v_subrev_co_u32_e64 v2, s[0:1], s18, v1
	s_cmp_lg_u64 s[0:1], 0
	s_subb_u32 s0, s22, 0
	s_cmp_ge_u32 s0, s19
	v_readfirstlane_b32 s22, v2
	s_cselect_b32 s1, -1, 0
	s_cmp_ge_u32 s22, s18
	s_cselect_b32 s22, -1, 0
	s_cmp_eq_u32 s0, s19
	s_cselect_b32 s0, s22, s1
	s_add_u32 s1, s7, 1
	s_addc_u32 s22, s15, 0
	s_add_u32 s25, s7, 2
	s_addc_u32 s26, s15, 0
	s_cmp_lg_u32 s0, 0
	s_cselect_b32 s0, s25, s1
	s_cselect_b32 s1, s26, s22
	s_cmp_lg_u64 vcc, 0
	s_subb_u32 s22, s23, s24
	s_cmp_ge_u32 s22, s19
	v_readfirstlane_b32 s24, v1
	s_cselect_b32 s23, -1, 0
	s_cmp_ge_u32 s24, s18
	s_cselect_b32 s18, -1, 0
	s_cmp_eq_u32 s22, s19
	s_cselect_b32 s18, s18, s23
	s_cmp_lg_u32 s18, 0
	s_cselect_b32 s1, s1, s15
	s_cselect_b32 s0, s0, s7
	s_xor_b64 s[10:11], s[20:21], s[10:11]
	s_xor_b64 s[0:1], s[0:1], s[10:11]
	s_sub_u32 s0, s0, s10
	s_subb_u32 s1, s1, s11
	v_writelane_b32 v46, s0, 4
	v_writelane_b32 v46, s1, 5
	s_load_dwordx2 s[0:1], s[4:5], 0x0
	s_cbranch_execnz .LBB5_10
.LBB5_9:
	v_cvt_f32_u32_e32 v1, s30
	s_sub_i32 s7, 0, s30
	s_mov_b32 s11, 0
	v_rcp_iflag_f32_e32 v1, v1
	v_mul_f32_e32 v1, 0x4f7ffffe, v1
	v_cvt_u32_f32_e32 v1, v1
	v_readfirstlane_b32 s8, v1
	s_mul_i32 s7, s7, s8
	s_mul_hi_u32 s7, s8, s7
	s_add_i32 s8, s8, s7
	s_mul_hi_u32 s7, s28, s8
	s_mul_i32 s9, s7, s30
	s_sub_i32 s9, s28, s9
	s_add_i32 s8, s7, 1
	s_sub_i32 s10, s9, s30
	s_cmp_ge_u32 s9, s30
	s_cselect_b32 s7, s8, s7
	s_cselect_b32 s9, s10, s9
	s_add_i32 s8, s7, 1
	s_cmp_ge_u32 s9, s30
	s_cselect_b32 s10, s8, s7
	v_writelane_b32 v46, s10, 4
	v_writelane_b32 v46, s11, 5
.LBB5_10:
	s_load_dwordx2 s[8:9], s[4:5], 0x360
	v_writelane_b32 v46, s30, 6
	v_writelane_b32 v46, s31, 7
	s_mov_b32 s81, 0
	v_cmp_eq_u32_e64 s[20:21], 0, v0
	s_waitcnt lgkmcnt(0)
	v_writelane_b32 v46, s8, 8
	v_writelane_b32 v46, s9, 9
	s_load_dwordx2 s[8:9], s[4:5], 0x1c0
	s_waitcnt lgkmcnt(0)
	v_writelane_b32 v46, s8, 10
	v_writelane_b32 v46, s9, 11
	s_load_dwordx4 s[8:11], s[4:5], 0xd0
	s_mov_b64 s[18:19], exec
	v_writelane_b32 v46, s20, 12
	v_writelane_b32 v46, s21, 13
	s_and_b64 s[20:21], s[18:19], s[20:21]
	s_mov_b64 exec, s[20:21]
	s_cbranch_execz .LBB5_12
; %bb.11:
	v_mov_b32_e32 v2, 0
	v_mov_b32_e32 v4, s52
	;; [unrolled: 1-line block ×4, first 2 shown]
	ds_write_b32 v2, v2 offset:5136
	ds_write_b128 v2, v[2:5] offset:5120
.LBB5_12:
	s_or_b64 exec, exec, s[18:19]
	s_load_dwordx4 s[20:23], s[4:5], 0x430
                                        ; kill: killed $sgpr4 killed $sgpr5
	s_mul_i32 s3, s16, s3
	v_mov_b32_e32 v2, 0xc00
	v_mov_b32_e32 v3, 0
	;; [unrolled: 1-line block ×3, first 2 shown]
	s_waitcnt lgkmcnt(0)
	v_writelane_b32 v46, s20, 14
	v_writelane_b32 v46, s21, 15
	;; [unrolled: 1-line block ×4, first 2 shown]
	s_load_dwordx4 s[20:23], s[4:5], 0x290
	s_mul_hi_u32 s4, s16, s2
	s_add_i32 s3, s4, s3
	s_mul_i32 s4, s17, s2
	s_add_i32 s3, s3, s4
	s_waitcnt lgkmcnt(0)
	v_writelane_b32 v46, s20, 18
	v_writelane_b32 v46, s21, 19
	;; [unrolled: 1-line block ×4, first 2 shown]
	s_mul_i32 s2, s16, s2
	s_mov_b32 s4, s28
	v_writelane_b32 v46, s4, 22
	s_sub_u32 s2, s28, s2
	v_writelane_b32 v46, s5, 23
	s_subb_u32 s3, 0, s3
	s_mul_i32 s4, s2, s11
	s_mul_hi_u32 s5, s2, s10
	s_add_i32 s4, s5, s4
	s_mul_i32 s3, s3, s10
	s_add_i32 s4, s4, s3
	s_mul_i32 s3, s16, s9
	s_mul_hi_u32 s5, s16, s8
	s_add_i32 s3, s5, s3
	s_mul_i32 s5, s17, s8
	s_mul_i32 s2, s2, s10
	s_add_i32 s3, s3, s5
	s_mul_i32 s5, s16, s8
	s_add_u32 s2, s5, s2
	s_addc_u32 s3, s3, s4
	s_add_u32 s82, s0, s2
	s_addc_u32 s83, s1, s3
	v_cmp_gt_u32_e64 s[0:1], 2, v0
	v_writelane_b32 v46, s0, 24
	v_writelane_b32 v46, s1, 25
	v_cmp_gt_i64_e64 s[0:1], s[52:53], v[2:3]
	v_mbcnt_lo_u32_b32 v1, -1, 0
	v_writelane_b32 v46, s0, 26
	v_pk_mov_b32 v[4:5], s[82:83], s[82:83] op_sel:[0,1]
	v_mbcnt_hi_u32_b32 v34, -1, v1
	v_mov_b32_e32 v1, v13
	v_writelane_b32 v46, s1, 27
	v_mad_u64_u32 v[2:3], s[0:1], v0, s58, 0
	v_mad_u64_u32 v[10:11], s[0:1], v0, s58, v[4:5]
	v_cmp_gt_i64_e64 s[0:1], s[52:53], v[0:1]
	v_writelane_b32 v46, s0, 28
	s_barrier
	v_writelane_b32 v46, s1, 29
	s_load_dword s0, s[12:13], 0xc
	v_cmp_gt_u32_e32 vcc, 64, v0
	v_cmp_gt_i32_e64 s[2:3], 4, v34
	s_and_b64 s[84:85], vcc, s[2:3]
	v_lshrrev_b32_e32 v4, 4, v0
	s_waitcnt lgkmcnt(0)
	s_and_b32 s33, s0, 0xffff
	s_bfe_u32 s1, s0, 0xa0006
	v_cmp_gt_u16_e64 s[2:3], s0, 63
	v_writelane_b32 v46, s2, 30
	s_add_u32 s0, s33, -1
	v_writelane_b32 v46, s3, 31
	s_addc_u32 s2, 0, -1
	v_writelane_b32 v46, s0, 32
	s_add_u32 s0, s0, s52
	s_addc_u32 s89, s2, s53
	s_cmp_lt_u32 s6, s14
	v_writelane_b32 v46, s0, 33
	s_cselect_b32 s0, 12, 18
	s_add_u32 s90, s12, s0
	s_addc_u32 s91, s13, 0
	s_add_i32 s0, s1, -1
	s_bfe_u32 s6, s33, 0x30006
	s_cmp_gt_u32 s0, 6
	v_writelane_b32 v46, s2, 34
	s_cselect_b64 s[8:9], -1, 0
	v_writelane_b32 v46, s8, 35
	s_and_b32 s2, s1, 0x3f8
	v_and_b32_e32 v35, 60, v4
	v_lshlrev_b32_e32 v4, 2, v34
	v_writelane_b32 v46, s9, 36
	s_cmp_lg_u32 s6, 0
	v_lshlrev_b32_e32 v14, 2, v0
	v_and_b32_e32 v36, 0x100, v4
	v_lshlrev_b64 v[4:5], v34, -1
	v_writelane_b32 v46, s6, 37
	s_cselect_b64 s[0:1], -1, 0
	v_not_b32_e32 v17, v5
	v_writelane_b32 v46, s0, 38
	v_or_b32_e32 v5, 3, v14
	v_writelane_b32 v46, s1, 39
	v_mad_u64_u32 v[18:19], s[0:1], s58, v5, 0
	v_not_b32_e32 v16, v4
	v_mov_b32_e32 v4, v19
	v_mad_u64_u32 v[4:5], s[0:1], s59, v5, v[4:5]
	s_lshl_b64 s[0:1], s[58:59], 2
	v_writelane_b32 v46, s0, 40
	v_or_b32_e32 v5, 2, v14
	v_writelane_b32 v46, s1, 41
	v_mad_u64_u32 v[20:21], s[0:1], s58, v5, 0
	v_mov_b32_e32 v19, v4
	v_mov_b32_e32 v4, v21
	v_mad_u64_u32 v[4:5], s[0:1], s59, v5, v[4:5]
	v_mov_b32_e32 v21, v4
	v_pk_mov_b32 v[4:5], s[58:59], s[58:59] op_sel:[0,1]
	v_mul_lo_u32 v6, v0, s59
	v_mad_u64_u32 v[22:23], s[0:1], s58, v14, v[4:5]
	v_add_u32_e32 v3, v3, v6
	v_mov_b32_e32 v4, v23
	v_mad_u64_u32 v[4:5], s[0:1], s59, v14, v[4:5]
	v_lshlrev_b64 v[24:25], 2, v[2:3]
	v_mov_b32_e32 v2, s53
	v_add_co_u32_e32 v37, vcc, s52, v0
	v_addc_co_u32_e32 v38, vcc, 0, v2, vcc
	v_mov_b32_e32 v2, 0xc00
	s_mul_i32 s0, s59, s33
	s_mul_hi_u32 s1, s58, s33
	v_cmp_eq_u32_e64 s[4:5], 0, v34
	v_add_u32_e32 v11, v6, v11
	v_mov_b32_e32 v15, v13
	s_mov_b32 s86, s81
	s_mov_b32 s3, 6
	v_mov_b32_e32 v23, v4
	v_lshl_or_b32 v39, v34, 3, v2
	s_add_i32 s87, s1, s0
	s_mul_i32 s26, s58, s33
	s_mov_b64 s[78:79], 0
	v_cvt_f32_ubyte0_e32 v40, 0
	v_mov_b32_e32 v41, 0
	s_mov_b32 s76, 0
	s_mov_b32 s27, 0
	s_mov_b32 s77, 0
                                        ; implicit-def: $sgpr62_sgpr63
                                        ; implicit-def: $sgpr66_sgpr67
                                        ; implicit-def: $sgpr64_sgpr65
                                        ; implicit-def: $sgpr68_sgpr69
                                        ; implicit-def: $sgpr70_sgpr71
                                        ; implicit-def: $sgpr72_sgpr73
	s_branch .LBB5_17
.LBB5_13:                               ;   in Loop: Header=BB5_17 Depth=1
	s_xor_b32 s76, s76, 1
	s_add_i32 s12, s3, -2
	s_cmp_eq_u32 s3, 0
	s_mov_b64 s[6:7], 0
	s_cselect_b64 s[8:9], -1, 0
	s_mov_b32 s3, s12
.LBB5_14:                               ;   in Loop: Header=BB5_17 Depth=1
	s_andn2_b64 s[12:13], s[18:19], exec
	s_and_b64 s[6:7], s[6:7], exec
	s_or_b64 s[18:19], s[12:13], s[6:7]
	s_andn2_b64 s[20:21], s[20:21], exec
	s_andn2_b64 s[16:17], s[16:17], exec
	s_orn2_b64 s[12:13], s[8:9], exec
.LBB5_15:                               ;   in Loop: Header=BB5_17 Depth=1
	s_or_b64 exec, exec, s[0:1]
	s_andn2_b64 s[0:1], s[72:73], exec
	s_and_b64 s[6:7], s[18:19], exec
	s_or_b64 s[72:73], s[0:1], s[6:7]
	s_andn2_b64 s[0:1], s[70:71], exec
	s_and_b64 s[6:7], s[20:21], exec
	s_or_b64 s[70:71], s[0:1], s[6:7]
	;; [unrolled: 3-line block ×3, first 2 shown]
	s_orn2_b64 s[16:17], s[12:13], exec
.LBB5_16:                               ;   in Loop: Header=BB5_17 Depth=1
	s_or_b64 exec, exec, s[10:11]
	s_and_b64 s[0:1], exec, s[16:17]
	s_or_b64 s[78:79], s[0:1], s[78:79]
	s_andn2_b64 s[0:1], s[64:65], exec
	s_and_b64 s[6:7], s[72:73], exec
	s_or_b64 s[64:65], s[0:1], s[6:7]
	s_andn2_b64 s[0:1], s[66:67], exec
	s_and_b64 s[6:7], s[70:71], exec
	;; [unrolled: 3-line block ×3, first 2 shown]
	v_mov_b32_e32 v2, s27
	s_or_b64 s[62:63], s[0:1], s[6:7]
	s_andn2_b64 exec, exec, s[78:79]
	s_cbranch_execz .LBB5_276
.LBB5_17:                               ; =>This Loop Header: Depth=1
                                        ;     Child Loop BB5_22 Depth 2
                                        ;     Child Loop BB5_41 Depth 2
	;; [unrolled: 1-line block ×16, first 2 shown]
	ds_read_b128 v[2:5], v13 offset:5120
	s_waitcnt lgkmcnt(0)
	v_readfirstlane_b32 s75, v3
	v_readfirstlane_b32 s74, v2
	v_cmp_gt_i64_e64 s[0:1], s[74:75], 0
	s_and_b64 vcc, exec, s[0:1]
	s_cbranch_vccnz .LBB5_48
; %bb.18:                               ;   in Loop: Header=BB5_17 Depth=1
	v_readlane_b32 s0, v46, 26
	v_readlane_b32 s1, v46, 27
	s_and_b64 vcc, exec, s[0:1]
	s_cbranch_vccz .LBB5_30
; %bb.19:                               ;   in Loop: Header=BB5_17 Depth=1
	s_mov_b64 s[0:1], 0xc01
	v_cmp_gt_i64_e32 vcc, s[0:1], v[4:5]
	s_mov_b64 s[0:1], 0
	s_mov_b64 s[6:7], 0
	s_cbranch_vccz .LBB5_35
; %bb.20:                               ;   in Loop: Header=BB5_17 Depth=1
	global_load_ushort v6, v13, s[90:91]
	global_load_ubyte v7, v[10:11], off
	v_pk_mov_b32 v[2:3], s[82:83], s[82:83] op_sel:[0,1]
	s_mov_b64 s[8:9], 0
	s_waitcnt vmcnt(1)
	v_readfirstlane_b32 s6, v6
	s_and_b32 s6, 0xffff, s6
	v_add_u32_e32 v5, s6, v0
	s_mul_i32 s10, s59, s6
	s_mul_hi_u32 s11, s58, s6
	s_mul_i32 s18, s58, s6
	v_mad_u64_u32 v[2:3], s[6:7], s58, v5, v[2:3]
	v_mov_b32_e32 v4, v3
	v_mad_u64_u32 v[4:5], s[6:7], s59, v5, v[4:5]
	s_add_i32 s19, s11, s10
	v_mov_b32_e32 v3, v4
	v_pk_mov_b32 v[4:5], v[0:1], v[0:1] op_sel:[0,1]
	s_branch .LBB5_22
.LBB5_21:                               ;   in Loop: Header=BB5_22 Depth=2
	s_or_b64 exec, exec, s[6:7]
	v_mov_b32_e32 v7, s19
	v_add_co_u32_e32 v2, vcc, s18, v2
	v_addc_co_u32_e32 v3, vcc, v3, v7, vcc
	v_mov_b32_e32 v7, v8
	s_andn2_b64 exec, exec, s[8:9]
	s_cbranch_execz .LBB5_31
.LBB5_22:                               ;   Parent Loop BB5_17 Depth=1
                                        ; =>  This Inner Loop Header: Depth=2
	v_add_co_u32_sdwa v4, vcc, v4, v6 dst_sel:DWORD dst_unused:UNUSED_PAD src0_sel:DWORD src1_sel:WORD_0
	v_addc_co_u32_e32 v5, vcc, 0, v5, vcc
	v_cmp_gt_i64_e64 s[6:7], s[52:53], v[4:5]
	v_cmp_le_i64_e32 vcc, s[52:53], v[4:5]
	s_waitcnt lgkmcnt(0)
	v_mov_b32_e32 v9, 0
	v_mov_b32_e32 v8, 0
	s_and_saveexec_b64 s[10:11], s[6:7]
	s_cbranch_execz .LBB5_24
; %bb.23:                               ;   in Loop: Header=BB5_22 Depth=2
	global_load_ubyte v8, v[2:3], off
.LBB5_24:                               ;   in Loop: Header=BB5_22 Depth=2
	s_or_b64 exec, exec, s[10:11]
	s_waitcnt vmcnt(0)
	v_and_b32_e32 v12, s77, v7
	v_cmp_eq_u32_sdwa s[10:11], v12, s27 src0_sel:BYTE_0 src1_sel:DWORD
	s_cmp_lg_u64 s[10:11], 0
	s_cselect_b64 s[6:7], -1, 0
	s_and_b64 s[6:7], s[4:5], s[6:7]
	s_and_saveexec_b64 s[12:13], s[6:7]
	s_cbranch_execz .LBB5_28
; %bb.25:                               ;   in Loop: Header=BB5_22 Depth=2
	s_mov_b64 s[16:17], exec
	v_mbcnt_lo_u32_b32 v9, s16, 0
	v_mbcnt_hi_u32_b32 v9, s17, v9
	s_bcnt1_i32_b64 s20, s[10:11]
	v_cmp_eq_u32_e64 s[6:7], 0, v9
                                        ; implicit-def: $vgpr12
	s_and_saveexec_b64 s[14:15], s[6:7]
	s_cbranch_execz .LBB5_27
; %bb.26:                               ;   in Loop: Header=BB5_22 Depth=2
	s_bcnt1_i32_b64 s6, s[16:17]
	s_mul_i32 s6, s20, s6
	v_mov_b32_e32 v12, s6
	ds_add_rtn_u32 v12, v13, v12 offset:5136
.LBB5_27:                               ;   in Loop: Header=BB5_22 Depth=2
	s_or_b64 exec, exec, s[14:15]
	s_waitcnt lgkmcnt(0)
	v_readfirstlane_b32 s6, v12
	v_mov_b32_e32 v12, s6
	v_mad_u32_u24 v9, s20, v9, v12
.LBB5_28:                               ;   in Loop: Header=BB5_22 Depth=2
	s_or_b64 exec, exec, s[12:13]
	ds_bpermute_b32 v9, v36, v9
	s_and_b64 s[6:7], exec, vcc
	s_or_b64 s[8:9], s[6:7], s[8:9]
	s_and_saveexec_b64 s[6:7], s[10:11]
	s_cbranch_execz .LBB5_21
; %bb.29:                               ;   in Loop: Header=BB5_22 Depth=2
	v_and_b32_e32 v26, s10, v16
	v_and_b32_e32 v12, s11, v17
	v_bcnt_u32_b32 v26, v26, 0
	v_bcnt_u32_b32 v12, v12, v26
	s_waitcnt lgkmcnt(0)
	v_add_u32_e32 v9, v9, v12
	ds_write_b8 v9, v7
	s_branch .LBB5_21
.LBB5_30:                               ;   in Loop: Header=BB5_17 Depth=1
	s_mov_b64 s[0:1], -1
	s_mov_b64 s[6:7], 0
	s_branch .LBB5_34
.LBB5_31:                               ;   in Loop: Header=BB5_17 Depth=1
	s_or_b64 exec, exec, s[8:9]
	s_waitcnt lgkmcnt(0)
	s_barrier
	s_mov_b64 s[6:7], exec
	v_readlane_b32 s8, v46, 12
	v_readlane_b32 s9, v46, 13
	s_and_b64 s[8:9], s[6:7], s[8:9]
	s_mov_b64 exec, s[8:9]
	s_cbranch_execz .LBB5_33
; %bb.32:                               ;   in Loop: Header=BB5_17 Depth=1
	ds_read_b32 v2, v13 offset:5136
	s_waitcnt lgkmcnt(0)
	v_ashrrev_i32_e32 v3, 31, v2
	ds_write_b64 v13, v[2:3] offset:5120
.LBB5_33:                               ;   in Loop: Header=BB5_17 Depth=1
	s_or_b64 exec, exec, s[6:7]
	s_waitcnt lgkmcnt(0)
	s_barrier
	s_mov_b64 s[6:7], -1
.LBB5_34:                               ;   in Loop: Header=BB5_17 Depth=1
                                        ; implicit-def: $sgpr74_sgpr75
.LBB5_35:                               ;   in Loop: Header=BB5_17 Depth=1
	s_and_b64 vcc, exec, s[0:1]
	s_cbranch_vccz .LBB5_46
; %bb.36:                               ;   in Loop: Header=BB5_17 Depth=1
	v_mov_b32_e32 v6, 0
	s_mov_b64 s[0:1], exec
	v_readlane_b32 s6, v46, 28
	v_readlane_b32 s7, v46, 29
	s_and_b64 s[6:7], s[0:1], s[6:7]
	s_mov_b64 exec, s[6:7]
	s_cbranch_execz .LBB5_38
; %bb.37:                               ;   in Loop: Header=BB5_17 Depth=1
	global_load_ubyte v6, v[10:11], off
.LBB5_38:                               ;   in Loop: Header=BB5_17 Depth=1
	s_or_b64 exec, exec, s[0:1]
	s_mov_b64 s[0:1], exec
	v_readlane_b32 s6, v46, 28
	v_readlane_b32 s7, v46, 29
	s_and_b64 s[6:7], s[0:1], s[6:7]
	s_mov_b64 exec, s[6:7]
	s_cbranch_execz .LBB5_43
; %bb.39:                               ;   in Loop: Header=BB5_17 Depth=1
	global_load_ushort v7, v13, s[90:91]
	v_pk_mov_b32 v[2:3], s[82:83], s[82:83] op_sel:[0,1]
	s_mov_b64 s[8:9], 0
	v_mov_b32_e32 v8, v0
	s_waitcnt vmcnt(0)
	v_readfirstlane_b32 s6, v7
	s_and_b32 s12, 0xffff, s6
	v_add_u32_e32 v5, s12, v0
	v_mad_u64_u32 v[2:3], s[6:7], s58, v5, v[2:3]
	v_mov_b32_e32 v4, v3
	s_mul_i32 s10, s59, s12
	s_mul_hi_u32 s11, s58, s12
	v_mad_u64_u32 v[4:5], s[6:7], s59, v5, v[4:5]
	s_mul_i32 s13, s58, s12
	s_add_i32 s14, s11, s10
	v_mov_b32_e32 v3, v4
	v_pk_mov_b32 v[4:5], v[0:1], v[0:1] op_sel:[0,1]
	s_branch .LBB5_41
.LBB5_40:                               ;   in Loop: Header=BB5_41 Depth=2
	s_or_b64 exec, exec, s[10:11]
	s_and_b64 s[6:7], exec, vcc
	ds_write_b8 v8, v6
	v_mov_b32_e32 v6, s14
	v_add_co_u32_e32 v2, vcc, s13, v2
	s_or_b64 s[8:9], s[6:7], s[8:9]
	v_add_u32_e32 v8, s12, v8
	v_addc_co_u32_e32 v3, vcc, v3, v6, vcc
	s_waitcnt vmcnt(0)
	v_mov_b32_e32 v6, v9
	s_andn2_b64 exec, exec, s[8:9]
	s_cbranch_execz .LBB5_43
.LBB5_41:                               ;   Parent Loop BB5_17 Depth=1
                                        ; =>  This Inner Loop Header: Depth=2
	v_add_co_u32_sdwa v4, vcc, v4, v7 dst_sel:DWORD dst_unused:UNUSED_PAD src0_sel:DWORD src1_sel:WORD_0
	v_addc_co_u32_e32 v5, vcc, 0, v5, vcc
	v_cmp_gt_i64_e64 s[6:7], s[52:53], v[4:5]
	v_cmp_le_i64_e32 vcc, s[52:53], v[4:5]
	v_mov_b32_e32 v9, 0
	s_and_saveexec_b64 s[10:11], s[6:7]
	s_cbranch_execz .LBB5_40
; %bb.42:                               ;   in Loop: Header=BB5_41 Depth=2
	global_load_ubyte v9, v[2:3], off
	s_branch .LBB5_40
.LBB5_43:                               ;   in Loop: Header=BB5_17 Depth=1
	s_or_b64 exec, exec, s[0:1]
	s_waitcnt lgkmcnt(0)
	s_barrier
	s_mov_b64 s[0:1], exec
	v_readlane_b32 s6, v46, 12
	v_readlane_b32 s7, v46, 13
	s_and_b64 s[6:7], s[0:1], s[6:7]
	s_mov_b64 exec, s[6:7]
	s_cbranch_execz .LBB5_45
; %bb.44:                               ;   in Loop: Header=BB5_17 Depth=1
	v_pk_mov_b32 v[2:3], s[52:53], s[52:53] op_sel:[0,1]
	ds_write_b64 v13, v[2:3] offset:5120
.LBB5_45:                               ;   in Loop: Header=BB5_17 Depth=1
	s_or_b64 exec, exec, s[0:1]
	s_mov_b64 s[6:7], -1
	s_waitcnt lgkmcnt(0)
	s_barrier
                                        ; implicit-def: $sgpr74_sgpr75
.LBB5_46:                               ;   in Loop: Header=BB5_17 Depth=1
	s_and_b64 vcc, exec, s[6:7]
	s_cbranch_vccz .LBB5_48
; %bb.47:                               ;   in Loop: Header=BB5_17 Depth=1
	ds_read_b64 v[2:3], v13 offset:5120
	s_waitcnt lgkmcnt(0)
	v_readfirstlane_b32 s74, v2
.LBB5_48:                               ;   in Loop: Header=BB5_17 Depth=1
	s_cmp_lt_i32 s74, 1
	s_cbranch_scc0 .LBB5_63
; %bb.49:                               ;   in Loop: Header=BB5_17 Depth=1
	global_load_ushort v2, v13, s[90:91]
	s_mov_b32 s0, s81
	s_waitcnt vmcnt(0)
	v_readfirstlane_b32 s1, v2
	s_and_b32 s1, 0xffff, s1
	s_lshl_b32 s75, s1, 2
	s_mov_b32 s1, s53
	s_cmp_lg_u64 s[0:1], 0
	s_cbranch_scc0 .LBB5_83
; %bb.50:                               ;   in Loop: Header=BB5_17 Depth=1
	v_cvt_f32_u32_e32 v3, s75
	s_sub_u32 s0, 0, s75
	s_subb_u32 s1, 0, 0
	v_mac_f32_e32 v3, 0x4f800000, v40
	v_rcp_f32_e32 v3, v3
	v_mul_f32_e32 v3, 0x5f7ffffc, v3
	v_mul_f32_e32 v4, 0x2f800000, v3
	v_trunc_f32_e32 v4, v4
	v_mac_f32_e32 v3, 0xcf800000, v4
	v_cvt_u32_f32_e32 v4, v4
	v_cvt_u32_f32_e32 v3, v3
	v_readfirstlane_b32 s6, v4
	v_readfirstlane_b32 s7, v3
	s_mul_i32 s8, s0, s6
	s_mul_hi_u32 s10, s0, s7
	s_mul_i32 s9, s1, s7
	s_add_i32 s8, s10, s8
	s_mul_i32 s11, s0, s7
	s_add_i32 s8, s8, s9
	s_mul_hi_u32 s10, s7, s11
	s_mul_hi_u32 s9, s7, s8
	s_mul_i32 s7, s7, s8
	s_add_u32 s7, s10, s7
	s_addc_u32 s9, 0, s9
	s_mul_hi_u32 s12, s6, s11
	s_mul_i32 s11, s6, s11
	s_add_u32 s7, s7, s11
	s_mul_hi_u32 s10, s6, s8
	s_addc_u32 s7, s9, s12
	s_addc_u32 s9, s10, 0
	s_mul_i32 s8, s6, s8
	s_add_u32 s7, s7, s8
	s_addc_u32 s8, 0, s9
	v_add_co_u32_e32 v3, vcc, s7, v3
	s_cmp_lg_u64 vcc, 0
	s_addc_u32 s6, s6, s8
	v_readfirstlane_b32 s8, v3
	s_mul_i32 s7, s0, s6
	s_mul_hi_u32 s9, s0, s8
	s_add_i32 s7, s9, s7
	s_mul_i32 s1, s1, s8
	s_add_i32 s7, s7, s1
	s_mul_i32 s0, s0, s8
	s_mul_hi_u32 s9, s6, s0
	s_mul_i32 s10, s6, s0
	s_mul_i32 s12, s8, s7
	s_mul_hi_u32 s0, s8, s0
	s_mul_hi_u32 s11, s8, s7
	s_add_u32 s0, s0, s12
	s_addc_u32 s8, 0, s11
	s_add_u32 s0, s0, s10
	s_mul_hi_u32 s1, s6, s7
	s_addc_u32 s0, s8, s9
	s_addc_u32 s1, s1, 0
	s_mul_i32 s7, s6, s7
	s_add_u32 s0, s0, s7
	s_addc_u32 s1, 0, s1
	v_add_co_u32_e32 v3, vcc, s0, v3
	s_cmp_lg_u64 vcc, 0
	s_addc_u32 s8, s6, s1
	s_ashr_i32 s0, s53, 31
	s_add_u32 s6, s52, s0
	s_mov_b32 s1, s0
	s_addc_u32 s7, s53, s0
	s_xor_b64 s[6:7], s[6:7], s[0:1]
	v_readfirstlane_b32 s10, v3
	s_mul_i32 s9, s6, s8
	s_mul_hi_u32 s11, s6, s10
	s_mul_hi_u32 s1, s6, s8
	s_add_u32 s9, s11, s9
	s_addc_u32 s1, 0, s1
	s_mul_hi_u32 s12, s7, s10
	s_mul_i32 s10, s7, s10
	s_add_u32 s9, s9, s10
	s_mul_hi_u32 s11, s7, s8
	s_addc_u32 s1, s1, s12
	s_addc_u32 s9, s11, 0
	s_mul_i32 s8, s7, s8
	s_add_u32 s1, s1, s8
	s_addc_u32 s8, 0, s9
	s_mul_hi_u32 s9, s75, s1
	s_mul_i32 s1, s75, s1
	s_mul_i32 s8, s75, s8
	v_mov_b32_e32 v3, s1
	s_add_i32 s9, s9, s8
	v_sub_co_u32_e32 v3, vcc, s6, v3
	s_cmp_lg_u64 vcc, 0
	s_subb_u32 s1, s7, s9
	v_subrev_co_u32_e32 v4, vcc, s75, v3
	s_cmp_lg_u64 vcc, 0
	s_subb_u32 s6, s1, 0
	v_subrev_co_u32_e32 v5, vcc, s75, v4
	s_cmp_lg_u64 vcc, 0
	s_subb_u32 s7, s6, 0
	v_cmp_le_u32_e32 vcc, s75, v4
	s_cmp_eq_u32 s6, 0
	v_cndmask_b32_e64 v6, 0, -1, vcc
	s_cselect_b64 vcc, -1, 0
	v_cndmask_b32_e32 v6, -1, v6, vcc
	v_mov_b32_e32 v7, s6
	v_mov_b32_e32 v8, s7
	v_cmp_ne_u32_e32 vcc, 0, v6
	v_cndmask_b32_e32 v6, v7, v8, vcc
	v_cndmask_b32_e32 v4, v4, v5, vcc
	v_cmp_le_u32_e32 vcc, s75, v3
	s_cmp_eq_u32 s1, 0
	v_cndmask_b32_e64 v5, 0, -1, vcc
	s_cselect_b64 vcc, -1, 0
	v_cndmask_b32_e32 v5, -1, v5, vcc
	v_cmp_ne_u32_e32 vcc, 0, v5
	v_mov_b32_e32 v7, s1
	v_cndmask_b32_e32 v3, v3, v4, vcc
	v_cndmask_b32_e32 v5, v7, v6, vcc
	v_xor_b32_e32 v3, s0, v3
	v_xor_b32_e32 v4, s0, v5
	v_mov_b32_e32 v5, s0
	v_subrev_co_u32_e32 v26, vcc, s0, v3
	v_subb_co_u32_e32 v27, vcc, v4, v5, vcc
	s_cbranch_execnz .LBB5_52
.LBB5_51:                               ;   in Loop: Header=BB5_17 Depth=1
	v_cvt_f32_u32_e32 v3, s75
	s_sub_i32 s0, 0, s75
	v_rcp_iflag_f32_e32 v3, v3
	v_mul_f32_e32 v3, 0x4f7ffffe, v3
	v_cvt_u32_f32_e32 v3, v3
	v_mul_lo_u32 v4, s0, v3
	v_mul_hi_u32 v4, v3, v4
	v_add_u32_e32 v3, v3, v4
	v_mul_hi_u32 v3, s52, v3
	v_mul_lo_u32 v3, v3, s75
	v_sub_u32_e32 v3, s52, v3
	v_subrev_u32_e32 v4, s75, v3
	v_cmp_le_u32_e32 vcc, s75, v3
	v_cndmask_b32_e32 v3, v3, v4, vcc
	v_subrev_u32_e32 v4, s75, v3
	v_cmp_le_u32_e32 vcc, s75, v3
	v_cndmask_b32_e32 v12, v3, v4, vcc
	v_pk_mov_b32 v[26:27], v[12:13], v[12:13] op_sel:[0,1]
.LBB5_52:                               ;   in Loop: Header=BB5_17 Depth=1
	v_and_b32_e32 v12, 0xffff, v2
	v_mov_b32_e32 v2, s53
	v_sub_co_u32_e32 v28, vcc, s52, v26
	v_subb_co_u32_e32 v29, vcc, v2, v27, vcc
	v_pk_mov_b32 v[2:3], 0, 0
	v_cmp_gt_i64_e32 vcc, v[28:29], v[14:15]
	s_mov_b64 s[92:93], 0
	v_pk_mov_b32 v[4:5], v[2:3], v[2:3] op_sel:[0,1]
	v_pk_mov_b32 v[6:7], v[2:3], v[2:3] op_sel:[0,1]
	;; [unrolled: 1-line block ×3, first 2 shown]
	s_and_saveexec_b64 s[60:61], vcc
	s_cbranch_execz .LBB5_56
; %bb.53:                               ;   in Loop: Header=BB5_17 Depth=1
	v_readlane_b32 s0, v46, 40
	v_readlane_b32 s1, v46, 41
	v_mul_lo_u32 v2, s1, v12
	v_mul_hi_u32 v3, s0, v12
	s_and_b32 s80, s3, 0xfe
	v_add_u32_e32 v42, v3, v2
	v_mul_lo_u32 v43, s0, v12
	v_pk_mov_b32 v[30:31], s[82:83], s[82:83] op_sel:[0,1]
	s_mov_b64 s[94:95], 0
	s_mov_b64 s[56:57], 0
	;; [unrolled: 1-line block ×4, first 2 shown]
	v_pk_mov_b32 v[32:33], v[14:15], v[14:15] op_sel:[0,1]
.LBB5_54:                               ;   Parent Loop BB5_17 Depth=1
                                        ; =>  This Inner Loop Header: Depth=2
	v_add_co_u32_e32 v2, vcc, v30, v24
	v_addc_co_u32_e32 v3, vcc, v31, v25, vcc
	v_add_co_u32_e32 v4, vcc, v30, v22
	v_addc_co_u32_e32 v5, vcc, v31, v23, vcc
	;; [unrolled: 2-line block ×4, first 2 shown]
	global_load_ubyte v2, v[2:3], off
	s_nop 0
	global_load_ubyte v3, v[4:5], off
	s_nop 0
	global_load_ubyte v4, v[6:7], off
	global_load_ubyte v5, v[8:9], off
	v_add_co_u32_e32 v32, vcc, s75, v32
	v_addc_co_u32_e32 v33, vcc, 0, v33, vcc
	v_add_co_u32_e32 v30, vcc, v30, v43
	v_addc_co_u32_e32 v31, vcc, v31, v42, vcc
	v_cmp_ge_i64_e32 vcc, v[32:33], v[28:29]
	s_waitcnt vmcnt(3)
	v_and_b32_e32 v6, s77, v2
	v_bfe_u32 v2, v2, s80, 2
	s_waitcnt vmcnt(2)
	v_and_b32_e32 v7, s77, v3
	v_bfe_u32 v3, v3, s80, 2
	v_cmp_eq_u32_e64 s[16:17], s27, v6
	v_cmp_eq_u32_e64 s[6:7], 0, v2
	s_waitcnt vmcnt(1)
	v_and_b32_e32 v8, s77, v4
	v_bfe_u32 v4, v4, s80, 2
	v_cmp_eq_u32_e64 s[14:15], s27, v7
	v_cmp_eq_u32_e64 s[28:29], 0, v3
	s_and_b64 s[6:7], s[16:17], s[6:7]
	s_waitcnt vmcnt(0)
	v_and_b32_e32 v9, s77, v5
	v_bfe_u32 v5, v5, s80, 2
	v_cmp_eq_u32_e64 s[12:13], s27, v8
	v_cmp_eq_u32_e64 s[30:31], 0, v4
	v_cmp_eq_u32_e64 s[36:37], 1, v2
	v_cmp_eq_u32_e64 s[44:45], 2, v2
	v_cmp_eq_u32_e64 s[24:25], 3, v2
	v_cndmask_b32_e64 v2, 0, 1, s[6:7]
	s_and_b64 s[6:7], s[14:15], s[28:29]
	v_cmp_eq_u32_e64 s[10:11], s27, v9
	v_cmp_eq_u32_e64 s[34:35], 0, v5
	;; [unrolled: 1-line block ×5, first 2 shown]
	v_cndmask_b32_e64 v3, 0, 1, s[6:7]
	s_and_b64 s[6:7], s[12:13], s[30:31]
	v_cmp_eq_u32_e64 s[40:41], 1, v4
	v_cmp_eq_u32_e64 s[48:49], 2, v4
	;; [unrolled: 1-line block ×3, first 2 shown]
	v_cndmask_b32_e64 v4, 0, 1, s[6:7]
	s_and_b64 s[6:7], s[10:11], s[34:35]
	v_cmp_eq_u32_e64 s[42:43], 1, v5
	v_cmp_eq_u32_e64 s[50:51], 2, v5
	;; [unrolled: 1-line block ×3, first 2 shown]
	v_cndmask_b32_e64 v5, 0, 1, s[6:7]
	v_cmp_ne_u32_e64 s[6:7], 0, v2
	v_cmp_ne_u32_e64 s[28:29], 0, v3
	v_cmp_ne_u32_e64 s[30:31], 0, v4
	v_cmp_ne_u32_e64 s[34:35], 0, v5
	s_bcnt1_i32_b64 s6, s[6:7]
	s_bcnt1_i32_b64 s7, s[28:29]
	s_bcnt1_i32_b64 s28, s[30:31]
	s_bcnt1_i32_b64 s29, s[34:35]
	s_add_u32 s6, s6, s8
	s_addc_u32 s8, 0, s9
	s_add_u32 s6, s6, s7
	s_addc_u32 s7, s8, 0
	s_add_u32 s6, s6, s28
	s_addc_u32 s7, s7, 0
	s_add_u32 s8, s6, s29
	s_addc_u32 s9, s7, 0
	s_and_b64 s[6:7], s[16:17], s[36:37]
	v_cndmask_b32_e64 v4, 0, 1, s[6:7]
	s_and_b64 s[6:7], s[14:15], s[38:39]
	v_cndmask_b32_e64 v5, 0, 1, s[6:7]
	s_and_b64 s[6:7], s[12:13], s[40:41]
	v_cndmask_b32_e64 v6, 0, 1, s[6:7]
	s_and_b64 s[6:7], s[10:11], s[42:43]
	v_cndmask_b32_e64 v7, 0, 1, s[6:7]
	v_cmp_ne_u32_e64 s[6:7], 0, v4
	v_cmp_ne_u32_e64 s[28:29], 0, v5
	v_cmp_ne_u32_e64 s[30:31], 0, v6
	v_cmp_ne_u32_e64 s[34:35], 0, v7
	s_bcnt1_i32_b64 s6, s[6:7]
	s_bcnt1_i32_b64 s7, s[28:29]
	s_bcnt1_i32_b64 s28, s[30:31]
	s_bcnt1_i32_b64 s29, s[34:35]
	s_add_u32 s0, s6, s0
	s_addc_u32 s1, 0, s1
	s_add_u32 s0, s0, s7
	s_addc_u32 s1, s1, 0
	s_add_u32 s0, s0, s28
	s_addc_u32 s1, s1, 0
	s_add_u32 s0, s0, s29
	s_addc_u32 s1, s1, 0
	s_and_b64 s[6:7], s[16:17], s[44:45]
	v_cndmask_b32_e64 v6, 0, 1, s[6:7]
	s_and_b64 s[6:7], s[14:15], s[46:47]
	v_cndmask_b32_e64 v7, 0, 1, s[6:7]
	s_and_b64 s[6:7], s[12:13], s[48:49]
	v_cndmask_b32_e64 v8, 0, 1, s[6:7]
	s_and_b64 s[6:7], s[10:11], s[50:51]
	;; [unrolled: 24-line block ×3, first 2 shown]
	v_cndmask_b32_e64 v45, 0, 1, s[6:7]
	v_cmp_ne_u32_e64 s[6:7], 0, v8
	v_cmp_ne_u32_e64 s[10:11], 0, v9
	;; [unrolled: 1-line block ×4, first 2 shown]
	s_bcnt1_i32_b64 s6, s[6:7]
	s_bcnt1_i32_b64 s7, s[10:11]
	;; [unrolled: 1-line block ×4, first 2 shown]
	s_add_u32 s6, s6, s94
	s_addc_u32 s12, 0, s95
	s_add_u32 s6, s6, s7
	s_addc_u32 s7, s12, 0
	;; [unrolled: 2-line block ×4, first 2 shown]
	v_pk_mov_b32 v[2:3], s[8:9], s[8:9] op_sel:[0,1]
	v_pk_mov_b32 v[4:5], s[0:1], s[0:1] op_sel:[0,1]
	;; [unrolled: 1-line block ×3, first 2 shown]
	s_or_b64 s[92:93], vcc, s[92:93]
	v_pk_mov_b32 v[8:9], s[94:95], s[94:95] op_sel:[0,1]
	s_andn2_b64 exec, exec, s[92:93]
	s_cbranch_execnz .LBB5_54
; %bb.55:                               ;   in Loop: Header=BB5_17 Depth=1
	s_or_b64 exec, exec, s[92:93]
.LBB5_56:                               ;   in Loop: Header=BB5_17 Depth=1
	s_or_b64 exec, exec, s[60:61]
	v_add_co_u32_e32 v28, vcc, v28, v0
	v_addc_co_u32_e32 v29, vcc, 0, v29, vcc
	v_cmp_gt_i64_e32 vcc, s[52:53], v[28:29]
	v_mov_b32_e32 v32, 0
	s_and_saveexec_b64 s[0:1], vcc
	s_cbranch_execz .LBB5_58
; %bb.57:                               ;   in Loop: Header=BB5_17 Depth=1
	v_pk_mov_b32 v[30:31], s[82:83], s[82:83] op_sel:[0,1]
	v_mad_u64_u32 v[30:31], s[6:7], v28, s58, v[30:31]
	v_mul_lo_u32 v32, v28, s59
	v_mul_lo_u32 v33, v29, s58
	v_add3_u32 v31, v33, v31, v32
	global_load_ubyte v32, v[30:31], off
.LBB5_58:                               ;   in Loop: Header=BB5_17 Depth=1
	s_or_b64 exec, exec, s[0:1]
	s_and_saveexec_b64 s[0:1], vcc
	s_cbranch_execz .LBB5_65
; %bb.59:                               ;   in Loop: Header=BB5_17 Depth=1
	v_add_co_u32_e32 v30, vcc, v37, v12
	v_addc_co_u32_e32 v31, vcc, 0, v38, vcc
	v_sub_co_u32_e32 v30, vcc, v30, v26
	v_subb_co_u32_e32 v26, vcc, v31, v27, vcc
	v_mul_lo_u32 v31, s58, v26
	v_pk_mov_b32 v[26:27], s[82:83], s[82:83] op_sel:[0,1]
	v_mul_lo_u32 v33, s59, v30
	v_mad_u64_u32 v[26:27], s[6:7], s58, v30, v[26:27]
	v_add3_u32 v27, v33, v27, v31
	v_mul_lo_u32 v30, s59, v12
	v_mul_hi_u32 v31, s58, v12
	s_and_b32 s12, s3, 0xfe
	v_add_u32_e32 v30, v31, v30
	v_mul_lo_u32 v31, s58, v12
	s_mov_b64 s[8:9], 0
	s_branch .LBB5_61
.LBB5_60:                               ;   in Loop: Header=BB5_61 Depth=2
	s_or_b64 exec, exec, s[10:11]
	s_waitcnt vmcnt(0)
	v_and_b32_e32 v32, 0xff, v32
	s_and_b64 s[6:7], exec, vcc
	v_and_b32_e32 v42, s77, v32
	v_bfe_u32 v32, v32, s12, 2
	s_or_b64 s[8:9], s[6:7], s[8:9]
	v_cmp_eq_u32_e32 vcc, s27, v42
	v_cmp_eq_u32_e64 s[6:7], 0, v32
	s_and_b64 s[6:7], vcc, s[6:7]
	v_cndmask_b32_e64 v42, 0, 1, s[6:7]
	v_cmp_ne_u32_e64 s[6:7], 0, v42
	s_bcnt1_i32_b64 s6, s[6:7]
	v_add_co_u32_e64 v2, s[6:7], s6, v2
	v_addc_co_u32_e64 v3, s[6:7], 0, v3, s[6:7]
	v_cmp_eq_u32_e64 s[6:7], 1, v32
	s_and_b64 s[6:7], vcc, s[6:7]
	v_cndmask_b32_e64 v42, 0, 1, s[6:7]
	v_cmp_ne_u32_e64 s[6:7], 0, v42
	s_bcnt1_i32_b64 s6, s[6:7]
	v_add_co_u32_e64 v4, s[6:7], s6, v4
	v_addc_co_u32_e64 v5, s[6:7], 0, v5, s[6:7]
	v_cmp_eq_u32_e64 s[6:7], 2, v32
	s_and_b64 s[6:7], vcc, s[6:7]
	v_cndmask_b32_e64 v42, 0, 1, s[6:7]
	v_cmp_ne_u32_e64 s[6:7], 0, v42
	s_bcnt1_i32_b64 s6, s[6:7]
	v_add_co_u32_e64 v6, s[6:7], s6, v6
	v_addc_co_u32_e64 v7, s[6:7], 0, v7, s[6:7]
	v_cmp_eq_u32_e64 s[6:7], 3, v32
	s_and_b64 s[6:7], vcc, s[6:7]
	v_cndmask_b32_e64 v32, 0, 1, s[6:7]
	v_cmp_ne_u32_e32 vcc, 0, v32
	s_bcnt1_i32_b64 s6, vcc
	v_add_co_u32_e32 v8, vcc, s6, v8
	v_addc_co_u32_e32 v9, vcc, 0, v9, vcc
	v_add_co_u32_e32 v26, vcc, v26, v31
	v_addc_co_u32_e32 v27, vcc, v27, v30, vcc
	v_mov_b32_e32 v32, v33
	s_andn2_b64 exec, exec, s[8:9]
	s_cbranch_execz .LBB5_64
.LBB5_61:                               ;   Parent Loop BB5_17 Depth=1
                                        ; =>  This Inner Loop Header: Depth=2
	v_add_co_u32_e32 v28, vcc, v28, v12
	v_addc_co_u32_e32 v29, vcc, 0, v29, vcc
	v_cmp_gt_i64_e64 s[6:7], s[52:53], v[28:29]
	v_cmp_le_i64_e32 vcc, s[52:53], v[28:29]
	v_mov_b32_e32 v33, 0
	s_and_saveexec_b64 s[10:11], s[6:7]
	s_cbranch_execz .LBB5_60
; %bb.62:                               ;   in Loop: Header=BB5_61 Depth=2
	global_load_ubyte v33, v[26:27], off
	s_branch .LBB5_60
.LBB5_63:                               ;   in Loop: Header=BB5_17 Depth=1
                                        ; implicit-def: $vgpr8_vgpr9
                                        ; implicit-def: $vgpr4_vgpr5
	s_cbranch_execnz .LBB5_66
	s_branch .LBB5_75
.LBB5_64:                               ;   in Loop: Header=BB5_17 Depth=1
	s_or_b64 exec, exec, s[8:9]
.LBB5_65:                               ;   in Loop: Header=BB5_17 Depth=1
	s_or_b64 exec, exec, s[0:1]
	s_branch .LBB5_75
.LBB5_66:                               ;   in Loop: Header=BB5_17 Depth=1
	global_load_ushort v12, v13, s[90:91]
	s_mov_b64 s[60:61], 0
	s_waitcnt vmcnt(0)
	v_readfirstlane_b32 s0, v12
	s_and_b32 s0, 0xffff, s0
	s_lshl_b32 s75, s0, 2
	v_cvt_f32_u32_e32 v2, s75
	s_sub_i32 s0, 0, s75
	v_rcp_iflag_f32_e32 v4, v2
	v_pk_mov_b32 v[2:3], 0, 0
	v_pk_mov_b32 v[6:7], v[2:3], v[2:3] op_sel:[0,1]
	v_mul_f32_e32 v4, 0x4f7ffffe, v4
	v_cvt_u32_f32_e32 v8, v4
	v_pk_mov_b32 v[4:5], v[2:3], v[2:3] op_sel:[0,1]
	v_readfirstlane_b32 s1, v8
	s_mul_i32 s0, s0, s1
	s_mul_hi_u32 s0, s1, s0
	s_add_i32 s1, s1, s0
	s_mul_hi_u32 s0, s74, s1
	s_mul_i32 s0, s0, s75
	s_sub_i32 s0, s74, s0
	s_sub_i32 s1, s0, s75
	s_cmp_ge_u32 s0, s75
	s_cselect_b32 s0, s1, s0
	s_sub_i32 s1, s0, s75
	s_cmp_ge_u32 s0, s75
	s_cselect_b32 s0, s1, s0
	s_sub_i32 s80, s74, s0
	v_cmp_gt_u32_e32 vcc, s80, v14
	v_pk_mov_b32 v[8:9], v[2:3], v[2:3] op_sel:[0,1]
	s_and_saveexec_b64 s[0:1], vcc
	s_cbranch_execz .LBB5_70
; %bb.67:                               ;   in Loop: Header=BB5_17 Depth=1
	s_and_b32 s88, s3, 0xfe
	v_mov_b32_e32 v28, v14
	s_mov_b64 s[8:9], 0
	s_mov_b64 s[56:57], 0
	;; [unrolled: 1-line block ×4, first 2 shown]
	v_pk_mov_b32 v[26:27], v[14:15], v[14:15] op_sel:[0,1]
.LBB5_68:                               ;   Parent Loop BB5_17 Depth=1
                                        ; =>  This Inner Loop Header: Depth=2
	ds_read_b32 v2, v28
	v_add_co_u32_e32 v26, vcc, s75, v26
	v_addc_co_u32_e32 v27, vcc, 0, v27, vcc
	s_waitcnt lgkmcnt(0)
	v_and_b32_e32 v4, 0xff, v2
	v_bfe_u32 v5, v2, 8, 8
	v_and_b32_e32 v6, s77, v4
	v_bfe_u32 v4, v4, s88, 2
	v_lshrrev_b32_e32 v3, 24, v2
	v_bfe_u32 v2, v2, 16, 8
	v_and_b32_e32 v7, s77, v5
	v_bfe_u32 v5, v5, s88, 2
	v_cmp_eq_u32_e64 s[16:17], s27, v6
	v_cmp_eq_u32_e64 s[6:7], 0, v4
	v_and_b32_e32 v8, s77, v2
	v_bfe_u32 v2, v2, s88, 2
	v_cmp_eq_u32_e64 s[14:15], s27, v7
	v_cmp_eq_u32_e64 s[28:29], 0, v5
	s_and_b64 s[6:7], s[16:17], s[6:7]
	v_and_b32_e32 v9, s77, v3
	v_bfe_u32 v3, v3, s88, 2
	v_cmp_eq_u32_e64 s[12:13], s27, v8
	v_cmp_eq_u32_e64 s[30:31], 0, v2
	;; [unrolled: 1-line block ×5, first 2 shown]
	v_cndmask_b32_e64 v2, 0, 1, s[6:7]
	s_and_b64 s[6:7], s[14:15], s[28:29]
	v_cmp_eq_u32_e64 s[10:11], s27, v9
	v_cmp_eq_u32_e64 s[34:35], 0, v3
	;; [unrolled: 1-line block ×5, first 2 shown]
	v_cndmask_b32_e64 v3, 0, 1, s[6:7]
	s_and_b64 s[6:7], s[12:13], s[30:31]
	v_cmp_eq_u32_e64 s[36:37], 1, v4
	v_cmp_eq_u32_e64 s[44:45], 2, v4
	;; [unrolled: 1-line block ×3, first 2 shown]
	v_cndmask_b32_e64 v4, 0, 1, s[6:7]
	s_and_b64 s[6:7], s[10:11], s[34:35]
	v_cmp_eq_u32_e64 s[38:39], 1, v5
	v_cmp_eq_u32_e64 s[46:47], 2, v5
	;; [unrolled: 1-line block ×3, first 2 shown]
	v_cndmask_b32_e64 v5, 0, 1, s[6:7]
	v_cmp_ne_u32_e64 s[6:7], 0, v2
	v_cmp_ne_u32_e64 s[28:29], 0, v3
	v_cmp_ne_u32_e64 s[30:31], 0, v4
	v_cmp_ne_u32_e64 s[34:35], 0, v5
	s_bcnt1_i32_b64 s6, s[6:7]
	s_bcnt1_i32_b64 s7, s[28:29]
	s_bcnt1_i32_b64 s28, s[30:31]
	s_bcnt1_i32_b64 s29, s[34:35]
	s_add_u32 s6, s6, s94
	s_addc_u32 s30, 0, s95
	s_add_u32 s6, s6, s7
	s_addc_u32 s7, s30, 0
	s_add_u32 s6, s6, s28
	s_addc_u32 s7, s7, 0
	s_add_u32 s94, s6, s29
	s_addc_u32 s95, s7, 0
	s_and_b64 s[6:7], s[16:17], s[36:37]
	v_cndmask_b32_e64 v4, 0, 1, s[6:7]
	s_and_b64 s[6:7], s[14:15], s[38:39]
	v_cndmask_b32_e64 v5, 0, 1, s[6:7]
	s_and_b64 s[6:7], s[12:13], s[40:41]
	v_cndmask_b32_e64 v6, 0, 1, s[6:7]
	s_and_b64 s[6:7], s[10:11], s[42:43]
	v_cndmask_b32_e64 v7, 0, 1, s[6:7]
	v_cmp_ne_u32_e64 s[6:7], 0, v4
	v_cmp_ne_u32_e64 s[28:29], 0, v5
	v_cmp_ne_u32_e64 s[30:31], 0, v6
	v_cmp_ne_u32_e64 s[34:35], 0, v7
	s_bcnt1_i32_b64 s6, s[6:7]
	s_bcnt1_i32_b64 s7, s[28:29]
	s_bcnt1_i32_b64 s28, s[30:31]
	s_bcnt1_i32_b64 s29, s[34:35]
	s_add_u32 s6, s6, s92
	s_addc_u32 s30, 0, s93
	s_add_u32 s6, s6, s7
	s_addc_u32 s7, s30, 0
	s_add_u32 s6, s6, s28
	s_addc_u32 s7, s7, 0
	s_add_u32 s92, s6, s29
	s_addc_u32 s93, s7, 0
	s_and_b64 s[6:7], s[16:17], s[44:45]
	v_cndmask_b32_e64 v6, 0, 1, s[6:7]
	s_and_b64 s[6:7], s[14:15], s[46:47]
	v_cndmask_b32_e64 v7, 0, 1, s[6:7]
	s_and_b64 s[6:7], s[12:13], s[48:49]
	v_cndmask_b32_e64 v8, 0, 1, s[6:7]
	s_and_b64 s[6:7], s[10:11], s[50:51]
	;; [unrolled: 24-line block ×3, first 2 shown]
	v_cndmask_b32_e64 v30, 0, 1, s[6:7]
	v_cmp_ne_u32_e64 s[6:7], 0, v8
	v_cmp_ne_u32_e64 s[10:11], 0, v9
	v_cmp_ne_u32_e64 s[12:13], 0, v29
	v_cmp_ne_u32_e64 s[14:15], 0, v30
	s_bcnt1_i32_b64 s6, s[6:7]
	s_bcnt1_i32_b64 s7, s[10:11]
	;; [unrolled: 1-line block ×4, first 2 shown]
	s_add_u32 s6, s6, s8
	s_addc_u32 s8, 0, s9
	s_add_u32 s6, s6, s7
	s_addc_u32 s7, s8, 0
	;; [unrolled: 2-line block ×3, first 2 shown]
	s_add_u32 s8, s6, s11
	v_cmp_le_u64_e32 vcc, s[80:81], v[26:27]
	s_addc_u32 s9, s7, 0
	v_add_u32_e32 v28, s75, v28
	v_pk_mov_b32 v[2:3], s[94:95], s[94:95] op_sel:[0,1]
	v_pk_mov_b32 v[4:5], s[92:93], s[92:93] op_sel:[0,1]
	;; [unrolled: 1-line block ×3, first 2 shown]
	s_or_b64 s[60:61], vcc, s[60:61]
	v_pk_mov_b32 v[8:9], s[8:9], s[8:9] op_sel:[0,1]
	s_andn2_b64 exec, exec, s[60:61]
	s_cbranch_execnz .LBB5_68
; %bb.69:                               ;   in Loop: Header=BB5_17 Depth=1
	s_or_b64 exec, exec, s[60:61]
.LBB5_70:                               ;   in Loop: Header=BB5_17 Depth=1
	s_or_b64 exec, exec, s[0:1]
	v_and_b32_e32 v28, 0xffff, v12
	v_add_u32_e32 v12, s80, v0
	v_cmp_gt_u32_e32 vcc, s74, v12
	s_and_saveexec_b64 s[0:1], vcc
	s_cbranch_execz .LBB5_74
; %bb.71:                               ;   in Loop: Header=BB5_17 Depth=1
	s_and_b32 s80, s74, 0x7fffffff
	s_and_b32 s18, s3, 0xfe
	s_mov_b64 s[8:9], 0
	v_pk_mov_b32 v[26:27], v[12:13], v[12:13] op_sel:[0,1]
.LBB5_72:                               ;   Parent Loop BB5_17 Depth=1
                                        ; =>  This Inner Loop Header: Depth=2
	ds_read_u8 v29, v12
	v_add_co_u32_e32 v26, vcc, v26, v28
	v_addc_co_u32_e32 v27, vcc, 0, v27, vcc
	s_waitcnt lgkmcnt(0)
	v_and_b32_e32 v30, s77, v29
	v_bfe_u32 v29, v29, s18, 2
	v_cmp_eq_u32_e64 s[6:7], s27, v30
	v_cmp_eq_u32_e64 s[10:11], 0, v29
	;; [unrolled: 1-line block ×3, first 2 shown]
	s_and_b64 s[10:11], s[6:7], s[10:11]
	v_cmp_eq_u32_e64 s[14:15], 2, v29
	v_cmp_eq_u32_e64 s[16:17], 3, v29
	v_cndmask_b32_e64 v29, 0, 1, s[10:11]
	s_and_b64 s[10:11], s[6:7], s[12:13]
	v_cndmask_b32_e64 v30, 0, 1, s[10:11]
	s_and_b64 s[10:11], s[6:7], s[14:15]
	s_and_b64 s[6:7], s[6:7], s[16:17]
	v_cndmask_b32_e64 v32, 0, 1, s[6:7]
	v_cmp_ne_u32_e64 s[6:7], 0, v29
	s_bcnt1_i32_b64 s6, s[6:7]
	v_cndmask_b32_e64 v31, 0, 1, s[10:11]
	v_cmp_ne_u32_e64 s[10:11], 0, v30
	v_add_co_u32_e64 v2, s[6:7], s6, v2
	s_bcnt1_i32_b64 s10, s[10:11]
	v_addc_co_u32_e64 v3, s[6:7], 0, v3, s[6:7]
	v_cmp_ne_u32_e64 s[12:13], 0, v31
	v_cmp_ne_u32_e64 s[14:15], 0, v32
	v_add_co_u32_e64 v4, s[6:7], s10, v4
	v_cmp_le_u64_e32 vcc, s[80:81], v[26:27]
	s_bcnt1_i32_b64 s11, s[12:13]
	s_bcnt1_i32_b64 s12, s[14:15]
	v_addc_co_u32_e64 v5, s[6:7], 0, v5, s[6:7]
	v_add_co_u32_e64 v6, s[6:7], s11, v6
	s_or_b64 s[8:9], vcc, s[8:9]
	v_add_co_u32_e32 v8, vcc, s12, v8
	v_add_u32_e32 v12, v12, v28
	v_addc_co_u32_e64 v7, s[6:7], 0, v7, s[6:7]
	v_addc_co_u32_e32 v9, vcc, 0, v9, vcc
	s_andn2_b64 exec, exec, s[8:9]
	s_cbranch_execnz .LBB5_72
; %bb.73:                               ;   in Loop: Header=BB5_17 Depth=1
	s_or_b64 exec, exec, s[8:9]
.LBB5_74:                               ;   in Loop: Header=BB5_17 Depth=1
	s_or_b64 exec, exec, s[0:1]
.LBB5_75:                               ;   in Loop: Header=BB5_17 Depth=1
	s_lshl_b32 s6, s76, 6
	s_and_saveexec_b64 s[0:1], s[4:5]
	s_cbranch_execz .LBB5_77
; %bb.76:                               ;   in Loop: Header=BB5_17 Depth=1
	v_or_b32_e32 v12, s6, v35
	v_lshlrev_b32_e32 v12, 3, v12
	ds_write_b128 v12, v[2:5] offset:3072
	s_waitcnt vmcnt(0)
	ds_write_b128 v12, v[6:9] offset:3088
.LBB5_77:                               ;   in Loop: Header=BB5_17 Depth=1
	s_or_b64 exec, exec, s[0:1]
	s_waitcnt lgkmcnt(0)
	s_barrier
	s_and_saveexec_b64 s[0:1], s[84:85]
	s_cbranch_execz .LBB5_89
; %bb.78:                               ;   in Loop: Header=BB5_17 Depth=1
	v_readlane_b32 s8, v46, 30
	v_readlane_b32 s9, v46, 31
	s_andn2_b64 vcc, exec, s[8:9]
	v_pk_mov_b32 v[2:3], 0, 0
	s_cbranch_vccnz .LBB5_88
; %bb.79:                               ;   in Loop: Header=BB5_17 Depth=1
	v_readlane_b32 s8, v46, 35
	v_readlane_b32 s9, v46, 36
	s_andn2_b64 vcc, exec, s[8:9]
	s_cbranch_vccnz .LBB5_84
; %bb.80:                               ;   in Loop: Header=BB5_17 Depth=1
	v_lshl_add_u32 v4, s76, 9, v39
	s_mov_b32 s7, 0
	v_pk_mov_b32 v[2:3], 0, 0
.LBB5_81:                               ;   Parent Loop BB5_17 Depth=1
                                        ; =>  This Inner Loop Header: Depth=2
	s_waitcnt vmcnt(0)
	ds_read2_b64 v[6:9], v4 offset1:4
	ds_read2_b64 v[26:29], v4 offset0:8 offset1:12
	ds_read2_b64 v[30:33], v4 offset0:16 offset1:20
	;; [unrolled: 1-line block ×3, first 2 shown]
	s_add_i32 s7, s7, 8
	s_waitcnt lgkmcnt(3)
	v_add_co_u32_e32 v2, vcc, v6, v2
	v_addc_co_u32_e32 v3, vcc, v7, v3, vcc
	v_add_co_u32_e32 v2, vcc, v8, v2
	v_addc_co_u32_e32 v3, vcc, v9, v3, vcc
	s_waitcnt lgkmcnt(2)
	v_add_co_u32_e32 v2, vcc, v26, v2
	v_addc_co_u32_e32 v3, vcc, v27, v3, vcc
	v_add_co_u32_e32 v2, vcc, v28, v2
	v_addc_co_u32_e32 v3, vcc, v29, v3, vcc
	;; [unrolled: 5-line block ×3, first 2 shown]
	s_waitcnt lgkmcnt(0)
	v_add_co_u32_e32 v2, vcc, v42, v2
	v_addc_co_u32_e32 v3, vcc, v43, v3, vcc
	v_add_co_u32_e32 v2, vcc, v44, v2
	v_add_u32_e32 v4, 0x100, v4
	s_cmp_eq_u32 s2, s7
	v_addc_co_u32_e32 v3, vcc, v45, v3, vcc
	s_cbranch_scc0 .LBB5_81
; %bb.82:                               ;   in Loop: Header=BB5_17 Depth=1
	s_mov_b32 s7, s2
	s_branch .LBB5_85
.LBB5_83:                               ;   in Loop: Header=BB5_17 Depth=1
                                        ; implicit-def: $vgpr26_vgpr27
	s_branch .LBB5_51
.LBB5_84:                               ;   in Loop: Header=BB5_17 Depth=1
	s_mov_b32 s7, 0
	v_pk_mov_b32 v[2:3], 0, 0
.LBB5_85:                               ;   in Loop: Header=BB5_17 Depth=1
	v_readlane_b32 s8, v46, 38
	v_readlane_b32 s9, v46, 39
	s_andn2_b64 vcc, exec, s[8:9]
	s_cbranch_vccnz .LBB5_88
; %bb.86:                               ;   in Loop: Header=BB5_17 Depth=1
	s_lshl_b32 s8, s76, 9
	s_lshl_b32 s7, s7, 5
	s_add_i32 s8, s8, s7
	v_add_u32_e32 v4, s8, v39
	v_readlane_b32 s7, v46, 37
.LBB5_87:                               ;   Parent Loop BB5_17 Depth=1
                                        ; =>  This Inner Loop Header: Depth=2
	s_waitcnt vmcnt(0)
	ds_read_b64 v[6:7], v4
	s_add_i32 s7, s7, -1
	v_add_u32_e32 v4, 32, v4
	s_cmp_lg_u32 s7, 0
	s_waitcnt lgkmcnt(0)
	v_add_co_u32_e32 v2, vcc, v6, v2
	v_addc_co_u32_e32 v3, vcc, v7, v3, vcc
	s_cbranch_scc1 .LBB5_87
.LBB5_88:                               ;   in Loop: Header=BB5_17 Depth=1
	v_add_lshl_u32 v4, s6, v34, 3
	ds_write_b64 v4, v[2:3] offset:3072
.LBB5_89:                               ;   in Loop: Header=BB5_17 Depth=1
	s_or_b64 exec, exec, s[0:1]
	s_lshl_b32 s0, s6, 3
	s_waitcnt vmcnt(0)
	v_mov_b32_e32 v6, s0
	s_waitcnt lgkmcnt(0)
	s_barrier
	ds_read_b128 v[2:5], v6 offset:3072
	ds_read_b128 v[6:9], v6 offset:3088
	s_and_b32 s38, s3, 0xfe
	s_lshl_b32 s46, 3, s38
	s_not_b32 s39, s46
	s_waitcnt lgkmcnt(1)
	v_readfirstlane_b32 s13, v3
	v_readfirstlane_b32 s12, v2
	s_cmp_eq_u64 s[12:13], 1
	s_cselect_b64 s[0:1], -1, 0
	s_cmp_eq_u64 s[54:55], 1
	s_cselect_b64 s[8:9], -1, 0
	s_and_b64 s[18:19], s[0:1], s[8:9]
	v_readfirstlane_b32 s24, v4
	v_readfirstlane_b32 s25, v5
	s_waitcnt lgkmcnt(0)
	v_readfirstlane_b32 s14, v6
	v_readfirstlane_b32 s15, v7
	v_readfirstlane_b32 s6, v8
	v_readfirstlane_b32 s7, v9
	s_mov_b64 s[16:17], -1
	s_and_b64 vcc, exec, s[18:19]
	s_cbranch_vccz .LBB5_103
; %bb.90:                               ;   in Loop: Header=BB5_17 Depth=1
	ds_read_b64 v[2:3], v13 offset:5120
	s_waitcnt lgkmcnt(0)
	s_barrier
	v_readfirstlane_b32 s10, v2
	v_readfirstlane_b32 s11, v3
	s_mov_b64 s[0:1], exec
	v_readlane_b32 s8, v46, 24
	v_readlane_b32 s9, v46, 25
	s_and_b64 s[8:9], s[0:1], s[8:9]
	s_mov_b64 exec, s[8:9]
	s_cbranch_execz .LBB5_92
; %bb.91:                               ;   in Loop: Header=BB5_17 Depth=1
	ds_write_b8 v0, v13 offset:3072
.LBB5_92:                               ;   in Loop: Header=BB5_17 Depth=1
	s_or_b64 exec, exec, s[0:1]
	v_cmp_lt_i64_e64 s[0:1], s[10:11], 1
	s_and_b32 s27, s27, s39
	s_or_b32 s77, s77, s46
	s_and_b64 vcc, exec, s[0:1]
	s_waitcnt lgkmcnt(0)
	s_barrier
	s_cbranch_vccz .LBB5_104
; %bb.93:                               ;   in Loop: Header=BB5_17 Depth=1
	s_mov_b32 s88, s81
	s_cmp_lg_u64 s[88:89], 0
	s_cbranch_scc0 .LBB5_147
; %bb.94:                               ;   in Loop: Header=BB5_17 Depth=1
	v_cvt_f32_u32_e32 v2, s33
	s_sub_u32 s0, 0, s33
	s_subb_u32 s1, 0, 0
	v_mac_f32_e32 v2, 0x4f800000, v40
	v_rcp_f32_e32 v2, v2
	v_mul_f32_e32 v2, 0x5f7ffffc, v2
	v_mul_f32_e32 v3, 0x2f800000, v2
	v_trunc_f32_e32 v3, v3
	v_mac_f32_e32 v2, 0xcf800000, v3
	v_cvt_u32_f32_e32 v3, v3
	v_cvt_u32_f32_e32 v2, v2
	v_readfirstlane_b32 s8, v3
	v_readfirstlane_b32 s9, v2
	s_mul_i32 s20, s0, s8
	s_mul_hi_u32 s22, s0, s9
	s_mul_i32 s21, s1, s9
	s_add_i32 s20, s22, s20
	s_mul_i32 s23, s0, s9
	s_add_i32 s20, s20, s21
	s_mul_hi_u32 s22, s9, s23
	s_mul_hi_u32 s21, s9, s20
	s_mul_i32 s9, s9, s20
	s_add_u32 s9, s22, s9
	s_addc_u32 s21, 0, s21
	s_mul_hi_u32 s28, s8, s23
	s_mul_i32 s23, s8, s23
	s_add_u32 s9, s9, s23
	s_mul_hi_u32 s22, s8, s20
	s_addc_u32 s9, s21, s28
	s_addc_u32 s21, s22, 0
	s_mul_i32 s20, s8, s20
	s_add_u32 s9, s9, s20
	s_addc_u32 s20, 0, s21
	v_add_co_u32_e32 v2, vcc, s9, v2
	s_cmp_lg_u64 vcc, 0
	s_addc_u32 s8, s8, s20
	v_readfirstlane_b32 s20, v2
	s_mul_i32 s9, s0, s8
	s_mul_hi_u32 s21, s0, s20
	s_add_i32 s9, s21, s9
	s_mul_i32 s1, s1, s20
	s_add_i32 s9, s9, s1
	s_mul_i32 s0, s0, s20
	s_mul_hi_u32 s21, s8, s0
	s_mul_i32 s22, s8, s0
	s_mul_i32 s28, s20, s9
	s_mul_hi_u32 s0, s20, s0
	s_mul_hi_u32 s23, s20, s9
	s_add_u32 s0, s0, s28
	s_addc_u32 s20, 0, s23
	s_add_u32 s0, s0, s22
	s_mul_hi_u32 s1, s8, s9
	s_addc_u32 s0, s20, s21
	s_addc_u32 s1, s1, 0
	s_mul_i32 s9, s8, s9
	s_add_u32 s0, s0, s9
	s_addc_u32 s1, 0, s1
	v_add_co_u32_e32 v2, vcc, s0, v2
	s_cmp_lg_u64 vcc, 0
	s_addc_u32 s20, s8, s1
	s_ashr_i32 s0, s89, 31
	v_readlane_b32 s8, v46, 33
	s_add_u32 s8, s8, s0
	s_mov_b32 s1, s0
	s_addc_u32 s9, s89, s0
	s_xor_b64 s[8:9], s[8:9], s[0:1]
	v_readfirstlane_b32 s22, v2
	s_mul_i32 s21, s8, s20
	s_mul_hi_u32 s23, s8, s22
	s_mul_hi_u32 s1, s8, s20
	s_add_u32 s21, s23, s21
	s_addc_u32 s1, 0, s1
	s_mul_hi_u32 s28, s9, s22
	s_mul_i32 s22, s9, s22
	s_add_u32 s21, s21, s22
	s_mul_hi_u32 s23, s9, s20
	s_addc_u32 s1, s1, s28
	s_addc_u32 s21, s23, 0
	s_mul_i32 s20, s9, s20
	s_add_u32 s1, s1, s20
	s_addc_u32 s20, 0, s21
	s_mul_hi_u32 s21, s33, s1
	s_mul_i32 s1, s33, s1
	s_mul_i32 s20, s33, s20
	v_mov_b32_e32 v2, s1
	s_add_i32 s21, s21, s20
	v_sub_co_u32_e32 v2, vcc, s8, v2
	s_cmp_lg_u64 vcc, 0
	s_subb_u32 s1, s9, s21
	v_subrev_co_u32_e32 v3, vcc, s33, v2
	s_cmp_lg_u64 vcc, 0
	s_subb_u32 s8, s1, 0
	v_subrev_co_u32_e32 v4, vcc, s33, v3
	s_cmp_lg_u64 vcc, 0
	s_subb_u32 s9, s8, 0
	v_cmp_le_u32_e32 vcc, s33, v3
	s_cmp_eq_u32 s8, 0
	v_cndmask_b32_e64 v5, 0, -1, vcc
	s_cselect_b64 vcc, -1, 0
	v_cndmask_b32_e32 v5, -1, v5, vcc
	v_mov_b32_e32 v6, s8
	v_mov_b32_e32 v7, s9
	v_cmp_ne_u32_e32 vcc, 0, v5
	v_cndmask_b32_e32 v5, v6, v7, vcc
	v_cndmask_b32_e32 v3, v3, v4, vcc
	v_cmp_le_u32_e32 vcc, s33, v2
	s_cmp_eq_u32 s1, 0
	v_cndmask_b32_e64 v4, 0, -1, vcc
	s_cselect_b64 vcc, -1, 0
	v_cndmask_b32_e32 v4, -1, v4, vcc
	v_cmp_ne_u32_e32 vcc, 0, v4
	v_mov_b32_e32 v6, s1
	v_cndmask_b32_e32 v2, v2, v3, vcc
	v_cndmask_b32_e32 v4, v6, v5, vcc
	v_xor_b32_e32 v2, s0, v2
	v_xor_b32_e32 v3, s0, v4
	v_mov_b32_e32 v4, s0
	v_subrev_co_u32_e32 v2, vcc, s0, v2
	v_subb_co_u32_e32 v3, vcc, v3, v4, vcc
	s_cbranch_execnz .LBB5_96
.LBB5_95:                               ;   in Loop: Header=BB5_17 Depth=1
	v_cvt_f32_u32_e32 v2, s33
	s_sub_i32 s0, 0, s33
	v_rcp_iflag_f32_e32 v2, v2
	v_mul_f32_e32 v2, 0x4f7ffffe, v2
	v_cvt_u32_f32_e32 v2, v2
	v_mul_lo_u32 v3, s0, v2
	v_mul_hi_u32 v3, v2, v3
	v_add_u32_e32 v2, v2, v3
	v_readlane_b32 s0, v46, 33
	v_mul_hi_u32 v2, s0, v2
	v_mul_lo_u32 v2, v2, s33
	v_sub_u32_e32 v2, s0, v2
	v_subrev_u32_e32 v3, s33, v2
	v_cmp_le_u32_e32 vcc, s33, v2
	v_cndmask_b32_e32 v2, v2, v3, vcc
	v_subrev_u32_e32 v3, s33, v2
	v_cmp_le_u32_e32 vcc, s33, v2
	v_cndmask_b32_e32 v12, v2, v3, vcc
	v_pk_mov_b32 v[2:3], v[12:13], v[12:13] op_sel:[0,1]
.LBB5_96:                               ;   in Loop: Header=BB5_17 Depth=1
	v_readlane_b32 s0, v46, 33
	v_mov_b32_e32 v4, s89
	v_sub_co_u32_e32 v2, vcc, s0, v2
	v_subb_co_u32_e32 v3, vcc, v4, v3, vcc
	v_cmp_gt_i64_e32 vcc, v[2:3], v[0:1]
	s_mov_b64 s[0:1], 0
                                        ; implicit-def: $vgpr41
	s_and_saveexec_b64 s[8:9], vcc
	s_cbranch_execz .LBB5_106
; %bb.97:                               ;   in Loop: Header=BB5_17 Depth=1
	v_pk_mov_b32 v[4:5], v[10:11], v[10:11] op_sel:[0,1]
	v_pk_mov_b32 v[6:7], v[0:1], v[0:1] op_sel:[0,1]
                                        ; implicit-def: $sgpr20_sgpr21
	s_branch .LBB5_99
.LBB5_98:                               ;   in Loop: Header=BB5_99 Depth=2
	s_or_b64 exec, exec, s[22:23]
	s_waitcnt lgkmcnt(0)
	s_barrier
	ds_read_u16 v8, v13 offset:3072
	v_mov_b32_e32 v9, s86
	v_add_co_u32_e32 v6, vcc, s33, v6
	v_addc_co_u32_e32 v7, vcc, v7, v9, vcc
	s_waitcnt lgkmcnt(0)
	v_cmp_ne_u16_sdwa s[22:23], v8, v13 src0_sel:BYTE_0 src1_sel:DWORD
	v_cmp_ge_i64_e32 vcc, v[6:7], v[2:3]
	s_or_b64 s[28:29], s[22:23], vcc
	s_and_b64 s[28:29], exec, s[28:29]
	s_or_b64 s[0:1], s[28:29], s[0:1]
	v_mov_b32_e32 v9, s87
	v_add_co_u32_e32 v4, vcc, s26, v4
	s_andn2_b64 s[20:21], s[20:21], exec
	s_and_b64 s[22:23], s[22:23], exec
	v_addc_co_u32_e32 v5, vcc, v5, v9, vcc
	s_or_b64 s[20:21], s[20:21], s[22:23]
	s_barrier
	s_andn2_b64 exec, exec, s[0:1]
	s_cbranch_execz .LBB5_105
.LBB5_99:                               ;   Parent Loop BB5_17 Depth=1
                                        ; =>  This Inner Loop Header: Depth=2
	v_cmp_gt_i64_e32 vcc, s[52:53], v[6:7]
	v_mov_b32_e32 v8, 0
	s_and_saveexec_b64 s[22:23], vcc
	s_cbranch_execz .LBB5_101
; %bb.100:                              ;   in Loop: Header=BB5_99 Depth=2
	global_load_ubyte v8, v[4:5], off
.LBB5_101:                              ;   in Loop: Header=BB5_99 Depth=2
	s_or_b64 exec, exec, s[22:23]
	s_waitcnt vmcnt(0)
	v_and_b32_e32 v9, s77, v8
	v_cmp_eq_u32_sdwa s[22:23], v9, s27 src0_sel:BYTE_0 src1_sel:DWORD
	s_and_b64 s[28:29], vcc, s[22:23]
	s_and_saveexec_b64 s[22:23], s[28:29]
	s_cbranch_execz .LBB5_98
; %bb.102:                              ;   in Loop: Header=BB5_99 Depth=2
	v_lshlrev_b16_e32 v8, 8, v8
	v_or_b32_e32 v8, 1, v8
	ds_write_b16 v13, v8 offset:3072
	s_branch .LBB5_98
.LBB5_103:                              ;   in Loop: Header=BB5_17 Depth=1
	s_mov_b64 s[0:1], -1
                                        ; implicit-def: $sgpr8_sgpr9
                                        ; implicit-def: $sgpr22_sgpr23
                                        ; implicit-def: $sgpr20_sgpr21
	s_branch .LBB5_119
.LBB5_104:                              ;   in Loop: Header=BB5_17 Depth=1
	s_mov_b64 s[8:9], -1
	s_mov_b64 s[0:1], 0
                                        ; implicit-def: $sgpr20_sgpr21
                                        ; implicit-def: $vgpr41
	s_mov_b64 s[22:23], s[8:9]
	s_cbranch_execnz .LBB5_107
	s_branch .LBB5_119
.LBB5_105:                              ;   in Loop: Header=BB5_17 Depth=1
	s_or_b64 exec, exec, s[0:1]
	v_lshrrev_b16_e32 v41, 8, v8
	s_and_b64 s[0:1], s[20:21], exec
.LBB5_106:                              ;   in Loop: Header=BB5_17 Depth=1
	s_or_b64 exec, exec, s[8:9]
	s_mov_b64 s[20:21], -1
	s_mov_b64 s[8:9], 0
	s_mov_b64 s[22:23], s[8:9]
	s_branch .LBB5_119
.LBB5_107:                              ;   in Loop: Header=BB5_17 Depth=1
	v_readlane_b32 s0, v46, 32
	s_add_u32 s20, s0, s10
	v_readlane_b32 s0, v46, 34
	s_addc_u32 s1, s0, s11
	s_mov_b32 s0, s81
	s_cmp_lg_u64 s[0:1], 0
	s_cbranch_scc0 .LBB5_148
; %bb.108:                              ;   in Loop: Header=BB5_17 Depth=1
	v_cvt_f32_u32_e32 v2, s33
	s_sub_u32 s0, 0, s33
	s_subb_u32 s8, 0, 0
	v_mac_f32_e32 v2, 0x4f800000, v40
	v_rcp_f32_e32 v2, v2
	v_mul_f32_e32 v2, 0x5f7ffffc, v2
	v_mul_f32_e32 v3, 0x2f800000, v2
	v_trunc_f32_e32 v3, v3
	v_mac_f32_e32 v2, 0xcf800000, v3
	v_cvt_u32_f32_e32 v3, v3
	v_cvt_u32_f32_e32 v2, v2
	v_readfirstlane_b32 s9, v3
	v_readfirstlane_b32 s21, v2
	s_mul_i32 s22, s0, s9
	s_mul_hi_u32 s28, s0, s21
	s_mul_i32 s23, s8, s21
	s_add_i32 s22, s28, s22
	s_mul_i32 s29, s0, s21
	s_add_i32 s22, s22, s23
	s_mul_hi_u32 s28, s21, s29
	s_mul_hi_u32 s23, s21, s22
	s_mul_i32 s21, s21, s22
	s_add_u32 s21, s28, s21
	s_addc_u32 s23, 0, s23
	s_mul_hi_u32 s30, s9, s29
	s_mul_i32 s29, s9, s29
	s_add_u32 s21, s21, s29
	s_mul_hi_u32 s28, s9, s22
	s_addc_u32 s21, s23, s30
	s_addc_u32 s23, s28, 0
	s_mul_i32 s22, s9, s22
	s_add_u32 s21, s21, s22
	s_addc_u32 s22, 0, s23
	v_add_co_u32_e32 v2, vcc, s21, v2
	s_cmp_lg_u64 vcc, 0
	s_addc_u32 s9, s9, s22
	v_readfirstlane_b32 s22, v2
	s_mul_i32 s21, s0, s9
	s_mul_hi_u32 s23, s0, s22
	s_add_i32 s21, s23, s21
	s_mul_i32 s8, s8, s22
	s_add_i32 s21, s21, s8
	s_mul_i32 s0, s0, s22
	s_mul_hi_u32 s23, s9, s0
	s_mul_i32 s28, s9, s0
	s_mul_i32 s30, s22, s21
	s_mul_hi_u32 s0, s22, s0
	s_mul_hi_u32 s29, s22, s21
	s_add_u32 s0, s0, s30
	s_addc_u32 s22, 0, s29
	s_add_u32 s0, s0, s28
	s_mul_hi_u32 s8, s9, s21
	s_addc_u32 s0, s22, s23
	s_addc_u32 s8, s8, 0
	s_mul_i32 s21, s9, s21
	s_add_u32 s0, s0, s21
	s_addc_u32 s8, 0, s8
	v_add_co_u32_e32 v2, vcc, s0, v2
	s_cmp_lg_u64 vcc, 0
	s_addc_u32 s0, s9, s8
	s_ashr_i32 s8, s1, 31
	s_add_u32 s22, s20, s8
	s_mov_b32 s9, s8
	s_addc_u32 s23, s1, s8
	s_xor_b64 s[22:23], s[22:23], s[8:9]
	v_readfirstlane_b32 s28, v2
	s_mul_i32 s21, s22, s0
	s_mul_hi_u32 s29, s22, s28
	s_mul_hi_u32 s9, s22, s0
	s_add_u32 s21, s29, s21
	s_addc_u32 s9, 0, s9
	s_mul_hi_u32 s30, s23, s28
	s_mul_i32 s28, s23, s28
	s_add_u32 s21, s21, s28
	s_mul_hi_u32 s29, s23, s0
	s_addc_u32 s9, s9, s30
	s_addc_u32 s21, s29, 0
	s_mul_i32 s0, s23, s0
	s_add_u32 s0, s9, s0
	s_addc_u32 s9, 0, s21
	s_mul_hi_u32 s21, s33, s0
	s_mul_i32 s0, s33, s0
	s_mul_i32 s9, s33, s9
	v_mov_b32_e32 v2, s0
	s_add_i32 s21, s21, s9
	v_sub_co_u32_e32 v2, vcc, s22, v2
	s_cmp_lg_u64 vcc, 0
	s_subb_u32 s0, s23, s21
	v_subrev_co_u32_e32 v3, vcc, s33, v2
	s_cmp_lg_u64 vcc, 0
	s_subb_u32 s9, s0, 0
	v_subrev_co_u32_e32 v4, vcc, s33, v3
	s_cmp_lg_u64 vcc, 0
	s_subb_u32 s21, s9, 0
	v_cmp_le_u32_e32 vcc, s33, v3
	s_cmp_eq_u32 s9, 0
	v_cndmask_b32_e64 v5, 0, -1, vcc
	s_cselect_b64 vcc, -1, 0
	v_cndmask_b32_e32 v5, -1, v5, vcc
	v_mov_b32_e32 v6, s9
	v_mov_b32_e32 v7, s21
	v_cmp_ne_u32_e32 vcc, 0, v5
	v_cndmask_b32_e32 v5, v6, v7, vcc
	v_cndmask_b32_e32 v3, v3, v4, vcc
	v_cmp_le_u32_e32 vcc, s33, v2
	s_cmp_eq_u32 s0, 0
	v_cndmask_b32_e64 v4, 0, -1, vcc
	s_cselect_b64 vcc, -1, 0
	v_cndmask_b32_e32 v4, -1, v4, vcc
	v_cmp_ne_u32_e32 vcc, 0, v4
	v_mov_b32_e32 v6, s0
	v_cndmask_b32_e32 v2, v2, v3, vcc
	v_cndmask_b32_e32 v4, v6, v5, vcc
	v_xor_b32_e32 v2, s8, v2
	v_xor_b32_e32 v3, s8, v4
	v_mov_b32_e32 v4, s8
	v_subrev_co_u32_e32 v2, vcc, s8, v2
	v_subb_co_u32_e32 v3, vcc, v3, v4, vcc
	s_cbranch_execnz .LBB5_110
.LBB5_109:                              ;   in Loop: Header=BB5_17 Depth=1
	v_cvt_f32_u32_e32 v2, s33
	s_sub_i32 s0, 0, s33
	v_rcp_iflag_f32_e32 v2, v2
	v_mul_f32_e32 v2, 0x4f7ffffe, v2
	v_cvt_u32_f32_e32 v2, v2
	v_mul_lo_u32 v3, s0, v2
	v_mul_hi_u32 v3, v2, v3
	v_add_u32_e32 v2, v2, v3
	v_mul_hi_u32 v2, s20, v2
	v_mul_lo_u32 v2, v2, s33
	v_sub_u32_e32 v2, s20, v2
	v_subrev_u32_e32 v3, s33, v2
	v_cmp_le_u32_e32 vcc, s33, v2
	v_cndmask_b32_e32 v2, v2, v3, vcc
	v_subrev_u32_e32 v3, s33, v2
	v_cmp_le_u32_e32 vcc, s33, v2
	v_cndmask_b32_e32 v12, v2, v3, vcc
	v_pk_mov_b32 v[2:3], v[12:13], v[12:13] op_sel:[0,1]
.LBB5_110:                              ;   in Loop: Header=BB5_17 Depth=1
	v_mov_b32_e32 v4, s1
	v_sub_co_u32_e32 v2, vcc, s20, v2
	v_subb_co_u32_e32 v3, vcc, v4, v3, vcc
	v_cmp_gt_i64_e32 vcc, v[2:3], v[0:1]
	s_mov_b64 s[0:1], 0
                                        ; implicit-def: $vgpr41
	s_and_saveexec_b64 s[8:9], vcc
	s_cbranch_execz .LBB5_118
; %bb.111:                              ;   in Loop: Header=BB5_17 Depth=1
	v_mov_b32_e32 v6, v0
	v_pk_mov_b32 v[4:5], v[0:1], v[0:1] op_sel:[0,1]
                                        ; implicit-def: $sgpr20_sgpr21
	s_branch .LBB5_113
.LBB5_112:                              ;   in Loop: Header=BB5_113 Depth=2
	s_or_b64 exec, exec, s[22:23]
	s_waitcnt lgkmcnt(0)
	s_barrier
	ds_read_u16 v7, v13 offset:3072
	v_mov_b32_e32 v8, s86
	v_add_co_u32_e32 v4, vcc, s33, v4
	v_addc_co_u32_e32 v5, vcc, v5, v8, vcc
	s_waitcnt lgkmcnt(0)
	v_cmp_ne_u16_sdwa s[22:23], v7, v13 src0_sel:BYTE_0 src1_sel:DWORD
	v_cmp_ge_i64_e32 vcc, v[4:5], v[2:3]
	s_or_b64 s[28:29], s[22:23], vcc
	s_and_b64 s[28:29], exec, s[28:29]
	s_or_b64 s[0:1], s[28:29], s[0:1]
	s_andn2_b64 s[20:21], s[20:21], exec
	s_and_b64 s[22:23], s[22:23], exec
	v_add_u32_e32 v6, s33, v6
	s_or_b64 s[20:21], s[20:21], s[22:23]
	s_barrier
	s_andn2_b64 exec, exec, s[0:1]
	s_cbranch_execz .LBB5_117
.LBB5_113:                              ;   Parent Loop BB5_17 Depth=1
                                        ; =>  This Inner Loop Header: Depth=2
	v_cmp_gt_i64_e32 vcc, s[10:11], v[4:5]
	v_mov_b32_e32 v7, 0
	s_and_saveexec_b64 s[22:23], vcc
	s_cbranch_execz .LBB5_115
; %bb.114:                              ;   in Loop: Header=BB5_113 Depth=2
	ds_read_u8 v7, v6
.LBB5_115:                              ;   in Loop: Header=BB5_113 Depth=2
	s_or_b64 exec, exec, s[22:23]
	s_waitcnt lgkmcnt(0)
	v_and_b32_e32 v8, s77, v7
	v_cmp_eq_u32_sdwa s[22:23], v8, s27 src0_sel:BYTE_0 src1_sel:DWORD
	s_and_b64 s[28:29], vcc, s[22:23]
	s_and_saveexec_b64 s[22:23], s[28:29]
	s_cbranch_execz .LBB5_112
; %bb.116:                              ;   in Loop: Header=BB5_113 Depth=2
	v_lshlrev_b16_e32 v7, 8, v7
	v_or_b32_e32 v7, 1, v7
	ds_write_b16 v13, v7 offset:3072
	s_branch .LBB5_112
.LBB5_117:                              ;   in Loop: Header=BB5_17 Depth=1
	s_or_b64 exec, exec, s[0:1]
	v_lshrrev_b16_e32 v41, 8, v7
	s_and_b64 s[0:1], s[20:21], exec
.LBB5_118:                              ;   in Loop: Header=BB5_17 Depth=1
	s_or_b64 exec, exec, s[8:9]
	s_mov_b64 s[22:23], -1
	s_mov_b64 s[8:9], 0
	s_mov_b64 s[20:21], 0
.LBB5_119:                              ;   in Loop: Header=BB5_17 Depth=1
	s_andn2_b64 s[10:11], s[72:73], exec
	s_and_b64 s[8:9], s[8:9], exec
	s_or_b64 s[72:73], s[10:11], s[8:9]
	s_andn2_b64 s[8:9], s[70:71], exec
	s_and_b64 s[10:11], s[22:23], exec
	s_or_b64 s[70:71], s[8:9], s[10:11]
	;; [unrolled: 3-line block ×3, first 2 shown]
	s_and_saveexec_b64 s[10:11], s[0:1]
	s_cbranch_execz .LBB5_16
; %bb.120:                              ;   in Loop: Header=BB5_17 Depth=1
	s_xor_b64 s[0:1], s[18:19], -1
	s_andn2_b64 vcc, exec, s[0:1]
	s_mov_b32 s47, 1
	s_cbranch_vccnz .LBB5_131
; %bb.121:                              ;   in Loop: Header=BB5_17 Depth=1
	v_pk_mov_b32 v[2:3], s[12:13], s[12:13] op_sel:[0,1]
	v_cmp_gt_i64_e32 vcc, s[54:55], v[2:3]
	s_mov_b64 s[0:1], -1
                                        ; implicit-def: $sgpr47
                                        ; implicit-def: $sgpr8
                                        ; implicit-def: $sgpr9
	s_cbranch_vccnz .LBB5_127
; %bb.122:                              ;   in Loop: Header=BB5_17 Depth=1
	ds_read_b64 v[2:3], v13 offset:5120
	s_waitcnt lgkmcnt(0)
	v_cmp_ne_u64_e32 vcc, 0, v[2:3]
	s_cbranch_vccnz .LBB5_126
; %bb.123:                              ;   in Loop: Header=BB5_17 Depth=1
	s_mov_b64 s[0:1], exec
	v_readlane_b32 s8, v46, 12
	v_readlane_b32 s9, v46, 13
	s_and_b64 s[8:9], s[0:1], s[8:9]
	s_mov_b64 exec, s[8:9]
	s_cbranch_execz .LBB5_125
; %bb.124:                              ;   in Loop: Header=BB5_17 Depth=1
	v_pk_mov_b32 v[2:3], s[12:13], s[12:13] op_sel:[0,1]
	ds_write_b64 v13, v[2:3] offset:5128
.LBB5_125:                              ;   in Loop: Header=BB5_17 Depth=1
	s_or_b64 exec, exec, s[0:1]
	s_waitcnt lgkmcnt(0)
	s_barrier
.LBB5_126:                              ;   in Loop: Header=BB5_17 Depth=1
	s_and_b32 s8, s27, s39
	s_or_b32 s9, s77, s46
	s_mov_b64 s[0:1], 0
	s_mov_b32 s47, 8
.LBB5_127:                              ;   in Loop: Header=BB5_17 Depth=1
	s_andn2_b64 vcc, exec, s[0:1]
	s_cbranch_vccnz .LBB5_129
; %bb.128:                              ;   in Loop: Header=BB5_17 Depth=1
	s_sub_u32 s54, s54, s12
	s_subb_u32 s55, s55, s13
	s_mov_b64 s[0:1], -1
	s_mov_b32 s47, 0
	s_mov_b32 s8, s27
	;; [unrolled: 1-line block ×3, first 2 shown]
.LBB5_129:                              ;   in Loop: Header=BB5_17 Depth=1
	s_mov_b32 s77, s9
	s_mov_b32 s27, s8
	s_mov_b64 s[12:13], -1
	s_and_b64 vcc, exec, s[0:1]
	s_cbranch_vccnz .LBB5_132
.LBB5_130:                              ;   in Loop: Header=BB5_17 Depth=1
	s_mov_b64 s[8:9], -1
                                        ; implicit-def: $sgpr16_sgpr17
                                        ; implicit-def: $sgpr20_sgpr21
                                        ; implicit-def: $sgpr18_sgpr19
	s_and_saveexec_b64 s[0:1], s[8:9]
	s_xor_b64 s[0:1], exec, s[0:1]
	s_cbranch_execz .LBB5_15
	s_branch .LBB5_272
.LBB5_131:                              ;   in Loop: Header=BB5_17 Depth=1
	s_mov_b64 s[54:55], 1
	s_mov_b64 s[12:13], -1
	s_branch .LBB5_130
.LBB5_132:                              ;   in Loop: Header=BB5_17 Depth=1
	s_cmp_eq_u64 s[24:25], 1
	s_cselect_b64 s[0:1], -1, 0
	s_cmp_eq_u64 s[54:55], 1
	s_cselect_b64 s[8:9], -1, 0
	s_and_b64 s[28:29], s[0:1], s[8:9]
	s_mov_b64 s[0:1], -1
	s_and_b64 vcc, exec, s[28:29]
	s_cbranch_vccz .LBB5_146
; %bb.133:                              ;   in Loop: Header=BB5_17 Depth=1
	ds_read_b64 v[2:3], v13 offset:5120
	s_waitcnt lgkmcnt(0)
	s_barrier
	v_readfirstlane_b32 s22, v2
	v_readfirstlane_b32 s23, v3
	s_mov_b64 s[0:1], exec
	v_readlane_b32 s8, v46, 24
	v_readlane_b32 s9, v46, 25
	s_and_b64 s[8:9], s[0:1], s[8:9]
	s_mov_b64 exec, s[8:9]
	s_cbranch_execz .LBB5_135
; %bb.134:                              ;   in Loop: Header=BB5_17 Depth=1
	ds_write_b8 v0, v13 offset:3072
.LBB5_135:                              ;   in Loop: Header=BB5_17 Depth=1
	s_or_b64 exec, exec, s[0:1]
	s_lshl_b32 s0, 1, s38
	s_and_b32 s1, s27, s39
	s_or_b32 s27, s1, s0
	v_cmp_gt_i64_e64 s[0:1], s[22:23], 0
	s_or_b32 s77, s77, s46
	s_and_b64 vcc, exec, s[0:1]
	s_waitcnt lgkmcnt(0)
	s_barrier
	s_cbranch_vccnz .LBB5_149
; %bb.136:                              ;   in Loop: Header=BB5_17 Depth=1
	s_mov_b32 s88, s81
	s_cmp_lg_u64 s[88:89], 0
	s_cbranch_scc0 .LBB5_192
; %bb.137:                              ;   in Loop: Header=BB5_17 Depth=1
	v_cvt_f32_u32_e32 v2, s33
	s_sub_u32 s0, 0, s33
	s_subb_u32 s1, 0, 0
	v_mac_f32_e32 v2, 0x4f800000, v40
	v_rcp_f32_e32 v2, v2
	v_mul_f32_e32 v2, 0x5f7ffffc, v2
	v_mul_f32_e32 v3, 0x2f800000, v2
	v_trunc_f32_e32 v3, v3
	v_mac_f32_e32 v2, 0xcf800000, v3
	v_cvt_u32_f32_e32 v3, v3
	v_cvt_u32_f32_e32 v2, v2
	v_readfirstlane_b32 s8, v3
	v_readfirstlane_b32 s9, v2
	s_mul_i32 s16, s0, s8
	s_mul_hi_u32 s18, s0, s9
	s_mul_i32 s17, s1, s9
	s_add_i32 s16, s18, s16
	s_mul_i32 s19, s0, s9
	s_add_i32 s16, s16, s17
	s_mul_hi_u32 s18, s9, s19
	s_mul_hi_u32 s17, s9, s16
	s_mul_i32 s9, s9, s16
	s_add_u32 s9, s18, s9
	s_addc_u32 s17, 0, s17
	s_mul_hi_u32 s20, s8, s19
	s_mul_i32 s19, s8, s19
	s_add_u32 s9, s9, s19
	s_mul_hi_u32 s18, s8, s16
	s_addc_u32 s9, s17, s20
	s_addc_u32 s17, s18, 0
	s_mul_i32 s16, s8, s16
	s_add_u32 s9, s9, s16
	s_addc_u32 s16, 0, s17
	v_add_co_u32_e32 v2, vcc, s9, v2
	s_cmp_lg_u64 vcc, 0
	s_addc_u32 s8, s8, s16
	v_readfirstlane_b32 s16, v2
	s_mul_i32 s9, s0, s8
	s_mul_hi_u32 s17, s0, s16
	s_add_i32 s9, s17, s9
	s_mul_i32 s1, s1, s16
	s_add_i32 s9, s9, s1
	s_mul_i32 s0, s0, s16
	s_mul_hi_u32 s17, s8, s0
	s_mul_i32 s18, s8, s0
	s_mul_i32 s20, s16, s9
	s_mul_hi_u32 s0, s16, s0
	s_mul_hi_u32 s19, s16, s9
	s_add_u32 s0, s0, s20
	s_addc_u32 s16, 0, s19
	s_add_u32 s0, s0, s18
	s_mul_hi_u32 s1, s8, s9
	s_addc_u32 s0, s16, s17
	s_addc_u32 s1, s1, 0
	s_mul_i32 s9, s8, s9
	s_add_u32 s0, s0, s9
	s_addc_u32 s1, 0, s1
	v_add_co_u32_e32 v2, vcc, s0, v2
	s_cmp_lg_u64 vcc, 0
	s_addc_u32 s16, s8, s1
	s_ashr_i32 s0, s89, 31
	v_readlane_b32 s8, v46, 33
	s_add_u32 s8, s8, s0
	s_mov_b32 s1, s0
	s_addc_u32 s9, s89, s0
	s_xor_b64 s[8:9], s[8:9], s[0:1]
	v_readfirstlane_b32 s18, v2
	s_mul_i32 s17, s8, s16
	s_mul_hi_u32 s19, s8, s18
	s_mul_hi_u32 s1, s8, s16
	s_add_u32 s17, s19, s17
	s_addc_u32 s1, 0, s1
	s_mul_hi_u32 s20, s9, s18
	s_mul_i32 s18, s9, s18
	s_add_u32 s17, s17, s18
	s_mul_hi_u32 s19, s9, s16
	s_addc_u32 s1, s1, s20
	s_addc_u32 s17, s19, 0
	s_mul_i32 s16, s9, s16
	s_add_u32 s1, s1, s16
	s_addc_u32 s16, 0, s17
	s_mul_hi_u32 s17, s33, s1
	s_mul_i32 s1, s33, s1
	s_mul_i32 s16, s33, s16
	v_mov_b32_e32 v2, s1
	s_add_i32 s17, s17, s16
	v_sub_co_u32_e32 v2, vcc, s8, v2
	s_cmp_lg_u64 vcc, 0
	s_subb_u32 s1, s9, s17
	v_subrev_co_u32_e32 v3, vcc, s33, v2
	s_cmp_lg_u64 vcc, 0
	s_subb_u32 s8, s1, 0
	v_subrev_co_u32_e32 v4, vcc, s33, v3
	s_cmp_lg_u64 vcc, 0
	s_subb_u32 s9, s8, 0
	v_cmp_le_u32_e32 vcc, s33, v3
	s_cmp_eq_u32 s8, 0
	v_cndmask_b32_e64 v5, 0, -1, vcc
	s_cselect_b64 vcc, -1, 0
	v_cndmask_b32_e32 v5, -1, v5, vcc
	v_mov_b32_e32 v6, s8
	v_mov_b32_e32 v7, s9
	v_cmp_ne_u32_e32 vcc, 0, v5
	v_cndmask_b32_e32 v5, v6, v7, vcc
	v_cndmask_b32_e32 v3, v3, v4, vcc
	v_cmp_le_u32_e32 vcc, s33, v2
	s_cmp_eq_u32 s1, 0
	v_cndmask_b32_e64 v4, 0, -1, vcc
	s_cselect_b64 vcc, -1, 0
	v_cndmask_b32_e32 v4, -1, v4, vcc
	v_cmp_ne_u32_e32 vcc, 0, v4
	v_mov_b32_e32 v6, s1
	v_cndmask_b32_e32 v2, v2, v3, vcc
	v_cndmask_b32_e32 v4, v6, v5, vcc
	v_xor_b32_e32 v2, s0, v2
	v_xor_b32_e32 v3, s0, v4
	v_mov_b32_e32 v4, s0
	v_subrev_co_u32_e32 v2, vcc, s0, v2
	v_subb_co_u32_e32 v3, vcc, v3, v4, vcc
	s_cbranch_execnz .LBB5_139
.LBB5_138:                              ;   in Loop: Header=BB5_17 Depth=1
	v_cvt_f32_u32_e32 v2, s33
	s_sub_i32 s0, 0, s33
	v_rcp_iflag_f32_e32 v2, v2
	v_mul_f32_e32 v2, 0x4f7ffffe, v2
	v_cvt_u32_f32_e32 v2, v2
	v_mul_lo_u32 v3, s0, v2
	v_mul_hi_u32 v3, v2, v3
	v_add_u32_e32 v2, v2, v3
	v_readlane_b32 s0, v46, 33
	v_mul_hi_u32 v2, s0, v2
	v_mul_lo_u32 v2, v2, s33
	v_sub_u32_e32 v2, s0, v2
	v_subrev_u32_e32 v3, s33, v2
	v_cmp_le_u32_e32 vcc, s33, v2
	v_cndmask_b32_e32 v2, v2, v3, vcc
	v_subrev_u32_e32 v3, s33, v2
	v_cmp_le_u32_e32 vcc, s33, v2
	v_cndmask_b32_e32 v12, v2, v3, vcc
	v_pk_mov_b32 v[2:3], v[12:13], v[12:13] op_sel:[0,1]
.LBB5_139:                              ;   in Loop: Header=BB5_17 Depth=1
	v_readlane_b32 s0, v46, 33
	v_mov_b32_e32 v4, s89
	v_sub_co_u32_e32 v2, vcc, s0, v2
	v_subb_co_u32_e32 v3, vcc, v4, v3, vcc
	v_cmp_gt_i64_e32 vcc, v[2:3], v[0:1]
	s_mov_b64 s[0:1], 0
                                        ; implicit-def: $vgpr41
	s_and_saveexec_b64 s[8:9], vcc
	s_cbranch_execz .LBB5_151
; %bb.140:                              ;   in Loop: Header=BB5_17 Depth=1
	v_pk_mov_b32 v[4:5], v[10:11], v[10:11] op_sel:[0,1]
	v_pk_mov_b32 v[6:7], v[0:1], v[0:1] op_sel:[0,1]
                                        ; implicit-def: $sgpr16_sgpr17
	s_branch .LBB5_142
.LBB5_141:                              ;   in Loop: Header=BB5_142 Depth=2
	s_or_b64 exec, exec, s[18:19]
	s_waitcnt lgkmcnt(0)
	s_barrier
	ds_read_u16 v8, v13 offset:3072
	v_mov_b32_e32 v9, s86
	v_add_co_u32_e32 v6, vcc, s33, v6
	v_addc_co_u32_e32 v7, vcc, v7, v9, vcc
	s_waitcnt lgkmcnt(0)
	v_cmp_ne_u16_sdwa s[18:19], v8, v13 src0_sel:BYTE_0 src1_sel:DWORD
	v_cmp_ge_i64_e32 vcc, v[6:7], v[2:3]
	s_or_b64 s[20:21], s[18:19], vcc
	s_and_b64 s[20:21], exec, s[20:21]
	s_or_b64 s[0:1], s[20:21], s[0:1]
	v_mov_b32_e32 v9, s87
	v_add_co_u32_e32 v4, vcc, s26, v4
	s_andn2_b64 s[16:17], s[16:17], exec
	s_and_b64 s[18:19], s[18:19], exec
	v_addc_co_u32_e32 v5, vcc, v5, v9, vcc
	s_or_b64 s[16:17], s[16:17], s[18:19]
	s_barrier
	s_andn2_b64 exec, exec, s[0:1]
	s_cbranch_execz .LBB5_150
.LBB5_142:                              ;   Parent Loop BB5_17 Depth=1
                                        ; =>  This Inner Loop Header: Depth=2
	v_cmp_gt_i64_e32 vcc, s[52:53], v[6:7]
	v_mov_b32_e32 v8, 0
	s_and_saveexec_b64 s[18:19], vcc
	s_cbranch_execz .LBB5_144
; %bb.143:                              ;   in Loop: Header=BB5_142 Depth=2
	global_load_ubyte v8, v[4:5], off
.LBB5_144:                              ;   in Loop: Header=BB5_142 Depth=2
	s_or_b64 exec, exec, s[18:19]
	s_waitcnt vmcnt(0)
	v_and_b32_e32 v9, s77, v8
	v_cmp_eq_u32_sdwa s[18:19], v9, s27 src0_sel:BYTE_0 src1_sel:DWORD
	s_and_b64 s[20:21], vcc, s[18:19]
	s_and_saveexec_b64 s[18:19], s[20:21]
	s_cbranch_execz .LBB5_141
; %bb.145:                              ;   in Loop: Header=BB5_142 Depth=2
	v_lshlrev_b16_e32 v8, 8, v8
	v_or_b32_e32 v8, 1, v8
	ds_write_b16 v13, v8 offset:3072
	s_branch .LBB5_141
.LBB5_146:                              ;   in Loop: Header=BB5_17 Depth=1
                                        ; implicit-def: $sgpr18_sgpr19
                                        ; implicit-def: $sgpr20_sgpr21
                                        ; implicit-def: $sgpr16_sgpr17
	s_branch .LBB5_164
.LBB5_147:                              ;   in Loop: Header=BB5_17 Depth=1
                                        ; implicit-def: $vgpr2_vgpr3
	s_branch .LBB5_95
.LBB5_148:                              ;   in Loop: Header=BB5_17 Depth=1
                                        ; implicit-def: $vgpr2_vgpr3
	s_branch .LBB5_109
.LBB5_149:                              ;   in Loop: Header=BB5_17 Depth=1
	s_mov_b64 s[18:19], -1
	s_mov_b64 s[0:1], 0
                                        ; implicit-def: $sgpr16_sgpr17
                                        ; implicit-def: $vgpr41
	s_mov_b64 s[20:21], s[18:19]
	s_cbranch_execnz .LBB5_152
	s_branch .LBB5_164
.LBB5_150:                              ;   in Loop: Header=BB5_17 Depth=1
	s_or_b64 exec, exec, s[0:1]
	v_lshrrev_b16_e32 v41, 8, v8
	s_and_b64 s[0:1], s[16:17], exec
.LBB5_151:                              ;   in Loop: Header=BB5_17 Depth=1
	s_or_b64 exec, exec, s[8:9]
	s_mov_b64 s[16:17], -1
	s_mov_b64 s[18:19], 0
	s_mov_b64 s[20:21], s[18:19]
	s_branch .LBB5_164
.LBB5_152:                              ;   in Loop: Header=BB5_17 Depth=1
	v_readlane_b32 s0, v46, 32
	s_add_u32 s16, s0, s22
	v_readlane_b32 s0, v46, 34
	s_addc_u32 s1, s0, s23
	s_mov_b32 s0, s81
	s_cmp_lg_u64 s[0:1], 0
	s_cbranch_scc0 .LBB5_193
; %bb.153:                              ;   in Loop: Header=BB5_17 Depth=1
	v_cvt_f32_u32_e32 v2, s33
	s_sub_u32 s0, 0, s33
	s_subb_u32 s8, 0, 0
	v_mac_f32_e32 v2, 0x4f800000, v40
	v_rcp_f32_e32 v2, v2
	v_mul_f32_e32 v2, 0x5f7ffffc, v2
	v_mul_f32_e32 v3, 0x2f800000, v2
	v_trunc_f32_e32 v3, v3
	v_mac_f32_e32 v2, 0xcf800000, v3
	v_cvt_u32_f32_e32 v3, v3
	v_cvt_u32_f32_e32 v2, v2
	v_readfirstlane_b32 s9, v3
	v_readfirstlane_b32 s17, v2
	s_mul_i32 s18, s0, s9
	s_mul_hi_u32 s20, s0, s17
	s_mul_i32 s19, s8, s17
	s_add_i32 s18, s20, s18
	s_mul_i32 s21, s0, s17
	s_add_i32 s18, s18, s19
	s_mul_hi_u32 s20, s17, s21
	s_mul_hi_u32 s19, s17, s18
	s_mul_i32 s17, s17, s18
	s_add_u32 s17, s20, s17
	s_addc_u32 s19, 0, s19
	s_mul_hi_u32 s30, s9, s21
	s_mul_i32 s21, s9, s21
	s_add_u32 s17, s17, s21
	s_mul_hi_u32 s20, s9, s18
	s_addc_u32 s17, s19, s30
	s_addc_u32 s19, s20, 0
	s_mul_i32 s18, s9, s18
	s_add_u32 s17, s17, s18
	s_addc_u32 s18, 0, s19
	v_add_co_u32_e32 v2, vcc, s17, v2
	s_cmp_lg_u64 vcc, 0
	s_addc_u32 s9, s9, s18
	v_readfirstlane_b32 s18, v2
	s_mul_i32 s17, s0, s9
	s_mul_hi_u32 s19, s0, s18
	s_add_i32 s17, s19, s17
	s_mul_i32 s8, s8, s18
	s_add_i32 s17, s17, s8
	s_mul_i32 s0, s0, s18
	s_mul_hi_u32 s19, s9, s0
	s_mul_i32 s20, s9, s0
	s_mul_i32 s30, s18, s17
	s_mul_hi_u32 s0, s18, s0
	s_mul_hi_u32 s21, s18, s17
	s_add_u32 s0, s0, s30
	s_addc_u32 s18, 0, s21
	s_add_u32 s0, s0, s20
	s_mul_hi_u32 s8, s9, s17
	s_addc_u32 s0, s18, s19
	s_addc_u32 s8, s8, 0
	s_mul_i32 s17, s9, s17
	s_add_u32 s0, s0, s17
	s_addc_u32 s8, 0, s8
	v_add_co_u32_e32 v2, vcc, s0, v2
	s_cmp_lg_u64 vcc, 0
	s_addc_u32 s0, s9, s8
	s_ashr_i32 s8, s1, 31
	s_add_u32 s18, s16, s8
	s_mov_b32 s9, s8
	s_addc_u32 s19, s1, s8
	s_xor_b64 s[18:19], s[18:19], s[8:9]
	v_readfirstlane_b32 s20, v2
	s_mul_i32 s17, s18, s0
	s_mul_hi_u32 s21, s18, s20
	s_mul_hi_u32 s9, s18, s0
	s_add_u32 s17, s21, s17
	s_addc_u32 s9, 0, s9
	s_mul_hi_u32 s30, s19, s20
	s_mul_i32 s20, s19, s20
	s_add_u32 s17, s17, s20
	s_mul_hi_u32 s21, s19, s0
	s_addc_u32 s9, s9, s30
	s_addc_u32 s17, s21, 0
	s_mul_i32 s0, s19, s0
	s_add_u32 s0, s9, s0
	s_addc_u32 s9, 0, s17
	s_mul_hi_u32 s17, s33, s0
	s_mul_i32 s0, s33, s0
	s_mul_i32 s9, s33, s9
	v_mov_b32_e32 v2, s0
	s_add_i32 s17, s17, s9
	v_sub_co_u32_e32 v2, vcc, s18, v2
	s_cmp_lg_u64 vcc, 0
	s_subb_u32 s0, s19, s17
	v_subrev_co_u32_e32 v3, vcc, s33, v2
	s_cmp_lg_u64 vcc, 0
	s_subb_u32 s9, s0, 0
	v_subrev_co_u32_e32 v4, vcc, s33, v3
	s_cmp_lg_u64 vcc, 0
	s_subb_u32 s17, s9, 0
	v_cmp_le_u32_e32 vcc, s33, v3
	s_cmp_eq_u32 s9, 0
	v_cndmask_b32_e64 v5, 0, -1, vcc
	s_cselect_b64 vcc, -1, 0
	v_cndmask_b32_e32 v5, -1, v5, vcc
	v_mov_b32_e32 v6, s9
	v_mov_b32_e32 v7, s17
	v_cmp_ne_u32_e32 vcc, 0, v5
	v_cndmask_b32_e32 v5, v6, v7, vcc
	v_cndmask_b32_e32 v3, v3, v4, vcc
	v_cmp_le_u32_e32 vcc, s33, v2
	s_cmp_eq_u32 s0, 0
	v_cndmask_b32_e64 v4, 0, -1, vcc
	s_cselect_b64 vcc, -1, 0
	v_cndmask_b32_e32 v4, -1, v4, vcc
	v_cmp_ne_u32_e32 vcc, 0, v4
	v_mov_b32_e32 v6, s0
	v_cndmask_b32_e32 v2, v2, v3, vcc
	v_cndmask_b32_e32 v4, v6, v5, vcc
	v_xor_b32_e32 v2, s8, v2
	v_xor_b32_e32 v3, s8, v4
	v_mov_b32_e32 v4, s8
	v_subrev_co_u32_e32 v2, vcc, s8, v2
	v_subb_co_u32_e32 v3, vcc, v3, v4, vcc
	s_cbranch_execnz .LBB5_155
.LBB5_154:                              ;   in Loop: Header=BB5_17 Depth=1
	v_cvt_f32_u32_e32 v2, s33
	s_sub_i32 s0, 0, s33
	v_rcp_iflag_f32_e32 v2, v2
	v_mul_f32_e32 v2, 0x4f7ffffe, v2
	v_cvt_u32_f32_e32 v2, v2
	v_mul_lo_u32 v3, s0, v2
	v_mul_hi_u32 v3, v2, v3
	v_add_u32_e32 v2, v2, v3
	v_mul_hi_u32 v2, s16, v2
	v_mul_lo_u32 v2, v2, s33
	v_sub_u32_e32 v2, s16, v2
	v_subrev_u32_e32 v3, s33, v2
	v_cmp_le_u32_e32 vcc, s33, v2
	v_cndmask_b32_e32 v2, v2, v3, vcc
	v_subrev_u32_e32 v3, s33, v2
	v_cmp_le_u32_e32 vcc, s33, v2
	v_cndmask_b32_e32 v12, v2, v3, vcc
	v_pk_mov_b32 v[2:3], v[12:13], v[12:13] op_sel:[0,1]
.LBB5_155:                              ;   in Loop: Header=BB5_17 Depth=1
	v_mov_b32_e32 v4, s1
	v_sub_co_u32_e32 v2, vcc, s16, v2
	v_subb_co_u32_e32 v3, vcc, v4, v3, vcc
	v_cmp_gt_i64_e32 vcc, v[2:3], v[0:1]
	s_mov_b64 s[0:1], 0
                                        ; implicit-def: $vgpr41
	s_and_saveexec_b64 s[8:9], vcc
	s_cbranch_execz .LBB5_163
; %bb.156:                              ;   in Loop: Header=BB5_17 Depth=1
	v_mov_b32_e32 v6, v0
	v_pk_mov_b32 v[4:5], v[0:1], v[0:1] op_sel:[0,1]
                                        ; implicit-def: $sgpr16_sgpr17
	s_branch .LBB5_158
.LBB5_157:                              ;   in Loop: Header=BB5_158 Depth=2
	s_or_b64 exec, exec, s[18:19]
	s_waitcnt lgkmcnt(0)
	s_barrier
	ds_read_u16 v7, v13 offset:3072
	v_mov_b32_e32 v8, s86
	v_add_co_u32_e32 v4, vcc, s33, v4
	v_addc_co_u32_e32 v5, vcc, v5, v8, vcc
	s_waitcnt lgkmcnt(0)
	v_cmp_ne_u16_sdwa s[18:19], v7, v13 src0_sel:BYTE_0 src1_sel:DWORD
	v_cmp_ge_i64_e32 vcc, v[4:5], v[2:3]
	s_or_b64 s[20:21], s[18:19], vcc
	s_and_b64 s[20:21], exec, s[20:21]
	s_or_b64 s[0:1], s[20:21], s[0:1]
	s_andn2_b64 s[16:17], s[16:17], exec
	s_and_b64 s[18:19], s[18:19], exec
	v_add_u32_e32 v6, s33, v6
	s_or_b64 s[16:17], s[16:17], s[18:19]
	s_barrier
	s_andn2_b64 exec, exec, s[0:1]
	s_cbranch_execz .LBB5_162
.LBB5_158:                              ;   Parent Loop BB5_17 Depth=1
                                        ; =>  This Inner Loop Header: Depth=2
	v_cmp_gt_i64_e32 vcc, s[22:23], v[4:5]
	v_mov_b32_e32 v7, 0
	s_and_saveexec_b64 s[18:19], vcc
	s_cbranch_execz .LBB5_160
; %bb.159:                              ;   in Loop: Header=BB5_158 Depth=2
	ds_read_u8 v7, v6
.LBB5_160:                              ;   in Loop: Header=BB5_158 Depth=2
	s_or_b64 exec, exec, s[18:19]
	s_waitcnt lgkmcnt(0)
	v_and_b32_e32 v8, s77, v7
	v_cmp_eq_u32_sdwa s[18:19], v8, s27 src0_sel:BYTE_0 src1_sel:DWORD
	s_and_b64 s[20:21], vcc, s[18:19]
	s_and_saveexec_b64 s[18:19], s[20:21]
	s_cbranch_execz .LBB5_157
; %bb.161:                              ;   in Loop: Header=BB5_158 Depth=2
	v_lshlrev_b16_e32 v7, 8, v7
	v_or_b32_e32 v7, 1, v7
	ds_write_b16 v13, v7 offset:3072
	s_branch .LBB5_157
.LBB5_162:                              ;   in Loop: Header=BB5_17 Depth=1
	s_or_b64 exec, exec, s[0:1]
	v_lshrrev_b16_e32 v41, 8, v7
	s_and_b64 s[0:1], s[16:17], exec
.LBB5_163:                              ;   in Loop: Header=BB5_17 Depth=1
	s_or_b64 exec, exec, s[8:9]
	s_mov_b64 s[20:21], -1
	s_mov_b64 s[18:19], 0
	s_mov_b64 s[16:17], 0
.LBB5_164:                              ;   in Loop: Header=BB5_17 Depth=1
	s_mov_b64 s[8:9], 0
                                        ; implicit-def: $sgpr47
	s_and_saveexec_b64 s[22:23], s[0:1]
	s_cbranch_execz .LBB5_271
; %bb.165:                              ;   in Loop: Header=BB5_17 Depth=1
	s_xor_b64 s[0:1], s[28:29], -1
	s_andn2_b64 vcc, exec, s[0:1]
	s_mov_b32 s47, 1
	s_cbranch_vccnz .LBB5_176
; %bb.166:                              ;   in Loop: Header=BB5_17 Depth=1
	v_pk_mov_b32 v[2:3], s[24:25], s[24:25] op_sel:[0,1]
	v_cmp_gt_i64_e32 vcc, s[54:55], v[2:3]
	s_mov_b64 s[0:1], -1
                                        ; implicit-def: $sgpr47
                                        ; implicit-def: $sgpr8
                                        ; implicit-def: $sgpr9
	s_cbranch_vccnz .LBB5_172
; %bb.167:                              ;   in Loop: Header=BB5_17 Depth=1
	ds_read_b64 v[2:3], v13 offset:5120
	s_waitcnt lgkmcnt(0)
	v_cmp_ne_u64_e32 vcc, 0, v[2:3]
	s_cbranch_vccnz .LBB5_171
; %bb.168:                              ;   in Loop: Header=BB5_17 Depth=1
	s_mov_b64 s[0:1], exec
	v_readlane_b32 s8, v46, 12
	v_readlane_b32 s9, v46, 13
	s_and_b64 s[8:9], s[0:1], s[8:9]
	s_mov_b64 exec, s[8:9]
	s_cbranch_execz .LBB5_170
; %bb.169:                              ;   in Loop: Header=BB5_17 Depth=1
	v_pk_mov_b32 v[2:3], s[24:25], s[24:25] op_sel:[0,1]
	ds_write_b64 v13, v[2:3] offset:5128
.LBB5_170:                              ;   in Loop: Header=BB5_17 Depth=1
	s_or_b64 exec, exec, s[0:1]
	s_waitcnt lgkmcnt(0)
	s_barrier
.LBB5_171:                              ;   in Loop: Header=BB5_17 Depth=1
	s_lshl_b32 s0, 1, s38
	s_and_b32 s1, s27, s39
	s_or_b32 s8, s1, s0
	s_or_b32 s9, s77, s46
	s_mov_b64 s[0:1], 0
	s_mov_b32 s47, 8
.LBB5_172:                              ;   in Loop: Header=BB5_17 Depth=1
	s_andn2_b64 vcc, exec, s[0:1]
	s_cbranch_vccnz .LBB5_174
; %bb.173:                              ;   in Loop: Header=BB5_17 Depth=1
	s_sub_u32 s54, s54, s24
	s_subb_u32 s55, s55, s25
	s_mov_b64 s[0:1], -1
	s_mov_b32 s47, 0
	s_mov_b32 s8, s27
	;; [unrolled: 1-line block ×3, first 2 shown]
.LBB5_174:                              ;   in Loop: Header=BB5_17 Depth=1
	s_mov_b32 s77, s9
	s_mov_b32 s27, s8
	s_andn2_b64 vcc, exec, s[0:1]
	s_mov_b64 s[8:9], -1
	s_cbranch_vccz .LBB5_177
.LBB5_175:                              ;   in Loop: Header=BB5_17 Depth=1
                                        ; implicit-def: $sgpr28_sgpr29
                                        ; implicit-def: $sgpr30_sgpr31
                                        ; implicit-def: $sgpr24_sgpr25
	s_branch .LBB5_270
.LBB5_176:                              ;   in Loop: Header=BB5_17 Depth=1
	s_mov_b64 s[54:55], 1
	s_mov_b64 s[8:9], -1
	s_cbranch_execnz .LBB5_175
.LBB5_177:                              ;   in Loop: Header=BB5_17 Depth=1
	s_cmp_eq_u64 s[14:15], 1
	s_cselect_b64 s[0:1], -1, 0
	s_cmp_eq_u64 s[54:55], 1
	s_cselect_b64 s[8:9], -1, 0
	s_and_b64 s[36:37], s[0:1], s[8:9]
	s_mov_b64 s[0:1], -1
	s_and_b64 vcc, exec, s[36:37]
	s_cbranch_vccz .LBB5_191
; %bb.178:                              ;   in Loop: Header=BB5_17 Depth=1
	ds_read_b64 v[2:3], v13 offset:5120
	s_waitcnt lgkmcnt(0)
	s_barrier
	v_readfirstlane_b32 s34, v2
	v_readfirstlane_b32 s35, v3
	s_mov_b64 s[0:1], exec
	v_readlane_b32 s8, v46, 24
	v_readlane_b32 s9, v46, 25
	s_and_b64 s[8:9], s[0:1], s[8:9]
	s_mov_b64 exec, s[8:9]
	s_cbranch_execz .LBB5_180
; %bb.179:                              ;   in Loop: Header=BB5_17 Depth=1
	ds_write_b8 v0, v13 offset:3072
.LBB5_180:                              ;   in Loop: Header=BB5_17 Depth=1
	s_or_b64 exec, exec, s[0:1]
	s_lshl_b32 s0, 2, s38
	s_and_b32 s1, s27, s39
	s_or_b32 s27, s1, s0
	v_cmp_gt_i64_e64 s[0:1], s[34:35], 0
	s_or_b32 s77, s77, s46
	s_and_b64 vcc, exec, s[0:1]
	s_waitcnt lgkmcnt(0)
	s_barrier
	s_cbranch_vccnz .LBB5_194
; %bb.181:                              ;   in Loop: Header=BB5_17 Depth=1
	s_mov_b32 s88, s81
	s_cmp_lg_u64 s[88:89], 0
	s_cbranch_scc0 .LBB5_237
; %bb.182:                              ;   in Loop: Header=BB5_17 Depth=1
	v_cvt_f32_u32_e32 v2, s33
	s_sub_u32 s0, 0, s33
	s_subb_u32 s1, 0, 0
	v_mac_f32_e32 v2, 0x4f800000, v40
	v_rcp_f32_e32 v2, v2
	v_mul_f32_e32 v2, 0x5f7ffffc, v2
	v_mul_f32_e32 v3, 0x2f800000, v2
	v_trunc_f32_e32 v3, v3
	v_mac_f32_e32 v2, 0xcf800000, v3
	v_cvt_u32_f32_e32 v3, v3
	v_cvt_u32_f32_e32 v2, v2
	v_readfirstlane_b32 s8, v3
	v_readfirstlane_b32 s9, v2
	s_mul_i32 s24, s0, s8
	s_mul_hi_u32 s28, s0, s9
	s_mul_i32 s25, s1, s9
	s_add_i32 s24, s28, s24
	s_mul_i32 s29, s0, s9
	s_add_i32 s24, s24, s25
	s_mul_hi_u32 s28, s9, s29
	s_mul_hi_u32 s25, s9, s24
	s_mul_i32 s9, s9, s24
	s_add_u32 s9, s28, s9
	s_addc_u32 s25, 0, s25
	s_mul_hi_u32 s30, s8, s29
	s_mul_i32 s29, s8, s29
	s_add_u32 s9, s9, s29
	s_mul_hi_u32 s28, s8, s24
	s_addc_u32 s9, s25, s30
	s_addc_u32 s25, s28, 0
	s_mul_i32 s24, s8, s24
	s_add_u32 s9, s9, s24
	s_addc_u32 s24, 0, s25
	v_add_co_u32_e32 v2, vcc, s9, v2
	s_cmp_lg_u64 vcc, 0
	s_addc_u32 s8, s8, s24
	v_readfirstlane_b32 s24, v2
	s_mul_i32 s9, s0, s8
	s_mul_hi_u32 s25, s0, s24
	s_add_i32 s9, s25, s9
	s_mul_i32 s1, s1, s24
	s_add_i32 s9, s9, s1
	s_mul_i32 s0, s0, s24
	s_mul_hi_u32 s25, s8, s0
	s_mul_i32 s28, s8, s0
	s_mul_i32 s30, s24, s9
	s_mul_hi_u32 s0, s24, s0
	s_mul_hi_u32 s29, s24, s9
	s_add_u32 s0, s0, s30
	s_addc_u32 s24, 0, s29
	s_add_u32 s0, s0, s28
	s_mul_hi_u32 s1, s8, s9
	s_addc_u32 s0, s24, s25
	s_addc_u32 s1, s1, 0
	s_mul_i32 s9, s8, s9
	s_add_u32 s0, s0, s9
	s_addc_u32 s1, 0, s1
	v_add_co_u32_e32 v2, vcc, s0, v2
	s_cmp_lg_u64 vcc, 0
	s_addc_u32 s24, s8, s1
	s_ashr_i32 s0, s89, 31
	v_readlane_b32 s8, v46, 33
	s_add_u32 s8, s8, s0
	s_mov_b32 s1, s0
	s_addc_u32 s9, s89, s0
	s_xor_b64 s[8:9], s[8:9], s[0:1]
	v_readfirstlane_b32 s28, v2
	s_mul_i32 s25, s8, s24
	s_mul_hi_u32 s29, s8, s28
	s_mul_hi_u32 s1, s8, s24
	s_add_u32 s25, s29, s25
	s_addc_u32 s1, 0, s1
	s_mul_hi_u32 s30, s9, s28
	s_mul_i32 s28, s9, s28
	s_add_u32 s25, s25, s28
	s_mul_hi_u32 s29, s9, s24
	s_addc_u32 s1, s1, s30
	s_addc_u32 s25, s29, 0
	s_mul_i32 s24, s9, s24
	s_add_u32 s1, s1, s24
	s_addc_u32 s24, 0, s25
	s_mul_hi_u32 s25, s33, s1
	s_mul_i32 s1, s33, s1
	s_mul_i32 s24, s33, s24
	v_mov_b32_e32 v2, s1
	s_add_i32 s25, s25, s24
	v_sub_co_u32_e32 v2, vcc, s8, v2
	s_cmp_lg_u64 vcc, 0
	s_subb_u32 s1, s9, s25
	v_subrev_co_u32_e32 v3, vcc, s33, v2
	s_cmp_lg_u64 vcc, 0
	s_subb_u32 s8, s1, 0
	v_subrev_co_u32_e32 v4, vcc, s33, v3
	s_cmp_lg_u64 vcc, 0
	s_subb_u32 s9, s8, 0
	v_cmp_le_u32_e32 vcc, s33, v3
	s_cmp_eq_u32 s8, 0
	v_cndmask_b32_e64 v5, 0, -1, vcc
	s_cselect_b64 vcc, -1, 0
	v_cndmask_b32_e32 v5, -1, v5, vcc
	v_mov_b32_e32 v6, s8
	v_mov_b32_e32 v7, s9
	v_cmp_ne_u32_e32 vcc, 0, v5
	v_cndmask_b32_e32 v5, v6, v7, vcc
	v_cndmask_b32_e32 v3, v3, v4, vcc
	v_cmp_le_u32_e32 vcc, s33, v2
	s_cmp_eq_u32 s1, 0
	v_cndmask_b32_e64 v4, 0, -1, vcc
	s_cselect_b64 vcc, -1, 0
	v_cndmask_b32_e32 v4, -1, v4, vcc
	v_cmp_ne_u32_e32 vcc, 0, v4
	v_mov_b32_e32 v6, s1
	v_cndmask_b32_e32 v2, v2, v3, vcc
	v_cndmask_b32_e32 v4, v6, v5, vcc
	v_xor_b32_e32 v2, s0, v2
	v_xor_b32_e32 v3, s0, v4
	v_mov_b32_e32 v4, s0
	v_subrev_co_u32_e32 v2, vcc, s0, v2
	v_subb_co_u32_e32 v3, vcc, v3, v4, vcc
	s_cbranch_execnz .LBB5_184
.LBB5_183:                              ;   in Loop: Header=BB5_17 Depth=1
	v_cvt_f32_u32_e32 v2, s33
	s_sub_i32 s0, 0, s33
	v_rcp_iflag_f32_e32 v2, v2
	v_mul_f32_e32 v2, 0x4f7ffffe, v2
	v_cvt_u32_f32_e32 v2, v2
	v_mul_lo_u32 v3, s0, v2
	v_mul_hi_u32 v3, v2, v3
	v_add_u32_e32 v2, v2, v3
	v_readlane_b32 s0, v46, 33
	v_mul_hi_u32 v2, s0, v2
	v_mul_lo_u32 v2, v2, s33
	v_sub_u32_e32 v2, s0, v2
	v_subrev_u32_e32 v3, s33, v2
	v_cmp_le_u32_e32 vcc, s33, v2
	v_cndmask_b32_e32 v2, v2, v3, vcc
	v_subrev_u32_e32 v3, s33, v2
	v_cmp_le_u32_e32 vcc, s33, v2
	v_cndmask_b32_e32 v12, v2, v3, vcc
	v_pk_mov_b32 v[2:3], v[12:13], v[12:13] op_sel:[0,1]
.LBB5_184:                              ;   in Loop: Header=BB5_17 Depth=1
	v_readlane_b32 s0, v46, 33
	v_mov_b32_e32 v4, s89
	v_sub_co_u32_e32 v2, vcc, s0, v2
	v_subb_co_u32_e32 v3, vcc, v4, v3, vcc
	v_cmp_gt_i64_e32 vcc, v[2:3], v[0:1]
	s_mov_b64 s[0:1], 0
                                        ; implicit-def: $vgpr41
	s_and_saveexec_b64 s[8:9], vcc
	s_cbranch_execz .LBB5_196
; %bb.185:                              ;   in Loop: Header=BB5_17 Depth=1
	v_pk_mov_b32 v[4:5], v[10:11], v[10:11] op_sel:[0,1]
	v_pk_mov_b32 v[6:7], v[0:1], v[0:1] op_sel:[0,1]
                                        ; implicit-def: $sgpr24_sgpr25
	s_branch .LBB5_187
.LBB5_186:                              ;   in Loop: Header=BB5_187 Depth=2
	s_or_b64 exec, exec, s[28:29]
	s_waitcnt lgkmcnt(0)
	s_barrier
	ds_read_u16 v8, v13 offset:3072
	v_mov_b32_e32 v9, s86
	v_add_co_u32_e32 v6, vcc, s33, v6
	v_addc_co_u32_e32 v7, vcc, v7, v9, vcc
	s_waitcnt lgkmcnt(0)
	v_cmp_ne_u16_sdwa s[28:29], v8, v13 src0_sel:BYTE_0 src1_sel:DWORD
	v_cmp_ge_i64_e32 vcc, v[6:7], v[2:3]
	s_or_b64 s[30:31], s[28:29], vcc
	s_and_b64 s[30:31], exec, s[30:31]
	s_or_b64 s[0:1], s[30:31], s[0:1]
	v_mov_b32_e32 v9, s87
	v_add_co_u32_e32 v4, vcc, s26, v4
	s_andn2_b64 s[24:25], s[24:25], exec
	s_and_b64 s[28:29], s[28:29], exec
	v_addc_co_u32_e32 v5, vcc, v5, v9, vcc
	s_or_b64 s[24:25], s[24:25], s[28:29]
	s_barrier
	s_andn2_b64 exec, exec, s[0:1]
	s_cbranch_execz .LBB5_195
.LBB5_187:                              ;   Parent Loop BB5_17 Depth=1
                                        ; =>  This Inner Loop Header: Depth=2
	v_cmp_gt_i64_e32 vcc, s[52:53], v[6:7]
	v_mov_b32_e32 v8, 0
	s_and_saveexec_b64 s[28:29], vcc
	s_cbranch_execz .LBB5_189
; %bb.188:                              ;   in Loop: Header=BB5_187 Depth=2
	global_load_ubyte v8, v[4:5], off
.LBB5_189:                              ;   in Loop: Header=BB5_187 Depth=2
	s_or_b64 exec, exec, s[28:29]
	s_waitcnt vmcnt(0)
	v_and_b32_e32 v9, s77, v8
	v_cmp_eq_u32_sdwa s[28:29], v9, s27 src0_sel:BYTE_0 src1_sel:DWORD
	s_and_b64 s[30:31], vcc, s[28:29]
	s_and_saveexec_b64 s[28:29], s[30:31]
	s_cbranch_execz .LBB5_186
; %bb.190:                              ;   in Loop: Header=BB5_187 Depth=2
	v_lshlrev_b16_e32 v8, 8, v8
	v_or_b32_e32 v8, 1, v8
	ds_write_b16 v13, v8 offset:3072
	s_branch .LBB5_186
.LBB5_191:                              ;   in Loop: Header=BB5_17 Depth=1
                                        ; implicit-def: $sgpr24_sgpr25
                                        ; implicit-def: $sgpr30_sgpr31
                                        ; implicit-def: $sgpr28_sgpr29
	s_branch .LBB5_209
.LBB5_192:                              ;   in Loop: Header=BB5_17 Depth=1
                                        ; implicit-def: $vgpr2_vgpr3
	s_branch .LBB5_138
.LBB5_193:                              ;   in Loop: Header=BB5_17 Depth=1
                                        ; implicit-def: $vgpr2_vgpr3
	s_branch .LBB5_154
.LBB5_194:                              ;   in Loop: Header=BB5_17 Depth=1
	s_mov_b64 s[24:25], -1
	s_mov_b64 s[0:1], 0
                                        ; implicit-def: $sgpr28_sgpr29
                                        ; implicit-def: $vgpr41
	s_mov_b64 s[30:31], s[24:25]
	s_cbranch_execnz .LBB5_197
	s_branch .LBB5_209
.LBB5_195:                              ;   in Loop: Header=BB5_17 Depth=1
	s_or_b64 exec, exec, s[0:1]
	v_lshrrev_b16_e32 v41, 8, v8
	s_and_b64 s[0:1], s[24:25], exec
.LBB5_196:                              ;   in Loop: Header=BB5_17 Depth=1
	s_or_b64 exec, exec, s[8:9]
	s_mov_b64 s[28:29], -1
	s_mov_b64 s[24:25], 0
	s_mov_b64 s[30:31], s[24:25]
	s_branch .LBB5_209
.LBB5_197:                              ;   in Loop: Header=BB5_17 Depth=1
	v_readlane_b32 s0, v46, 32
	s_add_u32 s24, s0, s34
	v_readlane_b32 s0, v46, 34
	s_addc_u32 s1, s0, s35
	s_mov_b32 s0, s81
	s_cmp_lg_u64 s[0:1], 0
	s_cbranch_scc0 .LBB5_238
; %bb.198:                              ;   in Loop: Header=BB5_17 Depth=1
	v_cvt_f32_u32_e32 v2, s33
	s_sub_u32 s0, 0, s33
	s_subb_u32 s8, 0, 0
	v_mac_f32_e32 v2, 0x4f800000, v40
	v_rcp_f32_e32 v2, v2
	v_mul_f32_e32 v2, 0x5f7ffffc, v2
	v_mul_f32_e32 v3, 0x2f800000, v2
	v_trunc_f32_e32 v3, v3
	v_mac_f32_e32 v2, 0xcf800000, v3
	v_cvt_u32_f32_e32 v3, v3
	v_cvt_u32_f32_e32 v2, v2
	v_readfirstlane_b32 s9, v3
	v_readfirstlane_b32 s25, v2
	s_mul_i32 s28, s0, s9
	s_mul_hi_u32 s30, s0, s25
	s_mul_i32 s29, s8, s25
	s_add_i32 s28, s30, s28
	s_mul_i32 s31, s0, s25
	s_add_i32 s28, s28, s29
	s_mul_hi_u32 s30, s25, s31
	s_mul_hi_u32 s29, s25, s28
	s_mul_i32 s25, s25, s28
	s_add_u32 s25, s30, s25
	s_addc_u32 s29, 0, s29
	s_mul_hi_u32 s40, s9, s31
	s_mul_i32 s31, s9, s31
	s_add_u32 s25, s25, s31
	s_mul_hi_u32 s30, s9, s28
	s_addc_u32 s25, s29, s40
	s_addc_u32 s29, s30, 0
	s_mul_i32 s28, s9, s28
	s_add_u32 s25, s25, s28
	s_addc_u32 s28, 0, s29
	v_add_co_u32_e32 v2, vcc, s25, v2
	s_cmp_lg_u64 vcc, 0
	s_addc_u32 s9, s9, s28
	v_readfirstlane_b32 s28, v2
	s_mul_i32 s25, s0, s9
	s_mul_hi_u32 s29, s0, s28
	s_add_i32 s25, s29, s25
	s_mul_i32 s8, s8, s28
	s_add_i32 s25, s25, s8
	s_mul_i32 s0, s0, s28
	s_mul_hi_u32 s29, s9, s0
	s_mul_i32 s30, s9, s0
	s_mul_i32 s40, s28, s25
	s_mul_hi_u32 s0, s28, s0
	s_mul_hi_u32 s31, s28, s25
	s_add_u32 s0, s0, s40
	s_addc_u32 s28, 0, s31
	s_add_u32 s0, s0, s30
	s_mul_hi_u32 s8, s9, s25
	s_addc_u32 s0, s28, s29
	s_addc_u32 s8, s8, 0
	s_mul_i32 s25, s9, s25
	s_add_u32 s0, s0, s25
	s_addc_u32 s8, 0, s8
	v_add_co_u32_e32 v2, vcc, s0, v2
	s_cmp_lg_u64 vcc, 0
	s_addc_u32 s0, s9, s8
	s_ashr_i32 s8, s1, 31
	s_add_u32 s28, s24, s8
	s_mov_b32 s9, s8
	s_addc_u32 s29, s1, s8
	s_xor_b64 s[28:29], s[28:29], s[8:9]
	v_readfirstlane_b32 s30, v2
	s_mul_i32 s25, s28, s0
	s_mul_hi_u32 s31, s28, s30
	s_mul_hi_u32 s9, s28, s0
	s_add_u32 s25, s31, s25
	s_addc_u32 s9, 0, s9
	s_mul_hi_u32 s40, s29, s30
	s_mul_i32 s30, s29, s30
	s_add_u32 s25, s25, s30
	s_mul_hi_u32 s31, s29, s0
	s_addc_u32 s9, s9, s40
	s_addc_u32 s25, s31, 0
	s_mul_i32 s0, s29, s0
	s_add_u32 s0, s9, s0
	s_addc_u32 s9, 0, s25
	s_mul_hi_u32 s25, s33, s0
	s_mul_i32 s0, s33, s0
	s_mul_i32 s9, s33, s9
	v_mov_b32_e32 v2, s0
	s_add_i32 s25, s25, s9
	v_sub_co_u32_e32 v2, vcc, s28, v2
	s_cmp_lg_u64 vcc, 0
	s_subb_u32 s0, s29, s25
	v_subrev_co_u32_e32 v3, vcc, s33, v2
	s_cmp_lg_u64 vcc, 0
	s_subb_u32 s9, s0, 0
	v_subrev_co_u32_e32 v4, vcc, s33, v3
	s_cmp_lg_u64 vcc, 0
	s_subb_u32 s25, s9, 0
	v_cmp_le_u32_e32 vcc, s33, v3
	s_cmp_eq_u32 s9, 0
	v_cndmask_b32_e64 v5, 0, -1, vcc
	s_cselect_b64 vcc, -1, 0
	v_cndmask_b32_e32 v5, -1, v5, vcc
	v_mov_b32_e32 v6, s9
	v_mov_b32_e32 v7, s25
	v_cmp_ne_u32_e32 vcc, 0, v5
	v_cndmask_b32_e32 v5, v6, v7, vcc
	v_cndmask_b32_e32 v3, v3, v4, vcc
	v_cmp_le_u32_e32 vcc, s33, v2
	s_cmp_eq_u32 s0, 0
	v_cndmask_b32_e64 v4, 0, -1, vcc
	s_cselect_b64 vcc, -1, 0
	v_cndmask_b32_e32 v4, -1, v4, vcc
	v_cmp_ne_u32_e32 vcc, 0, v4
	v_mov_b32_e32 v6, s0
	v_cndmask_b32_e32 v2, v2, v3, vcc
	v_cndmask_b32_e32 v4, v6, v5, vcc
	v_xor_b32_e32 v2, s8, v2
	v_xor_b32_e32 v3, s8, v4
	v_mov_b32_e32 v4, s8
	v_subrev_co_u32_e32 v2, vcc, s8, v2
	v_subb_co_u32_e32 v3, vcc, v3, v4, vcc
	s_cbranch_execnz .LBB5_200
.LBB5_199:                              ;   in Loop: Header=BB5_17 Depth=1
	v_cvt_f32_u32_e32 v2, s33
	s_sub_i32 s0, 0, s33
	v_rcp_iflag_f32_e32 v2, v2
	v_mul_f32_e32 v2, 0x4f7ffffe, v2
	v_cvt_u32_f32_e32 v2, v2
	v_mul_lo_u32 v3, s0, v2
	v_mul_hi_u32 v3, v2, v3
	v_add_u32_e32 v2, v2, v3
	v_mul_hi_u32 v2, s24, v2
	v_mul_lo_u32 v2, v2, s33
	v_sub_u32_e32 v2, s24, v2
	v_subrev_u32_e32 v3, s33, v2
	v_cmp_le_u32_e32 vcc, s33, v2
	v_cndmask_b32_e32 v2, v2, v3, vcc
	v_subrev_u32_e32 v3, s33, v2
	v_cmp_le_u32_e32 vcc, s33, v2
	v_cndmask_b32_e32 v12, v2, v3, vcc
	v_pk_mov_b32 v[2:3], v[12:13], v[12:13] op_sel:[0,1]
.LBB5_200:                              ;   in Loop: Header=BB5_17 Depth=1
	v_mov_b32_e32 v4, s1
	v_sub_co_u32_e32 v2, vcc, s24, v2
	v_subb_co_u32_e32 v3, vcc, v4, v3, vcc
	v_cmp_gt_i64_e32 vcc, v[2:3], v[0:1]
	s_mov_b64 s[0:1], 0
                                        ; implicit-def: $vgpr41
	s_and_saveexec_b64 s[8:9], vcc
	s_cbranch_execz .LBB5_208
; %bb.201:                              ;   in Loop: Header=BB5_17 Depth=1
	v_mov_b32_e32 v6, v0
	v_pk_mov_b32 v[4:5], v[0:1], v[0:1] op_sel:[0,1]
                                        ; implicit-def: $sgpr24_sgpr25
	s_branch .LBB5_203
.LBB5_202:                              ;   in Loop: Header=BB5_203 Depth=2
	s_or_b64 exec, exec, s[28:29]
	s_waitcnt lgkmcnt(0)
	s_barrier
	ds_read_u16 v7, v13 offset:3072
	v_mov_b32_e32 v8, s86
	v_add_co_u32_e32 v4, vcc, s33, v4
	v_addc_co_u32_e32 v5, vcc, v5, v8, vcc
	s_waitcnt lgkmcnt(0)
	v_cmp_ne_u16_sdwa s[28:29], v7, v13 src0_sel:BYTE_0 src1_sel:DWORD
	v_cmp_ge_i64_e32 vcc, v[4:5], v[2:3]
	s_or_b64 s[30:31], s[28:29], vcc
	s_and_b64 s[30:31], exec, s[30:31]
	s_or_b64 s[0:1], s[30:31], s[0:1]
	s_andn2_b64 s[24:25], s[24:25], exec
	s_and_b64 s[28:29], s[28:29], exec
	v_add_u32_e32 v6, s33, v6
	s_or_b64 s[24:25], s[24:25], s[28:29]
	s_barrier
	s_andn2_b64 exec, exec, s[0:1]
	s_cbranch_execz .LBB5_207
.LBB5_203:                              ;   Parent Loop BB5_17 Depth=1
                                        ; =>  This Inner Loop Header: Depth=2
	v_cmp_gt_i64_e32 vcc, s[34:35], v[4:5]
	v_mov_b32_e32 v7, 0
	s_and_saveexec_b64 s[28:29], vcc
	s_cbranch_execz .LBB5_205
; %bb.204:                              ;   in Loop: Header=BB5_203 Depth=2
	ds_read_u8 v7, v6
.LBB5_205:                              ;   in Loop: Header=BB5_203 Depth=2
	s_or_b64 exec, exec, s[28:29]
	s_waitcnt lgkmcnt(0)
	v_and_b32_e32 v8, s77, v7
	v_cmp_eq_u32_sdwa s[28:29], v8, s27 src0_sel:BYTE_0 src1_sel:DWORD
	s_and_b64 s[30:31], vcc, s[28:29]
	s_and_saveexec_b64 s[28:29], s[30:31]
	s_cbranch_execz .LBB5_202
; %bb.206:                              ;   in Loop: Header=BB5_203 Depth=2
	v_lshlrev_b16_e32 v7, 8, v7
	v_or_b32_e32 v7, 1, v7
	ds_write_b16 v13, v7 offset:3072
	s_branch .LBB5_202
.LBB5_207:                              ;   in Loop: Header=BB5_17 Depth=1
	s_or_b64 exec, exec, s[0:1]
	v_lshrrev_b16_e32 v41, 8, v7
	s_and_b64 s[0:1], s[24:25], exec
.LBB5_208:                              ;   in Loop: Header=BB5_17 Depth=1
	s_or_b64 exec, exec, s[8:9]
	s_mov_b64 s[30:31], -1
	s_mov_b64 s[24:25], 0
	s_mov_b64 s[28:29], 0
.LBB5_209:                              ;   in Loop: Header=BB5_17 Depth=1
	s_mov_b64 s[8:9], 0
                                        ; implicit-def: $sgpr47
	s_and_saveexec_b64 s[34:35], s[0:1]
	s_cbranch_execz .LBB5_269
; %bb.210:                              ;   in Loop: Header=BB5_17 Depth=1
	s_xor_b64 s[0:1], s[36:37], -1
	s_andn2_b64 vcc, exec, s[0:1]
	s_mov_b32 s47, 1
	s_cbranch_vccnz .LBB5_221
; %bb.211:                              ;   in Loop: Header=BB5_17 Depth=1
	v_pk_mov_b32 v[2:3], s[14:15], s[14:15] op_sel:[0,1]
	v_cmp_gt_i64_e32 vcc, s[54:55], v[2:3]
	s_mov_b64 s[0:1], -1
                                        ; implicit-def: $sgpr47
                                        ; implicit-def: $sgpr8
                                        ; implicit-def: $sgpr9
	s_cbranch_vccnz .LBB5_217
; %bb.212:                              ;   in Loop: Header=BB5_17 Depth=1
	ds_read_b64 v[2:3], v13 offset:5120
	s_waitcnt lgkmcnt(0)
	v_cmp_ne_u64_e32 vcc, 0, v[2:3]
	s_cbranch_vccnz .LBB5_216
; %bb.213:                              ;   in Loop: Header=BB5_17 Depth=1
	s_mov_b64 s[0:1], exec
	v_readlane_b32 s8, v46, 12
	v_readlane_b32 s9, v46, 13
	s_and_b64 s[8:9], s[0:1], s[8:9]
	s_mov_b64 exec, s[8:9]
	s_cbranch_execz .LBB5_215
; %bb.214:                              ;   in Loop: Header=BB5_17 Depth=1
	v_pk_mov_b32 v[2:3], s[14:15], s[14:15] op_sel:[0,1]
	ds_write_b64 v13, v[2:3] offset:5128
.LBB5_215:                              ;   in Loop: Header=BB5_17 Depth=1
	s_or_b64 exec, exec, s[0:1]
	s_waitcnt lgkmcnt(0)
	s_barrier
.LBB5_216:                              ;   in Loop: Header=BB5_17 Depth=1
	s_lshl_b32 s0, 2, s38
	s_and_b32 s1, s27, s39
	s_or_b32 s8, s1, s0
	s_or_b32 s9, s77, s46
	s_mov_b64 s[0:1], 0
	s_mov_b32 s47, 8
.LBB5_217:                              ;   in Loop: Header=BB5_17 Depth=1
	s_andn2_b64 vcc, exec, s[0:1]
	s_cbranch_vccnz .LBB5_219
; %bb.218:                              ;   in Loop: Header=BB5_17 Depth=1
	s_sub_u32 s54, s54, s14
	s_subb_u32 s55, s55, s15
	s_mov_b64 s[0:1], -1
	s_mov_b32 s47, 0
	s_mov_b32 s8, s27
	;; [unrolled: 1-line block ×3, first 2 shown]
.LBB5_219:                              ;   in Loop: Header=BB5_17 Depth=1
	s_mov_b32 s77, s9
	s_mov_b32 s27, s8
	s_andn2_b64 vcc, exec, s[0:1]
	s_mov_b64 s[42:43], -1
	s_cbranch_vccz .LBB5_222
.LBB5_220:                              ;   in Loop: Header=BB5_17 Depth=1
                                        ; implicit-def: $sgpr0_sgpr1
                                        ; implicit-def: $sgpr38_sgpr39
                                        ; implicit-def: $sgpr8_sgpr9
	s_branch .LBB5_268
.LBB5_221:                              ;   in Loop: Header=BB5_17 Depth=1
	s_mov_b64 s[54:55], 1
	s_mov_b64 s[42:43], -1
	s_cbranch_execnz .LBB5_220
.LBB5_222:                              ;   in Loop: Header=BB5_17 Depth=1
	s_cmp_eq_u64 s[6:7], 1
	s_cselect_b64 s[0:1], -1, 0
	s_cmp_eq_u64 s[54:55], 1
	s_cselect_b64 s[8:9], -1, 0
	s_and_b64 s[14:15], s[0:1], s[8:9]
	s_mov_b64 s[40:41], -1
	s_and_b64 vcc, exec, s[14:15]
	s_cbranch_vccz .LBB5_236
; %bb.223:                              ;   in Loop: Header=BB5_17 Depth=1
	ds_read_b64 v[2:3], v13 offset:5120
	s_waitcnt lgkmcnt(0)
	s_barrier
	v_readfirstlane_b32 s36, v2
	v_readfirstlane_b32 s37, v3
	s_mov_b64 s[0:1], exec
	v_readlane_b32 s8, v46, 24
	v_readlane_b32 s9, v46, 25
	s_and_b64 s[8:9], s[0:1], s[8:9]
	s_mov_b64 exec, s[8:9]
	s_cbranch_execz .LBB5_225
; %bb.224:                              ;   in Loop: Header=BB5_17 Depth=1
	ds_write_b8 v0, v13 offset:3072
.LBB5_225:                              ;   in Loop: Header=BB5_17 Depth=1
	s_or_b64 exec, exec, s[0:1]
	v_cmp_gt_i64_e64 s[0:1], s[36:37], 0
	s_or_b32 s27, s27, s46
	s_or_b32 s77, s77, s46
	s_and_b64 vcc, exec, s[0:1]
	s_waitcnt lgkmcnt(0)
	s_barrier
	s_cbranch_vccnz .LBB5_239
; %bb.226:                              ;   in Loop: Header=BB5_17 Depth=1
	s_mov_b32 s88, s81
	s_cmp_lg_u64 s[88:89], 0
	s_cbranch_scc0 .LBB5_274
; %bb.227:                              ;   in Loop: Header=BB5_17 Depth=1
	v_cvt_f32_u32_e32 v2, s33
	s_sub_u32 s0, 0, s33
	s_subb_u32 s1, 0, 0
	v_mac_f32_e32 v2, 0x4f800000, v40
	v_rcp_f32_e32 v2, v2
	v_mul_f32_e32 v2, 0x5f7ffffc, v2
	v_mul_f32_e32 v3, 0x2f800000, v2
	v_trunc_f32_e32 v3, v3
	v_mac_f32_e32 v2, 0xcf800000, v3
	v_cvt_u32_f32_e32 v3, v3
	v_cvt_u32_f32_e32 v2, v2
	v_readfirstlane_b32 s8, v3
	v_readfirstlane_b32 s9, v2
	s_mul_i32 s38, s0, s8
	s_mul_hi_u32 s40, s0, s9
	s_mul_i32 s39, s1, s9
	s_add_i32 s38, s40, s38
	s_mul_i32 s41, s0, s9
	s_add_i32 s38, s38, s39
	s_mul_hi_u32 s40, s9, s41
	s_mul_hi_u32 s39, s9, s38
	s_mul_i32 s9, s9, s38
	s_add_u32 s9, s40, s9
	s_addc_u32 s39, 0, s39
	s_mul_hi_u32 s42, s8, s41
	s_mul_i32 s41, s8, s41
	s_add_u32 s9, s9, s41
	s_mul_hi_u32 s40, s8, s38
	s_addc_u32 s9, s39, s42
	s_addc_u32 s39, s40, 0
	s_mul_i32 s38, s8, s38
	s_add_u32 s9, s9, s38
	s_addc_u32 s38, 0, s39
	v_add_co_u32_e32 v2, vcc, s9, v2
	s_cmp_lg_u64 vcc, 0
	s_addc_u32 s8, s8, s38
	v_readfirstlane_b32 s38, v2
	s_mul_i32 s9, s0, s8
	s_mul_hi_u32 s39, s0, s38
	s_add_i32 s9, s39, s9
	s_mul_i32 s1, s1, s38
	s_add_i32 s9, s9, s1
	s_mul_i32 s0, s0, s38
	s_mul_hi_u32 s39, s8, s0
	s_mul_i32 s40, s8, s0
	s_mul_i32 s42, s38, s9
	s_mul_hi_u32 s0, s38, s0
	s_mul_hi_u32 s41, s38, s9
	s_add_u32 s0, s0, s42
	s_addc_u32 s38, 0, s41
	s_add_u32 s0, s0, s40
	s_mul_hi_u32 s1, s8, s9
	s_addc_u32 s0, s38, s39
	s_addc_u32 s1, s1, 0
	s_mul_i32 s9, s8, s9
	s_add_u32 s0, s0, s9
	s_addc_u32 s1, 0, s1
	v_add_co_u32_e32 v2, vcc, s0, v2
	s_cmp_lg_u64 vcc, 0
	s_addc_u32 s38, s8, s1
	s_ashr_i32 s0, s89, 31
	v_readlane_b32 s8, v46, 33
	s_add_u32 s8, s8, s0
	s_mov_b32 s1, s0
	s_addc_u32 s9, s89, s0
	s_xor_b64 s[8:9], s[8:9], s[0:1]
	v_readfirstlane_b32 s40, v2
	s_mul_i32 s39, s8, s38
	s_mul_hi_u32 s41, s8, s40
	s_mul_hi_u32 s1, s8, s38
	s_add_u32 s39, s41, s39
	s_addc_u32 s1, 0, s1
	s_mul_hi_u32 s42, s9, s40
	s_mul_i32 s40, s9, s40
	s_add_u32 s39, s39, s40
	s_mul_hi_u32 s41, s9, s38
	s_addc_u32 s1, s1, s42
	s_addc_u32 s39, s41, 0
	s_mul_i32 s38, s9, s38
	s_add_u32 s1, s1, s38
	s_addc_u32 s38, 0, s39
	s_mul_hi_u32 s39, s33, s1
	s_mul_i32 s1, s33, s1
	s_mul_i32 s38, s33, s38
	v_mov_b32_e32 v2, s1
	s_add_i32 s39, s39, s38
	v_sub_co_u32_e32 v2, vcc, s8, v2
	s_cmp_lg_u64 vcc, 0
	s_subb_u32 s1, s9, s39
	v_subrev_co_u32_e32 v3, vcc, s33, v2
	s_cmp_lg_u64 vcc, 0
	s_subb_u32 s8, s1, 0
	v_subrev_co_u32_e32 v4, vcc, s33, v3
	s_cmp_lg_u64 vcc, 0
	s_subb_u32 s9, s8, 0
	v_cmp_le_u32_e32 vcc, s33, v3
	s_cmp_eq_u32 s8, 0
	v_cndmask_b32_e64 v5, 0, -1, vcc
	s_cselect_b64 vcc, -1, 0
	v_cndmask_b32_e32 v5, -1, v5, vcc
	v_mov_b32_e32 v6, s8
	v_mov_b32_e32 v7, s9
	v_cmp_ne_u32_e32 vcc, 0, v5
	v_cndmask_b32_e32 v5, v6, v7, vcc
	v_cndmask_b32_e32 v3, v3, v4, vcc
	v_cmp_le_u32_e32 vcc, s33, v2
	s_cmp_eq_u32 s1, 0
	v_cndmask_b32_e64 v4, 0, -1, vcc
	s_cselect_b64 vcc, -1, 0
	v_cndmask_b32_e32 v4, -1, v4, vcc
	v_cmp_ne_u32_e32 vcc, 0, v4
	v_mov_b32_e32 v6, s1
	v_cndmask_b32_e32 v2, v2, v3, vcc
	v_cndmask_b32_e32 v4, v6, v5, vcc
	v_xor_b32_e32 v2, s0, v2
	v_xor_b32_e32 v3, s0, v4
	v_mov_b32_e32 v4, s0
	v_subrev_co_u32_e32 v2, vcc, s0, v2
	v_subb_co_u32_e32 v3, vcc, v3, v4, vcc
	s_cbranch_execnz .LBB5_229
.LBB5_228:                              ;   in Loop: Header=BB5_17 Depth=1
	v_cvt_f32_u32_e32 v2, s33
	s_sub_i32 s0, 0, s33
	v_rcp_iflag_f32_e32 v2, v2
	v_mul_f32_e32 v2, 0x4f7ffffe, v2
	v_cvt_u32_f32_e32 v2, v2
	v_mul_lo_u32 v3, s0, v2
	v_mul_hi_u32 v3, v2, v3
	v_add_u32_e32 v2, v2, v3
	v_readlane_b32 s0, v46, 33
	v_mul_hi_u32 v2, s0, v2
	v_mul_lo_u32 v2, v2, s33
	v_sub_u32_e32 v2, s0, v2
	v_subrev_u32_e32 v3, s33, v2
	v_cmp_le_u32_e32 vcc, s33, v2
	v_cndmask_b32_e32 v2, v2, v3, vcc
	v_subrev_u32_e32 v3, s33, v2
	v_cmp_le_u32_e32 vcc, s33, v2
	v_cndmask_b32_e32 v12, v2, v3, vcc
	v_pk_mov_b32 v[2:3], v[12:13], v[12:13] op_sel:[0,1]
.LBB5_229:                              ;   in Loop: Header=BB5_17 Depth=1
	v_readlane_b32 s0, v46, 33
	v_mov_b32_e32 v4, s89
	v_sub_co_u32_e32 v2, vcc, s0, v2
	v_subb_co_u32_e32 v3, vcc, v4, v3, vcc
	v_cmp_gt_i64_e32 vcc, v[2:3], v[0:1]
	s_mov_b64 s[40:41], 0
                                        ; implicit-def: $vgpr41
	s_and_saveexec_b64 s[0:1], vcc
	s_cbranch_execz .LBB5_241
; %bb.230:                              ;   in Loop: Header=BB5_17 Depth=1
	s_mov_b64 s[8:9], 0
	v_pk_mov_b32 v[4:5], v[10:11], v[10:11] op_sel:[0,1]
	v_pk_mov_b32 v[6:7], v[0:1], v[0:1] op_sel:[0,1]
                                        ; implicit-def: $sgpr38_sgpr39
	s_branch .LBB5_232
.LBB5_231:                              ;   in Loop: Header=BB5_232 Depth=2
	s_or_b64 exec, exec, s[40:41]
	s_waitcnt lgkmcnt(0)
	s_barrier
	ds_read_u16 v8, v13 offset:3072
	v_mov_b32_e32 v9, s86
	v_add_co_u32_e32 v6, vcc, s33, v6
	v_addc_co_u32_e32 v7, vcc, v7, v9, vcc
	s_waitcnt lgkmcnt(0)
	v_cmp_ne_u16_sdwa s[40:41], v8, v13 src0_sel:BYTE_0 src1_sel:DWORD
	v_cmp_ge_i64_e32 vcc, v[6:7], v[2:3]
	s_or_b64 s[42:43], s[40:41], vcc
	s_and_b64 s[42:43], exec, s[42:43]
	s_or_b64 s[8:9], s[42:43], s[8:9]
	v_mov_b32_e32 v9, s87
	v_add_co_u32_e32 v4, vcc, s26, v4
	s_andn2_b64 s[38:39], s[38:39], exec
	s_and_b64 s[40:41], s[40:41], exec
	v_addc_co_u32_e32 v5, vcc, v5, v9, vcc
	s_or_b64 s[38:39], s[38:39], s[40:41]
	s_barrier
	s_andn2_b64 exec, exec, s[8:9]
	s_cbranch_execz .LBB5_240
.LBB5_232:                              ;   Parent Loop BB5_17 Depth=1
                                        ; =>  This Inner Loop Header: Depth=2
	v_cmp_gt_i64_e32 vcc, s[52:53], v[6:7]
	v_mov_b32_e32 v8, 0
	s_and_saveexec_b64 s[40:41], vcc
	s_cbranch_execz .LBB5_234
; %bb.233:                              ;   in Loop: Header=BB5_232 Depth=2
	global_load_ubyte v8, v[4:5], off
.LBB5_234:                              ;   in Loop: Header=BB5_232 Depth=2
	s_or_b64 exec, exec, s[40:41]
	s_waitcnt vmcnt(0)
	v_and_b32_e32 v9, s77, v8
	v_cmp_eq_u32_sdwa s[40:41], v9, s27 src0_sel:BYTE_0 src1_sel:DWORD
	s_and_b64 s[42:43], vcc, s[40:41]
	s_and_saveexec_b64 s[40:41], s[42:43]
	s_cbranch_execz .LBB5_231
; %bb.235:                              ;   in Loop: Header=BB5_232 Depth=2
	v_lshlrev_b16_e32 v8, 8, v8
	v_or_b32_e32 v8, 1, v8
	ds_write_b16 v13, v8 offset:3072
	s_branch .LBB5_231
.LBB5_236:                              ;   in Loop: Header=BB5_17 Depth=1
                                        ; implicit-def: $sgpr0_sgpr1
                                        ; implicit-def: $sgpr38_sgpr39
                                        ; implicit-def: $sgpr8_sgpr9
	s_branch .LBB5_254
.LBB5_237:                              ;   in Loop: Header=BB5_17 Depth=1
                                        ; implicit-def: $vgpr2_vgpr3
	s_branch .LBB5_183
.LBB5_238:                              ;   in Loop: Header=BB5_17 Depth=1
                                        ; implicit-def: $vgpr2_vgpr3
	s_branch .LBB5_199
.LBB5_239:                              ;   in Loop: Header=BB5_17 Depth=1
	s_mov_b64 s[0:1], -1
	s_mov_b64 s[40:41], 0
                                        ; implicit-def: $sgpr8_sgpr9
                                        ; implicit-def: $vgpr41
	s_mov_b64 s[38:39], s[0:1]
	s_cbranch_execnz .LBB5_242
	s_branch .LBB5_254
.LBB5_240:                              ;   in Loop: Header=BB5_17 Depth=1
	s_or_b64 exec, exec, s[8:9]
	v_lshrrev_b16_e32 v41, 8, v8
	s_and_b64 s[40:41], s[38:39], exec
.LBB5_241:                              ;   in Loop: Header=BB5_17 Depth=1
	s_or_b64 exec, exec, s[0:1]
	s_mov_b64 s[8:9], -1
	s_mov_b64 s[0:1], 0
	s_mov_b64 s[38:39], s[0:1]
	s_branch .LBB5_254
.LBB5_242:                              ;   in Loop: Header=BB5_17 Depth=1
	v_readlane_b32 s0, v46, 32
	s_add_u32 s38, s0, s36
	v_readlane_b32 s0, v46, 34
	s_addc_u32 s1, s0, s37
	s_mov_b32 s0, s81
	s_cmp_lg_u64 s[0:1], 0
	s_cbranch_scc0 .LBB5_275
; %bb.243:                              ;   in Loop: Header=BB5_17 Depth=1
	v_cvt_f32_u32_e32 v2, s33
	s_sub_u32 s0, 0, s33
	s_subb_u32 s8, 0, 0
	v_mac_f32_e32 v2, 0x4f800000, v40
	v_rcp_f32_e32 v2, v2
	v_mul_f32_e32 v2, 0x5f7ffffc, v2
	v_mul_f32_e32 v3, 0x2f800000, v2
	v_trunc_f32_e32 v3, v3
	v_mac_f32_e32 v2, 0xcf800000, v3
	v_cvt_u32_f32_e32 v3, v3
	v_cvt_u32_f32_e32 v2, v2
	v_readfirstlane_b32 s9, v3
	v_readfirstlane_b32 s39, v2
	s_mul_i32 s40, s0, s9
	s_mul_hi_u32 s42, s0, s39
	s_mul_i32 s41, s8, s39
	s_add_i32 s40, s42, s40
	s_mul_i32 s43, s0, s39
	s_add_i32 s40, s40, s41
	s_mul_hi_u32 s42, s39, s43
	s_mul_hi_u32 s41, s39, s40
	s_mul_i32 s39, s39, s40
	s_add_u32 s39, s42, s39
	s_addc_u32 s41, 0, s41
	s_mul_hi_u32 s44, s9, s43
	s_mul_i32 s43, s9, s43
	s_add_u32 s39, s39, s43
	s_mul_hi_u32 s42, s9, s40
	s_addc_u32 s39, s41, s44
	s_addc_u32 s41, s42, 0
	s_mul_i32 s40, s9, s40
	s_add_u32 s39, s39, s40
	s_addc_u32 s40, 0, s41
	v_add_co_u32_e32 v2, vcc, s39, v2
	s_cmp_lg_u64 vcc, 0
	s_addc_u32 s9, s9, s40
	v_readfirstlane_b32 s40, v2
	s_mul_i32 s39, s0, s9
	s_mul_hi_u32 s41, s0, s40
	s_add_i32 s39, s41, s39
	s_mul_i32 s8, s8, s40
	s_add_i32 s39, s39, s8
	s_mul_i32 s0, s0, s40
	s_mul_hi_u32 s41, s9, s0
	s_mul_i32 s42, s9, s0
	s_mul_i32 s44, s40, s39
	s_mul_hi_u32 s0, s40, s0
	s_mul_hi_u32 s43, s40, s39
	s_add_u32 s0, s0, s44
	s_addc_u32 s40, 0, s43
	s_add_u32 s0, s0, s42
	s_mul_hi_u32 s8, s9, s39
	s_addc_u32 s0, s40, s41
	s_addc_u32 s8, s8, 0
	s_mul_i32 s39, s9, s39
	s_add_u32 s0, s0, s39
	s_addc_u32 s8, 0, s8
	v_add_co_u32_e32 v2, vcc, s0, v2
	s_cmp_lg_u64 vcc, 0
	s_addc_u32 s0, s9, s8
	s_ashr_i32 s8, s1, 31
	s_add_u32 s40, s38, s8
	s_mov_b32 s9, s8
	s_addc_u32 s41, s1, s8
	s_xor_b64 s[40:41], s[40:41], s[8:9]
	v_readfirstlane_b32 s42, v2
	s_mul_i32 s39, s40, s0
	s_mul_hi_u32 s43, s40, s42
	s_mul_hi_u32 s9, s40, s0
	s_add_u32 s39, s43, s39
	s_addc_u32 s9, 0, s9
	s_mul_hi_u32 s44, s41, s42
	s_mul_i32 s42, s41, s42
	s_add_u32 s39, s39, s42
	s_mul_hi_u32 s43, s41, s0
	s_addc_u32 s9, s9, s44
	s_addc_u32 s39, s43, 0
	s_mul_i32 s0, s41, s0
	s_add_u32 s0, s9, s0
	s_addc_u32 s9, 0, s39
	s_mul_hi_u32 s39, s33, s0
	s_mul_i32 s0, s33, s0
	s_mul_i32 s9, s33, s9
	v_mov_b32_e32 v2, s0
	s_add_i32 s39, s39, s9
	v_sub_co_u32_e32 v2, vcc, s40, v2
	s_cmp_lg_u64 vcc, 0
	s_subb_u32 s0, s41, s39
	v_subrev_co_u32_e32 v3, vcc, s33, v2
	s_cmp_lg_u64 vcc, 0
	s_subb_u32 s9, s0, 0
	v_subrev_co_u32_e32 v4, vcc, s33, v3
	s_cmp_lg_u64 vcc, 0
	s_subb_u32 s39, s9, 0
	v_cmp_le_u32_e32 vcc, s33, v3
	s_cmp_eq_u32 s9, 0
	v_cndmask_b32_e64 v5, 0, -1, vcc
	s_cselect_b64 vcc, -1, 0
	v_cndmask_b32_e32 v5, -1, v5, vcc
	v_mov_b32_e32 v6, s9
	v_mov_b32_e32 v7, s39
	v_cmp_ne_u32_e32 vcc, 0, v5
	v_cndmask_b32_e32 v5, v6, v7, vcc
	v_cndmask_b32_e32 v3, v3, v4, vcc
	v_cmp_le_u32_e32 vcc, s33, v2
	s_cmp_eq_u32 s0, 0
	v_cndmask_b32_e64 v4, 0, -1, vcc
	s_cselect_b64 vcc, -1, 0
	v_cndmask_b32_e32 v4, -1, v4, vcc
	v_cmp_ne_u32_e32 vcc, 0, v4
	v_mov_b32_e32 v6, s0
	v_cndmask_b32_e32 v2, v2, v3, vcc
	v_cndmask_b32_e32 v4, v6, v5, vcc
	v_xor_b32_e32 v2, s8, v2
	v_xor_b32_e32 v3, s8, v4
	v_mov_b32_e32 v4, s8
	v_subrev_co_u32_e32 v2, vcc, s8, v2
	v_subb_co_u32_e32 v3, vcc, v3, v4, vcc
	s_cbranch_execnz .LBB5_245
.LBB5_244:                              ;   in Loop: Header=BB5_17 Depth=1
	v_cvt_f32_u32_e32 v2, s33
	s_sub_i32 s0, 0, s33
	v_rcp_iflag_f32_e32 v2, v2
	v_mul_f32_e32 v2, 0x4f7ffffe, v2
	v_cvt_u32_f32_e32 v2, v2
	v_mul_lo_u32 v3, s0, v2
	v_mul_hi_u32 v3, v2, v3
	v_add_u32_e32 v2, v2, v3
	v_mul_hi_u32 v2, s38, v2
	v_mul_lo_u32 v2, v2, s33
	v_sub_u32_e32 v2, s38, v2
	v_subrev_u32_e32 v3, s33, v2
	v_cmp_le_u32_e32 vcc, s33, v2
	v_cndmask_b32_e32 v2, v2, v3, vcc
	v_subrev_u32_e32 v3, s33, v2
	v_cmp_le_u32_e32 vcc, s33, v2
	v_cndmask_b32_e32 v12, v2, v3, vcc
	v_pk_mov_b32 v[2:3], v[12:13], v[12:13] op_sel:[0,1]
.LBB5_245:                              ;   in Loop: Header=BB5_17 Depth=1
	v_mov_b32_e32 v4, s1
	v_sub_co_u32_e32 v2, vcc, s38, v2
	v_subb_co_u32_e32 v3, vcc, v4, v3, vcc
	v_cmp_gt_i64_e32 vcc, v[2:3], v[0:1]
	s_mov_b64 s[40:41], 0
                                        ; implicit-def: $vgpr41
	s_and_saveexec_b64 s[0:1], vcc
	s_cbranch_execz .LBB5_253
; %bb.246:                              ;   in Loop: Header=BB5_17 Depth=1
	s_mov_b64 s[8:9], 0
	v_mov_b32_e32 v6, v0
	v_pk_mov_b32 v[4:5], v[0:1], v[0:1] op_sel:[0,1]
                                        ; implicit-def: $sgpr38_sgpr39
	s_branch .LBB5_248
.LBB5_247:                              ;   in Loop: Header=BB5_248 Depth=2
	s_or_b64 exec, exec, s[40:41]
	s_waitcnt lgkmcnt(0)
	s_barrier
	ds_read_u16 v7, v13 offset:3072
	v_mov_b32_e32 v8, s86
	v_add_co_u32_e32 v4, vcc, s33, v4
	v_addc_co_u32_e32 v5, vcc, v5, v8, vcc
	s_waitcnt lgkmcnt(0)
	v_cmp_ne_u16_sdwa s[40:41], v7, v13 src0_sel:BYTE_0 src1_sel:DWORD
	v_cmp_ge_i64_e32 vcc, v[4:5], v[2:3]
	s_or_b64 s[42:43], s[40:41], vcc
	s_and_b64 s[42:43], exec, s[42:43]
	s_or_b64 s[8:9], s[42:43], s[8:9]
	s_andn2_b64 s[38:39], s[38:39], exec
	s_and_b64 s[40:41], s[40:41], exec
	v_add_u32_e32 v6, s33, v6
	s_or_b64 s[38:39], s[38:39], s[40:41]
	s_barrier
	s_andn2_b64 exec, exec, s[8:9]
	s_cbranch_execz .LBB5_252
.LBB5_248:                              ;   Parent Loop BB5_17 Depth=1
                                        ; =>  This Inner Loop Header: Depth=2
	v_cmp_gt_i64_e32 vcc, s[36:37], v[4:5]
	v_mov_b32_e32 v7, 0
	s_and_saveexec_b64 s[40:41], vcc
	s_cbranch_execz .LBB5_250
; %bb.249:                              ;   in Loop: Header=BB5_248 Depth=2
	ds_read_u8 v7, v6
.LBB5_250:                              ;   in Loop: Header=BB5_248 Depth=2
	s_or_b64 exec, exec, s[40:41]
	s_waitcnt lgkmcnt(0)
	v_and_b32_e32 v8, s77, v7
	v_cmp_eq_u32_sdwa s[40:41], v8, s27 src0_sel:BYTE_0 src1_sel:DWORD
	s_and_b64 s[42:43], vcc, s[40:41]
	s_and_saveexec_b64 s[40:41], s[42:43]
	s_cbranch_execz .LBB5_247
; %bb.251:                              ;   in Loop: Header=BB5_248 Depth=2
	v_lshlrev_b16_e32 v7, 8, v7
	v_or_b32_e32 v7, 1, v7
	ds_write_b16 v13, v7 offset:3072
	s_branch .LBB5_247
.LBB5_252:                              ;   in Loop: Header=BB5_17 Depth=1
	s_or_b64 exec, exec, s[8:9]
	v_lshrrev_b16_e32 v41, 8, v7
	s_and_b64 s[40:41], s[38:39], exec
.LBB5_253:                              ;   in Loop: Header=BB5_17 Depth=1
	s_or_b64 exec, exec, s[0:1]
	s_mov_b64 s[38:39], -1
	s_mov_b64 s[0:1], 0
	s_mov_b64 s[8:9], 0
.LBB5_254:                              ;   in Loop: Header=BB5_17 Depth=1
	s_mov_b64 s[42:43], 0
                                        ; implicit-def: $sgpr47
                                        ; implicit-def: $sgpr44_sgpr45
	s_and_saveexec_b64 s[36:37], s[40:41]
	s_cbranch_execz .LBB5_267
; %bb.255:                              ;   in Loop: Header=BB5_17 Depth=1
	s_xor_b64 s[14:15], s[14:15], -1
	s_mov_b64 s[44:45], 1
	s_andn2_b64 vcc, exec, s[14:15]
	s_mov_b32 s47, 1
	s_cbranch_vccnz .LBB5_266
; %bb.256:                              ;   in Loop: Header=BB5_17 Depth=1
	v_pk_mov_b32 v[2:3], s[6:7], s[6:7] op_sel:[0,1]
	v_cmp_gt_i64_e32 vcc, s[54:55], v[2:3]
	s_cbranch_vccnz .LBB5_262
; %bb.257:                              ;   in Loop: Header=BB5_17 Depth=1
	ds_read_b64 v[2:3], v13 offset:5120
	s_waitcnt lgkmcnt(0)
	v_cmp_ne_u64_e32 vcc, 0, v[2:3]
	s_cbranch_vccnz .LBB5_261
; %bb.258:                              ;   in Loop: Header=BB5_17 Depth=1
	s_mov_b64 s[14:15], exec
	v_readlane_b32 s40, v46, 12
	v_readlane_b32 s41, v46, 13
	s_and_b64 s[40:41], s[14:15], s[40:41]
	s_mov_b64 exec, s[40:41]
	s_cbranch_execz .LBB5_260
; %bb.259:                              ;   in Loop: Header=BB5_17 Depth=1
	v_pk_mov_b32 v[2:3], s[6:7], s[6:7] op_sel:[0,1]
	ds_write_b64 v13, v[2:3] offset:5128
.LBB5_260:                              ;   in Loop: Header=BB5_17 Depth=1
	s_or_b64 exec, exec, s[14:15]
	s_waitcnt lgkmcnt(0)
	s_barrier
.LBB5_261:                              ;   in Loop: Header=BB5_17 Depth=1
	s_or_b32 s40, s27, s46
	s_or_b32 s41, s77, s46
	s_mov_b64 s[14:15], 0
	s_mov_b32 s47, 8
	s_branch .LBB5_263
.LBB5_262:                              ;   in Loop: Header=BB5_17 Depth=1
	s_mov_b64 s[14:15], -1
                                        ; implicit-def: $sgpr47
                                        ; implicit-def: $sgpr40
                                        ; implicit-def: $sgpr41
.LBB5_263:                              ;   in Loop: Header=BB5_17 Depth=1
	s_andn2_b64 vcc, exec, s[14:15]
	s_cbranch_vccnz .LBB5_265
; %bb.264:                              ;   in Loop: Header=BB5_17 Depth=1
	s_sub_u32 s54, s54, s6
	s_subb_u32 s55, s55, s7
	s_mov_b32 s47, 8
	s_mov_b32 s40, s27
	;; [unrolled: 1-line block ×3, first 2 shown]
.LBB5_265:                              ;   in Loop: Header=BB5_17 Depth=1
	s_mov_b64 s[44:45], s[54:55]
	s_mov_b32 s27, s40
	s_mov_b32 s77, s41
.LBB5_266:                              ;   in Loop: Header=BB5_17 Depth=1
	s_mov_b64 s[42:43], exec
.LBB5_267:                              ;   in Loop: Header=BB5_17 Depth=1
	s_or_b64 exec, exec, s[36:37]
	s_mov_b64 s[54:55], s[44:45]
.LBB5_268:                              ;   in Loop: Header=BB5_17 Depth=1
	s_andn2_b64 s[6:7], s[24:25], exec
	s_and_b64 s[0:1], s[0:1], exec
	s_or_b64 s[24:25], s[6:7], s[0:1]
	s_andn2_b64 s[0:1], s[30:31], exec
	s_and_b64 s[6:7], s[38:39], exec
	s_or_b64 s[30:31], s[0:1], s[6:7]
	;; [unrolled: 3-line block ×3, first 2 shown]
	s_and_b64 s[8:9], s[42:43], exec
.LBB5_269:                              ;   in Loop: Header=BB5_17 Depth=1
	s_or_b64 exec, exec, s[34:35]
.LBB5_270:                              ;   in Loop: Header=BB5_17 Depth=1
	s_andn2_b64 s[0:1], s[18:19], exec
	s_and_b64 s[6:7], s[24:25], exec
	s_or_b64 s[18:19], s[0:1], s[6:7]
	s_andn2_b64 s[0:1], s[20:21], exec
	s_and_b64 s[6:7], s[30:31], exec
	s_or_b64 s[20:21], s[0:1], s[6:7]
	;; [unrolled: 3-line block ×3, first 2 shown]
	s_and_b64 s[8:9], s[8:9], exec
.LBB5_271:                              ;   in Loop: Header=BB5_17 Depth=1
	s_or_b64 exec, exec, s[22:23]
	s_and_saveexec_b64 s[0:1], s[8:9]
	s_xor_b64 s[0:1], exec, s[0:1]
	s_cbranch_execz .LBB5_15
.LBB5_272:                              ;   in Loop: Header=BB5_17 Depth=1
	s_and_b32 s6, s47, -9
	s_cmp_eq_u32 s6, 0
	s_cbranch_scc1 .LBB5_13
; %bb.273:                              ;   in Loop: Header=BB5_17 Depth=1
	s_mov_b64 s[6:7], -1
                                        ; implicit-def: $sgpr77
                                        ; implicit-def: $sgpr3
                                        ; implicit-def: $sgpr76
	s_mov_b64 s[8:9], -1
	s_branch .LBB5_14
.LBB5_274:                              ;   in Loop: Header=BB5_17 Depth=1
                                        ; implicit-def: $vgpr2_vgpr3
	s_branch .LBB5_228
.LBB5_275:                              ;   in Loop: Header=BB5_17 Depth=1
                                        ; implicit-def: $vgpr2_vgpr3
	s_branch .LBB5_244
.LBB5_276:
	s_or_b64 exec, exec, s[78:79]
	s_xor_b64 s[8:9], s[66:67], -1
	s_xor_b64 s[0:1], s[62:63], -1
	;; [unrolled: 1-line block ×3, first 2 shown]
	s_mov_b64 s[4:5], 0
	s_and_saveexec_b64 s[2:3], s[0:1]
	s_xor_b64 s[0:1], exec, s[2:3]
	s_cbranch_execnz .LBB5_281
; %bb.277:
	s_andn2_saveexec_b64 s[0:1], s[0:1]
	s_cbranch_execnz .LBB5_306
.LBB5_278:
	s_or_b64 exec, exec, s[0:1]
	s_and_saveexec_b64 s[0:1], s[4:5]
.LBB5_279:
	; divergent unreachable
.LBB5_280:
	s_endpgm
.LBB5_281:
	s_and_saveexec_b64 s[2:3], s[8:9]
	s_xor_b64 s[4:5], exec, s[2:3]
	s_cbranch_execz .LBB5_304
; %bb.282:
	s_and_saveexec_b64 s[2:3], s[6:7]
	s_xor_b64 s[6:7], exec, s[2:3]
; %bb.283:
	v_mov_b32_e32 v41, v2
; %bb.284:
	s_or_b64 exec, exec, s[6:7]
	s_mov_b64 s[6:7], exec
	v_readlane_b32 s2, v46, 12
	v_readlane_b32 s3, v46, 13
	v_readlane_b32 s28, v46, 6
	s_and_b64 s[2:3], s[6:7], s[2:3]
	v_readlane_b32 s24, v46, 22
	v_readlane_b32 s29, v46, 7
	;; [unrolled: 1-line block ×3, first 2 shown]
	s_mov_b64 exec, s[2:3]
	s_cbranch_execz .LBB5_286
; %bb.285:
	v_mov_b32_e32 v2, 0
	v_mov_b32_e32 v3, s52
	ds_write_b32 v2, v3 offset:5140
.LBB5_286:
	s_or_b64 exec, exec, s[6:7]
	s_waitcnt lgkmcnt(0)
	s_barrier
	s_mov_b64 s[6:7], exec
	v_readlane_b32 s2, v46, 28
	v_readlane_b32 s3, v46, 29
	s_and_b64 s[2:3], s[6:7], s[2:3]
	s_mov_b64 exec, s[2:3]
	s_cbranch_execz .LBB5_301
; %bb.287:
	v_mov_b32_e32 v2, 0
	ds_read_b32 v4, v2 offset:5140
	s_mov_b64 s[2:3], 0
                                        ; implicit-def: $sgpr8_sgpr9
                                        ; implicit-def: $sgpr10_sgpr11
                                        ; implicit-def: $sgpr12_sgpr13
	s_waitcnt lgkmcnt(0)
	v_ashrrev_i32_e32 v5, 31, v4
	s_branch .LBB5_290
.LBB5_288:                              ;   in Loop: Header=BB5_290 Depth=1
	s_or_b64 exec, exec, s[18:19]
	s_andn2_b64 s[12:13], s[12:13], exec
	s_and_b64 s[16:17], s[16:17], exec
	s_or_b64 s[12:13], s[12:13], s[16:17]
	s_andn2_b64 s[10:11], s[10:11], exec
	s_and_b64 s[16:17], s[20:21], exec
	s_or_b64 s[10:11], s[10:11], s[16:17]
.LBB5_289:                              ;   in Loop: Header=BB5_290 Depth=1
	s_or_b64 exec, exec, s[14:15]
	s_and_b64 s[14:15], exec, s[10:11]
	s_or_b64 s[2:3], s[14:15], s[2:3]
	s_andn2_b64 s[8:9], s[8:9], exec
	s_and_b64 s[14:15], s[12:13], exec
	s_or_b64 s[8:9], s[8:9], s[14:15]
	s_andn2_b64 exec, exec, s[2:3]
	s_cbranch_execz .LBB5_296
.LBB5_290:                              ; =>This Inner Loop Header: Depth=1
	v_pk_mov_b32 v[2:3], v[0:1], v[0:1] op_sel:[0,1]
	v_cmp_lt_i64_e32 vcc, v[2:3], v[4:5]
	s_or_b64 s[12:13], s[12:13], exec
	s_or_b64 s[10:11], s[10:11], exec
                                        ; implicit-def: $vgpr0_vgpr1
	s_and_saveexec_b64 s[14:15], vcc
	s_cbranch_execz .LBB5_289
; %bb.291:                              ;   in Loop: Header=BB5_290 Depth=1
	global_load_ubyte v0, v[10:11], off
	s_mov_b64 s[20:21], -1
	s_mov_b64 s[16:17], 0
	s_waitcnt vmcnt(0)
	v_cmp_ne_u16_sdwa s[22:23], v0, v41 src0_sel:DWORD src1_sel:BYTE_0
                                        ; implicit-def: $vgpr0_vgpr1
	s_and_saveexec_b64 s[18:19], s[22:23]
	s_cbranch_execz .LBB5_288
; %bb.292:                              ;   in Loop: Header=BB5_290 Depth=1
	v_mov_b32_e32 v1, s86
	v_add_co_u32_e32 v0, vcc, s33, v2
	v_addc_co_u32_e32 v1, vcc, v3, v1, vcc
	v_mov_b32_e32 v3, s87
	v_add_co_u32_e32 v10, vcc, s26, v10
	v_addc_co_u32_e32 v11, vcc, v11, v3, vcc
	v_cmp_le_i64_e32 vcc, s[52:53], v[0:1]
	s_mov_b64 s[16:17], exec
	s_orn2_b64 s[20:21], vcc, exec
	s_branch .LBB5_288
.LBB5_293:
                                        ; implicit-def: $sgpr16_sgpr17
	s_branch .LBB5_3
.LBB5_294:
                                        ; implicit-def: $sgpr0_sgpr1
                                        ; kill: killed $sgpr0_sgpr1
	s_branch .LBB5_6
.LBB5_295:
                                        ; implicit-def: $sgpr0_sgpr1
                                        ; kill: killed $sgpr0_sgpr1
	s_load_dwordx2 s[0:1], s[4:5], 0x0
	s_branch .LBB5_9
.LBB5_296:
	s_or_b64 exec, exec, s[2:3]
	s_xor_b64 s[2:3], s[8:9], -1
	s_and_saveexec_b64 s[8:9], s[2:3]
	s_xor_b64 s[8:9], exec, s[8:9]
	s_cbranch_execz .LBB5_301
; %bb.297:
	s_mov_b64 s[2:3], exec
	s_brev_b32 s8, -2
.LBB5_298:                              ; =>This Inner Loop Header: Depth=1
	s_ff1_i32_b64 s9, s[2:3]
	v_readlane_b32 s12, v2, s9
	s_lshl_b64 s[10:11], 1, s9
	s_min_i32 s8, s8, s12
	s_andn2_b64 s[2:3], s[2:3], s[10:11]
	s_cmp_lg_u64 s[2:3], 0
	s_cbranch_scc1 .LBB5_298
; %bb.299:
	v_mbcnt_lo_u32_b32 v0, exec_lo, 0
	v_mbcnt_hi_u32_b32 v0, exec_hi, v0
	v_cmp_eq_u32_e32 vcc, 0, v0
	s_and_saveexec_b64 s[2:3], vcc
	s_xor_b64 s[2:3], exec, s[2:3]
	s_cbranch_execz .LBB5_301
; %bb.300:
	v_mov_b32_e32 v0, 0
	v_mov_b32_e32 v1, s8
	ds_min_i32 v0, v1 offset:5140
.LBB5_301:
	s_or_b64 exec, exec, s[6:7]
	s_waitcnt lgkmcnt(0)
	s_barrier
	s_mov_b64 s[2:3], exec
	v_readlane_b32 s6, v46, 12
	v_readlane_b32 s7, v46, 13
	s_and_b64 s[6:7], s[2:3], s[6:7]
	s_mov_b64 exec, s[6:7]
	s_cbranch_execz .LBB5_303
; %bb.302:
	v_readlane_b32 s8, v46, 0
	v_readlane_b32 s9, v46, 1
	;; [unrolled: 1-line block ×4, first 2 shown]
	s_mul_i32 s6, s14, s9
	s_mul_hi_u32 s7, s14, s8
	s_add_i32 s6, s7, s6
	s_mul_i32 s7, s15, s8
	s_add_i32 s6, s6, s7
	s_mul_i32 s7, s14, s8
	v_readlane_b32 s16, v46, 18
	s_sub_u32 s7, s24, s7
	v_readlane_b32 s18, v46, 20
	v_readlane_b32 s19, v46, 21
	s_subb_u32 s6, 0, s6
	s_mul_i32 s8, s7, s19
	s_mul_hi_u32 s9, s7, s18
	v_readlane_b32 s17, v46, 19
	s_add_i32 s8, s9, s8
	s_mul_i32 s6, s6, s18
	s_add_i32 s11, s8, s6
	s_mul_i32 s10, s7, s18
	s_mul_i32 s6, s14, s17
	s_mul_hi_u32 s7, s14, s16
	s_add_i32 s6, s7, s6
	s_mul_i32 s7, s15, s16
	s_mul_i32 s13, s14, s16
	v_readlane_b32 s14, v46, 4
	s_add_i32 s12, s6, s7
	v_readlane_b32 s15, v46, 5
	s_mul_i32 s6, s14, s29
	s_mul_hi_u32 s7, s14, s28
	s_add_i32 s6, s7, s6
	s_mul_i32 s7, s15, s28
	s_add_i32 s6, s6, s7
	s_mul_i32 s7, s14, s28
	v_readlane_b32 s16, v46, 14
	s_sub_u32 s8, s24, s7
	v_readlane_b32 s18, v46, 16
	v_readlane_b32 s19, v46, 17
	s_subb_u32 s6, 0, s6
	s_mul_i32 s7, s8, s19
	s_mul_hi_u32 s9, s8, s18
	v_readlane_b32 s17, v46, 15
	s_add_i32 s7, s9, s7
	s_mul_i32 s6, s6, s18
	s_add_i32 s7, s7, s6
	s_mul_i32 s6, s8, s18
	s_mul_i32 s8, s14, s17
	s_mul_hi_u32 s9, s14, s16
	s_add_i32 s8, s9, s8
	s_mul_i32 s9, s15, s16
	s_add_i32 s9, s8, s9
	s_mul_i32 s8, s14, s16
	v_readlane_b32 s14, v46, 10
	v_readlane_b32 s15, v46, 11
	s_add_u32 s13, s14, s13
	s_addc_u32 s12, s15, s12
	v_mov_b32_e32 v2, 0
	s_add_u32 s10, s13, s10
	ds_read_b32 v0, v2 offset:5140
	s_addc_u32 s11, s12, s11
	s_lshl_b64 s[8:9], s[8:9], 3
	v_readlane_b32 s12, v46, 8
	v_readlane_b32 s13, v46, 9
	s_add_u32 s8, s12, s8
	s_addc_u32 s9, s13, s9
	s_lshl_b64 s[6:7], s[6:7], 3
	s_add_u32 s6, s8, s6
	s_addc_u32 s7, s9, s7
	s_waitcnt lgkmcnt(0)
	v_ashrrev_i32_e32 v1, 31, v0
	global_store_dwordx2 v2, v[0:1], s[6:7]
	global_store_byte v2, v41, s[10:11]
.LBB5_303:
	s_or_b64 exec, exec, s[2:3]
.LBB5_304:
	s_or_saveexec_b64 s[2:3], s[4:5]
	s_mov_b64 s[4:5], 0
	s_xor_b64 exec, exec, s[2:3]
	s_cbranch_execnz .LBB5_307
.LBB5_305:
	s_or_b64 exec, exec, s[2:3]
	s_and_b64 s[4:5], s[4:5], exec
	s_andn2_saveexec_b64 s[0:1], s[0:1]
	s_cbranch_execz .LBB5_278
.LBB5_306:
	s_or_b64 s[4:5], s[4:5], exec
	s_trap 2
	s_or_b64 exec, exec, s[0:1]
	s_and_saveexec_b64 s[0:1], s[4:5]
	s_cbranch_execnz .LBB5_279
	s_branch .LBB5_280
.LBB5_307:
	s_mov_b64 s[4:5], exec
	s_trap 2
	s_branch .LBB5_305
	.section	.rodata,"a",@progbits
	.p2align	6, 0x0
	.amdhsa_kernel _ZN2at6native12_GLOBAL__N_114gatherKthValueIhlLi2EEEvNS_4cuda6detail10TensorInfoIKT_T0_EES8_S8_S8_S8_NS5_IS6_S8_EENS5_IlS8_EE
		.amdhsa_group_segment_fixed_size 5144
		.amdhsa_private_segment_fixed_size 0
		.amdhsa_kernarg_size 1536
		.amdhsa_user_sgpr_count 6
		.amdhsa_user_sgpr_private_segment_buffer 1
		.amdhsa_user_sgpr_dispatch_ptr 0
		.amdhsa_user_sgpr_queue_ptr 0
		.amdhsa_user_sgpr_kernarg_segment_ptr 1
		.amdhsa_user_sgpr_dispatch_id 0
		.amdhsa_user_sgpr_flat_scratch_init 0
		.amdhsa_user_sgpr_kernarg_preload_length 0
		.amdhsa_user_sgpr_kernarg_preload_offset 0
		.amdhsa_user_sgpr_private_segment_size 0
		.amdhsa_uses_dynamic_stack 0
		.amdhsa_system_sgpr_private_segment_wavefront_offset 0
		.amdhsa_system_sgpr_workgroup_id_x 1
		.amdhsa_system_sgpr_workgroup_id_y 1
		.amdhsa_system_sgpr_workgroup_id_z 1
		.amdhsa_system_sgpr_workgroup_info 0
		.amdhsa_system_vgpr_workitem_id 0
		.amdhsa_next_free_vgpr 47
		.amdhsa_next_free_sgpr 96
		.amdhsa_accum_offset 48
		.amdhsa_reserve_vcc 1
		.amdhsa_reserve_flat_scratch 0
		.amdhsa_float_round_mode_32 0
		.amdhsa_float_round_mode_16_64 0
		.amdhsa_float_denorm_mode_32 3
		.amdhsa_float_denorm_mode_16_64 3
		.amdhsa_dx10_clamp 1
		.amdhsa_ieee_mode 1
		.amdhsa_fp16_overflow 0
		.amdhsa_tg_split 0
		.amdhsa_exception_fp_ieee_invalid_op 0
		.amdhsa_exception_fp_denorm_src 0
		.amdhsa_exception_fp_ieee_div_zero 0
		.amdhsa_exception_fp_ieee_overflow 0
		.amdhsa_exception_fp_ieee_underflow 0
		.amdhsa_exception_fp_ieee_inexact 0
		.amdhsa_exception_int_div_zero 0
	.end_amdhsa_kernel
	.section	.text._ZN2at6native12_GLOBAL__N_114gatherKthValueIhlLi2EEEvNS_4cuda6detail10TensorInfoIKT_T0_EES8_S8_S8_S8_NS5_IS6_S8_EENS5_IlS8_EE,"axG",@progbits,_ZN2at6native12_GLOBAL__N_114gatherKthValueIhlLi2EEEvNS_4cuda6detail10TensorInfoIKT_T0_EES8_S8_S8_S8_NS5_IS6_S8_EENS5_IlS8_EE,comdat
.Lfunc_end5:
	.size	_ZN2at6native12_GLOBAL__N_114gatherKthValueIhlLi2EEEvNS_4cuda6detail10TensorInfoIKT_T0_EES8_S8_S8_S8_NS5_IS6_S8_EENS5_IlS8_EE, .Lfunc_end5-_ZN2at6native12_GLOBAL__N_114gatherKthValueIhlLi2EEEvNS_4cuda6detail10TensorInfoIKT_T0_EES8_S8_S8_S8_NS5_IS6_S8_EENS5_IlS8_EE
                                        ; -- End function
	.section	.AMDGPU.csdata,"",@progbits
; Kernel info:
; codeLenInByte = 17964
; NumSgprs: 100
; NumVgprs: 47
; NumAgprs: 0
; TotalNumVgprs: 47
; ScratchSize: 0
; MemoryBound: 0
; FloatMode: 240
; IeeeMode: 1
; LDSByteSize: 5144 bytes/workgroup (compile time only)
; SGPRBlocks: 12
; VGPRBlocks: 5
; NumSGPRsForWavesPerEU: 100
; NumVGPRsForWavesPerEU: 47
; AccumOffset: 48
; Occupancy: 8
; WaveLimiterHint : 1
; COMPUTE_PGM_RSRC2:SCRATCH_EN: 0
; COMPUTE_PGM_RSRC2:USER_SGPR: 6
; COMPUTE_PGM_RSRC2:TRAP_HANDLER: 0
; COMPUTE_PGM_RSRC2:TGID_X_EN: 1
; COMPUTE_PGM_RSRC2:TGID_Y_EN: 1
; COMPUTE_PGM_RSRC2:TGID_Z_EN: 1
; COMPUTE_PGM_RSRC2:TIDIG_COMP_CNT: 0
; COMPUTE_PGM_RSRC3_GFX90A:ACCUM_OFFSET: 11
; COMPUTE_PGM_RSRC3_GFX90A:TG_SPLIT: 0
	.section	.text._ZN2at6native12_GLOBAL__N_114gatherKthValueIhlLi3EEEvNS_4cuda6detail10TensorInfoIKT_T0_EES8_S8_S8_S8_NS5_IS6_S8_EENS5_IlS8_EE,"axG",@progbits,_ZN2at6native12_GLOBAL__N_114gatherKthValueIhlLi3EEEvNS_4cuda6detail10TensorInfoIKT_T0_EES8_S8_S8_S8_NS5_IS6_S8_EENS5_IlS8_EE,comdat
	.globl	_ZN2at6native12_GLOBAL__N_114gatherKthValueIhlLi3EEEvNS_4cuda6detail10TensorInfoIKT_T0_EES8_S8_S8_S8_NS5_IS6_S8_EENS5_IlS8_EE ; -- Begin function _ZN2at6native12_GLOBAL__N_114gatherKthValueIhlLi3EEEvNS_4cuda6detail10TensorInfoIKT_T0_EES8_S8_S8_S8_NS5_IS6_S8_EENS5_IlS8_EE
	.p2align	8
	.type	_ZN2at6native12_GLOBAL__N_114gatherKthValueIhlLi3EEEvNS_4cuda6detail10TensorInfoIKT_T0_EES8_S8_S8_S8_NS5_IS6_S8_EENS5_IlS8_EE,@function
_ZN2at6native12_GLOBAL__N_114gatherKthValueIhlLi3EEEvNS_4cuda6detail10TensorInfoIKT_T0_EES8_S8_S8_S8_NS5_IS6_S8_EENS5_IlS8_EE: ; @_ZN2at6native12_GLOBAL__N_114gatherKthValueIhlLi3EEEvNS_4cuda6detail10TensorInfoIKT_T0_EES8_S8_S8_S8_NS5_IS6_S8_EENS5_IlS8_EE
; %bb.0:
	s_load_dwordx8 s[52:59], s[4:5], 0x1a0
	s_load_dwordx2 s[18:19], s[4:5], 0x500
	s_add_u32 s16, s4, 0x500
	s_addc_u32 s17, s5, 0
	s_mov_b32 s39, 0
	s_waitcnt lgkmcnt(0)
	v_mov_b32_e32 v2, s56
	s_mul_i32 s0, s19, s8
	s_add_i32 s0, s0, s7
	s_mul_i32 s0, s0, s18
	v_mov_b32_e32 v3, s57
	s_add_i32 s38, s0, s6
	v_cmp_ge_i64_e32 vcc, s[38:39], v[2:3]
	s_cbranch_vccnz .LBB6_297
; %bb.1:
	s_load_dwordx4 s[8:11], s[4:5], 0x10
	s_mov_b32 s0, s39
	s_waitcnt lgkmcnt(0)
	s_mov_b32 s1, s11
	s_cmp_lg_u64 s[0:1], 0
	s_cbranch_scc0 .LBB6_12
; %bb.2:
	s_ashr_i32 s2, s11, 31
	s_add_u32 s0, s10, s2
	s_mov_b32 s3, s2
	s_addc_u32 s1, s11, s2
	s_xor_b64 s[14:15], s[0:1], s[2:3]
	v_cvt_f32_u32_e32 v1, s14
	v_cvt_f32_u32_e32 v2, s15
	s_sub_u32 s0, 0, s14
	s_subb_u32 s1, 0, s15
	v_madmk_f32 v1, v2, 0x4f800000, v1
	v_rcp_f32_e32 v1, v1
	v_mul_f32_e32 v1, 0x5f7ffffc, v1
	v_mul_f32_e32 v2, 0x2f800000, v1
	v_trunc_f32_e32 v2, v2
	v_madmk_f32 v1, v2, 0xcf800000, v1
	v_cvt_u32_f32_e32 v2, v2
	v_cvt_u32_f32_e32 v1, v1
	v_readfirstlane_b32 s7, v2
	v_readfirstlane_b32 s19, v1
	s_mul_i32 s20, s0, s7
	s_mul_hi_u32 s22, s0, s19
	s_mul_i32 s21, s1, s19
	s_add_i32 s20, s22, s20
	s_add_i32 s20, s20, s21
	s_mul_i32 s23, s0, s19
	s_mul_hi_u32 s21, s19, s20
	s_mul_i32 s22, s19, s20
	s_mul_hi_u32 s19, s19, s23
	s_add_u32 s19, s19, s22
	s_addc_u32 s21, 0, s21
	s_mul_hi_u32 s24, s7, s23
	s_mul_i32 s23, s7, s23
	s_add_u32 s19, s19, s23
	s_mul_hi_u32 s22, s7, s20
	s_addc_u32 s19, s21, s24
	s_addc_u32 s21, s22, 0
	s_mul_i32 s20, s7, s20
	s_add_u32 s19, s19, s20
	s_addc_u32 s20, 0, s21
	v_add_co_u32_e32 v1, vcc, s19, v1
	s_cmp_lg_u64 vcc, 0
	s_addc_u32 s7, s7, s20
	v_readfirstlane_b32 s20, v1
	s_mul_i32 s19, s0, s7
	s_mul_hi_u32 s21, s0, s20
	s_add_i32 s19, s21, s19
	s_mul_i32 s1, s1, s20
	s_add_i32 s19, s19, s1
	s_mul_i32 s0, s0, s20
	s_mul_hi_u32 s21, s7, s0
	s_mul_i32 s22, s7, s0
	s_mul_i32 s24, s20, s19
	s_mul_hi_u32 s0, s20, s0
	s_mul_hi_u32 s23, s20, s19
	s_add_u32 s0, s0, s24
	s_addc_u32 s20, 0, s23
	s_add_u32 s0, s0, s22
	s_mul_hi_u32 s1, s7, s19
	s_addc_u32 s0, s20, s21
	s_addc_u32 s1, s1, 0
	s_mul_i32 s19, s7, s19
	s_add_u32 s0, s0, s19
	s_addc_u32 s1, 0, s1
	v_add_co_u32_e32 v1, vcc, s0, v1
	s_cmp_lg_u64 vcc, 0
	s_addc_u32 s7, s7, s1
	s_ashr_i32 s20, 0, 31
	s_add_u32 s0, s38, s20
	s_mov_b32 s21, s20
	s_addc_u32 s1, 0, s20
	s_xor_b64 s[22:23], s[0:1], s[20:21]
	v_readfirstlane_b32 s19, v1
	s_mul_i32 s1, s22, s7
	s_mul_hi_u32 s24, s22, s19
	s_mul_hi_u32 s0, s22, s7
	s_add_u32 s1, s24, s1
	s_addc_u32 s0, 0, s0
	s_mul_hi_u32 s25, s23, s19
	s_mul_i32 s19, s23, s19
	s_add_u32 s1, s1, s19
	s_mul_hi_u32 s24, s23, s7
	s_addc_u32 s0, s0, s25
	s_addc_u32 s1, s24, 0
	s_mul_i32 s7, s23, s7
	s_add_u32 s7, s0, s7
	s_addc_u32 s19, 0, s1
	s_mul_i32 s0, s14, s19
	s_mul_hi_u32 s1, s14, s7
	s_add_i32 s0, s1, s0
	s_mul_i32 s1, s15, s7
	s_add_i32 s24, s0, s1
	s_mul_i32 s1, s14, s7
	v_mov_b32_e32 v1, s1
	s_sub_i32 s0, s23, s24
	v_sub_co_u32_e32 v1, vcc, s22, v1
	s_cmp_lg_u64 vcc, 0
	s_subb_u32 s22, s0, s15
	v_subrev_co_u32_e64 v2, s[0:1], s14, v1
	s_cmp_lg_u64 s[0:1], 0
	s_subb_u32 s0, s22, 0
	s_cmp_ge_u32 s0, s15
	v_readfirstlane_b32 s22, v2
	s_cselect_b32 s1, -1, 0
	s_cmp_ge_u32 s22, s14
	s_cselect_b32 s22, -1, 0
	s_cmp_eq_u32 s0, s15
	s_cselect_b32 s0, s22, s1
	s_add_u32 s1, s7, 1
	s_addc_u32 s22, s19, 0
	s_add_u32 s25, s7, 2
	s_addc_u32 s26, s19, 0
	s_cmp_lg_u32 s0, 0
	s_cselect_b32 s0, s25, s1
	s_cselect_b32 s1, s26, s22
	s_cmp_lg_u64 vcc, 0
	s_subb_u32 s22, s23, s24
	s_cmp_ge_u32 s22, s15
	v_readfirstlane_b32 s24, v1
	s_cselect_b32 s23, -1, 0
	s_cmp_ge_u32 s24, s14
	s_cselect_b32 s14, -1, 0
	s_cmp_eq_u32 s22, s15
	s_cselect_b32 s14, s14, s23
	s_cmp_lg_u32 s14, 0
	s_cselect_b32 s1, s1, s19
	s_cselect_b32 s0, s0, s7
	s_xor_b64 s[2:3], s[20:21], s[2:3]
	s_xor_b64 s[0:1], s[0:1], s[2:3]
	s_sub_u32 s2, s0, s2
	s_subb_u32 s3, s1, s3
	s_cbranch_execnz .LBB6_4
.LBB6_3:
	v_cvt_f32_u32_e32 v1, s10
	s_sub_i32 s0, 0, s10
	s_mov_b32 s3, 0
	v_rcp_iflag_f32_e32 v1, v1
	v_mul_f32_e32 v1, 0x4f7ffffe, v1
	v_cvt_u32_f32_e32 v1, v1
	v_readfirstlane_b32 s1, v1
	s_mul_i32 s0, s0, s1
	s_mul_hi_u32 s0, s1, s0
	s_add_i32 s1, s1, s0
	s_mul_hi_u32 s0, s38, s1
	s_mul_i32 s2, s0, s10
	s_sub_i32 s2, s38, s2
	s_add_i32 s1, s0, 1
	s_sub_i32 s7, s2, s10
	s_cmp_ge_u32 s2, s10
	s_cselect_b32 s0, s1, s0
	s_cselect_b32 s2, s7, s2
	s_add_i32 s1, s0, 1
	s_cmp_ge_u32 s2, s10
	s_cselect_b32 s2, s1, s0
.LBB6_4:
	s_or_b64 s[0:1], s[2:3], s[8:9]
	s_mov_b32 s0, 0
	s_cmp_lg_u64 s[0:1], 0
	s_cbranch_scc0 .LBB6_13
; %bb.5:
	s_ashr_i32 s14, s9, 31
	s_add_u32 s0, s8, s14
	s_mov_b32 s15, s14
	s_addc_u32 s1, s9, s14
	s_xor_b64 s[20:21], s[0:1], s[14:15]
	v_cvt_f32_u32_e32 v1, s20
	v_cvt_f32_u32_e32 v2, s21
	s_sub_u32 s0, 0, s20
	s_subb_u32 s1, 0, s21
	v_madmk_f32 v1, v2, 0x4f800000, v1
	v_rcp_f32_e32 v1, v1
	v_mul_f32_e32 v1, 0x5f7ffffc, v1
	v_mul_f32_e32 v2, 0x2f800000, v1
	v_trunc_f32_e32 v2, v2
	v_madmk_f32 v1, v2, 0xcf800000, v1
	v_cvt_u32_f32_e32 v2, v2
	v_cvt_u32_f32_e32 v1, v1
	v_readfirstlane_b32 s7, v2
	v_readfirstlane_b32 s19, v1
	s_mul_i32 s22, s0, s7
	s_mul_hi_u32 s24, s0, s19
	s_mul_i32 s23, s1, s19
	s_add_i32 s22, s24, s22
	s_add_i32 s22, s22, s23
	s_mul_i32 s25, s0, s19
	s_mul_hi_u32 s23, s19, s22
	s_mul_i32 s24, s19, s22
	s_mul_hi_u32 s19, s19, s25
	s_add_u32 s19, s19, s24
	s_addc_u32 s23, 0, s23
	s_mul_hi_u32 s26, s7, s25
	s_mul_i32 s25, s7, s25
	s_add_u32 s19, s19, s25
	s_mul_hi_u32 s24, s7, s22
	s_addc_u32 s19, s23, s26
	s_addc_u32 s23, s24, 0
	s_mul_i32 s22, s7, s22
	s_add_u32 s19, s19, s22
	s_addc_u32 s22, 0, s23
	v_add_co_u32_e32 v1, vcc, s19, v1
	s_cmp_lg_u64 vcc, 0
	s_addc_u32 s7, s7, s22
	v_readfirstlane_b32 s22, v1
	s_mul_i32 s19, s0, s7
	s_mul_hi_u32 s23, s0, s22
	s_add_i32 s19, s23, s19
	s_mul_i32 s1, s1, s22
	s_add_i32 s19, s19, s1
	s_mul_i32 s0, s0, s22
	s_mul_hi_u32 s23, s7, s0
	s_mul_i32 s24, s7, s0
	s_mul_i32 s26, s22, s19
	s_mul_hi_u32 s0, s22, s0
	s_mul_hi_u32 s25, s22, s19
	s_add_u32 s0, s0, s26
	s_addc_u32 s22, 0, s25
	s_add_u32 s0, s0, s24
	s_mul_hi_u32 s1, s7, s19
	s_addc_u32 s0, s22, s23
	s_addc_u32 s1, s1, 0
	s_mul_i32 s19, s7, s19
	s_add_u32 s0, s0, s19
	s_addc_u32 s1, 0, s1
	v_add_co_u32_e32 v1, vcc, s0, v1
	s_cmp_lg_u64 vcc, 0
	s_addc_u32 s7, s7, s1
	s_ashr_i32 s22, s3, 31
	s_add_u32 s0, s2, s22
	s_mov_b32 s23, s22
	s_addc_u32 s1, s3, s22
	s_xor_b64 s[24:25], s[0:1], s[22:23]
	v_readfirstlane_b32 s19, v1
	s_mul_i32 s1, s24, s7
	s_mul_hi_u32 s26, s24, s19
	s_mul_hi_u32 s0, s24, s7
	s_add_u32 s1, s26, s1
	s_addc_u32 s0, 0, s0
	s_mul_hi_u32 s27, s25, s19
	s_mul_i32 s19, s25, s19
	s_add_u32 s1, s1, s19
	s_mul_hi_u32 s26, s25, s7
	s_addc_u32 s0, s0, s27
	s_addc_u32 s1, s26, 0
	s_mul_i32 s7, s25, s7
	s_add_u32 s7, s0, s7
	s_addc_u32 s19, 0, s1
	s_mul_i32 s0, s20, s19
	s_mul_hi_u32 s1, s20, s7
	s_add_i32 s0, s1, s0
	s_mul_i32 s1, s21, s7
	s_add_i32 s26, s0, s1
	s_mul_i32 s1, s20, s7
	v_mov_b32_e32 v1, s1
	s_sub_i32 s0, s25, s26
	v_sub_co_u32_e32 v1, vcc, s24, v1
	s_cmp_lg_u64 vcc, 0
	s_subb_u32 s24, s0, s21
	v_subrev_co_u32_e64 v2, s[0:1], s20, v1
	s_cmp_lg_u64 s[0:1], 0
	s_subb_u32 s0, s24, 0
	s_cmp_ge_u32 s0, s21
	v_readfirstlane_b32 s24, v2
	s_cselect_b32 s1, -1, 0
	s_cmp_ge_u32 s24, s20
	s_cselect_b32 s24, -1, 0
	s_cmp_eq_u32 s0, s21
	s_cselect_b32 s0, s24, s1
	s_add_u32 s1, s7, 1
	s_addc_u32 s24, s19, 0
	s_add_u32 s27, s7, 2
	s_addc_u32 s28, s19, 0
	s_cmp_lg_u32 s0, 0
	s_cselect_b32 s0, s27, s1
	s_cselect_b32 s1, s28, s24
	s_cmp_lg_u64 vcc, 0
	s_subb_u32 s24, s25, s26
	s_cmp_ge_u32 s24, s21
	v_readfirstlane_b32 s26, v1
	s_cselect_b32 s25, -1, 0
	s_cmp_ge_u32 s26, s20
	s_cselect_b32 s20, -1, 0
	s_cmp_eq_u32 s24, s21
	s_cselect_b32 s20, s20, s25
	s_cmp_lg_u32 s20, 0
	s_cselect_b32 s1, s1, s19
	s_cselect_b32 s0, s0, s7
	s_xor_b64 s[14:15], s[22:23], s[14:15]
	s_xor_b64 s[0:1], s[0:1], s[14:15]
	s_sub_u32 s20, s0, s14
	s_subb_u32 s21, s1, s15
	s_load_dwordx4 s[24:27], s[4:5], 0x1d0
	s_cbranch_execnz .LBB6_7
.LBB6_6:
	v_cvt_f32_u32_e32 v1, s8
	s_sub_i32 s0, 0, s8
	s_mov_b32 s21, 0
	v_rcp_iflag_f32_e32 v1, v1
	v_mul_f32_e32 v1, 0x4f7ffffe, v1
	v_cvt_u32_f32_e32 v1, v1
	v_readfirstlane_b32 s1, v1
	s_mul_i32 s0, s0, s1
	s_mul_hi_u32 s0, s1, s0
	s_add_i32 s1, s1, s0
	s_mul_hi_u32 s0, s2, s1
	s_mul_i32 s7, s0, s8
	s_sub_i32 s7, s2, s7
	s_add_i32 s1, s0, 1
	s_sub_i32 s12, s7, s8
	s_cmp_ge_u32 s7, s8
	s_cselect_b32 s0, s1, s0
	s_cselect_b32 s7, s12, s7
	s_add_i32 s1, s0, 1
	s_cmp_ge_u32 s7, s8
	s_cselect_b32 s20, s1, s0
.LBB6_7:
                                        ; implicit-def: $vgpr48 : SGPR spill to VGPR lane
	s_waitcnt lgkmcnt(0)
	s_mov_b32 s1, s27
	v_writelane_b32 v48, s24, 0
	s_mov_b32 s0, 0
	v_writelane_b32 v48, s25, 1
	s_cmp_lg_u64 s[0:1], 0
	v_writelane_b32 v48, s26, 2
	v_writelane_b32 v48, s27, 3
	s_cbranch_scc0 .LBB6_14
; %bb.8:
	s_ashr_i32 s12, s27, 31
	s_add_u32 s0, s26, s12
	s_mov_b32 s13, s12
	s_addc_u32 s1, s27, s12
	s_xor_b64 s[22:23], s[0:1], s[12:13]
	v_cvt_f32_u32_e32 v1, s22
	v_cvt_f32_u32_e32 v2, s23
	s_sub_u32 s0, 0, s22
	s_subb_u32 s1, 0, s23
	v_madmk_f32 v1, v2, 0x4f800000, v1
	v_rcp_f32_e32 v1, v1
	v_mul_f32_e32 v1, 0x5f7ffffc, v1
	v_mul_f32_e32 v2, 0x2f800000, v1
	v_trunc_f32_e32 v2, v2
	v_madmk_f32 v1, v2, 0xcf800000, v1
	v_cvt_u32_f32_e32 v2, v2
	v_cvt_u32_f32_e32 v1, v1
	v_readfirstlane_b32 s7, v2
	v_readfirstlane_b32 s19, v1
	s_mul_i32 s24, s0, s7
	s_mul_hi_u32 s26, s0, s19
	s_mul_i32 s25, s1, s19
	s_add_i32 s24, s26, s24
	s_add_i32 s24, s24, s25
	s_mul_i32 s27, s0, s19
	s_mul_hi_u32 s25, s19, s24
	s_mul_i32 s26, s19, s24
	s_mul_hi_u32 s19, s19, s27
	s_add_u32 s19, s19, s26
	s_addc_u32 s25, 0, s25
	s_mul_hi_u32 s28, s7, s27
	s_mul_i32 s27, s7, s27
	s_add_u32 s19, s19, s27
	s_mul_hi_u32 s26, s7, s24
	s_addc_u32 s19, s25, s28
	s_addc_u32 s25, s26, 0
	s_mul_i32 s24, s7, s24
	s_add_u32 s19, s19, s24
	s_addc_u32 s24, 0, s25
	v_add_co_u32_e32 v1, vcc, s19, v1
	s_cmp_lg_u64 vcc, 0
	s_addc_u32 s7, s7, s24
	v_readfirstlane_b32 s24, v1
	s_mul_i32 s19, s0, s7
	s_mul_hi_u32 s25, s0, s24
	s_add_i32 s19, s25, s19
	s_mul_i32 s1, s1, s24
	s_add_i32 s19, s19, s1
	s_mul_i32 s0, s0, s24
	s_mul_hi_u32 s25, s7, s0
	s_mul_i32 s26, s7, s0
	s_mul_i32 s28, s24, s19
	s_mul_hi_u32 s0, s24, s0
	s_mul_hi_u32 s27, s24, s19
	s_add_u32 s0, s0, s28
	s_addc_u32 s24, 0, s27
	s_add_u32 s0, s0, s26
	s_mul_hi_u32 s1, s7, s19
	s_addc_u32 s0, s24, s25
	s_addc_u32 s1, s1, 0
	s_mul_i32 s19, s7, s19
	s_add_u32 s0, s0, s19
	s_addc_u32 s1, 0, s1
	v_add_co_u32_e32 v1, vcc, s0, v1
	s_cmp_lg_u64 vcc, 0
	s_addc_u32 s7, s7, s1
	s_ashr_i32 s24, 0, 31
	s_add_u32 s0, s38, s24
	s_mov_b32 s25, s24
	s_addc_u32 s1, 0, s24
	s_xor_b64 s[26:27], s[0:1], s[24:25]
	v_readfirstlane_b32 s19, v1
	s_mul_i32 s1, s26, s7
	s_mul_hi_u32 s28, s26, s19
	s_mul_hi_u32 s0, s26, s7
	s_add_u32 s1, s28, s1
	s_addc_u32 s0, 0, s0
	s_mul_hi_u32 s29, s27, s19
	s_mul_i32 s19, s27, s19
	s_add_u32 s1, s1, s19
	s_mul_hi_u32 s28, s27, s7
	s_addc_u32 s0, s0, s29
	s_addc_u32 s1, s28, 0
	s_mul_i32 s7, s27, s7
	s_add_u32 s7, s0, s7
	s_addc_u32 s19, 0, s1
	s_mul_i32 s0, s22, s19
	s_mul_hi_u32 s1, s22, s7
	s_add_i32 s0, s1, s0
	s_mul_i32 s1, s23, s7
	s_add_i32 s28, s0, s1
	s_mul_i32 s1, s22, s7
	v_mov_b32_e32 v1, s1
	s_sub_i32 s0, s27, s28
	v_sub_co_u32_e32 v1, vcc, s26, v1
	s_cmp_lg_u64 vcc, 0
	s_subb_u32 s26, s0, s23
	v_subrev_co_u32_e64 v2, s[0:1], s22, v1
	s_cmp_lg_u64 s[0:1], 0
	s_subb_u32 s0, s26, 0
	s_cmp_ge_u32 s0, s23
	v_readfirstlane_b32 s26, v2
	s_cselect_b32 s1, -1, 0
	s_cmp_ge_u32 s26, s22
	s_cselect_b32 s26, -1, 0
	s_cmp_eq_u32 s0, s23
	s_cselect_b32 s0, s26, s1
	s_add_u32 s1, s7, 1
	s_addc_u32 s26, s19, 0
	s_add_u32 s29, s7, 2
	s_addc_u32 s30, s19, 0
	s_cmp_lg_u32 s0, 0
	s_cselect_b32 s0, s29, s1
	s_cselect_b32 s1, s30, s26
	s_cmp_lg_u64 vcc, 0
	s_subb_u32 s26, s27, s28
	s_cmp_ge_u32 s26, s23
	v_readfirstlane_b32 s28, v1
	s_cselect_b32 s27, -1, 0
	s_cmp_ge_u32 s28, s22
	s_cselect_b32 s22, -1, 0
	s_cmp_eq_u32 s26, s23
	s_cselect_b32 s22, s22, s27
	s_cmp_lg_u32 s22, 0
	s_cselect_b32 s1, s1, s19
	s_cselect_b32 s0, s0, s7
	s_xor_b64 s[12:13], s[24:25], s[12:13]
	s_load_dwordx4 s[24:27], s[4:5], 0x1d0
	s_xor_b64 s[0:1], s[0:1], s[12:13]
	s_sub_u32 s30, s0, s12
	s_subb_u32 s31, s1, s13
	s_cbranch_execnz .LBB6_10
.LBB6_9:
	s_waitcnt lgkmcnt(0)
	v_cvt_f32_u32_e32 v1, s26
	s_sub_i32 s0, 0, s26
	s_mov_b32 s31, 0
	v_rcp_iflag_f32_e32 v1, v1
	v_mul_f32_e32 v1, 0x4f7ffffe, v1
	v_cvt_u32_f32_e32 v1, v1
	v_readfirstlane_b32 s1, v1
	s_mul_i32 s0, s0, s1
	s_mul_hi_u32 s0, s1, s0
	s_add_i32 s1, s1, s0
	s_mul_hi_u32 s0, s38, s1
	s_mul_i32 s7, s0, s26
	s_sub_i32 s7, s38, s7
	s_add_i32 s1, s0, 1
	s_sub_i32 s12, s7, s26
	s_cmp_ge_u32 s7, s26
	s_cselect_b32 s0, s1, s0
	s_cselect_b32 s7, s12, s7
	s_add_i32 s1, s0, 1
	s_cmp_ge_u32 s7, s26
	s_cselect_b32 s30, s1, s0
.LBB6_10:
	s_waitcnt lgkmcnt(0)
	s_or_b64 s[0:1], s[30:31], s[24:25]
	s_mov_b32 s0, 0
	s_cmp_lg_u64 s[0:1], 0
	v_writelane_b32 v48, s30, 4
	v_writelane_b32 v48, s31, 5
	s_cbranch_scc0 .LBB6_15
; %bb.11:
	s_ashr_i32 s14, s25, 31
	s_add_u32 s0, s24, s14
	s_mov_b32 s15, s14
	s_addc_u32 s1, s25, s14
	s_xor_b64 s[22:23], s[0:1], s[14:15]
	v_cvt_f32_u32_e32 v1, s22
	v_cvt_f32_u32_e32 v2, s23
	s_sub_u32 s0, 0, s22
	s_subb_u32 s1, 0, s23
	s_mov_b64 s[12:13], 0
	v_madmk_f32 v1, v2, 0x4f800000, v1
	v_rcp_f32_e32 v1, v1
	v_mul_f32_e32 v1, 0x5f7ffffc, v1
	v_mul_f32_e32 v2, 0x2f800000, v1
	v_trunc_f32_e32 v2, v2
	v_madmk_f32 v1, v2, 0xcf800000, v1
	v_cvt_u32_f32_e32 v2, v2
	v_cvt_u32_f32_e32 v1, v1
	v_readfirstlane_b32 s7, v2
	v_readfirstlane_b32 s19, v1
	s_mul_i32 s24, s0, s7
	s_mul_hi_u32 s26, s0, s19
	s_mul_i32 s25, s1, s19
	s_add_i32 s24, s26, s24
	s_add_i32 s24, s24, s25
	s_mul_i32 s27, s0, s19
	s_mul_hi_u32 s25, s19, s24
	s_mul_i32 s26, s19, s24
	s_mul_hi_u32 s19, s19, s27
	s_add_u32 s19, s19, s26
	s_addc_u32 s25, 0, s25
	s_mul_hi_u32 s28, s7, s27
	s_mul_i32 s27, s7, s27
	s_add_u32 s19, s19, s27
	s_mul_hi_u32 s26, s7, s24
	s_addc_u32 s19, s25, s28
	s_addc_u32 s25, s26, 0
	s_mul_i32 s24, s7, s24
	s_add_u32 s19, s19, s24
	s_addc_u32 s24, 0, s25
	v_add_co_u32_e32 v1, vcc, s19, v1
	s_cmp_lg_u64 vcc, 0
	s_addc_u32 s7, s7, s24
	v_readfirstlane_b32 s24, v1
	s_mul_i32 s19, s0, s7
	s_mul_hi_u32 s25, s0, s24
	s_add_i32 s19, s25, s19
	s_mul_i32 s1, s1, s24
	s_add_i32 s19, s19, s1
	s_mul_i32 s0, s0, s24
	s_mul_hi_u32 s25, s7, s0
	s_mul_i32 s26, s7, s0
	s_mul_i32 s28, s24, s19
	s_mul_hi_u32 s0, s24, s0
	s_mul_hi_u32 s27, s24, s19
	s_add_u32 s0, s0, s28
	s_addc_u32 s24, 0, s27
	s_add_u32 s0, s0, s26
	s_mul_hi_u32 s1, s7, s19
	s_addc_u32 s0, s24, s25
	s_addc_u32 s1, s1, 0
	s_mul_i32 s19, s7, s19
	s_add_u32 s0, s0, s19
	s_addc_u32 s1, 0, s1
	v_add_co_u32_e32 v1, vcc, s0, v1
	s_cmp_lg_u64 vcc, 0
	s_addc_u32 s7, s7, s1
	s_ashr_i32 s24, s31, 31
	s_add_u32 s0, s30, s24
	s_mov_b32 s25, s24
	s_addc_u32 s1, s31, s24
	s_xor_b64 s[26:27], s[0:1], s[24:25]
	v_readfirstlane_b32 s19, v1
	s_mul_i32 s1, s26, s7
	s_mul_hi_u32 s28, s26, s19
	s_mul_hi_u32 s0, s26, s7
	s_add_u32 s1, s28, s1
	s_addc_u32 s0, 0, s0
	s_mul_hi_u32 s29, s27, s19
	s_mul_i32 s19, s27, s19
	s_add_u32 s1, s1, s19
	s_mul_hi_u32 s28, s27, s7
	s_addc_u32 s0, s0, s29
	s_addc_u32 s1, s28, 0
	s_mul_i32 s7, s27, s7
	s_add_u32 s7, s0, s7
	s_addc_u32 s19, 0, s1
	s_mul_i32 s0, s22, s19
	s_mul_hi_u32 s1, s22, s7
	s_add_i32 s0, s1, s0
	s_mul_i32 s1, s23, s7
	s_add_i32 s28, s0, s1
	s_mul_i32 s1, s22, s7
	v_mov_b32_e32 v1, s1
	s_sub_i32 s0, s27, s28
	v_sub_co_u32_e32 v1, vcc, s26, v1
	s_cmp_lg_u64 vcc, 0
	s_subb_u32 s26, s0, s23
	v_subrev_co_u32_e64 v2, s[0:1], s22, v1
	s_cmp_lg_u64 s[0:1], 0
	s_subb_u32 s0, s26, 0
	s_cmp_ge_u32 s0, s23
	v_readfirstlane_b32 s26, v2
	s_cselect_b32 s1, -1, 0
	s_cmp_ge_u32 s26, s22
	s_cselect_b32 s26, -1, 0
	s_cmp_eq_u32 s0, s23
	s_cselect_b32 s0, s26, s1
	s_add_u32 s1, s7, 1
	s_addc_u32 s26, s19, 0
	s_add_u32 s29, s7, 2
	s_addc_u32 s30, s19, 0
	s_cmp_lg_u32 s0, 0
	s_cselect_b32 s0, s29, s1
	s_cselect_b32 s1, s30, s26
	s_cmp_lg_u64 vcc, 0
	s_subb_u32 s26, s27, s28
	s_cmp_ge_u32 s26, s23
	v_readfirstlane_b32 s28, v1
	s_cselect_b32 s27, -1, 0
	s_cmp_ge_u32 s28, s22
	s_cselect_b32 s22, -1, 0
	s_cmp_eq_u32 s26, s23
	s_cselect_b32 s22, s22, s27
	s_cmp_lg_u32 s22, 0
	s_cselect_b32 s1, s1, s19
	s_cselect_b32 s0, s0, s7
	s_xor_b64 s[14:15], s[24:25], s[14:15]
	s_load_dwordx4 s[24:27], s[4:5], 0x1d0
	s_xor_b64 s[0:1], s[0:1], s[14:15]
	s_sub_u32 s14, s0, s14
	s_subb_u32 s15, s1, s15
	s_branch .LBB6_16
.LBB6_12:
                                        ; implicit-def: $sgpr2_sgpr3
	s_branch .LBB6_3
.LBB6_13:
                                        ; implicit-def: $sgpr20_sgpr21
	s_load_dwordx4 s[24:27], s[4:5], 0x1d0
	s_branch .LBB6_6
.LBB6_14:
                                        ; implicit-def: $sgpr30_sgpr31
	s_branch .LBB6_9
.LBB6_15:
	s_mov_b64 s[12:13], -1
                                        ; implicit-def: $sgpr14_sgpr15
.LBB6_16:
	s_load_dwordx4 s[28:31], s[4:5], 0x370
	s_andn2_b64 vcc, exec, s[12:13]
	s_waitcnt lgkmcnt(0)
	v_writelane_b32 v48, s28, 6
	v_writelane_b32 v48, s29, 7
	v_writelane_b32 v48, s30, 8
	v_writelane_b32 v48, s31, 9
	s_cbranch_vccnz .LBB6_18
; %bb.17:
	v_cvt_f32_u32_e32 v1, s24
	s_sub_i32 s0, 0, s24
	v_readlane_b32 s12, v48, 4
	s_mov_b32 s15, 0
	v_rcp_iflag_f32_e32 v1, v1
	v_readlane_b32 s13, v48, 5
	v_mul_f32_e32 v1, 0x4f7ffffe, v1
	v_cvt_u32_f32_e32 v1, v1
	v_readfirstlane_b32 s1, v1
	s_mul_i32 s0, s0, s1
	s_mul_hi_u32 s0, s1, s0
	s_add_i32 s1, s1, s0
	s_mul_hi_u32 s0, s12, s1
	s_mul_i32 s7, s0, s24
	s_sub_i32 s7, s12, s7
	s_add_i32 s1, s0, 1
	s_sub_i32 s12, s7, s24
	s_cmp_ge_u32 s7, s24
	s_cselect_b32 s0, s1, s0
	s_cselect_b32 s7, s12, s7
	s_add_i32 s1, s0, 1
	s_cmp_ge_u32 s7, s24
	s_cselect_b32 s14, s1, s0
.LBB6_18:
	s_load_dwordx4 s[24:27], s[4:5], 0x370
	s_mov_b32 s0, 0
	v_writelane_b32 v48, s14, 10
	v_writelane_b32 v48, s15, 11
	s_waitcnt lgkmcnt(0)
	s_mov_b32 s1, s27
	s_cmp_lg_u64 s[0:1], 0
	s_cbranch_scc0 .LBB6_23
; %bb.19:
	s_ashr_i32 s12, s27, 31
	s_add_u32 s0, s26, s12
	s_mov_b32 s13, s12
	s_addc_u32 s1, s27, s12
	s_xor_b64 s[22:23], s[0:1], s[12:13]
	v_cvt_f32_u32_e32 v1, s22
	v_cvt_f32_u32_e32 v2, s23
	s_sub_u32 s0, 0, s22
	s_subb_u32 s1, 0, s23
	v_madmk_f32 v1, v2, 0x4f800000, v1
	v_rcp_f32_e32 v1, v1
	v_mul_f32_e32 v1, 0x5f7ffffc, v1
	v_mul_f32_e32 v2, 0x2f800000, v1
	v_trunc_f32_e32 v2, v2
	v_madmk_f32 v1, v2, 0xcf800000, v1
	v_cvt_u32_f32_e32 v2, v2
	v_cvt_u32_f32_e32 v1, v1
	v_readfirstlane_b32 s7, v2
	v_readfirstlane_b32 s19, v1
	s_mul_i32 s24, s0, s7
	s_mul_hi_u32 s26, s0, s19
	s_mul_i32 s25, s1, s19
	s_add_i32 s24, s26, s24
	s_add_i32 s24, s24, s25
	s_mul_i32 s27, s0, s19
	s_mul_hi_u32 s25, s19, s24
	s_mul_i32 s26, s19, s24
	s_mul_hi_u32 s19, s19, s27
	s_add_u32 s19, s19, s26
	s_addc_u32 s25, 0, s25
	s_mul_hi_u32 s28, s7, s27
	s_mul_i32 s27, s7, s27
	s_add_u32 s19, s19, s27
	s_mul_hi_u32 s26, s7, s24
	s_addc_u32 s19, s25, s28
	s_addc_u32 s25, s26, 0
	s_mul_i32 s24, s7, s24
	s_add_u32 s19, s19, s24
	s_addc_u32 s24, 0, s25
	v_add_co_u32_e32 v1, vcc, s19, v1
	s_cmp_lg_u64 vcc, 0
	s_addc_u32 s7, s7, s24
	v_readfirstlane_b32 s24, v1
	s_mul_i32 s19, s0, s7
	s_mul_hi_u32 s25, s0, s24
	s_add_i32 s19, s25, s19
	s_mul_i32 s1, s1, s24
	s_add_i32 s19, s19, s1
	s_mul_i32 s0, s0, s24
	s_mul_hi_u32 s25, s7, s0
	s_mul_i32 s26, s7, s0
	s_mul_i32 s28, s24, s19
	s_mul_hi_u32 s0, s24, s0
	s_mul_hi_u32 s27, s24, s19
	s_add_u32 s0, s0, s28
	s_addc_u32 s24, 0, s27
	s_add_u32 s0, s0, s26
	s_mul_hi_u32 s1, s7, s19
	s_addc_u32 s0, s24, s25
	s_addc_u32 s1, s1, 0
	s_mul_i32 s19, s7, s19
	s_add_u32 s0, s0, s19
	s_addc_u32 s1, 0, s1
	v_add_co_u32_e32 v1, vcc, s0, v1
	s_cmp_lg_u64 vcc, 0
	s_addc_u32 s7, s7, s1
	s_ashr_i32 s24, 0, 31
	s_add_u32 s0, s38, s24
	s_mov_b32 s25, s24
	s_addc_u32 s1, 0, s24
	s_xor_b64 s[26:27], s[0:1], s[24:25]
	v_readfirstlane_b32 s19, v1
	s_mul_i32 s1, s26, s7
	s_mul_hi_u32 s28, s26, s19
	s_mul_hi_u32 s0, s26, s7
	s_add_u32 s1, s28, s1
	s_addc_u32 s0, 0, s0
	s_mul_hi_u32 s29, s27, s19
	s_mul_i32 s19, s27, s19
	s_add_u32 s1, s1, s19
	s_mul_hi_u32 s28, s27, s7
	s_addc_u32 s0, s0, s29
	s_addc_u32 s1, s28, 0
	s_mul_i32 s7, s27, s7
	s_add_u32 s7, s0, s7
	s_addc_u32 s19, 0, s1
	s_mul_i32 s0, s22, s19
	s_mul_hi_u32 s1, s22, s7
	s_add_i32 s0, s1, s0
	s_mul_i32 s1, s23, s7
	s_add_i32 s28, s0, s1
	s_mul_i32 s1, s22, s7
	v_mov_b32_e32 v1, s1
	s_sub_i32 s0, s27, s28
	v_sub_co_u32_e32 v1, vcc, s26, v1
	s_cmp_lg_u64 vcc, 0
	s_subb_u32 s26, s0, s23
	v_subrev_co_u32_e64 v2, s[0:1], s22, v1
	s_cmp_lg_u64 s[0:1], 0
	s_subb_u32 s0, s26, 0
	s_cmp_ge_u32 s0, s23
	v_readfirstlane_b32 s26, v2
	s_cselect_b32 s1, -1, 0
	s_cmp_ge_u32 s26, s22
	s_cselect_b32 s26, -1, 0
	s_cmp_eq_u32 s0, s23
	s_cselect_b32 s0, s26, s1
	s_add_u32 s1, s7, 1
	s_addc_u32 s26, s19, 0
	s_add_u32 s29, s7, 2
	s_addc_u32 s30, s19, 0
	s_cmp_lg_u32 s0, 0
	s_cselect_b32 s0, s29, s1
	s_cselect_b32 s1, s30, s26
	s_cmp_lg_u64 vcc, 0
	s_subb_u32 s26, s27, s28
	s_cmp_ge_u32 s26, s23
	v_readfirstlane_b32 s28, v1
	s_cselect_b32 s27, -1, 0
	s_cmp_ge_u32 s28, s22
	s_cselect_b32 s22, -1, 0
	s_cmp_eq_u32 s26, s23
	s_cselect_b32 s22, s22, s27
	s_cmp_lg_u32 s22, 0
	s_cselect_b32 s1, s1, s19
	s_cselect_b32 s0, s0, s7
	s_xor_b64 s[12:13], s[24:25], s[12:13]
	s_load_dwordx4 s[24:27], s[4:5], 0x370
	s_xor_b64 s[0:1], s[0:1], s[12:13]
	s_sub_u32 s40, s0, s12
	s_subb_u32 s41, s1, s13
	s_cbranch_execnz .LBB6_21
.LBB6_20:
	s_waitcnt lgkmcnt(0)
	v_cvt_f32_u32_e32 v1, s26
	s_sub_i32 s0, 0, s26
	s_mov_b32 s41, 0
	v_rcp_iflag_f32_e32 v1, v1
	v_mul_f32_e32 v1, 0x4f7ffffe, v1
	v_cvt_u32_f32_e32 v1, v1
	v_readfirstlane_b32 s1, v1
	s_mul_i32 s0, s0, s1
	s_mul_hi_u32 s0, s1, s0
	s_add_i32 s1, s1, s0
	s_mul_hi_u32 s0, s38, s1
	s_mul_i32 s7, s0, s26
	s_sub_i32 s7, s38, s7
	s_add_i32 s1, s0, 1
	s_sub_i32 s12, s7, s26
	s_cmp_ge_u32 s7, s26
	s_cselect_b32 s0, s1, s0
	s_cselect_b32 s7, s12, s7
	s_add_i32 s1, s0, 1
	s_cmp_ge_u32 s7, s26
	s_cselect_b32 s40, s1, s0
.LBB6_21:
	s_load_dwordx2 s[22:23], s[4:5], 0xe0
	s_load_dwordx4 s[12:15], s[4:5], 0xd0
	s_waitcnt lgkmcnt(0)
	s_or_b64 s[0:1], s[40:41], s[24:25]
	s_mov_b32 s0, 0
	s_cmp_lg_u64 s[0:1], 0
	s_cbranch_scc0 .LBB6_24
; %bb.22:
	s_ashr_i32 s26, s25, 31
	s_add_u32 s0, s24, s26
	s_mov_b32 s27, s26
	s_addc_u32 s1, s25, s26
	s_xor_b64 s[28:29], s[0:1], s[26:27]
	v_cvt_f32_u32_e32 v1, s28
	v_cvt_f32_u32_e32 v2, s29
	s_sub_u32 s0, 0, s28
	s_subb_u32 s1, 0, s29
	s_mov_b64 s[24:25], 0
	v_madmk_f32 v1, v2, 0x4f800000, v1
	v_rcp_f32_e32 v1, v1
	v_mul_f32_e32 v1, 0x5f7ffffc, v1
	v_mul_f32_e32 v2, 0x2f800000, v1
	v_trunc_f32_e32 v2, v2
	v_madmk_f32 v1, v2, 0xcf800000, v1
	v_cvt_u32_f32_e32 v2, v2
	v_cvt_u32_f32_e32 v1, v1
	v_readfirstlane_b32 s7, v2
	v_readfirstlane_b32 s19, v1
	s_mul_i32 s30, s0, s7
	s_mul_hi_u32 s33, s0, s19
	s_mul_i32 s31, s1, s19
	s_add_i32 s30, s33, s30
	s_add_i32 s30, s30, s31
	s_mul_i32 s34, s0, s19
	s_mul_hi_u32 s31, s19, s30
	s_mul_i32 s33, s19, s30
	s_mul_hi_u32 s19, s19, s34
	s_add_u32 s19, s19, s33
	s_addc_u32 s31, 0, s31
	s_mul_hi_u32 s35, s7, s34
	s_mul_i32 s34, s7, s34
	s_add_u32 s19, s19, s34
	s_mul_hi_u32 s33, s7, s30
	s_addc_u32 s19, s31, s35
	s_addc_u32 s31, s33, 0
	s_mul_i32 s30, s7, s30
	s_add_u32 s19, s19, s30
	s_addc_u32 s30, 0, s31
	v_add_co_u32_e32 v1, vcc, s19, v1
	s_cmp_lg_u64 vcc, 0
	s_addc_u32 s7, s7, s30
	v_readfirstlane_b32 s30, v1
	s_mul_i32 s19, s0, s7
	s_mul_hi_u32 s31, s0, s30
	s_add_i32 s19, s31, s19
	s_mul_i32 s1, s1, s30
	s_add_i32 s19, s19, s1
	s_mul_i32 s0, s0, s30
	s_mul_hi_u32 s31, s7, s0
	s_mul_i32 s33, s7, s0
	s_mul_i32 s35, s30, s19
	s_mul_hi_u32 s0, s30, s0
	s_mul_hi_u32 s34, s30, s19
	s_add_u32 s0, s0, s35
	s_addc_u32 s30, 0, s34
	s_add_u32 s0, s0, s33
	s_mul_hi_u32 s1, s7, s19
	s_addc_u32 s0, s30, s31
	s_addc_u32 s1, s1, 0
	s_mul_i32 s19, s7, s19
	s_add_u32 s0, s0, s19
	s_addc_u32 s1, 0, s1
	v_add_co_u32_e32 v1, vcc, s0, v1
	s_cmp_lg_u64 vcc, 0
	s_addc_u32 s7, s7, s1
	s_ashr_i32 s30, s41, 31
	s_add_u32 s0, s40, s30
	s_mov_b32 s31, s30
	s_addc_u32 s1, s41, s30
	s_xor_b64 s[34:35], s[0:1], s[30:31]
	v_readfirstlane_b32 s19, v1
	s_mul_i32 s1, s34, s7
	s_mul_hi_u32 s33, s34, s19
	s_mul_hi_u32 s0, s34, s7
	s_add_u32 s1, s33, s1
	s_addc_u32 s0, 0, s0
	s_mul_hi_u32 s36, s35, s19
	s_mul_i32 s19, s35, s19
	s_add_u32 s1, s1, s19
	s_mul_hi_u32 s33, s35, s7
	s_addc_u32 s0, s0, s36
	s_addc_u32 s1, s33, 0
	s_mul_i32 s7, s35, s7
	s_add_u32 s7, s0, s7
	s_addc_u32 s19, 0, s1
	s_mul_i32 s0, s28, s19
	s_mul_hi_u32 s1, s28, s7
	s_add_i32 s0, s1, s0
	s_mul_i32 s1, s29, s7
	s_add_i32 s33, s0, s1
	s_mul_i32 s1, s28, s7
	v_mov_b32_e32 v1, s1
	s_sub_i32 s0, s35, s33
	v_sub_co_u32_e32 v1, vcc, s34, v1
	s_cmp_lg_u64 vcc, 0
	s_subb_u32 s34, s0, s29
	v_subrev_co_u32_e64 v2, s[0:1], s28, v1
	s_cmp_lg_u64 s[0:1], 0
	s_subb_u32 s0, s34, 0
	s_cmp_ge_u32 s0, s29
	v_readfirstlane_b32 s34, v2
	s_cselect_b32 s1, -1, 0
	s_cmp_ge_u32 s34, s28
	s_cselect_b32 s34, -1, 0
	s_cmp_eq_u32 s0, s29
	s_cselect_b32 s0, s34, s1
	s_add_u32 s1, s7, 1
	s_addc_u32 s34, s19, 0
	s_add_u32 s36, s7, 2
	s_addc_u32 s37, s19, 0
	s_cmp_lg_u32 s0, 0
	s_cselect_b32 s0, s36, s1
	s_cselect_b32 s1, s37, s34
	s_cmp_lg_u64 vcc, 0
	s_subb_u32 s33, s35, s33
	s_cmp_ge_u32 s33, s29
	v_readfirstlane_b32 s35, v1
	s_cselect_b32 s34, -1, 0
	s_cmp_ge_u32 s35, s28
	s_cselect_b32 s28, -1, 0
	s_cmp_eq_u32 s33, s29
	s_cselect_b32 s28, s28, s34
	s_cmp_lg_u32 s28, 0
	s_cselect_b32 s1, s1, s19
	s_cselect_b32 s0, s0, s7
	s_xor_b64 s[26:27], s[30:31], s[26:27]
	s_xor_b64 s[0:1], s[0:1], s[26:27]
	s_sub_u32 s0, s0, s26
	s_subb_u32 s1, s1, s27
	v_writelane_b32 v48, s0, 24
	v_writelane_b32 v48, s1, 25
	s_branch .LBB6_25
.LBB6_23:
                                        ; implicit-def: $sgpr40_sgpr41
	s_branch .LBB6_20
.LBB6_24:
	s_mov_b64 s[24:25], -1
                                        ; implicit-def: $sgpr0_sgpr1
                                        ; kill: killed $sgpr0_sgpr1
.LBB6_25:
	s_load_dwordx2 s[0:1], s[4:5], 0x440
	s_load_dwordx4 s[28:31], s[4:5], 0x430
	s_andn2_b64 vcc, exec, s[24:25]
	s_waitcnt lgkmcnt(0)
	v_writelane_b32 v48, s0, 12
	v_writelane_b32 v48, s1, 13
	s_load_dwordx2 s[0:1], s[4:5], 0x2a0
	v_writelane_b32 v48, s28, 14
	v_writelane_b32 v48, s29, 15
	;; [unrolled: 1-line block ×4, first 2 shown]
	s_load_dwordx4 s[28:31], s[4:5], 0x290
	s_waitcnt lgkmcnt(0)
	v_writelane_b32 v48, s0, 18
	v_writelane_b32 v48, s1, 19
	s_load_dwordx2 s[0:1], s[4:5], 0x0
	v_writelane_b32 v48, s28, 20
	v_writelane_b32 v48, s29, 21
	;; [unrolled: 1-line block ×4, first 2 shown]
	s_cbranch_vccnz .LBB6_27
; %bb.26:
	s_load_dwordx4 s[28:31], s[4:5], 0x370
	s_mov_b32 s27, 0
	s_waitcnt lgkmcnt(0)
	v_cvt_f32_u32_e32 v1, s28
	s_sub_i32 s7, 0, s28
	v_rcp_iflag_f32_e32 v1, v1
	v_mul_f32_e32 v1, 0x4f7ffffe, v1
	v_cvt_u32_f32_e32 v1, v1
	v_readfirstlane_b32 s19, v1
	s_mul_i32 s7, s7, s19
	s_mul_hi_u32 s7, s19, s7
	s_add_i32 s19, s19, s7
	s_mul_hi_u32 s7, s40, s19
	s_mul_i32 s24, s7, s28
	s_sub_i32 s24, s40, s24
	s_add_i32 s19, s7, 1
	s_sub_i32 s25, s24, s28
	s_cmp_ge_u32 s24, s28
	s_cselect_b32 s7, s19, s7
	s_cselect_b32 s24, s25, s24
	s_add_i32 s19, s7, 1
	s_cmp_ge_u32 s24, s28
	s_cselect_b32 s26, s19, s7
	v_writelane_b32 v48, s26, 24
	v_writelane_b32 v48, s27, 25
.LBB6_27:
	s_load_dwordx2 s[24:25], s[4:5], 0x360
	v_writelane_b32 v48, s40, 26
	s_load_dwordx2 s[4:5], s[4:5], 0x1c0
	v_writelane_b32 v48, s41, 27
	s_mov_b32 s93, 0
	s_waitcnt lgkmcnt(0)
	v_writelane_b32 v48, s24, 28
	v_writelane_b32 v48, s25, 29
	;; [unrolled: 1-line block ×4, first 2 shown]
	v_cmp_eq_u32_e64 s[24:25], 0, v0
	s_mov_b64 s[4:5], exec
	v_writelane_b32 v48, s24, 32
	v_writelane_b32 v48, s25, 33
	s_and_b64 s[24:25], s[4:5], s[24:25]
	s_mov_b64 exec, s[24:25]
	s_cbranch_execz .LBB6_29
; %bb.28:
	v_mov_b32_e32 v2, 0
	v_mov_b32_e32 v4, s52
	;; [unrolled: 1-line block ×4, first 2 shown]
	ds_write_b32 v2, v2 offset:5136
	ds_write_b128 v2, v[2:5] offset:5120
.LBB6_29:
	s_or_b64 exec, exec, s[4:5]
	s_mul_i32 s4, s20, s9
	s_mul_hi_u32 s5, s20, s8
	s_add_i32 s4, s5, s4
	s_mul_i32 s5, s21, s8
	s_add_i32 s4, s4, s5
	s_mul_i32 s5, s20, s8
	s_sub_u32 s5, s2, s5
	s_subb_u32 s4, s3, s4
	s_mul_i32 s7, s5, s15
	s_mul_hi_u32 s8, s5, s14
	s_add_i32 s7, s8, s7
	s_mul_i32 s4, s4, s14
	s_add_i32 s7, s7, s4
	s_mul_i32 s8, s5, s14
	s_mul_i32 s4, s20, s13
	s_mul_hi_u32 s5, s20, s12
	s_add_i32 s4, s5, s4
	s_mul_i32 s5, s21, s12
	s_add_i32 s9, s4, s5
	s_mul_i32 s4, s2, s11
	s_mul_hi_u32 s5, s2, s10
	s_add_i32 s4, s5, s4
	s_mul_i32 s3, s3, s10
	s_add_i32 s4, s4, s3
	s_mul_i32 s2, s2, s10
	s_sub_u32 s2, s38, s2
	s_mov_b32 s10, s38
	s_subb_u32 s3, 0, s4
	s_mul_i32 s4, s2, s23
	s_mul_hi_u32 s5, s2, s22
	v_writelane_b32 v48, s10, 34
	s_add_i32 s4, s5, s4
	s_mul_i32 s3, s3, s22
	s_mul_i32 s12, s20, s12
	v_writelane_b32 v48, s11, 35
	s_add_i32 s10, s4, s3
	s_mul_i32 s11, s2, s22
	s_add_u32 s2, s0, s12
	s_addc_u32 s3, s1, s9
	s_add_u32 s2, s2, s8
	s_addc_u32 s3, s3, s7
	v_mbcnt_lo_u32_b32 v1, -1, 0
	s_add_u32 s14, s2, s11
	v_mbcnt_hi_u32_b32 v36, -1, v1
	s_addc_u32 s15, s3, s10
	v_cmp_gt_u32_e32 vcc, 64, v0
	v_cmp_gt_i32_e64 s[2:3], 4, v36
	s_and_b64 s[86:87], vcc, s[2:3]
	v_cmp_gt_u32_e64 s[2:3], 2, v0
	v_mov_b32_e32 v2, 0xc00
	v_writelane_b32 v48, s2, 36
	v_mov_b32_e32 v3, 0
	v_writelane_b32 v48, s3, 37
	v_cmp_gt_i64_e64 s[2:3], s[52:53], v[2:3]
	v_writelane_b32 v48, s2, 38
	v_writelane_b32 v48, s3, 39
	v_mov_b32_e32 v13, 0
	v_writelane_b32 v48, s14, 40
	v_pk_mov_b32 v[4:5], s[14:15], s[14:15] op_sel:[0,1]
	v_mov_b32_e32 v1, v13
	v_mad_u64_u32 v[2:3], s[2:3], v0, s58, 0
	v_mad_u64_u32 v[14:15], s[2:3], v0, s58, v[4:5]
	v_writelane_b32 v48, s15, 41
	v_cmp_gt_i64_e64 s[2:3], s[52:53], v[0:1]
	v_writelane_b32 v48, s2, 42
	s_waitcnt lgkmcnt(0)
	s_barrier
	v_writelane_b32 v48, s3, 43
	s_load_dword s2, s[16:17], 0xc
	v_lshrrev_b32_e32 v4, 4, v0
	v_and_b32_e32 v37, 60, v4
	v_lshlrev_b32_e32 v4, 2, v36
	v_lshlrev_b32_e32 v16, 2, v0
	s_waitcnt lgkmcnt(0)
	s_and_b32 s33, s2, 0xffff
	s_bfe_u32 s13, s2, 0xa0006
	v_cmp_gt_u16_e64 s[2:3], s2, 63
	v_writelane_b32 v48, s2, 44
	v_writelane_b32 v48, s3, 45
	s_add_u32 s2, s33, -1
	s_addc_u32 s3, 0, -1
	s_add_u32 s73, s2, s52
	s_addc_u32 s85, s3, s53
	s_cmp_lt_u32 s6, s18
	v_writelane_b32 v48, s2, 46
	s_cselect_b32 s2, 12, 18
	s_add_u32 s90, s16, s2
	s_addc_u32 s91, s17, 0
	s_add_i32 s2, s13, -1
	s_bfe_u32 s6, s33, 0x30006
	s_cmp_gt_u32 s2, 6
	v_writelane_b32 v48, s3, 47
	s_cselect_b64 s[14:15], -1, 0
	v_writelane_b32 v48, s14, 48
	s_and_b32 s2, s13, 0x3f8
	v_writelane_b32 v48, s15, 49
	s_cmp_lg_u32 s6, 0
	v_writelane_b32 v48, s6, 50
	s_cselect_b64 s[14:15], -1, 0
	s_add_u32 s6, s12, s11
	s_addc_u32 s9, s9, s10
	s_add_u32 s6, s6, s8
	v_and_b32_e32 v38, 0x100, v4
	v_lshlrev_b64 v[4:5], v36, -1
	s_addc_u32 s7, s9, s7
	v_not_b32_e32 v19, v5
	s_add_u32 s6, s0, s6
	v_or_b32_e32 v5, 3, v16
	s_addc_u32 s7, s1, s7
	v_mad_u64_u32 v[20:21], s[0:1], s58, v5, 0
	v_not_b32_e32 v18, v4
	v_mov_b32_e32 v4, v21
	v_writelane_b32 v48, s14, 51
	v_mad_u64_u32 v[4:5], s[0:1], s59, v5, v[4:5]
	v_writelane_b32 v48, s15, 52
	s_lshl_b64 s[0:1], s[58:59], 2
	v_writelane_b32 v48, s0, 53
	v_or_b32_e32 v5, 2, v16
	v_writelane_b32 v48, s1, 54
	v_mad_u64_u32 v[22:23], s[0:1], s58, v5, 0
	v_mul_lo_u32 v6, v0, s59
	v_mov_b32_e32 v21, v4
	v_mov_b32_e32 v4, v23
	v_add_u32_e32 v3, v3, v6
	v_mad_u64_u32 v[4:5], s[0:1], s59, v5, v[4:5]
	v_mov_b32_e32 v23, v4
	v_pk_mov_b32 v[4:5], s[58:59], s[58:59] op_sel:[0,1]
	v_lshlrev_b64 v[26:27], 2, v[2:3]
	v_mov_b32_e32 v2, s53
	v_add_co_u32_e32 v39, vcc, s52, v0
	v_mad_u64_u32 v[24:25], s[0:1], s58, v16, v[4:5]
	v_addc_co_u32_e32 v40, vcc, 0, v2, vcc
	v_mov_b32_e32 v2, 0xc00
	v_mov_b32_e32 v4, v25
	v_lshl_or_b32 v41, v36, 3, v2
	v_writelane_b32 v48, s6, 55
	v_pk_mov_b32 v[2:3], s[6:7], s[6:7] op_sel:[0,1]
	v_mad_u64_u32 v[4:5], s[0:1], s59, v16, v[4:5]
	v_mad_u64_u32 v[10:11], s[0:1], v0, s58, v[2:3]
	s_mul_i32 s0, s59, s33
	s_mul_hi_u32 s1, s58, s33
	v_cmp_eq_u32_e64 s[4:5], 0, v36
	v_add_u32_e32 v15, v6, v15
	v_mov_b32_e32 v17, v13
	s_mov_b32 s94, s93
	s_mov_b32 s3, 6
	v_mov_b32_e32 v25, v4
	v_add_u32_e32 v11, v6, v11
	s_add_i32 s95, s1, s0
	s_mul_i32 s72, s58, s33
	s_mov_b64 s[78:79], 0
	v_cvt_f32_ubyte0_e32 v42, 0
	v_mov_b32_e32 v43, 0
	s_mov_b32 s26, 0
	s_mov_b32 s74, 0
	;; [unrolled: 1-line block ×3, first 2 shown]
	v_writelane_b32 v48, s7, 56
                                        ; implicit-def: $sgpr82_sgpr83
                                        ; implicit-def: $sgpr62_sgpr63
                                        ; implicit-def: $sgpr60_sgpr61
                                        ; implicit-def: $sgpr64_sgpr65
                                        ; implicit-def: $sgpr66_sgpr67
                                        ; implicit-def: $sgpr76_sgpr77
	s_branch .LBB6_34
.LBB6_30:                               ;   in Loop: Header=BB6_34 Depth=1
	s_xor_b32 s26, s26, 1
	s_add_i32 s12, s3, -2
	s_cmp_eq_u32 s3, 0
	s_mov_b64 s[6:7], 0
	s_cselect_b64 s[8:9], -1, 0
	s_mov_b32 s3, s12
.LBB6_31:                               ;   in Loop: Header=BB6_34 Depth=1
	s_andn2_b64 s[12:13], s[18:19], exec
	s_and_b64 s[6:7], s[6:7], exec
	s_or_b64 s[18:19], s[12:13], s[6:7]
	s_andn2_b64 s[20:21], s[20:21], exec
	s_andn2_b64 s[16:17], s[16:17], exec
	s_orn2_b64 s[12:13], s[8:9], exec
.LBB6_32:                               ;   in Loop: Header=BB6_34 Depth=1
	s_or_b64 exec, exec, s[0:1]
	s_andn2_b64 s[0:1], s[76:77], exec
	s_and_b64 s[6:7], s[18:19], exec
	s_or_b64 s[76:77], s[0:1], s[6:7]
	s_andn2_b64 s[0:1], s[66:67], exec
	s_and_b64 s[6:7], s[20:21], exec
	s_or_b64 s[66:67], s[0:1], s[6:7]
	s_andn2_b64 s[0:1], s[64:65], exec
	s_and_b64 s[6:7], s[16:17], exec
	s_or_b64 s[64:65], s[0:1], s[6:7]
	s_orn2_b64 s[16:17], s[12:13], exec
.LBB6_33:                               ;   in Loop: Header=BB6_34 Depth=1
	s_or_b64 exec, exec, s[10:11]
	s_and_b64 s[0:1], exec, s[16:17]
	s_or_b64 s[78:79], s[0:1], s[78:79]
	s_andn2_b64 s[0:1], s[60:61], exec
	s_and_b64 s[6:7], s[76:77], exec
	s_or_b64 s[60:61], s[0:1], s[6:7]
	s_andn2_b64 s[0:1], s[62:63], exec
	s_and_b64 s[6:7], s[66:67], exec
	;; [unrolled: 3-line block ×3, first 2 shown]
	v_mov_b32_e32 v2, s74
	s_or_b64 s[82:83], s[0:1], s[6:7]
	s_andn2_b64 exec, exec, s[78:79]
	s_cbranch_execz .LBB6_293
.LBB6_34:                               ; =>This Loop Header: Depth=1
                                        ;     Child Loop BB6_39 Depth 2
                                        ;     Child Loop BB6_58 Depth 2
	;; [unrolled: 1-line block ×16, first 2 shown]
	ds_read_b128 v[2:5], v13 offset:5120
	s_waitcnt lgkmcnt(0)
	v_readfirstlane_b32 s81, v3
	v_readfirstlane_b32 s80, v2
	v_cmp_gt_i64_e64 s[0:1], s[80:81], 0
	s_and_b64 vcc, exec, s[0:1]
	s_cbranch_vccnz .LBB6_65
; %bb.35:                               ;   in Loop: Header=BB6_34 Depth=1
	v_readlane_b32 s0, v48, 38
	v_readlane_b32 s1, v48, 39
	s_and_b64 vcc, exec, s[0:1]
	s_cbranch_vccz .LBB6_47
; %bb.36:                               ;   in Loop: Header=BB6_34 Depth=1
	s_mov_b64 s[0:1], 0xc01
	v_cmp_gt_i64_e32 vcc, s[0:1], v[4:5]
	s_mov_b64 s[0:1], 0
	s_mov_b64 s[6:7], 0
	s_cbranch_vccz .LBB6_52
; %bb.37:                               ;   in Loop: Header=BB6_34 Depth=1
	global_load_ushort v6, v13, s[90:91]
	global_load_ubyte v7, v[14:15], off
	v_readlane_b32 s6, v48, 55
	v_readlane_b32 s7, v48, 56
	v_pk_mov_b32 v[2:3], s[6:7], s[6:7] op_sel:[0,1]
	s_mov_b64 s[8:9], 0
	s_waitcnt vmcnt(1)
	v_readfirstlane_b32 s6, v6
	s_and_b32 s6, 0xffff, s6
	v_add_u32_e32 v5, s6, v0
	s_mul_i32 s10, s59, s6
	s_mul_hi_u32 s11, s58, s6
	s_mul_i32 s18, s58, s6
	v_mad_u64_u32 v[2:3], s[6:7], s58, v5, v[2:3]
	v_mov_b32_e32 v4, v3
	v_mad_u64_u32 v[4:5], s[6:7], s59, v5, v[4:5]
	s_add_i32 s19, s11, s10
	v_mov_b32_e32 v3, v4
	v_pk_mov_b32 v[4:5], v[0:1], v[0:1] op_sel:[0,1]
	s_branch .LBB6_39
.LBB6_38:                               ;   in Loop: Header=BB6_39 Depth=2
	s_or_b64 exec, exec, s[6:7]
	v_mov_b32_e32 v7, s19
	v_add_co_u32_e32 v2, vcc, s18, v2
	v_addc_co_u32_e32 v3, vcc, v3, v7, vcc
	v_mov_b32_e32 v7, v8
	s_andn2_b64 exec, exec, s[8:9]
	s_cbranch_execz .LBB6_48
.LBB6_39:                               ;   Parent Loop BB6_34 Depth=1
                                        ; =>  This Inner Loop Header: Depth=2
	v_add_co_u32_sdwa v4, vcc, v4, v6 dst_sel:DWORD dst_unused:UNUSED_PAD src0_sel:DWORD src1_sel:WORD_0
	v_addc_co_u32_e32 v5, vcc, 0, v5, vcc
	v_cmp_gt_i64_e64 s[6:7], s[52:53], v[4:5]
	v_cmp_le_i64_e32 vcc, s[52:53], v[4:5]
	s_waitcnt lgkmcnt(0)
	v_mov_b32_e32 v9, 0
	v_mov_b32_e32 v8, 0
	s_and_saveexec_b64 s[10:11], s[6:7]
	s_cbranch_execz .LBB6_41
; %bb.40:                               ;   in Loop: Header=BB6_39 Depth=2
	global_load_ubyte v8, v[2:3], off
.LBB6_41:                               ;   in Loop: Header=BB6_39 Depth=2
	s_or_b64 exec, exec, s[10:11]
	s_waitcnt vmcnt(0)
	v_and_b32_e32 v12, s27, v7
	v_cmp_eq_u32_sdwa s[10:11], v12, s74 src0_sel:BYTE_0 src1_sel:DWORD
	s_cmp_lg_u64 s[10:11], 0
	s_cselect_b64 s[6:7], -1, 0
	s_and_b64 s[6:7], s[4:5], s[6:7]
	s_and_saveexec_b64 s[12:13], s[6:7]
	s_cbranch_execz .LBB6_45
; %bb.42:                               ;   in Loop: Header=BB6_39 Depth=2
	s_mov_b64 s[16:17], exec
	v_mbcnt_lo_u32_b32 v9, s16, 0
	v_mbcnt_hi_u32_b32 v9, s17, v9
	s_bcnt1_i32_b64 s20, s[10:11]
	v_cmp_eq_u32_e64 s[6:7], 0, v9
                                        ; implicit-def: $vgpr12
	s_and_saveexec_b64 s[14:15], s[6:7]
	s_cbranch_execz .LBB6_44
; %bb.43:                               ;   in Loop: Header=BB6_39 Depth=2
	s_bcnt1_i32_b64 s6, s[16:17]
	s_mul_i32 s6, s20, s6
	v_mov_b32_e32 v12, s6
	ds_add_rtn_u32 v12, v13, v12 offset:5136
.LBB6_44:                               ;   in Loop: Header=BB6_39 Depth=2
	s_or_b64 exec, exec, s[14:15]
	s_waitcnt lgkmcnt(0)
	v_readfirstlane_b32 s6, v12
	v_mov_b32_e32 v12, s6
	v_mad_u32_u24 v9, s20, v9, v12
.LBB6_45:                               ;   in Loop: Header=BB6_39 Depth=2
	s_or_b64 exec, exec, s[12:13]
	ds_bpermute_b32 v9, v38, v9
	s_and_b64 s[6:7], exec, vcc
	s_or_b64 s[8:9], s[6:7], s[8:9]
	s_and_saveexec_b64 s[6:7], s[10:11]
	s_cbranch_execz .LBB6_38
; %bb.46:                               ;   in Loop: Header=BB6_39 Depth=2
	v_and_b32_e32 v28, s10, v18
	v_and_b32_e32 v12, s11, v19
	v_bcnt_u32_b32 v28, v28, 0
	v_bcnt_u32_b32 v12, v12, v28
	s_waitcnt lgkmcnt(0)
	v_add_u32_e32 v9, v9, v12
	ds_write_b8 v9, v7
	s_branch .LBB6_38
.LBB6_47:                               ;   in Loop: Header=BB6_34 Depth=1
	s_mov_b64 s[0:1], -1
	s_mov_b64 s[6:7], 0
	s_branch .LBB6_51
.LBB6_48:                               ;   in Loop: Header=BB6_34 Depth=1
	s_or_b64 exec, exec, s[8:9]
	s_waitcnt lgkmcnt(0)
	s_barrier
	s_mov_b64 s[6:7], exec
	v_readlane_b32 s8, v48, 32
	v_readlane_b32 s9, v48, 33
	s_and_b64 s[8:9], s[6:7], s[8:9]
	s_mov_b64 exec, s[8:9]
	s_cbranch_execz .LBB6_50
; %bb.49:                               ;   in Loop: Header=BB6_34 Depth=1
	ds_read_b32 v2, v13 offset:5136
	s_waitcnt lgkmcnt(0)
	v_ashrrev_i32_e32 v3, 31, v2
	ds_write_b64 v13, v[2:3] offset:5120
.LBB6_50:                               ;   in Loop: Header=BB6_34 Depth=1
	s_or_b64 exec, exec, s[6:7]
	s_waitcnt lgkmcnt(0)
	s_barrier
	s_mov_b64 s[6:7], -1
.LBB6_51:                               ;   in Loop: Header=BB6_34 Depth=1
                                        ; implicit-def: $sgpr80_sgpr81
.LBB6_52:                               ;   in Loop: Header=BB6_34 Depth=1
	s_and_b64 vcc, exec, s[0:1]
	s_cbranch_vccz .LBB6_63
; %bb.53:                               ;   in Loop: Header=BB6_34 Depth=1
	v_mov_b32_e32 v6, 0
	s_mov_b64 s[0:1], exec
	v_readlane_b32 s6, v48, 42
	v_readlane_b32 s7, v48, 43
	s_and_b64 s[6:7], s[0:1], s[6:7]
	s_mov_b64 exec, s[6:7]
	s_cbranch_execz .LBB6_55
; %bb.54:                               ;   in Loop: Header=BB6_34 Depth=1
	global_load_ubyte v6, v[14:15], off
.LBB6_55:                               ;   in Loop: Header=BB6_34 Depth=1
	s_or_b64 exec, exec, s[0:1]
	s_mov_b64 s[0:1], exec
	v_readlane_b32 s6, v48, 42
	v_readlane_b32 s7, v48, 43
	s_and_b64 s[6:7], s[0:1], s[6:7]
	s_mov_b64 exec, s[6:7]
	s_cbranch_execz .LBB6_60
; %bb.56:                               ;   in Loop: Header=BB6_34 Depth=1
	global_load_ushort v7, v13, s[90:91]
	v_readlane_b32 s6, v48, 55
	v_readlane_b32 s7, v48, 56
	v_pk_mov_b32 v[2:3], s[6:7], s[6:7] op_sel:[0,1]
	s_mov_b64 s[8:9], 0
	v_mov_b32_e32 v8, v0
	s_waitcnt vmcnt(0)
	v_readfirstlane_b32 s6, v7
	s_and_b32 s12, 0xffff, s6
	v_add_u32_e32 v5, s12, v0
	v_mad_u64_u32 v[2:3], s[6:7], s58, v5, v[2:3]
	v_mov_b32_e32 v4, v3
	s_mul_i32 s10, s59, s12
	s_mul_hi_u32 s11, s58, s12
	v_mad_u64_u32 v[4:5], s[6:7], s59, v5, v[4:5]
	s_mul_i32 s13, s58, s12
	s_add_i32 s14, s11, s10
	v_mov_b32_e32 v3, v4
	v_pk_mov_b32 v[4:5], v[0:1], v[0:1] op_sel:[0,1]
	s_branch .LBB6_58
.LBB6_57:                               ;   in Loop: Header=BB6_58 Depth=2
	s_or_b64 exec, exec, s[10:11]
	s_and_b64 s[6:7], exec, vcc
	ds_write_b8 v8, v6
	v_mov_b32_e32 v6, s14
	v_add_co_u32_e32 v2, vcc, s13, v2
	s_or_b64 s[8:9], s[6:7], s[8:9]
	v_add_u32_e32 v8, s12, v8
	v_addc_co_u32_e32 v3, vcc, v3, v6, vcc
	s_waitcnt vmcnt(0)
	v_mov_b32_e32 v6, v9
	s_andn2_b64 exec, exec, s[8:9]
	s_cbranch_execz .LBB6_60
.LBB6_58:                               ;   Parent Loop BB6_34 Depth=1
                                        ; =>  This Inner Loop Header: Depth=2
	v_add_co_u32_sdwa v4, vcc, v4, v7 dst_sel:DWORD dst_unused:UNUSED_PAD src0_sel:DWORD src1_sel:WORD_0
	v_addc_co_u32_e32 v5, vcc, 0, v5, vcc
	v_cmp_gt_i64_e64 s[6:7], s[52:53], v[4:5]
	v_cmp_le_i64_e32 vcc, s[52:53], v[4:5]
	v_mov_b32_e32 v9, 0
	s_and_saveexec_b64 s[10:11], s[6:7]
	s_cbranch_execz .LBB6_57
; %bb.59:                               ;   in Loop: Header=BB6_58 Depth=2
	global_load_ubyte v9, v[2:3], off
	s_branch .LBB6_57
.LBB6_60:                               ;   in Loop: Header=BB6_34 Depth=1
	s_or_b64 exec, exec, s[0:1]
	s_waitcnt lgkmcnt(0)
	s_barrier
	s_mov_b64 s[0:1], exec
	v_readlane_b32 s6, v48, 32
	v_readlane_b32 s7, v48, 33
	s_and_b64 s[6:7], s[0:1], s[6:7]
	s_mov_b64 exec, s[6:7]
	s_cbranch_execz .LBB6_62
; %bb.61:                               ;   in Loop: Header=BB6_34 Depth=1
	v_pk_mov_b32 v[2:3], s[52:53], s[52:53] op_sel:[0,1]
	ds_write_b64 v13, v[2:3] offset:5120
.LBB6_62:                               ;   in Loop: Header=BB6_34 Depth=1
	s_or_b64 exec, exec, s[0:1]
	s_mov_b64 s[6:7], -1
	s_waitcnt lgkmcnt(0)
	s_barrier
                                        ; implicit-def: $sgpr80_sgpr81
.LBB6_63:                               ;   in Loop: Header=BB6_34 Depth=1
	s_and_b64 vcc, exec, s[6:7]
	s_cbranch_vccz .LBB6_65
; %bb.64:                               ;   in Loop: Header=BB6_34 Depth=1
	ds_read_b64 v[2:3], v13 offset:5120
	s_waitcnt lgkmcnt(0)
	v_readfirstlane_b32 s80, v2
.LBB6_65:                               ;   in Loop: Header=BB6_34 Depth=1
	s_cmp_lt_i32 s80, 1
	s_cbranch_scc0 .LBB6_80
; %bb.66:                               ;   in Loop: Header=BB6_34 Depth=1
	global_load_ushort v2, v13, s[90:91]
	s_mov_b32 s0, s93
	s_waitcnt vmcnt(0)
	v_readfirstlane_b32 s1, v2
	s_and_b32 s1, 0xffff, s1
	s_lshl_b32 s75, s1, 2
	s_mov_b32 s1, s53
	s_cmp_lg_u64 s[0:1], 0
	s_cbranch_scc0 .LBB6_100
; %bb.67:                               ;   in Loop: Header=BB6_34 Depth=1
	v_cvt_f32_u32_e32 v3, s75
	s_sub_u32 s0, 0, s75
	s_subb_u32 s1, 0, 0
	v_mac_f32_e32 v3, 0x4f800000, v42
	v_rcp_f32_e32 v3, v3
	v_mul_f32_e32 v3, 0x5f7ffffc, v3
	v_mul_f32_e32 v4, 0x2f800000, v3
	v_trunc_f32_e32 v4, v4
	v_mac_f32_e32 v3, 0xcf800000, v4
	v_cvt_u32_f32_e32 v4, v4
	v_cvt_u32_f32_e32 v3, v3
	v_readfirstlane_b32 s6, v4
	v_readfirstlane_b32 s7, v3
	s_mul_i32 s8, s0, s6
	s_mul_hi_u32 s10, s0, s7
	s_mul_i32 s9, s1, s7
	s_add_i32 s8, s10, s8
	s_mul_i32 s11, s0, s7
	s_add_i32 s8, s8, s9
	s_mul_hi_u32 s10, s7, s11
	s_mul_hi_u32 s9, s7, s8
	s_mul_i32 s7, s7, s8
	s_add_u32 s7, s10, s7
	s_addc_u32 s9, 0, s9
	s_mul_hi_u32 s12, s6, s11
	s_mul_i32 s11, s6, s11
	s_add_u32 s7, s7, s11
	s_mul_hi_u32 s10, s6, s8
	s_addc_u32 s7, s9, s12
	s_addc_u32 s9, s10, 0
	s_mul_i32 s8, s6, s8
	s_add_u32 s7, s7, s8
	s_addc_u32 s8, 0, s9
	v_add_co_u32_e32 v3, vcc, s7, v3
	s_cmp_lg_u64 vcc, 0
	s_addc_u32 s6, s6, s8
	v_readfirstlane_b32 s8, v3
	s_mul_i32 s7, s0, s6
	s_mul_hi_u32 s9, s0, s8
	s_add_i32 s7, s9, s7
	s_mul_i32 s1, s1, s8
	s_add_i32 s7, s7, s1
	s_mul_i32 s0, s0, s8
	s_mul_hi_u32 s9, s6, s0
	s_mul_i32 s10, s6, s0
	s_mul_i32 s12, s8, s7
	s_mul_hi_u32 s0, s8, s0
	s_mul_hi_u32 s11, s8, s7
	s_add_u32 s0, s0, s12
	s_addc_u32 s8, 0, s11
	s_add_u32 s0, s0, s10
	s_mul_hi_u32 s1, s6, s7
	s_addc_u32 s0, s8, s9
	s_addc_u32 s1, s1, 0
	s_mul_i32 s7, s6, s7
	s_add_u32 s0, s0, s7
	s_addc_u32 s1, 0, s1
	v_add_co_u32_e32 v3, vcc, s0, v3
	s_cmp_lg_u64 vcc, 0
	s_addc_u32 s8, s6, s1
	s_ashr_i32 s0, s53, 31
	s_add_u32 s6, s52, s0
	s_mov_b32 s1, s0
	s_addc_u32 s7, s53, s0
	s_xor_b64 s[6:7], s[6:7], s[0:1]
	v_readfirstlane_b32 s10, v3
	s_mul_i32 s9, s6, s8
	s_mul_hi_u32 s11, s6, s10
	s_mul_hi_u32 s1, s6, s8
	s_add_u32 s9, s11, s9
	s_addc_u32 s1, 0, s1
	s_mul_hi_u32 s12, s7, s10
	s_mul_i32 s10, s7, s10
	s_add_u32 s9, s9, s10
	s_mul_hi_u32 s11, s7, s8
	s_addc_u32 s1, s1, s12
	s_addc_u32 s9, s11, 0
	s_mul_i32 s8, s7, s8
	s_add_u32 s1, s1, s8
	s_addc_u32 s8, 0, s9
	s_mul_hi_u32 s9, s75, s1
	s_mul_i32 s1, s75, s1
	s_mul_i32 s8, s75, s8
	v_mov_b32_e32 v3, s1
	s_add_i32 s9, s9, s8
	v_sub_co_u32_e32 v3, vcc, s6, v3
	s_cmp_lg_u64 vcc, 0
	s_subb_u32 s1, s7, s9
	v_subrev_co_u32_e32 v4, vcc, s75, v3
	s_cmp_lg_u64 vcc, 0
	s_subb_u32 s6, s1, 0
	v_subrev_co_u32_e32 v5, vcc, s75, v4
	s_cmp_lg_u64 vcc, 0
	s_subb_u32 s7, s6, 0
	v_cmp_le_u32_e32 vcc, s75, v4
	s_cmp_eq_u32 s6, 0
	v_cndmask_b32_e64 v6, 0, -1, vcc
	s_cselect_b64 vcc, -1, 0
	v_cndmask_b32_e32 v6, -1, v6, vcc
	v_mov_b32_e32 v7, s6
	v_mov_b32_e32 v8, s7
	v_cmp_ne_u32_e32 vcc, 0, v6
	v_cndmask_b32_e32 v6, v7, v8, vcc
	v_cndmask_b32_e32 v4, v4, v5, vcc
	v_cmp_le_u32_e32 vcc, s75, v3
	s_cmp_eq_u32 s1, 0
	v_cndmask_b32_e64 v5, 0, -1, vcc
	s_cselect_b64 vcc, -1, 0
	v_cndmask_b32_e32 v5, -1, v5, vcc
	v_cmp_ne_u32_e32 vcc, 0, v5
	v_mov_b32_e32 v7, s1
	v_cndmask_b32_e32 v3, v3, v4, vcc
	v_cndmask_b32_e32 v5, v7, v6, vcc
	v_xor_b32_e32 v3, s0, v3
	v_xor_b32_e32 v4, s0, v5
	v_mov_b32_e32 v5, s0
	v_subrev_co_u32_e32 v28, vcc, s0, v3
	v_subb_co_u32_e32 v29, vcc, v4, v5, vcc
	s_cbranch_execnz .LBB6_69
.LBB6_68:                               ;   in Loop: Header=BB6_34 Depth=1
	v_cvt_f32_u32_e32 v3, s75
	s_sub_i32 s0, 0, s75
	v_rcp_iflag_f32_e32 v3, v3
	v_mul_f32_e32 v3, 0x4f7ffffe, v3
	v_cvt_u32_f32_e32 v3, v3
	v_mul_lo_u32 v4, s0, v3
	v_mul_hi_u32 v4, v3, v4
	v_add_u32_e32 v3, v3, v4
	v_mul_hi_u32 v3, s52, v3
	v_mul_lo_u32 v3, v3, s75
	v_sub_u32_e32 v3, s52, v3
	v_subrev_u32_e32 v4, s75, v3
	v_cmp_le_u32_e32 vcc, s75, v3
	v_cndmask_b32_e32 v3, v3, v4, vcc
	v_subrev_u32_e32 v4, s75, v3
	v_cmp_le_u32_e32 vcc, s75, v3
	v_cndmask_b32_e32 v12, v3, v4, vcc
	v_pk_mov_b32 v[28:29], v[12:13], v[12:13] op_sel:[0,1]
.LBB6_69:                               ;   in Loop: Header=BB6_34 Depth=1
	v_and_b32_e32 v12, 0xffff, v2
	v_mov_b32_e32 v2, s53
	v_sub_co_u32_e32 v30, vcc, s52, v28
	v_subb_co_u32_e32 v31, vcc, v2, v29, vcc
	v_pk_mov_b32 v[2:3], 0, 0
	v_cmp_gt_i64_e32 vcc, v[30:31], v[16:17]
	s_mov_b64 s[70:71], 0
	v_pk_mov_b32 v[4:5], v[2:3], v[2:3] op_sel:[0,1]
	v_pk_mov_b32 v[6:7], v[2:3], v[2:3] op_sel:[0,1]
	v_pk_mov_b32 v[8:9], v[2:3], v[2:3] op_sel:[0,1]
	s_and_saveexec_b64 s[68:69], vcc
	s_cbranch_execz .LBB6_73
; %bb.70:                               ;   in Loop: Header=BB6_34 Depth=1
	v_readlane_b32 s0, v48, 53
	v_readlane_b32 s1, v48, 54
	v_mul_lo_u32 v2, s1, v12
	v_mul_hi_u32 v3, s0, v12
	v_mul_lo_u32 v45, s0, v12
	v_readlane_b32 s0, v48, 40
	v_readlane_b32 s1, v48, 41
	s_and_b32 s81, s3, 0xfe
	v_add_u32_e32 v44, v3, v2
	v_pk_mov_b32 v[32:33], s[0:1], s[0:1] op_sel:[0,1]
	s_mov_b64 s[56:57], 0
	s_mov_b64 s[0:1], 0
	;; [unrolled: 1-line block ×4, first 2 shown]
	v_pk_mov_b32 v[34:35], v[16:17], v[16:17] op_sel:[0,1]
.LBB6_71:                               ;   Parent Loop BB6_34 Depth=1
                                        ; =>  This Inner Loop Header: Depth=2
	v_add_co_u32_e32 v2, vcc, v32, v26
	v_addc_co_u32_e32 v3, vcc, v33, v27, vcc
	v_add_co_u32_e32 v4, vcc, v32, v24
	v_addc_co_u32_e32 v5, vcc, v33, v25, vcc
	;; [unrolled: 2-line block ×4, first 2 shown]
	global_load_ubyte v2, v[2:3], off
	s_nop 0
	global_load_ubyte v3, v[4:5], off
	s_nop 0
	global_load_ubyte v4, v[6:7], off
	global_load_ubyte v5, v[8:9], off
	v_add_co_u32_e32 v34, vcc, s75, v34
	v_addc_co_u32_e32 v35, vcc, 0, v35, vcc
	v_add_co_u32_e32 v32, vcc, v32, v45
	v_addc_co_u32_e32 v33, vcc, v33, v44, vcc
	v_cmp_ge_i64_e32 vcc, v[34:35], v[30:31]
	s_waitcnt vmcnt(3)
	v_and_b32_e32 v6, s27, v2
	v_bfe_u32 v2, v2, s81, 2
	s_waitcnt vmcnt(2)
	v_and_b32_e32 v7, s27, v3
	v_bfe_u32 v3, v3, s81, 2
	v_cmp_eq_u32_e64 s[16:17], s74, v6
	v_cmp_eq_u32_e64 s[6:7], 0, v2
	s_waitcnt vmcnt(1)
	v_and_b32_e32 v8, s27, v4
	v_bfe_u32 v4, v4, s81, 2
	v_cmp_eq_u32_e64 s[14:15], s74, v7
	v_cmp_eq_u32_e64 s[28:29], 0, v3
	s_and_b64 s[6:7], s[16:17], s[6:7]
	s_waitcnt vmcnt(0)
	v_and_b32_e32 v9, s27, v5
	v_bfe_u32 v5, v5, s81, 2
	v_cmp_eq_u32_e64 s[12:13], s74, v8
	v_cmp_eq_u32_e64 s[30:31], 0, v4
	;; [unrolled: 1-line block ×5, first 2 shown]
	v_cndmask_b32_e64 v2, 0, 1, s[6:7]
	s_and_b64 s[6:7], s[14:15], s[28:29]
	v_cmp_eq_u32_e64 s[10:11], s74, v9
	v_cmp_eq_u32_e64 s[34:35], 0, v5
	;; [unrolled: 1-line block ×5, first 2 shown]
	v_cndmask_b32_e64 v3, 0, 1, s[6:7]
	s_and_b64 s[6:7], s[12:13], s[30:31]
	v_cmp_eq_u32_e64 s[40:41], 1, v4
	v_cmp_eq_u32_e64 s[48:49], 2, v4
	;; [unrolled: 1-line block ×3, first 2 shown]
	v_cndmask_b32_e64 v4, 0, 1, s[6:7]
	s_and_b64 s[6:7], s[10:11], s[34:35]
	v_cmp_eq_u32_e64 s[42:43], 1, v5
	v_cmp_eq_u32_e64 s[50:51], 2, v5
	;; [unrolled: 1-line block ×3, first 2 shown]
	v_cndmask_b32_e64 v5, 0, 1, s[6:7]
	v_cmp_ne_u32_e64 s[6:7], 0, v2
	v_cmp_ne_u32_e64 s[28:29], 0, v3
	v_cmp_ne_u32_e64 s[30:31], 0, v4
	v_cmp_ne_u32_e64 s[34:35], 0, v5
	s_bcnt1_i32_b64 s6, s[6:7]
	s_bcnt1_i32_b64 s7, s[28:29]
	s_bcnt1_i32_b64 s28, s[30:31]
	s_bcnt1_i32_b64 s29, s[34:35]
	s_add_u32 s6, s6, s88
	s_addc_u32 s30, 0, s89
	s_add_u32 s6, s6, s7
	s_addc_u32 s7, s30, 0
	s_add_u32 s6, s6, s28
	s_addc_u32 s7, s7, 0
	s_add_u32 s88, s6, s29
	s_addc_u32 s89, s7, 0
	s_and_b64 s[6:7], s[16:17], s[36:37]
	v_cndmask_b32_e64 v4, 0, 1, s[6:7]
	s_and_b64 s[6:7], s[14:15], s[38:39]
	v_cndmask_b32_e64 v5, 0, 1, s[6:7]
	s_and_b64 s[6:7], s[12:13], s[40:41]
	v_cndmask_b32_e64 v6, 0, 1, s[6:7]
	s_and_b64 s[6:7], s[10:11], s[42:43]
	v_cndmask_b32_e64 v7, 0, 1, s[6:7]
	v_cmp_ne_u32_e64 s[6:7], 0, v4
	v_cmp_ne_u32_e64 s[28:29], 0, v5
	v_cmp_ne_u32_e64 s[30:31], 0, v6
	v_cmp_ne_u32_e64 s[34:35], 0, v7
	s_bcnt1_i32_b64 s6, s[6:7]
	s_bcnt1_i32_b64 s7, s[28:29]
	s_bcnt1_i32_b64 s28, s[30:31]
	s_bcnt1_i32_b64 s29, s[34:35]
	s_add_u32 s6, s6, s8
	s_addc_u32 s8, 0, s9
	s_add_u32 s6, s6, s7
	s_addc_u32 s7, s8, 0
	s_add_u32 s6, s6, s28
	s_addc_u32 s7, s7, 0
	s_add_u32 s8, s6, s29
	s_addc_u32 s9, s7, 0
	s_and_b64 s[6:7], s[16:17], s[44:45]
	v_cndmask_b32_e64 v6, 0, 1, s[6:7]
	s_and_b64 s[6:7], s[14:15], s[46:47]
	v_cndmask_b32_e64 v7, 0, 1, s[6:7]
	s_and_b64 s[6:7], s[12:13], s[48:49]
	v_cndmask_b32_e64 v8, 0, 1, s[6:7]
	s_and_b64 s[6:7], s[10:11], s[50:51]
	;; [unrolled: 24-line block ×3, first 2 shown]
	v_cndmask_b32_e64 v47, 0, 1, s[6:7]
	v_cmp_ne_u32_e64 s[6:7], 0, v8
	v_cmp_ne_u32_e64 s[10:11], 0, v9
	;; [unrolled: 1-line block ×4, first 2 shown]
	s_bcnt1_i32_b64 s6, s[6:7]
	s_bcnt1_i32_b64 s7, s[10:11]
	;; [unrolled: 1-line block ×4, first 2 shown]
	s_add_u32 s6, s6, s56
	s_addc_u32 s12, 0, s57
	s_add_u32 s6, s6, s7
	s_addc_u32 s7, s12, 0
	;; [unrolled: 2-line block ×4, first 2 shown]
	v_pk_mov_b32 v[2:3], s[88:89], s[88:89] op_sel:[0,1]
	v_pk_mov_b32 v[4:5], s[8:9], s[8:9] op_sel:[0,1]
	;; [unrolled: 1-line block ×3, first 2 shown]
	s_or_b64 s[70:71], vcc, s[70:71]
	v_pk_mov_b32 v[8:9], s[56:57], s[56:57] op_sel:[0,1]
	s_andn2_b64 exec, exec, s[70:71]
	s_cbranch_execnz .LBB6_71
; %bb.72:                               ;   in Loop: Header=BB6_34 Depth=1
	s_or_b64 exec, exec, s[70:71]
.LBB6_73:                               ;   in Loop: Header=BB6_34 Depth=1
	s_or_b64 exec, exec, s[68:69]
	v_add_co_u32_e32 v30, vcc, v30, v0
	v_addc_co_u32_e32 v31, vcc, 0, v31, vcc
	v_cmp_gt_i64_e32 vcc, s[52:53], v[30:31]
	v_mov_b32_e32 v34, 0
	s_and_saveexec_b64 s[0:1], vcc
	s_cbranch_execz .LBB6_75
; %bb.74:                               ;   in Loop: Header=BB6_34 Depth=1
	v_readlane_b32 s6, v48, 40
	v_readlane_b32 s7, v48, 41
	v_pk_mov_b32 v[32:33], s[6:7], s[6:7] op_sel:[0,1]
	v_mad_u64_u32 v[32:33], s[6:7], v30, s58, v[32:33]
	v_mul_lo_u32 v34, v30, s59
	v_mul_lo_u32 v35, v31, s58
	v_add3_u32 v33, v35, v33, v34
	global_load_ubyte v34, v[32:33], off
.LBB6_75:                               ;   in Loop: Header=BB6_34 Depth=1
	s_or_b64 exec, exec, s[0:1]
	s_and_saveexec_b64 s[0:1], vcc
	s_cbranch_execz .LBB6_82
; %bb.76:                               ;   in Loop: Header=BB6_34 Depth=1
	v_add_co_u32_e32 v32, vcc, v39, v12
	v_addc_co_u32_e32 v33, vcc, 0, v40, vcc
	v_sub_co_u32_e32 v32, vcc, v32, v28
	v_readlane_b32 s6, v48, 55
	v_subb_co_u32_e32 v28, vcc, v33, v29, vcc
	v_readlane_b32 s7, v48, 56
	v_mul_lo_u32 v33, s58, v28
	v_pk_mov_b32 v[28:29], s[6:7], s[6:7] op_sel:[0,1]
	v_mul_lo_u32 v35, s59, v32
	v_mad_u64_u32 v[28:29], s[6:7], s58, v32, v[28:29]
	v_add3_u32 v29, v35, v29, v33
	v_mul_lo_u32 v32, s59, v12
	v_mul_hi_u32 v33, s58, v12
	s_and_b32 s12, s3, 0xfe
	v_add_u32_e32 v32, v33, v32
	v_mul_lo_u32 v33, s58, v12
	s_mov_b64 s[8:9], 0
	s_branch .LBB6_78
.LBB6_77:                               ;   in Loop: Header=BB6_78 Depth=2
	s_or_b64 exec, exec, s[10:11]
	s_waitcnt vmcnt(0)
	v_and_b32_e32 v34, 0xff, v34
	s_and_b64 s[6:7], exec, vcc
	v_and_b32_e32 v44, s27, v34
	v_bfe_u32 v34, v34, s12, 2
	s_or_b64 s[8:9], s[6:7], s[8:9]
	v_cmp_eq_u32_e32 vcc, s74, v44
	v_cmp_eq_u32_e64 s[6:7], 0, v34
	s_and_b64 s[6:7], vcc, s[6:7]
	v_cndmask_b32_e64 v44, 0, 1, s[6:7]
	v_cmp_ne_u32_e64 s[6:7], 0, v44
	s_bcnt1_i32_b64 s6, s[6:7]
	v_add_co_u32_e64 v2, s[6:7], s6, v2
	v_addc_co_u32_e64 v3, s[6:7], 0, v3, s[6:7]
	v_cmp_eq_u32_e64 s[6:7], 1, v34
	s_and_b64 s[6:7], vcc, s[6:7]
	v_cndmask_b32_e64 v44, 0, 1, s[6:7]
	v_cmp_ne_u32_e64 s[6:7], 0, v44
	s_bcnt1_i32_b64 s6, s[6:7]
	v_add_co_u32_e64 v4, s[6:7], s6, v4
	v_addc_co_u32_e64 v5, s[6:7], 0, v5, s[6:7]
	;; [unrolled: 7-line block ×3, first 2 shown]
	v_cmp_eq_u32_e64 s[6:7], 3, v34
	s_and_b64 s[6:7], vcc, s[6:7]
	v_cndmask_b32_e64 v34, 0, 1, s[6:7]
	v_cmp_ne_u32_e32 vcc, 0, v34
	s_bcnt1_i32_b64 s6, vcc
	v_add_co_u32_e32 v8, vcc, s6, v8
	v_addc_co_u32_e32 v9, vcc, 0, v9, vcc
	v_add_co_u32_e32 v28, vcc, v28, v33
	v_addc_co_u32_e32 v29, vcc, v29, v32, vcc
	v_mov_b32_e32 v34, v35
	s_andn2_b64 exec, exec, s[8:9]
	s_cbranch_execz .LBB6_81
.LBB6_78:                               ;   Parent Loop BB6_34 Depth=1
                                        ; =>  This Inner Loop Header: Depth=2
	v_add_co_u32_e32 v30, vcc, v30, v12
	v_addc_co_u32_e32 v31, vcc, 0, v31, vcc
	v_cmp_gt_i64_e64 s[6:7], s[52:53], v[30:31]
	v_cmp_le_i64_e32 vcc, s[52:53], v[30:31]
	v_mov_b32_e32 v35, 0
	s_and_saveexec_b64 s[10:11], s[6:7]
	s_cbranch_execz .LBB6_77
; %bb.79:                               ;   in Loop: Header=BB6_78 Depth=2
	global_load_ubyte v35, v[28:29], off
	s_branch .LBB6_77
.LBB6_80:                               ;   in Loop: Header=BB6_34 Depth=1
                                        ; implicit-def: $vgpr8_vgpr9
                                        ; implicit-def: $vgpr4_vgpr5
	s_cbranch_execnz .LBB6_83
	s_branch .LBB6_92
.LBB6_81:                               ;   in Loop: Header=BB6_34 Depth=1
	s_or_b64 exec, exec, s[8:9]
.LBB6_82:                               ;   in Loop: Header=BB6_34 Depth=1
	s_or_b64 exec, exec, s[0:1]
	s_branch .LBB6_92
.LBB6_83:                               ;   in Loop: Header=BB6_34 Depth=1
	global_load_ushort v12, v13, s[90:91]
	s_mov_b64 s[68:69], 0
	s_waitcnt vmcnt(0)
	v_readfirstlane_b32 s0, v12
	s_and_b32 s0, 0xffff, s0
	s_lshl_b32 s75, s0, 2
	v_cvt_f32_u32_e32 v2, s75
	s_sub_i32 s0, 0, s75
	v_rcp_iflag_f32_e32 v4, v2
	v_pk_mov_b32 v[2:3], 0, 0
	v_pk_mov_b32 v[6:7], v[2:3], v[2:3] op_sel:[0,1]
	v_mul_f32_e32 v4, 0x4f7ffffe, v4
	v_cvt_u32_f32_e32 v8, v4
	v_pk_mov_b32 v[4:5], v[2:3], v[2:3] op_sel:[0,1]
	v_readfirstlane_b32 s1, v8
	s_mul_i32 s0, s0, s1
	s_mul_hi_u32 s0, s1, s0
	s_add_i32 s1, s1, s0
	s_mul_hi_u32 s0, s80, s1
	s_mul_i32 s0, s0, s75
	s_sub_i32 s0, s80, s0
	s_sub_i32 s1, s0, s75
	s_cmp_ge_u32 s0, s75
	s_cselect_b32 s0, s1, s0
	s_sub_i32 s1, s0, s75
	s_cmp_ge_u32 s0, s75
	s_cselect_b32 s0, s1, s0
	s_sub_i32 s92, s80, s0
	v_cmp_gt_u32_e32 vcc, s92, v16
	v_pk_mov_b32 v[8:9], v[2:3], v[2:3] op_sel:[0,1]
	s_and_saveexec_b64 s[0:1], vcc
	s_cbranch_execz .LBB6_87
; %bb.84:                               ;   in Loop: Header=BB6_34 Depth=1
	s_and_b32 s81, s3, 0xfe
	v_mov_b32_e32 v30, v16
	s_mov_b64 s[8:9], 0
	s_mov_b64 s[56:57], 0
	;; [unrolled: 1-line block ×4, first 2 shown]
	v_pk_mov_b32 v[28:29], v[16:17], v[16:17] op_sel:[0,1]
.LBB6_85:                               ;   Parent Loop BB6_34 Depth=1
                                        ; =>  This Inner Loop Header: Depth=2
	ds_read_b32 v2, v30
	v_add_co_u32_e32 v28, vcc, s75, v28
	v_addc_co_u32_e32 v29, vcc, 0, v29, vcc
	s_waitcnt lgkmcnt(0)
	v_and_b32_e32 v4, 0xff, v2
	v_bfe_u32 v5, v2, 8, 8
	v_and_b32_e32 v6, s27, v4
	v_bfe_u32 v4, v4, s81, 2
	v_lshrrev_b32_e32 v3, 24, v2
	v_bfe_u32 v2, v2, 16, 8
	v_and_b32_e32 v7, s27, v5
	v_bfe_u32 v5, v5, s81, 2
	v_cmp_eq_u32_e64 s[16:17], s74, v6
	v_cmp_eq_u32_e64 s[6:7], 0, v4
	v_and_b32_e32 v8, s27, v2
	v_bfe_u32 v2, v2, s81, 2
	v_cmp_eq_u32_e64 s[14:15], s74, v7
	v_cmp_eq_u32_e64 s[28:29], 0, v5
	s_and_b64 s[6:7], s[16:17], s[6:7]
	v_and_b32_e32 v9, s27, v3
	v_bfe_u32 v3, v3, s81, 2
	v_cmp_eq_u32_e64 s[12:13], s74, v8
	v_cmp_eq_u32_e64 s[30:31], 0, v2
	;; [unrolled: 1-line block ×5, first 2 shown]
	v_cndmask_b32_e64 v2, 0, 1, s[6:7]
	s_and_b64 s[6:7], s[14:15], s[28:29]
	v_cmp_eq_u32_e64 s[10:11], s74, v9
	v_cmp_eq_u32_e64 s[34:35], 0, v3
	;; [unrolled: 1-line block ×5, first 2 shown]
	v_cndmask_b32_e64 v3, 0, 1, s[6:7]
	s_and_b64 s[6:7], s[12:13], s[30:31]
	v_cmp_eq_u32_e64 s[36:37], 1, v4
	v_cmp_eq_u32_e64 s[44:45], 2, v4
	;; [unrolled: 1-line block ×3, first 2 shown]
	v_cndmask_b32_e64 v4, 0, 1, s[6:7]
	s_and_b64 s[6:7], s[10:11], s[34:35]
	v_cmp_eq_u32_e64 s[38:39], 1, v5
	v_cmp_eq_u32_e64 s[46:47], 2, v5
	;; [unrolled: 1-line block ×3, first 2 shown]
	v_cndmask_b32_e64 v5, 0, 1, s[6:7]
	v_cmp_ne_u32_e64 s[6:7], 0, v2
	v_cmp_ne_u32_e64 s[28:29], 0, v3
	v_cmp_ne_u32_e64 s[30:31], 0, v4
	v_cmp_ne_u32_e64 s[34:35], 0, v5
	s_bcnt1_i32_b64 s6, s[6:7]
	s_bcnt1_i32_b64 s7, s[28:29]
	s_bcnt1_i32_b64 s28, s[30:31]
	s_bcnt1_i32_b64 s29, s[34:35]
	s_add_u32 s6, s6, s88
	s_addc_u32 s30, 0, s89
	s_add_u32 s6, s6, s7
	s_addc_u32 s7, s30, 0
	s_add_u32 s6, s6, s28
	s_addc_u32 s7, s7, 0
	s_add_u32 s88, s6, s29
	s_addc_u32 s89, s7, 0
	s_and_b64 s[6:7], s[16:17], s[36:37]
	v_cndmask_b32_e64 v4, 0, 1, s[6:7]
	s_and_b64 s[6:7], s[14:15], s[38:39]
	v_cndmask_b32_e64 v5, 0, 1, s[6:7]
	s_and_b64 s[6:7], s[12:13], s[40:41]
	v_cndmask_b32_e64 v6, 0, 1, s[6:7]
	s_and_b64 s[6:7], s[10:11], s[42:43]
	v_cndmask_b32_e64 v7, 0, 1, s[6:7]
	v_cmp_ne_u32_e64 s[6:7], 0, v4
	v_cmp_ne_u32_e64 s[28:29], 0, v5
	v_cmp_ne_u32_e64 s[30:31], 0, v6
	v_cmp_ne_u32_e64 s[34:35], 0, v7
	s_bcnt1_i32_b64 s6, s[6:7]
	s_bcnt1_i32_b64 s7, s[28:29]
	s_bcnt1_i32_b64 s28, s[30:31]
	s_bcnt1_i32_b64 s29, s[34:35]
	s_add_u32 s6, s6, s70
	s_addc_u32 s30, 0, s71
	s_add_u32 s6, s6, s7
	s_addc_u32 s7, s30, 0
	s_add_u32 s6, s6, s28
	s_addc_u32 s7, s7, 0
	s_add_u32 s70, s6, s29
	s_addc_u32 s71, s7, 0
	s_and_b64 s[6:7], s[16:17], s[44:45]
	v_cndmask_b32_e64 v6, 0, 1, s[6:7]
	s_and_b64 s[6:7], s[14:15], s[46:47]
	v_cndmask_b32_e64 v7, 0, 1, s[6:7]
	s_and_b64 s[6:7], s[12:13], s[48:49]
	v_cndmask_b32_e64 v8, 0, 1, s[6:7]
	s_and_b64 s[6:7], s[10:11], s[50:51]
	;; [unrolled: 24-line block ×3, first 2 shown]
	v_cndmask_b32_e64 v32, 0, 1, s[6:7]
	v_cmp_ne_u32_e64 s[6:7], 0, v8
	v_cmp_ne_u32_e64 s[10:11], 0, v9
	;; [unrolled: 1-line block ×4, first 2 shown]
	s_bcnt1_i32_b64 s6, s[6:7]
	s_bcnt1_i32_b64 s7, s[10:11]
	;; [unrolled: 1-line block ×4, first 2 shown]
	s_add_u32 s6, s6, s8
	s_addc_u32 s8, 0, s9
	s_add_u32 s6, s6, s7
	s_addc_u32 s7, s8, 0
	;; [unrolled: 2-line block ×3, first 2 shown]
	s_add_u32 s8, s6, s11
	v_cmp_le_u64_e32 vcc, s[92:93], v[28:29]
	s_addc_u32 s9, s7, 0
	v_add_u32_e32 v30, s75, v30
	v_pk_mov_b32 v[2:3], s[88:89], s[88:89] op_sel:[0,1]
	v_pk_mov_b32 v[4:5], s[70:71], s[70:71] op_sel:[0,1]
	;; [unrolled: 1-line block ×3, first 2 shown]
	s_or_b64 s[68:69], vcc, s[68:69]
	v_pk_mov_b32 v[8:9], s[8:9], s[8:9] op_sel:[0,1]
	s_andn2_b64 exec, exec, s[68:69]
	s_cbranch_execnz .LBB6_85
; %bb.86:                               ;   in Loop: Header=BB6_34 Depth=1
	s_or_b64 exec, exec, s[68:69]
.LBB6_87:                               ;   in Loop: Header=BB6_34 Depth=1
	s_or_b64 exec, exec, s[0:1]
	v_and_b32_e32 v30, 0xffff, v12
	v_add_u32_e32 v12, s92, v0
	v_cmp_gt_u32_e32 vcc, s80, v12
	s_and_saveexec_b64 s[0:1], vcc
	s_cbranch_execz .LBB6_91
; %bb.88:                               ;   in Loop: Header=BB6_34 Depth=1
	s_and_b32 s92, s80, 0x7fffffff
	s_and_b32 s18, s3, 0xfe
	s_mov_b64 s[8:9], 0
	v_pk_mov_b32 v[28:29], v[12:13], v[12:13] op_sel:[0,1]
.LBB6_89:                               ;   Parent Loop BB6_34 Depth=1
                                        ; =>  This Inner Loop Header: Depth=2
	ds_read_u8 v31, v12
	v_add_co_u32_e32 v28, vcc, v28, v30
	v_addc_co_u32_e32 v29, vcc, 0, v29, vcc
	s_waitcnt lgkmcnt(0)
	v_and_b32_e32 v32, s27, v31
	v_bfe_u32 v31, v31, s18, 2
	v_cmp_eq_u32_e64 s[6:7], s74, v32
	v_cmp_eq_u32_e64 s[10:11], 0, v31
	;; [unrolled: 1-line block ×3, first 2 shown]
	s_and_b64 s[10:11], s[6:7], s[10:11]
	v_cmp_eq_u32_e64 s[14:15], 2, v31
	v_cmp_eq_u32_e64 s[16:17], 3, v31
	v_cndmask_b32_e64 v31, 0, 1, s[10:11]
	s_and_b64 s[10:11], s[6:7], s[12:13]
	v_cndmask_b32_e64 v32, 0, 1, s[10:11]
	s_and_b64 s[10:11], s[6:7], s[14:15]
	s_and_b64 s[6:7], s[6:7], s[16:17]
	v_cndmask_b32_e64 v33, 0, 1, s[10:11]
	v_cndmask_b32_e64 v34, 0, 1, s[6:7]
	v_cmp_ne_u32_e64 s[6:7], 0, v31
	v_cmp_ne_u32_e64 s[10:11], 0, v32
	;; [unrolled: 1-line block ×4, first 2 shown]
	v_cmp_le_u64_e32 vcc, s[92:93], v[28:29]
	s_bcnt1_i32_b64 s6, s[6:7]
	s_bcnt1_i32_b64 s7, s[10:11]
	;; [unrolled: 1-line block ×4, first 2 shown]
	s_or_b64 s[8:9], vcc, s[8:9]
	v_add_co_u32_e32 v2, vcc, s6, v2
	v_addc_co_u32_e32 v3, vcc, 0, v3, vcc
	v_add_co_u32_e32 v4, vcc, s7, v4
	v_addc_co_u32_e32 v5, vcc, 0, v5, vcc
	v_add_co_u32_e32 v6, vcc, s10, v6
	v_addc_co_u32_e32 v7, vcc, 0, v7, vcc
	v_add_co_u32_e32 v8, vcc, s11, v8
	v_add_u32_e32 v12, v12, v30
	v_addc_co_u32_e32 v9, vcc, 0, v9, vcc
	s_andn2_b64 exec, exec, s[8:9]
	s_cbranch_execnz .LBB6_89
; %bb.90:                               ;   in Loop: Header=BB6_34 Depth=1
	s_or_b64 exec, exec, s[8:9]
.LBB6_91:                               ;   in Loop: Header=BB6_34 Depth=1
	s_or_b64 exec, exec, s[0:1]
.LBB6_92:                               ;   in Loop: Header=BB6_34 Depth=1
	s_lshl_b32 s6, s26, 6
	s_and_saveexec_b64 s[0:1], s[4:5]
	s_cbranch_execz .LBB6_94
; %bb.93:                               ;   in Loop: Header=BB6_34 Depth=1
	v_or_b32_e32 v12, s6, v37
	v_lshlrev_b32_e32 v12, 3, v12
	ds_write_b128 v12, v[2:5] offset:3072
	s_waitcnt vmcnt(0)
	ds_write_b128 v12, v[6:9] offset:3088
.LBB6_94:                               ;   in Loop: Header=BB6_34 Depth=1
	s_or_b64 exec, exec, s[0:1]
	s_waitcnt lgkmcnt(0)
	s_barrier
	s_and_saveexec_b64 s[0:1], s[86:87]
	s_cbranch_execz .LBB6_106
; %bb.95:                               ;   in Loop: Header=BB6_34 Depth=1
	v_readlane_b32 s8, v48, 44
	v_readlane_b32 s9, v48, 45
	s_andn2_b64 vcc, exec, s[8:9]
	v_pk_mov_b32 v[2:3], 0, 0
	s_cbranch_vccnz .LBB6_105
; %bb.96:                               ;   in Loop: Header=BB6_34 Depth=1
	v_readlane_b32 s8, v48, 48
	v_readlane_b32 s9, v48, 49
	s_andn2_b64 vcc, exec, s[8:9]
	s_cbranch_vccnz .LBB6_101
; %bb.97:                               ;   in Loop: Header=BB6_34 Depth=1
	v_lshl_add_u32 v4, s26, 9, v41
	s_mov_b32 s7, 0
	v_pk_mov_b32 v[2:3], 0, 0
.LBB6_98:                               ;   Parent Loop BB6_34 Depth=1
                                        ; =>  This Inner Loop Header: Depth=2
	s_waitcnt vmcnt(0)
	ds_read2_b64 v[6:9], v4 offset1:4
	ds_read2_b64 v[28:31], v4 offset0:8 offset1:12
	ds_read2_b64 v[32:35], v4 offset0:16 offset1:20
	;; [unrolled: 1-line block ×3, first 2 shown]
	s_add_i32 s7, s7, 8
	s_waitcnt lgkmcnt(3)
	v_add_co_u32_e32 v2, vcc, v6, v2
	v_addc_co_u32_e32 v3, vcc, v7, v3, vcc
	v_add_co_u32_e32 v2, vcc, v8, v2
	v_addc_co_u32_e32 v3, vcc, v9, v3, vcc
	s_waitcnt lgkmcnt(2)
	v_add_co_u32_e32 v2, vcc, v28, v2
	v_addc_co_u32_e32 v3, vcc, v29, v3, vcc
	v_add_co_u32_e32 v2, vcc, v30, v2
	v_addc_co_u32_e32 v3, vcc, v31, v3, vcc
	;; [unrolled: 5-line block ×3, first 2 shown]
	s_waitcnt lgkmcnt(0)
	v_add_co_u32_e32 v2, vcc, v44, v2
	v_addc_co_u32_e32 v3, vcc, v45, v3, vcc
	v_add_co_u32_e32 v2, vcc, v46, v2
	v_add_u32_e32 v4, 0x100, v4
	s_cmp_eq_u32 s2, s7
	v_addc_co_u32_e32 v3, vcc, v47, v3, vcc
	s_cbranch_scc0 .LBB6_98
; %bb.99:                               ;   in Loop: Header=BB6_34 Depth=1
	s_mov_b32 s7, s2
	s_branch .LBB6_102
.LBB6_100:                              ;   in Loop: Header=BB6_34 Depth=1
                                        ; implicit-def: $vgpr28_vgpr29
	s_branch .LBB6_68
.LBB6_101:                              ;   in Loop: Header=BB6_34 Depth=1
	s_mov_b32 s7, 0
	v_pk_mov_b32 v[2:3], 0, 0
.LBB6_102:                              ;   in Loop: Header=BB6_34 Depth=1
	v_readlane_b32 s8, v48, 51
	v_readlane_b32 s9, v48, 52
	s_andn2_b64 vcc, exec, s[8:9]
	s_cbranch_vccnz .LBB6_105
; %bb.103:                              ;   in Loop: Header=BB6_34 Depth=1
	s_lshl_b32 s8, s26, 9
	s_lshl_b32 s7, s7, 5
	s_add_i32 s8, s8, s7
	v_add_u32_e32 v4, s8, v41
	v_readlane_b32 s7, v48, 50
.LBB6_104:                              ;   Parent Loop BB6_34 Depth=1
                                        ; =>  This Inner Loop Header: Depth=2
	s_waitcnt vmcnt(0)
	ds_read_b64 v[6:7], v4
	s_add_i32 s7, s7, -1
	v_add_u32_e32 v4, 32, v4
	s_cmp_lg_u32 s7, 0
	s_waitcnt lgkmcnt(0)
	v_add_co_u32_e32 v2, vcc, v6, v2
	v_addc_co_u32_e32 v3, vcc, v7, v3, vcc
	s_cbranch_scc1 .LBB6_104
.LBB6_105:                              ;   in Loop: Header=BB6_34 Depth=1
	v_add_lshl_u32 v4, s6, v36, 3
	ds_write_b64 v4, v[2:3] offset:3072
.LBB6_106:                              ;   in Loop: Header=BB6_34 Depth=1
	s_or_b64 exec, exec, s[0:1]
	s_lshl_b32 s0, s6, 3
	s_waitcnt vmcnt(0)
	v_mov_b32_e32 v6, s0
	s_waitcnt lgkmcnt(0)
	s_barrier
	ds_read_b128 v[2:5], v6 offset:3072
	ds_read_b128 v[6:9], v6 offset:3088
	s_and_b32 s38, s3, 0xfe
	s_lshl_b32 s46, 3, s38
	s_not_b32 s39, s46
	s_waitcnt lgkmcnt(1)
	v_readfirstlane_b32 s13, v3
	v_readfirstlane_b32 s12, v2
	s_cmp_eq_u64 s[12:13], 1
	s_cselect_b64 s[0:1], -1, 0
	s_cmp_eq_u64 s[54:55], 1
	s_cselect_b64 s[8:9], -1, 0
	s_and_b64 s[18:19], s[0:1], s[8:9]
	v_readfirstlane_b32 s24, v4
	v_readfirstlane_b32 s25, v5
	s_waitcnt lgkmcnt(0)
	v_readfirstlane_b32 s14, v6
	v_readfirstlane_b32 s15, v7
	;; [unrolled: 1-line block ×4, first 2 shown]
	s_mov_b64 s[16:17], -1
	s_and_b64 vcc, exec, s[18:19]
	s_cbranch_vccz .LBB6_120
; %bb.107:                              ;   in Loop: Header=BB6_34 Depth=1
	ds_read_b64 v[2:3], v13 offset:5120
	s_waitcnt lgkmcnt(0)
	s_barrier
	v_readfirstlane_b32 s10, v2
	v_readfirstlane_b32 s11, v3
	s_mov_b64 s[0:1], exec
	v_readlane_b32 s8, v48, 36
	v_readlane_b32 s9, v48, 37
	s_and_b64 s[8:9], s[0:1], s[8:9]
	s_mov_b64 exec, s[8:9]
	s_cbranch_execz .LBB6_109
; %bb.108:                              ;   in Loop: Header=BB6_34 Depth=1
	ds_write_b8 v0, v13 offset:3072
.LBB6_109:                              ;   in Loop: Header=BB6_34 Depth=1
	s_or_b64 exec, exec, s[0:1]
	v_cmp_lt_i64_e64 s[0:1], s[10:11], 1
	s_and_b32 s74, s74, s39
	s_or_b32 s27, s27, s46
	s_and_b64 vcc, exec, s[0:1]
	s_waitcnt lgkmcnt(0)
	s_barrier
	s_cbranch_vccz .LBB6_121
; %bb.110:                              ;   in Loop: Header=BB6_34 Depth=1
	s_mov_b32 s84, s93
	s_cmp_lg_u64 s[84:85], 0
	s_cbranch_scc0 .LBB6_164
; %bb.111:                              ;   in Loop: Header=BB6_34 Depth=1
	v_cvt_f32_u32_e32 v2, s33
	s_sub_u32 s0, 0, s33
	s_subb_u32 s1, 0, 0
	v_mac_f32_e32 v2, 0x4f800000, v42
	v_rcp_f32_e32 v2, v2
	v_mul_f32_e32 v2, 0x5f7ffffc, v2
	v_mul_f32_e32 v3, 0x2f800000, v2
	v_trunc_f32_e32 v3, v3
	v_mac_f32_e32 v2, 0xcf800000, v3
	v_cvt_u32_f32_e32 v3, v3
	v_cvt_u32_f32_e32 v2, v2
	v_readfirstlane_b32 s8, v3
	v_readfirstlane_b32 s9, v2
	s_mul_i32 s20, s0, s8
	s_mul_hi_u32 s22, s0, s9
	s_mul_i32 s21, s1, s9
	s_add_i32 s20, s22, s20
	s_mul_i32 s23, s0, s9
	s_add_i32 s20, s20, s21
	s_mul_hi_u32 s22, s9, s23
	s_mul_hi_u32 s21, s9, s20
	s_mul_i32 s9, s9, s20
	s_add_u32 s9, s22, s9
	s_addc_u32 s21, 0, s21
	s_mul_hi_u32 s28, s8, s23
	s_mul_i32 s23, s8, s23
	s_add_u32 s9, s9, s23
	s_mul_hi_u32 s22, s8, s20
	s_addc_u32 s9, s21, s28
	s_addc_u32 s21, s22, 0
	s_mul_i32 s20, s8, s20
	s_add_u32 s9, s9, s20
	s_addc_u32 s20, 0, s21
	v_add_co_u32_e32 v2, vcc, s9, v2
	s_cmp_lg_u64 vcc, 0
	s_addc_u32 s8, s8, s20
	v_readfirstlane_b32 s20, v2
	s_mul_i32 s9, s0, s8
	s_mul_hi_u32 s21, s0, s20
	s_add_i32 s9, s21, s9
	s_mul_i32 s1, s1, s20
	s_add_i32 s9, s9, s1
	s_mul_i32 s0, s0, s20
	s_mul_hi_u32 s21, s8, s0
	s_mul_i32 s22, s8, s0
	s_mul_i32 s28, s20, s9
	s_mul_hi_u32 s0, s20, s0
	s_mul_hi_u32 s23, s20, s9
	s_add_u32 s0, s0, s28
	s_addc_u32 s20, 0, s23
	s_add_u32 s0, s0, s22
	s_mul_hi_u32 s1, s8, s9
	s_addc_u32 s0, s20, s21
	s_addc_u32 s1, s1, 0
	s_mul_i32 s9, s8, s9
	s_add_u32 s0, s0, s9
	s_addc_u32 s1, 0, s1
	v_add_co_u32_e32 v2, vcc, s0, v2
	s_cmp_lg_u64 vcc, 0
	s_addc_u32 s20, s8, s1
	s_ashr_i32 s0, s85, 31
	s_add_u32 s8, s73, s0
	s_mov_b32 s1, s0
	s_addc_u32 s9, s85, s0
	s_xor_b64 s[8:9], s[8:9], s[0:1]
	v_readfirstlane_b32 s22, v2
	s_mul_i32 s21, s8, s20
	s_mul_hi_u32 s23, s8, s22
	s_mul_hi_u32 s1, s8, s20
	s_add_u32 s21, s23, s21
	s_addc_u32 s1, 0, s1
	s_mul_hi_u32 s28, s9, s22
	s_mul_i32 s22, s9, s22
	s_add_u32 s21, s21, s22
	s_mul_hi_u32 s23, s9, s20
	s_addc_u32 s1, s1, s28
	s_addc_u32 s21, s23, 0
	s_mul_i32 s20, s9, s20
	s_add_u32 s1, s1, s20
	s_addc_u32 s20, 0, s21
	s_mul_hi_u32 s21, s33, s1
	s_mul_i32 s1, s33, s1
	s_mul_i32 s20, s33, s20
	v_mov_b32_e32 v2, s1
	s_add_i32 s21, s21, s20
	v_sub_co_u32_e32 v2, vcc, s8, v2
	s_cmp_lg_u64 vcc, 0
	s_subb_u32 s1, s9, s21
	v_subrev_co_u32_e32 v3, vcc, s33, v2
	s_cmp_lg_u64 vcc, 0
	s_subb_u32 s8, s1, 0
	v_subrev_co_u32_e32 v4, vcc, s33, v3
	s_cmp_lg_u64 vcc, 0
	s_subb_u32 s9, s8, 0
	v_cmp_le_u32_e32 vcc, s33, v3
	s_cmp_eq_u32 s8, 0
	v_cndmask_b32_e64 v5, 0, -1, vcc
	s_cselect_b64 vcc, -1, 0
	v_cndmask_b32_e32 v5, -1, v5, vcc
	v_mov_b32_e32 v6, s8
	v_mov_b32_e32 v7, s9
	v_cmp_ne_u32_e32 vcc, 0, v5
	v_cndmask_b32_e32 v5, v6, v7, vcc
	v_cndmask_b32_e32 v3, v3, v4, vcc
	v_cmp_le_u32_e32 vcc, s33, v2
	s_cmp_eq_u32 s1, 0
	v_cndmask_b32_e64 v4, 0, -1, vcc
	s_cselect_b64 vcc, -1, 0
	v_cndmask_b32_e32 v4, -1, v4, vcc
	v_cmp_ne_u32_e32 vcc, 0, v4
	v_mov_b32_e32 v6, s1
	v_cndmask_b32_e32 v2, v2, v3, vcc
	v_cndmask_b32_e32 v4, v6, v5, vcc
	v_xor_b32_e32 v2, s0, v2
	v_xor_b32_e32 v3, s0, v4
	v_mov_b32_e32 v4, s0
	v_subrev_co_u32_e32 v2, vcc, s0, v2
	v_subb_co_u32_e32 v3, vcc, v3, v4, vcc
	s_cbranch_execnz .LBB6_113
.LBB6_112:                              ;   in Loop: Header=BB6_34 Depth=1
	v_cvt_f32_u32_e32 v2, s33
	s_sub_i32 s0, 0, s33
	v_rcp_iflag_f32_e32 v2, v2
	v_mul_f32_e32 v2, 0x4f7ffffe, v2
	v_cvt_u32_f32_e32 v2, v2
	v_mul_lo_u32 v3, s0, v2
	v_mul_hi_u32 v3, v2, v3
	v_add_u32_e32 v2, v2, v3
	v_mul_hi_u32 v2, s73, v2
	v_mul_lo_u32 v2, v2, s33
	v_sub_u32_e32 v2, s73, v2
	v_subrev_u32_e32 v3, s33, v2
	v_cmp_le_u32_e32 vcc, s33, v2
	v_cndmask_b32_e32 v2, v2, v3, vcc
	v_subrev_u32_e32 v3, s33, v2
	v_cmp_le_u32_e32 vcc, s33, v2
	v_cndmask_b32_e32 v12, v2, v3, vcc
	v_pk_mov_b32 v[2:3], v[12:13], v[12:13] op_sel:[0,1]
.LBB6_113:                              ;   in Loop: Header=BB6_34 Depth=1
	v_mov_b32_e32 v4, s85
	v_sub_co_u32_e32 v2, vcc, s73, v2
	v_subb_co_u32_e32 v3, vcc, v4, v3, vcc
	v_cmp_gt_i64_e32 vcc, v[2:3], v[0:1]
	s_mov_b64 s[0:1], 0
                                        ; implicit-def: $vgpr43
	s_and_saveexec_b64 s[8:9], vcc
	s_cbranch_execz .LBB6_123
; %bb.114:                              ;   in Loop: Header=BB6_34 Depth=1
	v_pk_mov_b32 v[4:5], v[10:11], v[10:11] op_sel:[0,1]
	v_pk_mov_b32 v[6:7], v[0:1], v[0:1] op_sel:[0,1]
                                        ; implicit-def: $sgpr20_sgpr21
	s_branch .LBB6_116
.LBB6_115:                              ;   in Loop: Header=BB6_116 Depth=2
	s_or_b64 exec, exec, s[22:23]
	s_waitcnt lgkmcnt(0)
	s_barrier
	ds_read_u16 v8, v13 offset:3072
	v_mov_b32_e32 v9, s94
	v_add_co_u32_e32 v6, vcc, s33, v6
	v_addc_co_u32_e32 v7, vcc, v7, v9, vcc
	s_waitcnt lgkmcnt(0)
	v_cmp_ne_u16_sdwa s[22:23], v8, v13 src0_sel:BYTE_0 src1_sel:DWORD
	v_cmp_ge_i64_e32 vcc, v[6:7], v[2:3]
	s_or_b64 s[28:29], s[22:23], vcc
	s_and_b64 s[28:29], exec, s[28:29]
	s_or_b64 s[0:1], s[28:29], s[0:1]
	v_mov_b32_e32 v9, s95
	v_add_co_u32_e32 v4, vcc, s72, v4
	s_andn2_b64 s[20:21], s[20:21], exec
	s_and_b64 s[22:23], s[22:23], exec
	v_addc_co_u32_e32 v5, vcc, v5, v9, vcc
	s_or_b64 s[20:21], s[20:21], s[22:23]
	s_barrier
	s_andn2_b64 exec, exec, s[0:1]
	s_cbranch_execz .LBB6_122
.LBB6_116:                              ;   Parent Loop BB6_34 Depth=1
                                        ; =>  This Inner Loop Header: Depth=2
	v_cmp_gt_i64_e32 vcc, s[52:53], v[6:7]
	v_mov_b32_e32 v8, 0
	s_and_saveexec_b64 s[22:23], vcc
	s_cbranch_execz .LBB6_118
; %bb.117:                              ;   in Loop: Header=BB6_116 Depth=2
	global_load_ubyte v8, v[4:5], off
.LBB6_118:                              ;   in Loop: Header=BB6_116 Depth=2
	s_or_b64 exec, exec, s[22:23]
	s_waitcnt vmcnt(0)
	v_and_b32_e32 v9, s27, v8
	v_cmp_eq_u32_sdwa s[22:23], v9, s74 src0_sel:BYTE_0 src1_sel:DWORD
	s_and_b64 s[28:29], vcc, s[22:23]
	s_and_saveexec_b64 s[22:23], s[28:29]
	s_cbranch_execz .LBB6_115
; %bb.119:                              ;   in Loop: Header=BB6_116 Depth=2
	v_lshlrev_b16_e32 v8, 8, v8
	v_or_b32_e32 v8, 1, v8
	ds_write_b16 v13, v8 offset:3072
	s_branch .LBB6_115
.LBB6_120:                              ;   in Loop: Header=BB6_34 Depth=1
	s_mov_b64 s[0:1], -1
                                        ; implicit-def: $sgpr8_sgpr9
                                        ; implicit-def: $sgpr22_sgpr23
                                        ; implicit-def: $sgpr20_sgpr21
	s_branch .LBB6_136
.LBB6_121:                              ;   in Loop: Header=BB6_34 Depth=1
	s_mov_b64 s[8:9], -1
	s_mov_b64 s[0:1], 0
                                        ; implicit-def: $sgpr20_sgpr21
                                        ; implicit-def: $vgpr43
	s_mov_b64 s[22:23], s[8:9]
	s_cbranch_execnz .LBB6_124
	s_branch .LBB6_136
.LBB6_122:                              ;   in Loop: Header=BB6_34 Depth=1
	s_or_b64 exec, exec, s[0:1]
	v_lshrrev_b16_e32 v43, 8, v8
	s_and_b64 s[0:1], s[20:21], exec
.LBB6_123:                              ;   in Loop: Header=BB6_34 Depth=1
	s_or_b64 exec, exec, s[8:9]
	s_mov_b64 s[20:21], -1
	s_mov_b64 s[8:9], 0
	s_mov_b64 s[22:23], s[8:9]
	s_branch .LBB6_136
.LBB6_124:                              ;   in Loop: Header=BB6_34 Depth=1
	v_readlane_b32 s0, v48, 46
	s_add_u32 s20, s0, s10
	v_readlane_b32 s0, v48, 47
	s_addc_u32 s1, s0, s11
	s_mov_b32 s0, s93
	s_cmp_lg_u64 s[0:1], 0
	s_cbranch_scc0 .LBB6_165
; %bb.125:                              ;   in Loop: Header=BB6_34 Depth=1
	v_cvt_f32_u32_e32 v2, s33
	s_sub_u32 s0, 0, s33
	s_subb_u32 s8, 0, 0
	v_mac_f32_e32 v2, 0x4f800000, v42
	v_rcp_f32_e32 v2, v2
	v_mul_f32_e32 v2, 0x5f7ffffc, v2
	v_mul_f32_e32 v3, 0x2f800000, v2
	v_trunc_f32_e32 v3, v3
	v_mac_f32_e32 v2, 0xcf800000, v3
	v_cvt_u32_f32_e32 v3, v3
	v_cvt_u32_f32_e32 v2, v2
	v_readfirstlane_b32 s9, v3
	v_readfirstlane_b32 s21, v2
	s_mul_i32 s22, s0, s9
	s_mul_hi_u32 s28, s0, s21
	s_mul_i32 s23, s8, s21
	s_add_i32 s22, s28, s22
	s_mul_i32 s29, s0, s21
	s_add_i32 s22, s22, s23
	s_mul_hi_u32 s28, s21, s29
	s_mul_hi_u32 s23, s21, s22
	s_mul_i32 s21, s21, s22
	s_add_u32 s21, s28, s21
	s_addc_u32 s23, 0, s23
	s_mul_hi_u32 s30, s9, s29
	s_mul_i32 s29, s9, s29
	s_add_u32 s21, s21, s29
	s_mul_hi_u32 s28, s9, s22
	s_addc_u32 s21, s23, s30
	s_addc_u32 s23, s28, 0
	s_mul_i32 s22, s9, s22
	s_add_u32 s21, s21, s22
	s_addc_u32 s22, 0, s23
	v_add_co_u32_e32 v2, vcc, s21, v2
	s_cmp_lg_u64 vcc, 0
	s_addc_u32 s9, s9, s22
	v_readfirstlane_b32 s22, v2
	s_mul_i32 s21, s0, s9
	s_mul_hi_u32 s23, s0, s22
	s_add_i32 s21, s23, s21
	s_mul_i32 s8, s8, s22
	s_add_i32 s21, s21, s8
	s_mul_i32 s0, s0, s22
	s_mul_hi_u32 s23, s9, s0
	s_mul_i32 s28, s9, s0
	s_mul_i32 s30, s22, s21
	s_mul_hi_u32 s0, s22, s0
	s_mul_hi_u32 s29, s22, s21
	s_add_u32 s0, s0, s30
	s_addc_u32 s22, 0, s29
	s_add_u32 s0, s0, s28
	s_mul_hi_u32 s8, s9, s21
	s_addc_u32 s0, s22, s23
	s_addc_u32 s8, s8, 0
	s_mul_i32 s21, s9, s21
	s_add_u32 s0, s0, s21
	s_addc_u32 s8, 0, s8
	v_add_co_u32_e32 v2, vcc, s0, v2
	s_cmp_lg_u64 vcc, 0
	s_addc_u32 s0, s9, s8
	s_ashr_i32 s8, s1, 31
	s_add_u32 s22, s20, s8
	s_mov_b32 s9, s8
	s_addc_u32 s23, s1, s8
	s_xor_b64 s[22:23], s[22:23], s[8:9]
	v_readfirstlane_b32 s28, v2
	s_mul_i32 s21, s22, s0
	s_mul_hi_u32 s29, s22, s28
	s_mul_hi_u32 s9, s22, s0
	s_add_u32 s21, s29, s21
	s_addc_u32 s9, 0, s9
	s_mul_hi_u32 s30, s23, s28
	s_mul_i32 s28, s23, s28
	s_add_u32 s21, s21, s28
	s_mul_hi_u32 s29, s23, s0
	s_addc_u32 s9, s9, s30
	s_addc_u32 s21, s29, 0
	s_mul_i32 s0, s23, s0
	s_add_u32 s0, s9, s0
	s_addc_u32 s9, 0, s21
	s_mul_hi_u32 s21, s33, s0
	s_mul_i32 s0, s33, s0
	s_mul_i32 s9, s33, s9
	v_mov_b32_e32 v2, s0
	s_add_i32 s21, s21, s9
	v_sub_co_u32_e32 v2, vcc, s22, v2
	s_cmp_lg_u64 vcc, 0
	s_subb_u32 s0, s23, s21
	v_subrev_co_u32_e32 v3, vcc, s33, v2
	s_cmp_lg_u64 vcc, 0
	s_subb_u32 s9, s0, 0
	v_subrev_co_u32_e32 v4, vcc, s33, v3
	s_cmp_lg_u64 vcc, 0
	s_subb_u32 s21, s9, 0
	v_cmp_le_u32_e32 vcc, s33, v3
	s_cmp_eq_u32 s9, 0
	v_cndmask_b32_e64 v5, 0, -1, vcc
	s_cselect_b64 vcc, -1, 0
	v_cndmask_b32_e32 v5, -1, v5, vcc
	v_mov_b32_e32 v6, s9
	v_mov_b32_e32 v7, s21
	v_cmp_ne_u32_e32 vcc, 0, v5
	v_cndmask_b32_e32 v5, v6, v7, vcc
	v_cndmask_b32_e32 v3, v3, v4, vcc
	v_cmp_le_u32_e32 vcc, s33, v2
	s_cmp_eq_u32 s0, 0
	v_cndmask_b32_e64 v4, 0, -1, vcc
	s_cselect_b64 vcc, -1, 0
	v_cndmask_b32_e32 v4, -1, v4, vcc
	v_cmp_ne_u32_e32 vcc, 0, v4
	v_mov_b32_e32 v6, s0
	v_cndmask_b32_e32 v2, v2, v3, vcc
	v_cndmask_b32_e32 v4, v6, v5, vcc
	v_xor_b32_e32 v2, s8, v2
	v_xor_b32_e32 v3, s8, v4
	v_mov_b32_e32 v4, s8
	v_subrev_co_u32_e32 v2, vcc, s8, v2
	v_subb_co_u32_e32 v3, vcc, v3, v4, vcc
	s_cbranch_execnz .LBB6_127
.LBB6_126:                              ;   in Loop: Header=BB6_34 Depth=1
	v_cvt_f32_u32_e32 v2, s33
	s_sub_i32 s0, 0, s33
	v_rcp_iflag_f32_e32 v2, v2
	v_mul_f32_e32 v2, 0x4f7ffffe, v2
	v_cvt_u32_f32_e32 v2, v2
	v_mul_lo_u32 v3, s0, v2
	v_mul_hi_u32 v3, v2, v3
	v_add_u32_e32 v2, v2, v3
	v_mul_hi_u32 v2, s20, v2
	v_mul_lo_u32 v2, v2, s33
	v_sub_u32_e32 v2, s20, v2
	v_subrev_u32_e32 v3, s33, v2
	v_cmp_le_u32_e32 vcc, s33, v2
	v_cndmask_b32_e32 v2, v2, v3, vcc
	v_subrev_u32_e32 v3, s33, v2
	v_cmp_le_u32_e32 vcc, s33, v2
	v_cndmask_b32_e32 v12, v2, v3, vcc
	v_pk_mov_b32 v[2:3], v[12:13], v[12:13] op_sel:[0,1]
.LBB6_127:                              ;   in Loop: Header=BB6_34 Depth=1
	v_mov_b32_e32 v4, s1
	v_sub_co_u32_e32 v2, vcc, s20, v2
	v_subb_co_u32_e32 v3, vcc, v4, v3, vcc
	v_cmp_gt_i64_e32 vcc, v[2:3], v[0:1]
	s_mov_b64 s[0:1], 0
                                        ; implicit-def: $vgpr43
	s_and_saveexec_b64 s[8:9], vcc
	s_cbranch_execz .LBB6_135
; %bb.128:                              ;   in Loop: Header=BB6_34 Depth=1
	v_mov_b32_e32 v6, v0
	v_pk_mov_b32 v[4:5], v[0:1], v[0:1] op_sel:[0,1]
                                        ; implicit-def: $sgpr20_sgpr21
	s_branch .LBB6_130
.LBB6_129:                              ;   in Loop: Header=BB6_130 Depth=2
	s_or_b64 exec, exec, s[22:23]
	s_waitcnt lgkmcnt(0)
	s_barrier
	ds_read_u16 v7, v13 offset:3072
	v_mov_b32_e32 v8, s94
	v_add_co_u32_e32 v4, vcc, s33, v4
	v_addc_co_u32_e32 v5, vcc, v5, v8, vcc
	s_waitcnt lgkmcnt(0)
	v_cmp_ne_u16_sdwa s[22:23], v7, v13 src0_sel:BYTE_0 src1_sel:DWORD
	v_cmp_ge_i64_e32 vcc, v[4:5], v[2:3]
	s_or_b64 s[28:29], s[22:23], vcc
	s_and_b64 s[28:29], exec, s[28:29]
	s_or_b64 s[0:1], s[28:29], s[0:1]
	s_andn2_b64 s[20:21], s[20:21], exec
	s_and_b64 s[22:23], s[22:23], exec
	v_add_u32_e32 v6, s33, v6
	s_or_b64 s[20:21], s[20:21], s[22:23]
	s_barrier
	s_andn2_b64 exec, exec, s[0:1]
	s_cbranch_execz .LBB6_134
.LBB6_130:                              ;   Parent Loop BB6_34 Depth=1
                                        ; =>  This Inner Loop Header: Depth=2
	v_cmp_gt_i64_e32 vcc, s[10:11], v[4:5]
	v_mov_b32_e32 v7, 0
	s_and_saveexec_b64 s[22:23], vcc
	s_cbranch_execz .LBB6_132
; %bb.131:                              ;   in Loop: Header=BB6_130 Depth=2
	ds_read_u8 v7, v6
.LBB6_132:                              ;   in Loop: Header=BB6_130 Depth=2
	s_or_b64 exec, exec, s[22:23]
	s_waitcnt lgkmcnt(0)
	v_and_b32_e32 v8, s27, v7
	v_cmp_eq_u32_sdwa s[22:23], v8, s74 src0_sel:BYTE_0 src1_sel:DWORD
	s_and_b64 s[28:29], vcc, s[22:23]
	s_and_saveexec_b64 s[22:23], s[28:29]
	s_cbranch_execz .LBB6_129
; %bb.133:                              ;   in Loop: Header=BB6_130 Depth=2
	v_lshlrev_b16_e32 v7, 8, v7
	v_or_b32_e32 v7, 1, v7
	ds_write_b16 v13, v7 offset:3072
	s_branch .LBB6_129
.LBB6_134:                              ;   in Loop: Header=BB6_34 Depth=1
	s_or_b64 exec, exec, s[0:1]
	v_lshrrev_b16_e32 v43, 8, v7
	s_and_b64 s[0:1], s[20:21], exec
.LBB6_135:                              ;   in Loop: Header=BB6_34 Depth=1
	s_or_b64 exec, exec, s[8:9]
	s_mov_b64 s[22:23], -1
	s_mov_b64 s[8:9], 0
	s_mov_b64 s[20:21], 0
.LBB6_136:                              ;   in Loop: Header=BB6_34 Depth=1
	s_andn2_b64 s[10:11], s[76:77], exec
	s_and_b64 s[8:9], s[8:9], exec
	s_or_b64 s[76:77], s[10:11], s[8:9]
	s_andn2_b64 s[8:9], s[66:67], exec
	s_and_b64 s[10:11], s[22:23], exec
	s_or_b64 s[66:67], s[8:9], s[10:11]
	;; [unrolled: 3-line block ×3, first 2 shown]
	s_and_saveexec_b64 s[10:11], s[0:1]
	s_cbranch_execz .LBB6_33
; %bb.137:                              ;   in Loop: Header=BB6_34 Depth=1
	s_xor_b64 s[0:1], s[18:19], -1
	s_andn2_b64 vcc, exec, s[0:1]
	s_mov_b32 s47, 1
	s_cbranch_vccnz .LBB6_148
; %bb.138:                              ;   in Loop: Header=BB6_34 Depth=1
	v_pk_mov_b32 v[2:3], s[12:13], s[12:13] op_sel:[0,1]
	v_cmp_gt_i64_e32 vcc, s[54:55], v[2:3]
	s_mov_b64 s[0:1], -1
                                        ; implicit-def: $sgpr47
                                        ; implicit-def: $sgpr8
                                        ; implicit-def: $sgpr9
	s_cbranch_vccnz .LBB6_144
; %bb.139:                              ;   in Loop: Header=BB6_34 Depth=1
	ds_read_b64 v[2:3], v13 offset:5120
	s_waitcnt lgkmcnt(0)
	v_cmp_ne_u64_e32 vcc, 0, v[2:3]
	s_cbranch_vccnz .LBB6_143
; %bb.140:                              ;   in Loop: Header=BB6_34 Depth=1
	s_mov_b64 s[0:1], exec
	v_readlane_b32 s8, v48, 32
	v_readlane_b32 s9, v48, 33
	s_and_b64 s[8:9], s[0:1], s[8:9]
	s_mov_b64 exec, s[8:9]
	s_cbranch_execz .LBB6_142
; %bb.141:                              ;   in Loop: Header=BB6_34 Depth=1
	v_pk_mov_b32 v[2:3], s[12:13], s[12:13] op_sel:[0,1]
	ds_write_b64 v13, v[2:3] offset:5128
.LBB6_142:                              ;   in Loop: Header=BB6_34 Depth=1
	s_or_b64 exec, exec, s[0:1]
	s_waitcnt lgkmcnt(0)
	s_barrier
.LBB6_143:                              ;   in Loop: Header=BB6_34 Depth=1
	s_and_b32 s8, s74, s39
	s_or_b32 s9, s27, s46
	s_mov_b64 s[0:1], 0
	s_mov_b32 s47, 8
.LBB6_144:                              ;   in Loop: Header=BB6_34 Depth=1
	s_andn2_b64 vcc, exec, s[0:1]
	s_cbranch_vccnz .LBB6_146
; %bb.145:                              ;   in Loop: Header=BB6_34 Depth=1
	s_sub_u32 s54, s54, s12
	s_subb_u32 s55, s55, s13
	s_mov_b64 s[0:1], -1
	s_mov_b32 s47, 0
	s_mov_b32 s8, s74
	;; [unrolled: 1-line block ×3, first 2 shown]
.LBB6_146:                              ;   in Loop: Header=BB6_34 Depth=1
	s_mov_b32 s27, s9
	s_mov_b32 s74, s8
	s_mov_b64 s[12:13], -1
	s_and_b64 vcc, exec, s[0:1]
	s_cbranch_vccnz .LBB6_149
.LBB6_147:                              ;   in Loop: Header=BB6_34 Depth=1
	s_mov_b64 s[8:9], -1
                                        ; implicit-def: $sgpr16_sgpr17
                                        ; implicit-def: $sgpr20_sgpr21
                                        ; implicit-def: $sgpr18_sgpr19
	s_and_saveexec_b64 s[0:1], s[8:9]
	s_xor_b64 s[0:1], exec, s[0:1]
	s_cbranch_execz .LBB6_32
	s_branch .LBB6_289
.LBB6_148:                              ;   in Loop: Header=BB6_34 Depth=1
	s_mov_b64 s[54:55], 1
	s_mov_b64 s[12:13], -1
	s_branch .LBB6_147
.LBB6_149:                              ;   in Loop: Header=BB6_34 Depth=1
	s_cmp_eq_u64 s[24:25], 1
	s_cselect_b64 s[0:1], -1, 0
	s_cmp_eq_u64 s[54:55], 1
	s_cselect_b64 s[8:9], -1, 0
	s_and_b64 s[28:29], s[0:1], s[8:9]
	s_mov_b64 s[0:1], -1
	s_and_b64 vcc, exec, s[28:29]
	s_cbranch_vccz .LBB6_163
; %bb.150:                              ;   in Loop: Header=BB6_34 Depth=1
	ds_read_b64 v[2:3], v13 offset:5120
	s_waitcnt lgkmcnt(0)
	s_barrier
	v_readfirstlane_b32 s22, v2
	v_readfirstlane_b32 s23, v3
	s_mov_b64 s[0:1], exec
	v_readlane_b32 s8, v48, 36
	v_readlane_b32 s9, v48, 37
	s_and_b64 s[8:9], s[0:1], s[8:9]
	s_mov_b64 exec, s[8:9]
	s_cbranch_execz .LBB6_152
; %bb.151:                              ;   in Loop: Header=BB6_34 Depth=1
	ds_write_b8 v0, v13 offset:3072
.LBB6_152:                              ;   in Loop: Header=BB6_34 Depth=1
	s_or_b64 exec, exec, s[0:1]
	s_lshl_b32 s0, 1, s38
	s_and_b32 s1, s74, s39
	s_or_b32 s74, s1, s0
	v_cmp_gt_i64_e64 s[0:1], s[22:23], 0
	s_or_b32 s27, s27, s46
	s_and_b64 vcc, exec, s[0:1]
	s_waitcnt lgkmcnt(0)
	s_barrier
	s_cbranch_vccnz .LBB6_166
; %bb.153:                              ;   in Loop: Header=BB6_34 Depth=1
	s_mov_b32 s84, s93
	s_cmp_lg_u64 s[84:85], 0
	s_cbranch_scc0 .LBB6_209
; %bb.154:                              ;   in Loop: Header=BB6_34 Depth=1
	v_cvt_f32_u32_e32 v2, s33
	s_sub_u32 s0, 0, s33
	s_subb_u32 s1, 0, 0
	v_mac_f32_e32 v2, 0x4f800000, v42
	v_rcp_f32_e32 v2, v2
	v_mul_f32_e32 v2, 0x5f7ffffc, v2
	v_mul_f32_e32 v3, 0x2f800000, v2
	v_trunc_f32_e32 v3, v3
	v_mac_f32_e32 v2, 0xcf800000, v3
	v_cvt_u32_f32_e32 v3, v3
	v_cvt_u32_f32_e32 v2, v2
	v_readfirstlane_b32 s8, v3
	v_readfirstlane_b32 s9, v2
	s_mul_i32 s16, s0, s8
	s_mul_hi_u32 s18, s0, s9
	s_mul_i32 s17, s1, s9
	s_add_i32 s16, s18, s16
	s_mul_i32 s19, s0, s9
	s_add_i32 s16, s16, s17
	s_mul_hi_u32 s18, s9, s19
	s_mul_hi_u32 s17, s9, s16
	s_mul_i32 s9, s9, s16
	s_add_u32 s9, s18, s9
	s_addc_u32 s17, 0, s17
	s_mul_hi_u32 s20, s8, s19
	s_mul_i32 s19, s8, s19
	s_add_u32 s9, s9, s19
	s_mul_hi_u32 s18, s8, s16
	s_addc_u32 s9, s17, s20
	s_addc_u32 s17, s18, 0
	s_mul_i32 s16, s8, s16
	s_add_u32 s9, s9, s16
	s_addc_u32 s16, 0, s17
	v_add_co_u32_e32 v2, vcc, s9, v2
	s_cmp_lg_u64 vcc, 0
	s_addc_u32 s8, s8, s16
	v_readfirstlane_b32 s16, v2
	s_mul_i32 s9, s0, s8
	s_mul_hi_u32 s17, s0, s16
	s_add_i32 s9, s17, s9
	s_mul_i32 s1, s1, s16
	s_add_i32 s9, s9, s1
	s_mul_i32 s0, s0, s16
	s_mul_hi_u32 s17, s8, s0
	s_mul_i32 s18, s8, s0
	s_mul_i32 s20, s16, s9
	s_mul_hi_u32 s0, s16, s0
	s_mul_hi_u32 s19, s16, s9
	s_add_u32 s0, s0, s20
	s_addc_u32 s16, 0, s19
	s_add_u32 s0, s0, s18
	s_mul_hi_u32 s1, s8, s9
	s_addc_u32 s0, s16, s17
	s_addc_u32 s1, s1, 0
	s_mul_i32 s9, s8, s9
	s_add_u32 s0, s0, s9
	s_addc_u32 s1, 0, s1
	v_add_co_u32_e32 v2, vcc, s0, v2
	s_cmp_lg_u64 vcc, 0
	s_addc_u32 s16, s8, s1
	s_ashr_i32 s0, s85, 31
	s_add_u32 s8, s73, s0
	s_mov_b32 s1, s0
	s_addc_u32 s9, s85, s0
	s_xor_b64 s[8:9], s[8:9], s[0:1]
	v_readfirstlane_b32 s18, v2
	s_mul_i32 s17, s8, s16
	s_mul_hi_u32 s19, s8, s18
	s_mul_hi_u32 s1, s8, s16
	s_add_u32 s17, s19, s17
	s_addc_u32 s1, 0, s1
	s_mul_hi_u32 s20, s9, s18
	s_mul_i32 s18, s9, s18
	s_add_u32 s17, s17, s18
	s_mul_hi_u32 s19, s9, s16
	s_addc_u32 s1, s1, s20
	s_addc_u32 s17, s19, 0
	s_mul_i32 s16, s9, s16
	s_add_u32 s1, s1, s16
	s_addc_u32 s16, 0, s17
	s_mul_hi_u32 s17, s33, s1
	s_mul_i32 s1, s33, s1
	s_mul_i32 s16, s33, s16
	v_mov_b32_e32 v2, s1
	s_add_i32 s17, s17, s16
	v_sub_co_u32_e32 v2, vcc, s8, v2
	s_cmp_lg_u64 vcc, 0
	s_subb_u32 s1, s9, s17
	v_subrev_co_u32_e32 v3, vcc, s33, v2
	s_cmp_lg_u64 vcc, 0
	s_subb_u32 s8, s1, 0
	v_subrev_co_u32_e32 v4, vcc, s33, v3
	s_cmp_lg_u64 vcc, 0
	s_subb_u32 s9, s8, 0
	v_cmp_le_u32_e32 vcc, s33, v3
	s_cmp_eq_u32 s8, 0
	v_cndmask_b32_e64 v5, 0, -1, vcc
	s_cselect_b64 vcc, -1, 0
	v_cndmask_b32_e32 v5, -1, v5, vcc
	v_mov_b32_e32 v6, s8
	v_mov_b32_e32 v7, s9
	v_cmp_ne_u32_e32 vcc, 0, v5
	v_cndmask_b32_e32 v5, v6, v7, vcc
	v_cndmask_b32_e32 v3, v3, v4, vcc
	v_cmp_le_u32_e32 vcc, s33, v2
	s_cmp_eq_u32 s1, 0
	v_cndmask_b32_e64 v4, 0, -1, vcc
	s_cselect_b64 vcc, -1, 0
	v_cndmask_b32_e32 v4, -1, v4, vcc
	v_cmp_ne_u32_e32 vcc, 0, v4
	v_mov_b32_e32 v6, s1
	v_cndmask_b32_e32 v2, v2, v3, vcc
	v_cndmask_b32_e32 v4, v6, v5, vcc
	v_xor_b32_e32 v2, s0, v2
	v_xor_b32_e32 v3, s0, v4
	v_mov_b32_e32 v4, s0
	v_subrev_co_u32_e32 v2, vcc, s0, v2
	v_subb_co_u32_e32 v3, vcc, v3, v4, vcc
	s_cbranch_execnz .LBB6_156
.LBB6_155:                              ;   in Loop: Header=BB6_34 Depth=1
	v_cvt_f32_u32_e32 v2, s33
	s_sub_i32 s0, 0, s33
	v_rcp_iflag_f32_e32 v2, v2
	v_mul_f32_e32 v2, 0x4f7ffffe, v2
	v_cvt_u32_f32_e32 v2, v2
	v_mul_lo_u32 v3, s0, v2
	v_mul_hi_u32 v3, v2, v3
	v_add_u32_e32 v2, v2, v3
	v_mul_hi_u32 v2, s73, v2
	v_mul_lo_u32 v2, v2, s33
	v_sub_u32_e32 v2, s73, v2
	v_subrev_u32_e32 v3, s33, v2
	v_cmp_le_u32_e32 vcc, s33, v2
	v_cndmask_b32_e32 v2, v2, v3, vcc
	v_subrev_u32_e32 v3, s33, v2
	v_cmp_le_u32_e32 vcc, s33, v2
	v_cndmask_b32_e32 v12, v2, v3, vcc
	v_pk_mov_b32 v[2:3], v[12:13], v[12:13] op_sel:[0,1]
.LBB6_156:                              ;   in Loop: Header=BB6_34 Depth=1
	v_mov_b32_e32 v4, s85
	v_sub_co_u32_e32 v2, vcc, s73, v2
	v_subb_co_u32_e32 v3, vcc, v4, v3, vcc
	v_cmp_gt_i64_e32 vcc, v[2:3], v[0:1]
	s_mov_b64 s[0:1], 0
                                        ; implicit-def: $vgpr43
	s_and_saveexec_b64 s[8:9], vcc
	s_cbranch_execz .LBB6_168
; %bb.157:                              ;   in Loop: Header=BB6_34 Depth=1
	v_pk_mov_b32 v[4:5], v[10:11], v[10:11] op_sel:[0,1]
	v_pk_mov_b32 v[6:7], v[0:1], v[0:1] op_sel:[0,1]
                                        ; implicit-def: $sgpr16_sgpr17
	s_branch .LBB6_159
.LBB6_158:                              ;   in Loop: Header=BB6_159 Depth=2
	s_or_b64 exec, exec, s[18:19]
	s_waitcnt lgkmcnt(0)
	s_barrier
	ds_read_u16 v8, v13 offset:3072
	v_mov_b32_e32 v9, s94
	v_add_co_u32_e32 v6, vcc, s33, v6
	v_addc_co_u32_e32 v7, vcc, v7, v9, vcc
	s_waitcnt lgkmcnt(0)
	v_cmp_ne_u16_sdwa s[18:19], v8, v13 src0_sel:BYTE_0 src1_sel:DWORD
	v_cmp_ge_i64_e32 vcc, v[6:7], v[2:3]
	s_or_b64 s[20:21], s[18:19], vcc
	s_and_b64 s[20:21], exec, s[20:21]
	s_or_b64 s[0:1], s[20:21], s[0:1]
	v_mov_b32_e32 v9, s95
	v_add_co_u32_e32 v4, vcc, s72, v4
	s_andn2_b64 s[16:17], s[16:17], exec
	s_and_b64 s[18:19], s[18:19], exec
	v_addc_co_u32_e32 v5, vcc, v5, v9, vcc
	s_or_b64 s[16:17], s[16:17], s[18:19]
	s_barrier
	s_andn2_b64 exec, exec, s[0:1]
	s_cbranch_execz .LBB6_167
.LBB6_159:                              ;   Parent Loop BB6_34 Depth=1
                                        ; =>  This Inner Loop Header: Depth=2
	v_cmp_gt_i64_e32 vcc, s[52:53], v[6:7]
	v_mov_b32_e32 v8, 0
	s_and_saveexec_b64 s[18:19], vcc
	s_cbranch_execz .LBB6_161
; %bb.160:                              ;   in Loop: Header=BB6_159 Depth=2
	global_load_ubyte v8, v[4:5], off
.LBB6_161:                              ;   in Loop: Header=BB6_159 Depth=2
	s_or_b64 exec, exec, s[18:19]
	s_waitcnt vmcnt(0)
	v_and_b32_e32 v9, s27, v8
	v_cmp_eq_u32_sdwa s[18:19], v9, s74 src0_sel:BYTE_0 src1_sel:DWORD
	s_and_b64 s[20:21], vcc, s[18:19]
	s_and_saveexec_b64 s[18:19], s[20:21]
	s_cbranch_execz .LBB6_158
; %bb.162:                              ;   in Loop: Header=BB6_159 Depth=2
	v_lshlrev_b16_e32 v8, 8, v8
	v_or_b32_e32 v8, 1, v8
	ds_write_b16 v13, v8 offset:3072
	s_branch .LBB6_158
.LBB6_163:                              ;   in Loop: Header=BB6_34 Depth=1
                                        ; implicit-def: $sgpr18_sgpr19
                                        ; implicit-def: $sgpr20_sgpr21
                                        ; implicit-def: $sgpr16_sgpr17
	s_branch .LBB6_181
.LBB6_164:                              ;   in Loop: Header=BB6_34 Depth=1
                                        ; implicit-def: $vgpr2_vgpr3
	s_branch .LBB6_112
.LBB6_165:                              ;   in Loop: Header=BB6_34 Depth=1
                                        ; implicit-def: $vgpr2_vgpr3
	s_branch .LBB6_126
.LBB6_166:                              ;   in Loop: Header=BB6_34 Depth=1
	s_mov_b64 s[18:19], -1
	s_mov_b64 s[0:1], 0
                                        ; implicit-def: $sgpr16_sgpr17
                                        ; implicit-def: $vgpr43
	s_mov_b64 s[20:21], s[18:19]
	s_cbranch_execnz .LBB6_169
	s_branch .LBB6_181
.LBB6_167:                              ;   in Loop: Header=BB6_34 Depth=1
	s_or_b64 exec, exec, s[0:1]
	v_lshrrev_b16_e32 v43, 8, v8
	s_and_b64 s[0:1], s[16:17], exec
.LBB6_168:                              ;   in Loop: Header=BB6_34 Depth=1
	s_or_b64 exec, exec, s[8:9]
	s_mov_b64 s[16:17], -1
	s_mov_b64 s[18:19], 0
	s_mov_b64 s[20:21], s[18:19]
	s_branch .LBB6_181
.LBB6_169:                              ;   in Loop: Header=BB6_34 Depth=1
	v_readlane_b32 s0, v48, 46
	s_add_u32 s16, s0, s22
	v_readlane_b32 s0, v48, 47
	s_addc_u32 s1, s0, s23
	s_mov_b32 s0, s93
	s_cmp_lg_u64 s[0:1], 0
	s_cbranch_scc0 .LBB6_210
; %bb.170:                              ;   in Loop: Header=BB6_34 Depth=1
	v_cvt_f32_u32_e32 v2, s33
	s_sub_u32 s0, 0, s33
	s_subb_u32 s8, 0, 0
	v_mac_f32_e32 v2, 0x4f800000, v42
	v_rcp_f32_e32 v2, v2
	v_mul_f32_e32 v2, 0x5f7ffffc, v2
	v_mul_f32_e32 v3, 0x2f800000, v2
	v_trunc_f32_e32 v3, v3
	v_mac_f32_e32 v2, 0xcf800000, v3
	v_cvt_u32_f32_e32 v3, v3
	v_cvt_u32_f32_e32 v2, v2
	v_readfirstlane_b32 s9, v3
	v_readfirstlane_b32 s17, v2
	s_mul_i32 s18, s0, s9
	s_mul_hi_u32 s20, s0, s17
	s_mul_i32 s19, s8, s17
	s_add_i32 s18, s20, s18
	s_mul_i32 s21, s0, s17
	s_add_i32 s18, s18, s19
	s_mul_hi_u32 s20, s17, s21
	s_mul_hi_u32 s19, s17, s18
	s_mul_i32 s17, s17, s18
	s_add_u32 s17, s20, s17
	s_addc_u32 s19, 0, s19
	s_mul_hi_u32 s30, s9, s21
	s_mul_i32 s21, s9, s21
	s_add_u32 s17, s17, s21
	s_mul_hi_u32 s20, s9, s18
	s_addc_u32 s17, s19, s30
	s_addc_u32 s19, s20, 0
	s_mul_i32 s18, s9, s18
	s_add_u32 s17, s17, s18
	s_addc_u32 s18, 0, s19
	v_add_co_u32_e32 v2, vcc, s17, v2
	s_cmp_lg_u64 vcc, 0
	s_addc_u32 s9, s9, s18
	v_readfirstlane_b32 s18, v2
	s_mul_i32 s17, s0, s9
	s_mul_hi_u32 s19, s0, s18
	s_add_i32 s17, s19, s17
	s_mul_i32 s8, s8, s18
	s_add_i32 s17, s17, s8
	s_mul_i32 s0, s0, s18
	s_mul_hi_u32 s19, s9, s0
	s_mul_i32 s20, s9, s0
	s_mul_i32 s30, s18, s17
	s_mul_hi_u32 s0, s18, s0
	s_mul_hi_u32 s21, s18, s17
	s_add_u32 s0, s0, s30
	s_addc_u32 s18, 0, s21
	s_add_u32 s0, s0, s20
	s_mul_hi_u32 s8, s9, s17
	s_addc_u32 s0, s18, s19
	s_addc_u32 s8, s8, 0
	s_mul_i32 s17, s9, s17
	s_add_u32 s0, s0, s17
	s_addc_u32 s8, 0, s8
	v_add_co_u32_e32 v2, vcc, s0, v2
	s_cmp_lg_u64 vcc, 0
	s_addc_u32 s0, s9, s8
	s_ashr_i32 s8, s1, 31
	s_add_u32 s18, s16, s8
	s_mov_b32 s9, s8
	s_addc_u32 s19, s1, s8
	s_xor_b64 s[18:19], s[18:19], s[8:9]
	v_readfirstlane_b32 s20, v2
	s_mul_i32 s17, s18, s0
	s_mul_hi_u32 s21, s18, s20
	s_mul_hi_u32 s9, s18, s0
	s_add_u32 s17, s21, s17
	s_addc_u32 s9, 0, s9
	s_mul_hi_u32 s30, s19, s20
	s_mul_i32 s20, s19, s20
	s_add_u32 s17, s17, s20
	s_mul_hi_u32 s21, s19, s0
	s_addc_u32 s9, s9, s30
	s_addc_u32 s17, s21, 0
	s_mul_i32 s0, s19, s0
	s_add_u32 s0, s9, s0
	s_addc_u32 s9, 0, s17
	s_mul_hi_u32 s17, s33, s0
	s_mul_i32 s0, s33, s0
	s_mul_i32 s9, s33, s9
	v_mov_b32_e32 v2, s0
	s_add_i32 s17, s17, s9
	v_sub_co_u32_e32 v2, vcc, s18, v2
	s_cmp_lg_u64 vcc, 0
	s_subb_u32 s0, s19, s17
	v_subrev_co_u32_e32 v3, vcc, s33, v2
	s_cmp_lg_u64 vcc, 0
	s_subb_u32 s9, s0, 0
	v_subrev_co_u32_e32 v4, vcc, s33, v3
	s_cmp_lg_u64 vcc, 0
	s_subb_u32 s17, s9, 0
	v_cmp_le_u32_e32 vcc, s33, v3
	s_cmp_eq_u32 s9, 0
	v_cndmask_b32_e64 v5, 0, -1, vcc
	s_cselect_b64 vcc, -1, 0
	v_cndmask_b32_e32 v5, -1, v5, vcc
	v_mov_b32_e32 v6, s9
	v_mov_b32_e32 v7, s17
	v_cmp_ne_u32_e32 vcc, 0, v5
	v_cndmask_b32_e32 v5, v6, v7, vcc
	v_cndmask_b32_e32 v3, v3, v4, vcc
	v_cmp_le_u32_e32 vcc, s33, v2
	s_cmp_eq_u32 s0, 0
	v_cndmask_b32_e64 v4, 0, -1, vcc
	s_cselect_b64 vcc, -1, 0
	v_cndmask_b32_e32 v4, -1, v4, vcc
	v_cmp_ne_u32_e32 vcc, 0, v4
	v_mov_b32_e32 v6, s0
	v_cndmask_b32_e32 v2, v2, v3, vcc
	v_cndmask_b32_e32 v4, v6, v5, vcc
	v_xor_b32_e32 v2, s8, v2
	v_xor_b32_e32 v3, s8, v4
	v_mov_b32_e32 v4, s8
	v_subrev_co_u32_e32 v2, vcc, s8, v2
	v_subb_co_u32_e32 v3, vcc, v3, v4, vcc
	s_cbranch_execnz .LBB6_172
.LBB6_171:                              ;   in Loop: Header=BB6_34 Depth=1
	v_cvt_f32_u32_e32 v2, s33
	s_sub_i32 s0, 0, s33
	v_rcp_iflag_f32_e32 v2, v2
	v_mul_f32_e32 v2, 0x4f7ffffe, v2
	v_cvt_u32_f32_e32 v2, v2
	v_mul_lo_u32 v3, s0, v2
	v_mul_hi_u32 v3, v2, v3
	v_add_u32_e32 v2, v2, v3
	v_mul_hi_u32 v2, s16, v2
	v_mul_lo_u32 v2, v2, s33
	v_sub_u32_e32 v2, s16, v2
	v_subrev_u32_e32 v3, s33, v2
	v_cmp_le_u32_e32 vcc, s33, v2
	v_cndmask_b32_e32 v2, v2, v3, vcc
	v_subrev_u32_e32 v3, s33, v2
	v_cmp_le_u32_e32 vcc, s33, v2
	v_cndmask_b32_e32 v12, v2, v3, vcc
	v_pk_mov_b32 v[2:3], v[12:13], v[12:13] op_sel:[0,1]
.LBB6_172:                              ;   in Loop: Header=BB6_34 Depth=1
	v_mov_b32_e32 v4, s1
	v_sub_co_u32_e32 v2, vcc, s16, v2
	v_subb_co_u32_e32 v3, vcc, v4, v3, vcc
	v_cmp_gt_i64_e32 vcc, v[2:3], v[0:1]
	s_mov_b64 s[0:1], 0
                                        ; implicit-def: $vgpr43
	s_and_saveexec_b64 s[8:9], vcc
	s_cbranch_execz .LBB6_180
; %bb.173:                              ;   in Loop: Header=BB6_34 Depth=1
	v_mov_b32_e32 v6, v0
	v_pk_mov_b32 v[4:5], v[0:1], v[0:1] op_sel:[0,1]
                                        ; implicit-def: $sgpr16_sgpr17
	s_branch .LBB6_175
.LBB6_174:                              ;   in Loop: Header=BB6_175 Depth=2
	s_or_b64 exec, exec, s[18:19]
	s_waitcnt lgkmcnt(0)
	s_barrier
	ds_read_u16 v7, v13 offset:3072
	v_mov_b32_e32 v8, s94
	v_add_co_u32_e32 v4, vcc, s33, v4
	v_addc_co_u32_e32 v5, vcc, v5, v8, vcc
	s_waitcnt lgkmcnt(0)
	v_cmp_ne_u16_sdwa s[18:19], v7, v13 src0_sel:BYTE_0 src1_sel:DWORD
	v_cmp_ge_i64_e32 vcc, v[4:5], v[2:3]
	s_or_b64 s[20:21], s[18:19], vcc
	s_and_b64 s[20:21], exec, s[20:21]
	s_or_b64 s[0:1], s[20:21], s[0:1]
	s_andn2_b64 s[16:17], s[16:17], exec
	s_and_b64 s[18:19], s[18:19], exec
	v_add_u32_e32 v6, s33, v6
	s_or_b64 s[16:17], s[16:17], s[18:19]
	s_barrier
	s_andn2_b64 exec, exec, s[0:1]
	s_cbranch_execz .LBB6_179
.LBB6_175:                              ;   Parent Loop BB6_34 Depth=1
                                        ; =>  This Inner Loop Header: Depth=2
	v_cmp_gt_i64_e32 vcc, s[22:23], v[4:5]
	v_mov_b32_e32 v7, 0
	s_and_saveexec_b64 s[18:19], vcc
	s_cbranch_execz .LBB6_177
; %bb.176:                              ;   in Loop: Header=BB6_175 Depth=2
	ds_read_u8 v7, v6
.LBB6_177:                              ;   in Loop: Header=BB6_175 Depth=2
	s_or_b64 exec, exec, s[18:19]
	s_waitcnt lgkmcnt(0)
	v_and_b32_e32 v8, s27, v7
	v_cmp_eq_u32_sdwa s[18:19], v8, s74 src0_sel:BYTE_0 src1_sel:DWORD
	s_and_b64 s[20:21], vcc, s[18:19]
	s_and_saveexec_b64 s[18:19], s[20:21]
	s_cbranch_execz .LBB6_174
; %bb.178:                              ;   in Loop: Header=BB6_175 Depth=2
	v_lshlrev_b16_e32 v7, 8, v7
	v_or_b32_e32 v7, 1, v7
	ds_write_b16 v13, v7 offset:3072
	s_branch .LBB6_174
.LBB6_179:                              ;   in Loop: Header=BB6_34 Depth=1
	s_or_b64 exec, exec, s[0:1]
	v_lshrrev_b16_e32 v43, 8, v7
	s_and_b64 s[0:1], s[16:17], exec
.LBB6_180:                              ;   in Loop: Header=BB6_34 Depth=1
	s_or_b64 exec, exec, s[8:9]
	s_mov_b64 s[20:21], -1
	s_mov_b64 s[18:19], 0
	s_mov_b64 s[16:17], 0
.LBB6_181:                              ;   in Loop: Header=BB6_34 Depth=1
	s_mov_b64 s[8:9], 0
                                        ; implicit-def: $sgpr47
	s_and_saveexec_b64 s[22:23], s[0:1]
	s_cbranch_execz .LBB6_288
; %bb.182:                              ;   in Loop: Header=BB6_34 Depth=1
	s_xor_b64 s[0:1], s[28:29], -1
	s_andn2_b64 vcc, exec, s[0:1]
	s_mov_b32 s47, 1
	s_cbranch_vccnz .LBB6_193
; %bb.183:                              ;   in Loop: Header=BB6_34 Depth=1
	v_pk_mov_b32 v[2:3], s[24:25], s[24:25] op_sel:[0,1]
	v_cmp_gt_i64_e32 vcc, s[54:55], v[2:3]
	s_mov_b64 s[0:1], -1
                                        ; implicit-def: $sgpr47
                                        ; implicit-def: $sgpr8
                                        ; implicit-def: $sgpr9
	s_cbranch_vccnz .LBB6_189
; %bb.184:                              ;   in Loop: Header=BB6_34 Depth=1
	ds_read_b64 v[2:3], v13 offset:5120
	s_waitcnt lgkmcnt(0)
	v_cmp_ne_u64_e32 vcc, 0, v[2:3]
	s_cbranch_vccnz .LBB6_188
; %bb.185:                              ;   in Loop: Header=BB6_34 Depth=1
	s_mov_b64 s[0:1], exec
	v_readlane_b32 s8, v48, 32
	v_readlane_b32 s9, v48, 33
	s_and_b64 s[8:9], s[0:1], s[8:9]
	s_mov_b64 exec, s[8:9]
	s_cbranch_execz .LBB6_187
; %bb.186:                              ;   in Loop: Header=BB6_34 Depth=1
	v_pk_mov_b32 v[2:3], s[24:25], s[24:25] op_sel:[0,1]
	ds_write_b64 v13, v[2:3] offset:5128
.LBB6_187:                              ;   in Loop: Header=BB6_34 Depth=1
	s_or_b64 exec, exec, s[0:1]
	s_waitcnt lgkmcnt(0)
	s_barrier
.LBB6_188:                              ;   in Loop: Header=BB6_34 Depth=1
	s_lshl_b32 s0, 1, s38
	s_and_b32 s1, s74, s39
	s_or_b32 s8, s1, s0
	s_or_b32 s9, s27, s46
	s_mov_b64 s[0:1], 0
	s_mov_b32 s47, 8
.LBB6_189:                              ;   in Loop: Header=BB6_34 Depth=1
	s_andn2_b64 vcc, exec, s[0:1]
	s_cbranch_vccnz .LBB6_191
; %bb.190:                              ;   in Loop: Header=BB6_34 Depth=1
	s_sub_u32 s54, s54, s24
	s_subb_u32 s55, s55, s25
	s_mov_b64 s[0:1], -1
	s_mov_b32 s47, 0
	s_mov_b32 s8, s74
	;; [unrolled: 1-line block ×3, first 2 shown]
.LBB6_191:                              ;   in Loop: Header=BB6_34 Depth=1
	s_mov_b32 s27, s9
	s_mov_b32 s74, s8
	s_andn2_b64 vcc, exec, s[0:1]
	s_mov_b64 s[8:9], -1
	s_cbranch_vccz .LBB6_194
.LBB6_192:                              ;   in Loop: Header=BB6_34 Depth=1
                                        ; implicit-def: $sgpr28_sgpr29
                                        ; implicit-def: $sgpr30_sgpr31
                                        ; implicit-def: $sgpr24_sgpr25
	s_branch .LBB6_287
.LBB6_193:                              ;   in Loop: Header=BB6_34 Depth=1
	s_mov_b64 s[54:55], 1
	s_mov_b64 s[8:9], -1
	s_cbranch_execnz .LBB6_192
.LBB6_194:                              ;   in Loop: Header=BB6_34 Depth=1
	s_cmp_eq_u64 s[14:15], 1
	s_cselect_b64 s[0:1], -1, 0
	s_cmp_eq_u64 s[54:55], 1
	s_cselect_b64 s[8:9], -1, 0
	s_and_b64 s[36:37], s[0:1], s[8:9]
	s_mov_b64 s[0:1], -1
	s_and_b64 vcc, exec, s[36:37]
	s_cbranch_vccz .LBB6_208
; %bb.195:                              ;   in Loop: Header=BB6_34 Depth=1
	ds_read_b64 v[2:3], v13 offset:5120
	s_waitcnt lgkmcnt(0)
	s_barrier
	v_readfirstlane_b32 s34, v2
	v_readfirstlane_b32 s35, v3
	s_mov_b64 s[0:1], exec
	v_readlane_b32 s8, v48, 36
	v_readlane_b32 s9, v48, 37
	s_and_b64 s[8:9], s[0:1], s[8:9]
	s_mov_b64 exec, s[8:9]
	s_cbranch_execz .LBB6_197
; %bb.196:                              ;   in Loop: Header=BB6_34 Depth=1
	ds_write_b8 v0, v13 offset:3072
.LBB6_197:                              ;   in Loop: Header=BB6_34 Depth=1
	s_or_b64 exec, exec, s[0:1]
	s_lshl_b32 s0, 2, s38
	s_and_b32 s1, s74, s39
	s_or_b32 s74, s1, s0
	v_cmp_gt_i64_e64 s[0:1], s[34:35], 0
	s_or_b32 s27, s27, s46
	s_and_b64 vcc, exec, s[0:1]
	s_waitcnt lgkmcnt(0)
	s_barrier
	s_cbranch_vccnz .LBB6_211
; %bb.198:                              ;   in Loop: Header=BB6_34 Depth=1
	s_mov_b32 s84, s93
	s_cmp_lg_u64 s[84:85], 0
	s_cbranch_scc0 .LBB6_254
; %bb.199:                              ;   in Loop: Header=BB6_34 Depth=1
	v_cvt_f32_u32_e32 v2, s33
	s_sub_u32 s0, 0, s33
	s_subb_u32 s1, 0, 0
	v_mac_f32_e32 v2, 0x4f800000, v42
	v_rcp_f32_e32 v2, v2
	v_mul_f32_e32 v2, 0x5f7ffffc, v2
	v_mul_f32_e32 v3, 0x2f800000, v2
	v_trunc_f32_e32 v3, v3
	v_mac_f32_e32 v2, 0xcf800000, v3
	v_cvt_u32_f32_e32 v3, v3
	v_cvt_u32_f32_e32 v2, v2
	v_readfirstlane_b32 s8, v3
	v_readfirstlane_b32 s9, v2
	s_mul_i32 s24, s0, s8
	s_mul_hi_u32 s28, s0, s9
	s_mul_i32 s25, s1, s9
	s_add_i32 s24, s28, s24
	s_mul_i32 s29, s0, s9
	s_add_i32 s24, s24, s25
	s_mul_hi_u32 s28, s9, s29
	s_mul_hi_u32 s25, s9, s24
	s_mul_i32 s9, s9, s24
	s_add_u32 s9, s28, s9
	s_addc_u32 s25, 0, s25
	s_mul_hi_u32 s30, s8, s29
	s_mul_i32 s29, s8, s29
	s_add_u32 s9, s9, s29
	s_mul_hi_u32 s28, s8, s24
	s_addc_u32 s9, s25, s30
	s_addc_u32 s25, s28, 0
	s_mul_i32 s24, s8, s24
	s_add_u32 s9, s9, s24
	s_addc_u32 s24, 0, s25
	v_add_co_u32_e32 v2, vcc, s9, v2
	s_cmp_lg_u64 vcc, 0
	s_addc_u32 s8, s8, s24
	v_readfirstlane_b32 s24, v2
	s_mul_i32 s9, s0, s8
	s_mul_hi_u32 s25, s0, s24
	s_add_i32 s9, s25, s9
	s_mul_i32 s1, s1, s24
	s_add_i32 s9, s9, s1
	s_mul_i32 s0, s0, s24
	s_mul_hi_u32 s25, s8, s0
	s_mul_i32 s28, s8, s0
	s_mul_i32 s30, s24, s9
	s_mul_hi_u32 s0, s24, s0
	s_mul_hi_u32 s29, s24, s9
	s_add_u32 s0, s0, s30
	s_addc_u32 s24, 0, s29
	s_add_u32 s0, s0, s28
	s_mul_hi_u32 s1, s8, s9
	s_addc_u32 s0, s24, s25
	s_addc_u32 s1, s1, 0
	s_mul_i32 s9, s8, s9
	s_add_u32 s0, s0, s9
	s_addc_u32 s1, 0, s1
	v_add_co_u32_e32 v2, vcc, s0, v2
	s_cmp_lg_u64 vcc, 0
	s_addc_u32 s24, s8, s1
	s_ashr_i32 s0, s85, 31
	s_add_u32 s8, s73, s0
	s_mov_b32 s1, s0
	s_addc_u32 s9, s85, s0
	s_xor_b64 s[8:9], s[8:9], s[0:1]
	v_readfirstlane_b32 s28, v2
	s_mul_i32 s25, s8, s24
	s_mul_hi_u32 s29, s8, s28
	s_mul_hi_u32 s1, s8, s24
	s_add_u32 s25, s29, s25
	s_addc_u32 s1, 0, s1
	s_mul_hi_u32 s30, s9, s28
	s_mul_i32 s28, s9, s28
	s_add_u32 s25, s25, s28
	s_mul_hi_u32 s29, s9, s24
	s_addc_u32 s1, s1, s30
	s_addc_u32 s25, s29, 0
	s_mul_i32 s24, s9, s24
	s_add_u32 s1, s1, s24
	s_addc_u32 s24, 0, s25
	s_mul_hi_u32 s25, s33, s1
	s_mul_i32 s1, s33, s1
	s_mul_i32 s24, s33, s24
	v_mov_b32_e32 v2, s1
	s_add_i32 s25, s25, s24
	v_sub_co_u32_e32 v2, vcc, s8, v2
	s_cmp_lg_u64 vcc, 0
	s_subb_u32 s1, s9, s25
	v_subrev_co_u32_e32 v3, vcc, s33, v2
	s_cmp_lg_u64 vcc, 0
	s_subb_u32 s8, s1, 0
	v_subrev_co_u32_e32 v4, vcc, s33, v3
	s_cmp_lg_u64 vcc, 0
	s_subb_u32 s9, s8, 0
	v_cmp_le_u32_e32 vcc, s33, v3
	s_cmp_eq_u32 s8, 0
	v_cndmask_b32_e64 v5, 0, -1, vcc
	s_cselect_b64 vcc, -1, 0
	v_cndmask_b32_e32 v5, -1, v5, vcc
	v_mov_b32_e32 v6, s8
	v_mov_b32_e32 v7, s9
	v_cmp_ne_u32_e32 vcc, 0, v5
	v_cndmask_b32_e32 v5, v6, v7, vcc
	v_cndmask_b32_e32 v3, v3, v4, vcc
	v_cmp_le_u32_e32 vcc, s33, v2
	s_cmp_eq_u32 s1, 0
	v_cndmask_b32_e64 v4, 0, -1, vcc
	s_cselect_b64 vcc, -1, 0
	v_cndmask_b32_e32 v4, -1, v4, vcc
	v_cmp_ne_u32_e32 vcc, 0, v4
	v_mov_b32_e32 v6, s1
	v_cndmask_b32_e32 v2, v2, v3, vcc
	v_cndmask_b32_e32 v4, v6, v5, vcc
	v_xor_b32_e32 v2, s0, v2
	v_xor_b32_e32 v3, s0, v4
	v_mov_b32_e32 v4, s0
	v_subrev_co_u32_e32 v2, vcc, s0, v2
	v_subb_co_u32_e32 v3, vcc, v3, v4, vcc
	s_cbranch_execnz .LBB6_201
.LBB6_200:                              ;   in Loop: Header=BB6_34 Depth=1
	v_cvt_f32_u32_e32 v2, s33
	s_sub_i32 s0, 0, s33
	v_rcp_iflag_f32_e32 v2, v2
	v_mul_f32_e32 v2, 0x4f7ffffe, v2
	v_cvt_u32_f32_e32 v2, v2
	v_mul_lo_u32 v3, s0, v2
	v_mul_hi_u32 v3, v2, v3
	v_add_u32_e32 v2, v2, v3
	v_mul_hi_u32 v2, s73, v2
	v_mul_lo_u32 v2, v2, s33
	v_sub_u32_e32 v2, s73, v2
	v_subrev_u32_e32 v3, s33, v2
	v_cmp_le_u32_e32 vcc, s33, v2
	v_cndmask_b32_e32 v2, v2, v3, vcc
	v_subrev_u32_e32 v3, s33, v2
	v_cmp_le_u32_e32 vcc, s33, v2
	v_cndmask_b32_e32 v12, v2, v3, vcc
	v_pk_mov_b32 v[2:3], v[12:13], v[12:13] op_sel:[0,1]
.LBB6_201:                              ;   in Loop: Header=BB6_34 Depth=1
	v_mov_b32_e32 v4, s85
	v_sub_co_u32_e32 v2, vcc, s73, v2
	v_subb_co_u32_e32 v3, vcc, v4, v3, vcc
	v_cmp_gt_i64_e32 vcc, v[2:3], v[0:1]
	s_mov_b64 s[0:1], 0
                                        ; implicit-def: $vgpr43
	s_and_saveexec_b64 s[8:9], vcc
	s_cbranch_execz .LBB6_213
; %bb.202:                              ;   in Loop: Header=BB6_34 Depth=1
	v_pk_mov_b32 v[4:5], v[10:11], v[10:11] op_sel:[0,1]
	v_pk_mov_b32 v[6:7], v[0:1], v[0:1] op_sel:[0,1]
                                        ; implicit-def: $sgpr24_sgpr25
	s_branch .LBB6_204
.LBB6_203:                              ;   in Loop: Header=BB6_204 Depth=2
	s_or_b64 exec, exec, s[28:29]
	s_waitcnt lgkmcnt(0)
	s_barrier
	ds_read_u16 v8, v13 offset:3072
	v_mov_b32_e32 v9, s94
	v_add_co_u32_e32 v6, vcc, s33, v6
	v_addc_co_u32_e32 v7, vcc, v7, v9, vcc
	s_waitcnt lgkmcnt(0)
	v_cmp_ne_u16_sdwa s[28:29], v8, v13 src0_sel:BYTE_0 src1_sel:DWORD
	v_cmp_ge_i64_e32 vcc, v[6:7], v[2:3]
	s_or_b64 s[30:31], s[28:29], vcc
	s_and_b64 s[30:31], exec, s[30:31]
	s_or_b64 s[0:1], s[30:31], s[0:1]
	v_mov_b32_e32 v9, s95
	v_add_co_u32_e32 v4, vcc, s72, v4
	s_andn2_b64 s[24:25], s[24:25], exec
	s_and_b64 s[28:29], s[28:29], exec
	v_addc_co_u32_e32 v5, vcc, v5, v9, vcc
	s_or_b64 s[24:25], s[24:25], s[28:29]
	s_barrier
	s_andn2_b64 exec, exec, s[0:1]
	s_cbranch_execz .LBB6_212
.LBB6_204:                              ;   Parent Loop BB6_34 Depth=1
                                        ; =>  This Inner Loop Header: Depth=2
	v_cmp_gt_i64_e32 vcc, s[52:53], v[6:7]
	v_mov_b32_e32 v8, 0
	s_and_saveexec_b64 s[28:29], vcc
	s_cbranch_execz .LBB6_206
; %bb.205:                              ;   in Loop: Header=BB6_204 Depth=2
	global_load_ubyte v8, v[4:5], off
.LBB6_206:                              ;   in Loop: Header=BB6_204 Depth=2
	s_or_b64 exec, exec, s[28:29]
	s_waitcnt vmcnt(0)
	v_and_b32_e32 v9, s27, v8
	v_cmp_eq_u32_sdwa s[28:29], v9, s74 src0_sel:BYTE_0 src1_sel:DWORD
	s_and_b64 s[30:31], vcc, s[28:29]
	s_and_saveexec_b64 s[28:29], s[30:31]
	s_cbranch_execz .LBB6_203
; %bb.207:                              ;   in Loop: Header=BB6_204 Depth=2
	v_lshlrev_b16_e32 v8, 8, v8
	v_or_b32_e32 v8, 1, v8
	ds_write_b16 v13, v8 offset:3072
	s_branch .LBB6_203
.LBB6_208:                              ;   in Loop: Header=BB6_34 Depth=1
                                        ; implicit-def: $sgpr24_sgpr25
                                        ; implicit-def: $sgpr30_sgpr31
                                        ; implicit-def: $sgpr28_sgpr29
	s_branch .LBB6_226
.LBB6_209:                              ;   in Loop: Header=BB6_34 Depth=1
                                        ; implicit-def: $vgpr2_vgpr3
	s_branch .LBB6_155
.LBB6_210:                              ;   in Loop: Header=BB6_34 Depth=1
                                        ; implicit-def: $vgpr2_vgpr3
	s_branch .LBB6_171
.LBB6_211:                              ;   in Loop: Header=BB6_34 Depth=1
	s_mov_b64 s[24:25], -1
	s_mov_b64 s[0:1], 0
                                        ; implicit-def: $sgpr28_sgpr29
                                        ; implicit-def: $vgpr43
	s_mov_b64 s[30:31], s[24:25]
	s_cbranch_execnz .LBB6_214
	s_branch .LBB6_226
.LBB6_212:                              ;   in Loop: Header=BB6_34 Depth=1
	s_or_b64 exec, exec, s[0:1]
	v_lshrrev_b16_e32 v43, 8, v8
	s_and_b64 s[0:1], s[24:25], exec
.LBB6_213:                              ;   in Loop: Header=BB6_34 Depth=1
	s_or_b64 exec, exec, s[8:9]
	s_mov_b64 s[28:29], -1
	s_mov_b64 s[24:25], 0
	s_mov_b64 s[30:31], s[24:25]
	s_branch .LBB6_226
.LBB6_214:                              ;   in Loop: Header=BB6_34 Depth=1
	v_readlane_b32 s0, v48, 46
	s_add_u32 s24, s0, s34
	v_readlane_b32 s0, v48, 47
	s_addc_u32 s1, s0, s35
	s_mov_b32 s0, s93
	s_cmp_lg_u64 s[0:1], 0
	s_cbranch_scc0 .LBB6_255
; %bb.215:                              ;   in Loop: Header=BB6_34 Depth=1
	v_cvt_f32_u32_e32 v2, s33
	s_sub_u32 s0, 0, s33
	s_subb_u32 s8, 0, 0
	v_mac_f32_e32 v2, 0x4f800000, v42
	v_rcp_f32_e32 v2, v2
	v_mul_f32_e32 v2, 0x5f7ffffc, v2
	v_mul_f32_e32 v3, 0x2f800000, v2
	v_trunc_f32_e32 v3, v3
	v_mac_f32_e32 v2, 0xcf800000, v3
	v_cvt_u32_f32_e32 v3, v3
	v_cvt_u32_f32_e32 v2, v2
	v_readfirstlane_b32 s9, v3
	v_readfirstlane_b32 s25, v2
	s_mul_i32 s28, s0, s9
	s_mul_hi_u32 s30, s0, s25
	s_mul_i32 s29, s8, s25
	s_add_i32 s28, s30, s28
	s_mul_i32 s31, s0, s25
	s_add_i32 s28, s28, s29
	s_mul_hi_u32 s30, s25, s31
	s_mul_hi_u32 s29, s25, s28
	s_mul_i32 s25, s25, s28
	s_add_u32 s25, s30, s25
	s_addc_u32 s29, 0, s29
	s_mul_hi_u32 s40, s9, s31
	s_mul_i32 s31, s9, s31
	s_add_u32 s25, s25, s31
	s_mul_hi_u32 s30, s9, s28
	s_addc_u32 s25, s29, s40
	s_addc_u32 s29, s30, 0
	s_mul_i32 s28, s9, s28
	s_add_u32 s25, s25, s28
	s_addc_u32 s28, 0, s29
	v_add_co_u32_e32 v2, vcc, s25, v2
	s_cmp_lg_u64 vcc, 0
	s_addc_u32 s9, s9, s28
	v_readfirstlane_b32 s28, v2
	s_mul_i32 s25, s0, s9
	s_mul_hi_u32 s29, s0, s28
	s_add_i32 s25, s29, s25
	s_mul_i32 s8, s8, s28
	s_add_i32 s25, s25, s8
	s_mul_i32 s0, s0, s28
	s_mul_hi_u32 s29, s9, s0
	s_mul_i32 s30, s9, s0
	s_mul_i32 s40, s28, s25
	s_mul_hi_u32 s0, s28, s0
	s_mul_hi_u32 s31, s28, s25
	s_add_u32 s0, s0, s40
	s_addc_u32 s28, 0, s31
	s_add_u32 s0, s0, s30
	s_mul_hi_u32 s8, s9, s25
	s_addc_u32 s0, s28, s29
	s_addc_u32 s8, s8, 0
	s_mul_i32 s25, s9, s25
	s_add_u32 s0, s0, s25
	s_addc_u32 s8, 0, s8
	v_add_co_u32_e32 v2, vcc, s0, v2
	s_cmp_lg_u64 vcc, 0
	s_addc_u32 s0, s9, s8
	s_ashr_i32 s8, s1, 31
	s_add_u32 s28, s24, s8
	s_mov_b32 s9, s8
	s_addc_u32 s29, s1, s8
	s_xor_b64 s[28:29], s[28:29], s[8:9]
	v_readfirstlane_b32 s30, v2
	s_mul_i32 s25, s28, s0
	s_mul_hi_u32 s31, s28, s30
	s_mul_hi_u32 s9, s28, s0
	s_add_u32 s25, s31, s25
	s_addc_u32 s9, 0, s9
	s_mul_hi_u32 s40, s29, s30
	s_mul_i32 s30, s29, s30
	s_add_u32 s25, s25, s30
	s_mul_hi_u32 s31, s29, s0
	s_addc_u32 s9, s9, s40
	s_addc_u32 s25, s31, 0
	s_mul_i32 s0, s29, s0
	s_add_u32 s0, s9, s0
	s_addc_u32 s9, 0, s25
	s_mul_hi_u32 s25, s33, s0
	s_mul_i32 s0, s33, s0
	s_mul_i32 s9, s33, s9
	v_mov_b32_e32 v2, s0
	s_add_i32 s25, s25, s9
	v_sub_co_u32_e32 v2, vcc, s28, v2
	s_cmp_lg_u64 vcc, 0
	s_subb_u32 s0, s29, s25
	v_subrev_co_u32_e32 v3, vcc, s33, v2
	s_cmp_lg_u64 vcc, 0
	s_subb_u32 s9, s0, 0
	v_subrev_co_u32_e32 v4, vcc, s33, v3
	s_cmp_lg_u64 vcc, 0
	s_subb_u32 s25, s9, 0
	v_cmp_le_u32_e32 vcc, s33, v3
	s_cmp_eq_u32 s9, 0
	v_cndmask_b32_e64 v5, 0, -1, vcc
	s_cselect_b64 vcc, -1, 0
	v_cndmask_b32_e32 v5, -1, v5, vcc
	v_mov_b32_e32 v6, s9
	v_mov_b32_e32 v7, s25
	v_cmp_ne_u32_e32 vcc, 0, v5
	v_cndmask_b32_e32 v5, v6, v7, vcc
	v_cndmask_b32_e32 v3, v3, v4, vcc
	v_cmp_le_u32_e32 vcc, s33, v2
	s_cmp_eq_u32 s0, 0
	v_cndmask_b32_e64 v4, 0, -1, vcc
	s_cselect_b64 vcc, -1, 0
	v_cndmask_b32_e32 v4, -1, v4, vcc
	v_cmp_ne_u32_e32 vcc, 0, v4
	v_mov_b32_e32 v6, s0
	v_cndmask_b32_e32 v2, v2, v3, vcc
	v_cndmask_b32_e32 v4, v6, v5, vcc
	v_xor_b32_e32 v2, s8, v2
	v_xor_b32_e32 v3, s8, v4
	v_mov_b32_e32 v4, s8
	v_subrev_co_u32_e32 v2, vcc, s8, v2
	v_subb_co_u32_e32 v3, vcc, v3, v4, vcc
	s_cbranch_execnz .LBB6_217
.LBB6_216:                              ;   in Loop: Header=BB6_34 Depth=1
	v_cvt_f32_u32_e32 v2, s33
	s_sub_i32 s0, 0, s33
	v_rcp_iflag_f32_e32 v2, v2
	v_mul_f32_e32 v2, 0x4f7ffffe, v2
	v_cvt_u32_f32_e32 v2, v2
	v_mul_lo_u32 v3, s0, v2
	v_mul_hi_u32 v3, v2, v3
	v_add_u32_e32 v2, v2, v3
	v_mul_hi_u32 v2, s24, v2
	v_mul_lo_u32 v2, v2, s33
	v_sub_u32_e32 v2, s24, v2
	v_subrev_u32_e32 v3, s33, v2
	v_cmp_le_u32_e32 vcc, s33, v2
	v_cndmask_b32_e32 v2, v2, v3, vcc
	v_subrev_u32_e32 v3, s33, v2
	v_cmp_le_u32_e32 vcc, s33, v2
	v_cndmask_b32_e32 v12, v2, v3, vcc
	v_pk_mov_b32 v[2:3], v[12:13], v[12:13] op_sel:[0,1]
.LBB6_217:                              ;   in Loop: Header=BB6_34 Depth=1
	v_mov_b32_e32 v4, s1
	v_sub_co_u32_e32 v2, vcc, s24, v2
	v_subb_co_u32_e32 v3, vcc, v4, v3, vcc
	v_cmp_gt_i64_e32 vcc, v[2:3], v[0:1]
	s_mov_b64 s[0:1], 0
                                        ; implicit-def: $vgpr43
	s_and_saveexec_b64 s[8:9], vcc
	s_cbranch_execz .LBB6_225
; %bb.218:                              ;   in Loop: Header=BB6_34 Depth=1
	v_mov_b32_e32 v6, v0
	v_pk_mov_b32 v[4:5], v[0:1], v[0:1] op_sel:[0,1]
                                        ; implicit-def: $sgpr24_sgpr25
	s_branch .LBB6_220
.LBB6_219:                              ;   in Loop: Header=BB6_220 Depth=2
	s_or_b64 exec, exec, s[28:29]
	s_waitcnt lgkmcnt(0)
	s_barrier
	ds_read_u16 v7, v13 offset:3072
	v_mov_b32_e32 v8, s94
	v_add_co_u32_e32 v4, vcc, s33, v4
	v_addc_co_u32_e32 v5, vcc, v5, v8, vcc
	s_waitcnt lgkmcnt(0)
	v_cmp_ne_u16_sdwa s[28:29], v7, v13 src0_sel:BYTE_0 src1_sel:DWORD
	v_cmp_ge_i64_e32 vcc, v[4:5], v[2:3]
	s_or_b64 s[30:31], s[28:29], vcc
	s_and_b64 s[30:31], exec, s[30:31]
	s_or_b64 s[0:1], s[30:31], s[0:1]
	s_andn2_b64 s[24:25], s[24:25], exec
	s_and_b64 s[28:29], s[28:29], exec
	v_add_u32_e32 v6, s33, v6
	s_or_b64 s[24:25], s[24:25], s[28:29]
	s_barrier
	s_andn2_b64 exec, exec, s[0:1]
	s_cbranch_execz .LBB6_224
.LBB6_220:                              ;   Parent Loop BB6_34 Depth=1
                                        ; =>  This Inner Loop Header: Depth=2
	v_cmp_gt_i64_e32 vcc, s[34:35], v[4:5]
	v_mov_b32_e32 v7, 0
	s_and_saveexec_b64 s[28:29], vcc
	s_cbranch_execz .LBB6_222
; %bb.221:                              ;   in Loop: Header=BB6_220 Depth=2
	ds_read_u8 v7, v6
.LBB6_222:                              ;   in Loop: Header=BB6_220 Depth=2
	s_or_b64 exec, exec, s[28:29]
	s_waitcnt lgkmcnt(0)
	v_and_b32_e32 v8, s27, v7
	v_cmp_eq_u32_sdwa s[28:29], v8, s74 src0_sel:BYTE_0 src1_sel:DWORD
	s_and_b64 s[30:31], vcc, s[28:29]
	s_and_saveexec_b64 s[28:29], s[30:31]
	s_cbranch_execz .LBB6_219
; %bb.223:                              ;   in Loop: Header=BB6_220 Depth=2
	v_lshlrev_b16_e32 v7, 8, v7
	v_or_b32_e32 v7, 1, v7
	ds_write_b16 v13, v7 offset:3072
	s_branch .LBB6_219
.LBB6_224:                              ;   in Loop: Header=BB6_34 Depth=1
	s_or_b64 exec, exec, s[0:1]
	v_lshrrev_b16_e32 v43, 8, v7
	s_and_b64 s[0:1], s[24:25], exec
.LBB6_225:                              ;   in Loop: Header=BB6_34 Depth=1
	s_or_b64 exec, exec, s[8:9]
	s_mov_b64 s[30:31], -1
	s_mov_b64 s[24:25], 0
	s_mov_b64 s[28:29], 0
.LBB6_226:                              ;   in Loop: Header=BB6_34 Depth=1
	s_mov_b64 s[8:9], 0
                                        ; implicit-def: $sgpr47
	s_and_saveexec_b64 s[34:35], s[0:1]
	s_cbranch_execz .LBB6_286
; %bb.227:                              ;   in Loop: Header=BB6_34 Depth=1
	s_xor_b64 s[0:1], s[36:37], -1
	s_andn2_b64 vcc, exec, s[0:1]
	s_mov_b32 s47, 1
	s_cbranch_vccnz .LBB6_238
; %bb.228:                              ;   in Loop: Header=BB6_34 Depth=1
	v_pk_mov_b32 v[2:3], s[14:15], s[14:15] op_sel:[0,1]
	v_cmp_gt_i64_e32 vcc, s[54:55], v[2:3]
	s_mov_b64 s[0:1], -1
                                        ; implicit-def: $sgpr47
                                        ; implicit-def: $sgpr8
                                        ; implicit-def: $sgpr9
	s_cbranch_vccnz .LBB6_234
; %bb.229:                              ;   in Loop: Header=BB6_34 Depth=1
	ds_read_b64 v[2:3], v13 offset:5120
	s_waitcnt lgkmcnt(0)
	v_cmp_ne_u64_e32 vcc, 0, v[2:3]
	s_cbranch_vccnz .LBB6_233
; %bb.230:                              ;   in Loop: Header=BB6_34 Depth=1
	s_mov_b64 s[0:1], exec
	v_readlane_b32 s8, v48, 32
	v_readlane_b32 s9, v48, 33
	s_and_b64 s[8:9], s[0:1], s[8:9]
	s_mov_b64 exec, s[8:9]
	s_cbranch_execz .LBB6_232
; %bb.231:                              ;   in Loop: Header=BB6_34 Depth=1
	v_pk_mov_b32 v[2:3], s[14:15], s[14:15] op_sel:[0,1]
	ds_write_b64 v13, v[2:3] offset:5128
.LBB6_232:                              ;   in Loop: Header=BB6_34 Depth=1
	s_or_b64 exec, exec, s[0:1]
	s_waitcnt lgkmcnt(0)
	s_barrier
.LBB6_233:                              ;   in Loop: Header=BB6_34 Depth=1
	s_lshl_b32 s0, 2, s38
	s_and_b32 s1, s74, s39
	s_or_b32 s8, s1, s0
	s_or_b32 s9, s27, s46
	s_mov_b64 s[0:1], 0
	s_mov_b32 s47, 8
.LBB6_234:                              ;   in Loop: Header=BB6_34 Depth=1
	s_andn2_b64 vcc, exec, s[0:1]
	s_cbranch_vccnz .LBB6_236
; %bb.235:                              ;   in Loop: Header=BB6_34 Depth=1
	s_sub_u32 s54, s54, s14
	s_subb_u32 s55, s55, s15
	s_mov_b64 s[0:1], -1
	s_mov_b32 s47, 0
	s_mov_b32 s8, s74
	;; [unrolled: 1-line block ×3, first 2 shown]
.LBB6_236:                              ;   in Loop: Header=BB6_34 Depth=1
	s_mov_b32 s27, s9
	s_mov_b32 s74, s8
	s_andn2_b64 vcc, exec, s[0:1]
	s_mov_b64 s[42:43], -1
	s_cbranch_vccz .LBB6_239
.LBB6_237:                              ;   in Loop: Header=BB6_34 Depth=1
                                        ; implicit-def: $sgpr0_sgpr1
                                        ; implicit-def: $sgpr38_sgpr39
                                        ; implicit-def: $sgpr8_sgpr9
	s_branch .LBB6_285
.LBB6_238:                              ;   in Loop: Header=BB6_34 Depth=1
	s_mov_b64 s[54:55], 1
	s_mov_b64 s[42:43], -1
	s_cbranch_execnz .LBB6_237
.LBB6_239:                              ;   in Loop: Header=BB6_34 Depth=1
	s_cmp_eq_u64 s[6:7], 1
	s_cselect_b64 s[0:1], -1, 0
	s_cmp_eq_u64 s[54:55], 1
	s_cselect_b64 s[8:9], -1, 0
	s_and_b64 s[14:15], s[0:1], s[8:9]
	s_mov_b64 s[40:41], -1
	s_and_b64 vcc, exec, s[14:15]
	s_cbranch_vccz .LBB6_253
; %bb.240:                              ;   in Loop: Header=BB6_34 Depth=1
	ds_read_b64 v[2:3], v13 offset:5120
	s_waitcnt lgkmcnt(0)
	s_barrier
	v_readfirstlane_b32 s36, v2
	v_readfirstlane_b32 s37, v3
	s_mov_b64 s[0:1], exec
	v_readlane_b32 s8, v48, 36
	v_readlane_b32 s9, v48, 37
	s_and_b64 s[8:9], s[0:1], s[8:9]
	s_mov_b64 exec, s[8:9]
	s_cbranch_execz .LBB6_242
; %bb.241:                              ;   in Loop: Header=BB6_34 Depth=1
	ds_write_b8 v0, v13 offset:3072
.LBB6_242:                              ;   in Loop: Header=BB6_34 Depth=1
	s_or_b64 exec, exec, s[0:1]
	v_cmp_gt_i64_e64 s[0:1], s[36:37], 0
	s_or_b32 s74, s74, s46
	s_or_b32 s27, s27, s46
	s_and_b64 vcc, exec, s[0:1]
	s_waitcnt lgkmcnt(0)
	s_barrier
	s_cbranch_vccnz .LBB6_256
; %bb.243:                              ;   in Loop: Header=BB6_34 Depth=1
	s_mov_b32 s84, s93
	s_cmp_lg_u64 s[84:85], 0
	s_cbranch_scc0 .LBB6_291
; %bb.244:                              ;   in Loop: Header=BB6_34 Depth=1
	v_cvt_f32_u32_e32 v2, s33
	s_sub_u32 s0, 0, s33
	s_subb_u32 s1, 0, 0
	v_mac_f32_e32 v2, 0x4f800000, v42
	v_rcp_f32_e32 v2, v2
	v_mul_f32_e32 v2, 0x5f7ffffc, v2
	v_mul_f32_e32 v3, 0x2f800000, v2
	v_trunc_f32_e32 v3, v3
	v_mac_f32_e32 v2, 0xcf800000, v3
	v_cvt_u32_f32_e32 v3, v3
	v_cvt_u32_f32_e32 v2, v2
	v_readfirstlane_b32 s8, v3
	v_readfirstlane_b32 s9, v2
	s_mul_i32 s38, s0, s8
	s_mul_hi_u32 s40, s0, s9
	s_mul_i32 s39, s1, s9
	s_add_i32 s38, s40, s38
	s_mul_i32 s41, s0, s9
	s_add_i32 s38, s38, s39
	s_mul_hi_u32 s40, s9, s41
	s_mul_hi_u32 s39, s9, s38
	s_mul_i32 s9, s9, s38
	s_add_u32 s9, s40, s9
	s_addc_u32 s39, 0, s39
	s_mul_hi_u32 s42, s8, s41
	s_mul_i32 s41, s8, s41
	s_add_u32 s9, s9, s41
	s_mul_hi_u32 s40, s8, s38
	s_addc_u32 s9, s39, s42
	s_addc_u32 s39, s40, 0
	s_mul_i32 s38, s8, s38
	s_add_u32 s9, s9, s38
	s_addc_u32 s38, 0, s39
	v_add_co_u32_e32 v2, vcc, s9, v2
	s_cmp_lg_u64 vcc, 0
	s_addc_u32 s8, s8, s38
	v_readfirstlane_b32 s38, v2
	s_mul_i32 s9, s0, s8
	s_mul_hi_u32 s39, s0, s38
	s_add_i32 s9, s39, s9
	s_mul_i32 s1, s1, s38
	s_add_i32 s9, s9, s1
	s_mul_i32 s0, s0, s38
	s_mul_hi_u32 s39, s8, s0
	s_mul_i32 s40, s8, s0
	s_mul_i32 s42, s38, s9
	s_mul_hi_u32 s0, s38, s0
	s_mul_hi_u32 s41, s38, s9
	s_add_u32 s0, s0, s42
	s_addc_u32 s38, 0, s41
	s_add_u32 s0, s0, s40
	s_mul_hi_u32 s1, s8, s9
	s_addc_u32 s0, s38, s39
	s_addc_u32 s1, s1, 0
	s_mul_i32 s9, s8, s9
	s_add_u32 s0, s0, s9
	s_addc_u32 s1, 0, s1
	v_add_co_u32_e32 v2, vcc, s0, v2
	s_cmp_lg_u64 vcc, 0
	s_addc_u32 s38, s8, s1
	s_ashr_i32 s0, s85, 31
	s_add_u32 s8, s73, s0
	s_mov_b32 s1, s0
	s_addc_u32 s9, s85, s0
	s_xor_b64 s[8:9], s[8:9], s[0:1]
	v_readfirstlane_b32 s40, v2
	s_mul_i32 s39, s8, s38
	s_mul_hi_u32 s41, s8, s40
	s_mul_hi_u32 s1, s8, s38
	s_add_u32 s39, s41, s39
	s_addc_u32 s1, 0, s1
	s_mul_hi_u32 s42, s9, s40
	s_mul_i32 s40, s9, s40
	s_add_u32 s39, s39, s40
	s_mul_hi_u32 s41, s9, s38
	s_addc_u32 s1, s1, s42
	s_addc_u32 s39, s41, 0
	s_mul_i32 s38, s9, s38
	s_add_u32 s1, s1, s38
	s_addc_u32 s38, 0, s39
	s_mul_hi_u32 s39, s33, s1
	s_mul_i32 s1, s33, s1
	s_mul_i32 s38, s33, s38
	v_mov_b32_e32 v2, s1
	s_add_i32 s39, s39, s38
	v_sub_co_u32_e32 v2, vcc, s8, v2
	s_cmp_lg_u64 vcc, 0
	s_subb_u32 s1, s9, s39
	v_subrev_co_u32_e32 v3, vcc, s33, v2
	s_cmp_lg_u64 vcc, 0
	s_subb_u32 s8, s1, 0
	v_subrev_co_u32_e32 v4, vcc, s33, v3
	s_cmp_lg_u64 vcc, 0
	s_subb_u32 s9, s8, 0
	v_cmp_le_u32_e32 vcc, s33, v3
	s_cmp_eq_u32 s8, 0
	v_cndmask_b32_e64 v5, 0, -1, vcc
	s_cselect_b64 vcc, -1, 0
	v_cndmask_b32_e32 v5, -1, v5, vcc
	v_mov_b32_e32 v6, s8
	v_mov_b32_e32 v7, s9
	v_cmp_ne_u32_e32 vcc, 0, v5
	v_cndmask_b32_e32 v5, v6, v7, vcc
	v_cndmask_b32_e32 v3, v3, v4, vcc
	v_cmp_le_u32_e32 vcc, s33, v2
	s_cmp_eq_u32 s1, 0
	v_cndmask_b32_e64 v4, 0, -1, vcc
	s_cselect_b64 vcc, -1, 0
	v_cndmask_b32_e32 v4, -1, v4, vcc
	v_cmp_ne_u32_e32 vcc, 0, v4
	v_mov_b32_e32 v6, s1
	v_cndmask_b32_e32 v2, v2, v3, vcc
	v_cndmask_b32_e32 v4, v6, v5, vcc
	v_xor_b32_e32 v2, s0, v2
	v_xor_b32_e32 v3, s0, v4
	v_mov_b32_e32 v4, s0
	v_subrev_co_u32_e32 v2, vcc, s0, v2
	v_subb_co_u32_e32 v3, vcc, v3, v4, vcc
	s_cbranch_execnz .LBB6_246
.LBB6_245:                              ;   in Loop: Header=BB6_34 Depth=1
	v_cvt_f32_u32_e32 v2, s33
	s_sub_i32 s0, 0, s33
	v_rcp_iflag_f32_e32 v2, v2
	v_mul_f32_e32 v2, 0x4f7ffffe, v2
	v_cvt_u32_f32_e32 v2, v2
	v_mul_lo_u32 v3, s0, v2
	v_mul_hi_u32 v3, v2, v3
	v_add_u32_e32 v2, v2, v3
	v_mul_hi_u32 v2, s73, v2
	v_mul_lo_u32 v2, v2, s33
	v_sub_u32_e32 v2, s73, v2
	v_subrev_u32_e32 v3, s33, v2
	v_cmp_le_u32_e32 vcc, s33, v2
	v_cndmask_b32_e32 v2, v2, v3, vcc
	v_subrev_u32_e32 v3, s33, v2
	v_cmp_le_u32_e32 vcc, s33, v2
	v_cndmask_b32_e32 v12, v2, v3, vcc
	v_pk_mov_b32 v[2:3], v[12:13], v[12:13] op_sel:[0,1]
.LBB6_246:                              ;   in Loop: Header=BB6_34 Depth=1
	v_mov_b32_e32 v4, s85
	v_sub_co_u32_e32 v2, vcc, s73, v2
	v_subb_co_u32_e32 v3, vcc, v4, v3, vcc
	v_cmp_gt_i64_e32 vcc, v[2:3], v[0:1]
	s_mov_b64 s[40:41], 0
                                        ; implicit-def: $vgpr43
	s_and_saveexec_b64 s[0:1], vcc
	s_cbranch_execz .LBB6_258
; %bb.247:                              ;   in Loop: Header=BB6_34 Depth=1
	s_mov_b64 s[8:9], 0
	v_pk_mov_b32 v[4:5], v[10:11], v[10:11] op_sel:[0,1]
	v_pk_mov_b32 v[6:7], v[0:1], v[0:1] op_sel:[0,1]
                                        ; implicit-def: $sgpr38_sgpr39
	s_branch .LBB6_249
.LBB6_248:                              ;   in Loop: Header=BB6_249 Depth=2
	s_or_b64 exec, exec, s[40:41]
	s_waitcnt lgkmcnt(0)
	s_barrier
	ds_read_u16 v8, v13 offset:3072
	v_mov_b32_e32 v9, s94
	v_add_co_u32_e32 v6, vcc, s33, v6
	v_addc_co_u32_e32 v7, vcc, v7, v9, vcc
	s_waitcnt lgkmcnt(0)
	v_cmp_ne_u16_sdwa s[40:41], v8, v13 src0_sel:BYTE_0 src1_sel:DWORD
	v_cmp_ge_i64_e32 vcc, v[6:7], v[2:3]
	s_or_b64 s[42:43], s[40:41], vcc
	s_and_b64 s[42:43], exec, s[42:43]
	s_or_b64 s[8:9], s[42:43], s[8:9]
	v_mov_b32_e32 v9, s95
	v_add_co_u32_e32 v4, vcc, s72, v4
	s_andn2_b64 s[38:39], s[38:39], exec
	s_and_b64 s[40:41], s[40:41], exec
	v_addc_co_u32_e32 v5, vcc, v5, v9, vcc
	s_or_b64 s[38:39], s[38:39], s[40:41]
	s_barrier
	s_andn2_b64 exec, exec, s[8:9]
	s_cbranch_execz .LBB6_257
.LBB6_249:                              ;   Parent Loop BB6_34 Depth=1
                                        ; =>  This Inner Loop Header: Depth=2
	v_cmp_gt_i64_e32 vcc, s[52:53], v[6:7]
	v_mov_b32_e32 v8, 0
	s_and_saveexec_b64 s[40:41], vcc
	s_cbranch_execz .LBB6_251
; %bb.250:                              ;   in Loop: Header=BB6_249 Depth=2
	global_load_ubyte v8, v[4:5], off
.LBB6_251:                              ;   in Loop: Header=BB6_249 Depth=2
	s_or_b64 exec, exec, s[40:41]
	s_waitcnt vmcnt(0)
	v_and_b32_e32 v9, s27, v8
	v_cmp_eq_u32_sdwa s[40:41], v9, s74 src0_sel:BYTE_0 src1_sel:DWORD
	s_and_b64 s[42:43], vcc, s[40:41]
	s_and_saveexec_b64 s[40:41], s[42:43]
	s_cbranch_execz .LBB6_248
; %bb.252:                              ;   in Loop: Header=BB6_249 Depth=2
	v_lshlrev_b16_e32 v8, 8, v8
	v_or_b32_e32 v8, 1, v8
	ds_write_b16 v13, v8 offset:3072
	s_branch .LBB6_248
.LBB6_253:                              ;   in Loop: Header=BB6_34 Depth=1
                                        ; implicit-def: $sgpr0_sgpr1
                                        ; implicit-def: $sgpr38_sgpr39
                                        ; implicit-def: $sgpr8_sgpr9
	s_branch .LBB6_271
.LBB6_254:                              ;   in Loop: Header=BB6_34 Depth=1
                                        ; implicit-def: $vgpr2_vgpr3
	s_branch .LBB6_200
.LBB6_255:                              ;   in Loop: Header=BB6_34 Depth=1
                                        ; implicit-def: $vgpr2_vgpr3
	s_branch .LBB6_216
.LBB6_256:                              ;   in Loop: Header=BB6_34 Depth=1
	s_mov_b64 s[0:1], -1
	s_mov_b64 s[40:41], 0
                                        ; implicit-def: $sgpr8_sgpr9
                                        ; implicit-def: $vgpr43
	s_mov_b64 s[38:39], s[0:1]
	s_cbranch_execnz .LBB6_259
	s_branch .LBB6_271
.LBB6_257:                              ;   in Loop: Header=BB6_34 Depth=1
	s_or_b64 exec, exec, s[8:9]
	v_lshrrev_b16_e32 v43, 8, v8
	s_and_b64 s[40:41], s[38:39], exec
.LBB6_258:                              ;   in Loop: Header=BB6_34 Depth=1
	s_or_b64 exec, exec, s[0:1]
	s_mov_b64 s[8:9], -1
	s_mov_b64 s[0:1], 0
	s_mov_b64 s[38:39], s[0:1]
	s_branch .LBB6_271
.LBB6_259:                              ;   in Loop: Header=BB6_34 Depth=1
	v_readlane_b32 s0, v48, 46
	s_add_u32 s38, s0, s36
	v_readlane_b32 s0, v48, 47
	s_addc_u32 s1, s0, s37
	s_mov_b32 s0, s93
	s_cmp_lg_u64 s[0:1], 0
	s_cbranch_scc0 .LBB6_292
; %bb.260:                              ;   in Loop: Header=BB6_34 Depth=1
	v_cvt_f32_u32_e32 v2, s33
	s_sub_u32 s0, 0, s33
	s_subb_u32 s8, 0, 0
	v_mac_f32_e32 v2, 0x4f800000, v42
	v_rcp_f32_e32 v2, v2
	v_mul_f32_e32 v2, 0x5f7ffffc, v2
	v_mul_f32_e32 v3, 0x2f800000, v2
	v_trunc_f32_e32 v3, v3
	v_mac_f32_e32 v2, 0xcf800000, v3
	v_cvt_u32_f32_e32 v3, v3
	v_cvt_u32_f32_e32 v2, v2
	v_readfirstlane_b32 s9, v3
	v_readfirstlane_b32 s39, v2
	s_mul_i32 s40, s0, s9
	s_mul_hi_u32 s42, s0, s39
	s_mul_i32 s41, s8, s39
	s_add_i32 s40, s42, s40
	s_mul_i32 s43, s0, s39
	s_add_i32 s40, s40, s41
	s_mul_hi_u32 s42, s39, s43
	s_mul_hi_u32 s41, s39, s40
	s_mul_i32 s39, s39, s40
	s_add_u32 s39, s42, s39
	s_addc_u32 s41, 0, s41
	s_mul_hi_u32 s44, s9, s43
	s_mul_i32 s43, s9, s43
	s_add_u32 s39, s39, s43
	s_mul_hi_u32 s42, s9, s40
	s_addc_u32 s39, s41, s44
	s_addc_u32 s41, s42, 0
	s_mul_i32 s40, s9, s40
	s_add_u32 s39, s39, s40
	s_addc_u32 s40, 0, s41
	v_add_co_u32_e32 v2, vcc, s39, v2
	s_cmp_lg_u64 vcc, 0
	s_addc_u32 s9, s9, s40
	v_readfirstlane_b32 s40, v2
	s_mul_i32 s39, s0, s9
	s_mul_hi_u32 s41, s0, s40
	s_add_i32 s39, s41, s39
	s_mul_i32 s8, s8, s40
	s_add_i32 s39, s39, s8
	s_mul_i32 s0, s0, s40
	s_mul_hi_u32 s41, s9, s0
	s_mul_i32 s42, s9, s0
	s_mul_i32 s44, s40, s39
	s_mul_hi_u32 s0, s40, s0
	s_mul_hi_u32 s43, s40, s39
	s_add_u32 s0, s0, s44
	s_addc_u32 s40, 0, s43
	s_add_u32 s0, s0, s42
	s_mul_hi_u32 s8, s9, s39
	s_addc_u32 s0, s40, s41
	s_addc_u32 s8, s8, 0
	s_mul_i32 s39, s9, s39
	s_add_u32 s0, s0, s39
	s_addc_u32 s8, 0, s8
	v_add_co_u32_e32 v2, vcc, s0, v2
	s_cmp_lg_u64 vcc, 0
	s_addc_u32 s0, s9, s8
	s_ashr_i32 s8, s1, 31
	s_add_u32 s40, s38, s8
	s_mov_b32 s9, s8
	s_addc_u32 s41, s1, s8
	s_xor_b64 s[40:41], s[40:41], s[8:9]
	v_readfirstlane_b32 s42, v2
	s_mul_i32 s39, s40, s0
	s_mul_hi_u32 s43, s40, s42
	s_mul_hi_u32 s9, s40, s0
	s_add_u32 s39, s43, s39
	s_addc_u32 s9, 0, s9
	s_mul_hi_u32 s44, s41, s42
	s_mul_i32 s42, s41, s42
	s_add_u32 s39, s39, s42
	s_mul_hi_u32 s43, s41, s0
	s_addc_u32 s9, s9, s44
	s_addc_u32 s39, s43, 0
	s_mul_i32 s0, s41, s0
	s_add_u32 s0, s9, s0
	s_addc_u32 s9, 0, s39
	s_mul_hi_u32 s39, s33, s0
	s_mul_i32 s0, s33, s0
	s_mul_i32 s9, s33, s9
	v_mov_b32_e32 v2, s0
	s_add_i32 s39, s39, s9
	v_sub_co_u32_e32 v2, vcc, s40, v2
	s_cmp_lg_u64 vcc, 0
	s_subb_u32 s0, s41, s39
	v_subrev_co_u32_e32 v3, vcc, s33, v2
	s_cmp_lg_u64 vcc, 0
	s_subb_u32 s9, s0, 0
	v_subrev_co_u32_e32 v4, vcc, s33, v3
	s_cmp_lg_u64 vcc, 0
	s_subb_u32 s39, s9, 0
	v_cmp_le_u32_e32 vcc, s33, v3
	s_cmp_eq_u32 s9, 0
	v_cndmask_b32_e64 v5, 0, -1, vcc
	s_cselect_b64 vcc, -1, 0
	v_cndmask_b32_e32 v5, -1, v5, vcc
	v_mov_b32_e32 v6, s9
	v_mov_b32_e32 v7, s39
	v_cmp_ne_u32_e32 vcc, 0, v5
	v_cndmask_b32_e32 v5, v6, v7, vcc
	v_cndmask_b32_e32 v3, v3, v4, vcc
	v_cmp_le_u32_e32 vcc, s33, v2
	s_cmp_eq_u32 s0, 0
	v_cndmask_b32_e64 v4, 0, -1, vcc
	s_cselect_b64 vcc, -1, 0
	v_cndmask_b32_e32 v4, -1, v4, vcc
	v_cmp_ne_u32_e32 vcc, 0, v4
	v_mov_b32_e32 v6, s0
	v_cndmask_b32_e32 v2, v2, v3, vcc
	v_cndmask_b32_e32 v4, v6, v5, vcc
	v_xor_b32_e32 v2, s8, v2
	v_xor_b32_e32 v3, s8, v4
	v_mov_b32_e32 v4, s8
	v_subrev_co_u32_e32 v2, vcc, s8, v2
	v_subb_co_u32_e32 v3, vcc, v3, v4, vcc
	s_cbranch_execnz .LBB6_262
.LBB6_261:                              ;   in Loop: Header=BB6_34 Depth=1
	v_cvt_f32_u32_e32 v2, s33
	s_sub_i32 s0, 0, s33
	v_rcp_iflag_f32_e32 v2, v2
	v_mul_f32_e32 v2, 0x4f7ffffe, v2
	v_cvt_u32_f32_e32 v2, v2
	v_mul_lo_u32 v3, s0, v2
	v_mul_hi_u32 v3, v2, v3
	v_add_u32_e32 v2, v2, v3
	v_mul_hi_u32 v2, s38, v2
	v_mul_lo_u32 v2, v2, s33
	v_sub_u32_e32 v2, s38, v2
	v_subrev_u32_e32 v3, s33, v2
	v_cmp_le_u32_e32 vcc, s33, v2
	v_cndmask_b32_e32 v2, v2, v3, vcc
	v_subrev_u32_e32 v3, s33, v2
	v_cmp_le_u32_e32 vcc, s33, v2
	v_cndmask_b32_e32 v12, v2, v3, vcc
	v_pk_mov_b32 v[2:3], v[12:13], v[12:13] op_sel:[0,1]
.LBB6_262:                              ;   in Loop: Header=BB6_34 Depth=1
	v_mov_b32_e32 v4, s1
	v_sub_co_u32_e32 v2, vcc, s38, v2
	v_subb_co_u32_e32 v3, vcc, v4, v3, vcc
	v_cmp_gt_i64_e32 vcc, v[2:3], v[0:1]
	s_mov_b64 s[40:41], 0
                                        ; implicit-def: $vgpr43
	s_and_saveexec_b64 s[0:1], vcc
	s_cbranch_execz .LBB6_270
; %bb.263:                              ;   in Loop: Header=BB6_34 Depth=1
	s_mov_b64 s[8:9], 0
	v_mov_b32_e32 v6, v0
	v_pk_mov_b32 v[4:5], v[0:1], v[0:1] op_sel:[0,1]
                                        ; implicit-def: $sgpr38_sgpr39
	s_branch .LBB6_265
.LBB6_264:                              ;   in Loop: Header=BB6_265 Depth=2
	s_or_b64 exec, exec, s[40:41]
	s_waitcnt lgkmcnt(0)
	s_barrier
	ds_read_u16 v7, v13 offset:3072
	v_mov_b32_e32 v8, s94
	v_add_co_u32_e32 v4, vcc, s33, v4
	v_addc_co_u32_e32 v5, vcc, v5, v8, vcc
	s_waitcnt lgkmcnt(0)
	v_cmp_ne_u16_sdwa s[40:41], v7, v13 src0_sel:BYTE_0 src1_sel:DWORD
	v_cmp_ge_i64_e32 vcc, v[4:5], v[2:3]
	s_or_b64 s[42:43], s[40:41], vcc
	s_and_b64 s[42:43], exec, s[42:43]
	s_or_b64 s[8:9], s[42:43], s[8:9]
	s_andn2_b64 s[38:39], s[38:39], exec
	s_and_b64 s[40:41], s[40:41], exec
	v_add_u32_e32 v6, s33, v6
	s_or_b64 s[38:39], s[38:39], s[40:41]
	s_barrier
	s_andn2_b64 exec, exec, s[8:9]
	s_cbranch_execz .LBB6_269
.LBB6_265:                              ;   Parent Loop BB6_34 Depth=1
                                        ; =>  This Inner Loop Header: Depth=2
	v_cmp_gt_i64_e32 vcc, s[36:37], v[4:5]
	v_mov_b32_e32 v7, 0
	s_and_saveexec_b64 s[40:41], vcc
	s_cbranch_execz .LBB6_267
; %bb.266:                              ;   in Loop: Header=BB6_265 Depth=2
	ds_read_u8 v7, v6
.LBB6_267:                              ;   in Loop: Header=BB6_265 Depth=2
	s_or_b64 exec, exec, s[40:41]
	s_waitcnt lgkmcnt(0)
	v_and_b32_e32 v8, s27, v7
	v_cmp_eq_u32_sdwa s[40:41], v8, s74 src0_sel:BYTE_0 src1_sel:DWORD
	s_and_b64 s[42:43], vcc, s[40:41]
	s_and_saveexec_b64 s[40:41], s[42:43]
	s_cbranch_execz .LBB6_264
; %bb.268:                              ;   in Loop: Header=BB6_265 Depth=2
	v_lshlrev_b16_e32 v7, 8, v7
	v_or_b32_e32 v7, 1, v7
	ds_write_b16 v13, v7 offset:3072
	s_branch .LBB6_264
.LBB6_269:                              ;   in Loop: Header=BB6_34 Depth=1
	s_or_b64 exec, exec, s[8:9]
	v_lshrrev_b16_e32 v43, 8, v7
	s_and_b64 s[40:41], s[38:39], exec
.LBB6_270:                              ;   in Loop: Header=BB6_34 Depth=1
	s_or_b64 exec, exec, s[0:1]
	s_mov_b64 s[38:39], -1
	s_mov_b64 s[0:1], 0
	s_mov_b64 s[8:9], 0
.LBB6_271:                              ;   in Loop: Header=BB6_34 Depth=1
	s_mov_b64 s[42:43], 0
                                        ; implicit-def: $sgpr47
                                        ; implicit-def: $sgpr44_sgpr45
	s_and_saveexec_b64 s[36:37], s[40:41]
	s_cbranch_execz .LBB6_284
; %bb.272:                              ;   in Loop: Header=BB6_34 Depth=1
	s_xor_b64 s[14:15], s[14:15], -1
	s_mov_b64 s[44:45], 1
	s_andn2_b64 vcc, exec, s[14:15]
	s_mov_b32 s47, 1
	s_cbranch_vccnz .LBB6_283
; %bb.273:                              ;   in Loop: Header=BB6_34 Depth=1
	v_pk_mov_b32 v[2:3], s[6:7], s[6:7] op_sel:[0,1]
	v_cmp_gt_i64_e32 vcc, s[54:55], v[2:3]
	s_cbranch_vccnz .LBB6_279
; %bb.274:                              ;   in Loop: Header=BB6_34 Depth=1
	ds_read_b64 v[2:3], v13 offset:5120
	s_waitcnt lgkmcnt(0)
	v_cmp_ne_u64_e32 vcc, 0, v[2:3]
	s_cbranch_vccnz .LBB6_278
; %bb.275:                              ;   in Loop: Header=BB6_34 Depth=1
	s_mov_b64 s[14:15], exec
	v_readlane_b32 s40, v48, 32
	v_readlane_b32 s41, v48, 33
	s_and_b64 s[40:41], s[14:15], s[40:41]
	s_mov_b64 exec, s[40:41]
	s_cbranch_execz .LBB6_277
; %bb.276:                              ;   in Loop: Header=BB6_34 Depth=1
	v_pk_mov_b32 v[2:3], s[6:7], s[6:7] op_sel:[0,1]
	ds_write_b64 v13, v[2:3] offset:5128
.LBB6_277:                              ;   in Loop: Header=BB6_34 Depth=1
	s_or_b64 exec, exec, s[14:15]
	s_waitcnt lgkmcnt(0)
	s_barrier
.LBB6_278:                              ;   in Loop: Header=BB6_34 Depth=1
	s_or_b32 s40, s74, s46
	s_or_b32 s41, s27, s46
	s_mov_b64 s[14:15], 0
	s_mov_b32 s47, 8
	s_branch .LBB6_280
.LBB6_279:                              ;   in Loop: Header=BB6_34 Depth=1
	s_mov_b64 s[14:15], -1
                                        ; implicit-def: $sgpr47
                                        ; implicit-def: $sgpr40
                                        ; implicit-def: $sgpr41
.LBB6_280:                              ;   in Loop: Header=BB6_34 Depth=1
	s_andn2_b64 vcc, exec, s[14:15]
	s_cbranch_vccnz .LBB6_282
; %bb.281:                              ;   in Loop: Header=BB6_34 Depth=1
	s_sub_u32 s54, s54, s6
	s_subb_u32 s55, s55, s7
	s_mov_b32 s47, 8
	s_mov_b32 s40, s74
	;; [unrolled: 1-line block ×3, first 2 shown]
.LBB6_282:                              ;   in Loop: Header=BB6_34 Depth=1
	s_mov_b64 s[44:45], s[54:55]
	s_mov_b32 s74, s40
	s_mov_b32 s27, s41
.LBB6_283:                              ;   in Loop: Header=BB6_34 Depth=1
	s_mov_b64 s[42:43], exec
.LBB6_284:                              ;   in Loop: Header=BB6_34 Depth=1
	s_or_b64 exec, exec, s[36:37]
	s_mov_b64 s[54:55], s[44:45]
.LBB6_285:                              ;   in Loop: Header=BB6_34 Depth=1
	s_andn2_b64 s[6:7], s[24:25], exec
	s_and_b64 s[0:1], s[0:1], exec
	s_or_b64 s[24:25], s[6:7], s[0:1]
	s_andn2_b64 s[0:1], s[30:31], exec
	s_and_b64 s[6:7], s[38:39], exec
	s_or_b64 s[30:31], s[0:1], s[6:7]
	;; [unrolled: 3-line block ×3, first 2 shown]
	s_and_b64 s[8:9], s[42:43], exec
.LBB6_286:                              ;   in Loop: Header=BB6_34 Depth=1
	s_or_b64 exec, exec, s[34:35]
.LBB6_287:                              ;   in Loop: Header=BB6_34 Depth=1
	s_andn2_b64 s[0:1], s[18:19], exec
	s_and_b64 s[6:7], s[24:25], exec
	s_or_b64 s[18:19], s[0:1], s[6:7]
	s_andn2_b64 s[0:1], s[20:21], exec
	s_and_b64 s[6:7], s[30:31], exec
	s_or_b64 s[20:21], s[0:1], s[6:7]
	s_andn2_b64 s[0:1], s[16:17], exec
	s_and_b64 s[6:7], s[28:29], exec
	s_or_b64 s[16:17], s[0:1], s[6:7]
	s_and_b64 s[8:9], s[8:9], exec
.LBB6_288:                              ;   in Loop: Header=BB6_34 Depth=1
	s_or_b64 exec, exec, s[22:23]
	s_and_saveexec_b64 s[0:1], s[8:9]
	s_xor_b64 s[0:1], exec, s[0:1]
	s_cbranch_execz .LBB6_32
.LBB6_289:                              ;   in Loop: Header=BB6_34 Depth=1
	s_and_b32 s6, s47, -9
	s_cmp_eq_u32 s6, 0
	s_cbranch_scc1 .LBB6_30
; %bb.290:                              ;   in Loop: Header=BB6_34 Depth=1
	s_mov_b64 s[6:7], -1
                                        ; implicit-def: $sgpr27
                                        ; implicit-def: $sgpr3
                                        ; implicit-def: $sgpr26
	s_mov_b64 s[8:9], -1
	s_branch .LBB6_31
.LBB6_291:                              ;   in Loop: Header=BB6_34 Depth=1
                                        ; implicit-def: $vgpr2_vgpr3
	s_branch .LBB6_245
.LBB6_292:                              ;   in Loop: Header=BB6_34 Depth=1
                                        ; implicit-def: $vgpr2_vgpr3
	s_branch .LBB6_261
.LBB6_293:
	s_or_b64 exec, exec, s[78:79]
	s_xor_b64 s[8:9], s[62:63], -1
	s_xor_b64 s[0:1], s[82:83], -1
	;; [unrolled: 1-line block ×3, first 2 shown]
	s_mov_b64 s[4:5], 0
	s_and_saveexec_b64 s[2:3], s[0:1]
	s_xor_b64 s[0:1], exec, s[2:3]
	s_cbranch_execnz .LBB6_298
; %bb.294:
	s_andn2_saveexec_b64 s[0:1], s[0:1]
	s_cbranch_execnz .LBB6_320
.LBB6_295:
	s_or_b64 exec, exec, s[0:1]
	s_and_saveexec_b64 s[0:1], s[4:5]
.LBB6_296:
	; divergent unreachable
.LBB6_297:
	s_endpgm
.LBB6_298:
	s_and_saveexec_b64 s[2:3], s[8:9]
	s_xor_b64 s[4:5], exec, s[2:3]
	s_cbranch_execz .LBB6_318
; %bb.299:
	s_and_saveexec_b64 s[2:3], s[6:7]
	s_xor_b64 s[6:7], exec, s[2:3]
; %bb.300:
	v_mov_b32_e32 v43, v2
; %bb.301:
	s_or_b64 exec, exec, s[6:7]
	s_mov_b64 s[6:7], exec
	v_readlane_b32 s2, v48, 32
	v_readlane_b32 s3, v48, 33
	;; [unrolled: 1-line block ×3, first 2 shown]
	s_and_b64 s[2:3], s[6:7], s[2:3]
	v_readlane_b32 s24, v48, 34
	v_readlane_b32 s27, v48, 27
	;; [unrolled: 1-line block ×3, first 2 shown]
	s_mov_b64 exec, s[2:3]
	s_cbranch_execz .LBB6_303
; %bb.302:
	v_mov_b32_e32 v2, 0
	v_mov_b32_e32 v3, s52
	ds_write_b32 v2, v3 offset:5140
.LBB6_303:
	s_or_b64 exec, exec, s[6:7]
	s_waitcnt lgkmcnt(0)
	s_barrier
	s_mov_b64 s[6:7], exec
	v_readlane_b32 s2, v48, 42
	v_readlane_b32 s3, v48, 43
	s_and_b64 s[2:3], s[6:7], s[2:3]
	s_mov_b64 exec, s[2:3]
	s_cbranch_execz .LBB6_315
; %bb.304:
	v_mov_b32_e32 v2, 0
	ds_read_b32 v4, v2 offset:5140
	s_mov_b64 s[2:3], 0
                                        ; implicit-def: $sgpr8_sgpr9
                                        ; implicit-def: $sgpr10_sgpr11
                                        ; implicit-def: $sgpr12_sgpr13
	s_waitcnt lgkmcnt(0)
	v_ashrrev_i32_e32 v5, 31, v4
	s_branch .LBB6_307
.LBB6_305:                              ;   in Loop: Header=BB6_307 Depth=1
	s_or_b64 exec, exec, s[18:19]
	s_andn2_b64 s[12:13], s[12:13], exec
	s_and_b64 s[16:17], s[16:17], exec
	s_or_b64 s[12:13], s[12:13], s[16:17]
	s_andn2_b64 s[10:11], s[10:11], exec
	s_and_b64 s[16:17], s[20:21], exec
	s_or_b64 s[10:11], s[10:11], s[16:17]
.LBB6_306:                              ;   in Loop: Header=BB6_307 Depth=1
	s_or_b64 exec, exec, s[14:15]
	s_and_b64 s[14:15], exec, s[10:11]
	s_or_b64 s[2:3], s[14:15], s[2:3]
	s_andn2_b64 s[8:9], s[8:9], exec
	s_and_b64 s[14:15], s[12:13], exec
	s_or_b64 s[8:9], s[8:9], s[14:15]
	s_andn2_b64 exec, exec, s[2:3]
	s_cbranch_execz .LBB6_310
.LBB6_307:                              ; =>This Inner Loop Header: Depth=1
	v_pk_mov_b32 v[2:3], v[0:1], v[0:1] op_sel:[0,1]
	v_cmp_lt_i64_e32 vcc, v[2:3], v[4:5]
	s_or_b64 s[12:13], s[12:13], exec
	s_or_b64 s[10:11], s[10:11], exec
                                        ; implicit-def: $vgpr0_vgpr1
	s_and_saveexec_b64 s[14:15], vcc
	s_cbranch_execz .LBB6_306
; %bb.308:                              ;   in Loop: Header=BB6_307 Depth=1
	global_load_ubyte v0, v[10:11], off
	s_mov_b64 s[20:21], -1
	s_mov_b64 s[16:17], 0
	s_waitcnt vmcnt(0)
	v_cmp_ne_u16_sdwa s[22:23], v0, v43 src0_sel:DWORD src1_sel:BYTE_0
                                        ; implicit-def: $vgpr0_vgpr1
	s_and_saveexec_b64 s[18:19], s[22:23]
	s_cbranch_execz .LBB6_305
; %bb.309:                              ;   in Loop: Header=BB6_307 Depth=1
	v_mov_b32_e32 v1, s94
	v_add_co_u32_e32 v0, vcc, s33, v2
	v_addc_co_u32_e32 v1, vcc, v3, v1, vcc
	v_mov_b32_e32 v3, s95
	v_add_co_u32_e32 v10, vcc, s72, v10
	v_addc_co_u32_e32 v11, vcc, v11, v3, vcc
	v_cmp_le_i64_e32 vcc, s[52:53], v[0:1]
	s_mov_b64 s[16:17], exec
	s_orn2_b64 s[20:21], vcc, exec
	s_branch .LBB6_305
.LBB6_310:
	s_or_b64 exec, exec, s[2:3]
	s_xor_b64 s[2:3], s[8:9], -1
	s_and_saveexec_b64 s[8:9], s[2:3]
	s_xor_b64 s[8:9], exec, s[8:9]
	s_cbranch_execz .LBB6_315
; %bb.311:
	s_mov_b64 s[2:3], exec
	s_brev_b32 s8, -2
.LBB6_312:                              ; =>This Inner Loop Header: Depth=1
	s_ff1_i32_b64 s9, s[2:3]
	v_readlane_b32 s12, v2, s9
	s_lshl_b64 s[10:11], 1, s9
	s_min_i32 s8, s8, s12
	s_andn2_b64 s[2:3], s[2:3], s[10:11]
	s_cmp_lg_u64 s[2:3], 0
	s_cbranch_scc1 .LBB6_312
; %bb.313:
	v_mbcnt_lo_u32_b32 v0, exec_lo, 0
	v_mbcnt_hi_u32_b32 v0, exec_hi, v0
	v_cmp_eq_u32_e32 vcc, 0, v0
	s_and_saveexec_b64 s[2:3], vcc
	s_xor_b64 s[2:3], exec, s[2:3]
	s_cbranch_execz .LBB6_315
; %bb.314:
	v_mov_b32_e32 v0, 0
	v_mov_b32_e32 v1, s8
	ds_min_i32 v0, v1 offset:5140
.LBB6_315:
	s_or_b64 exec, exec, s[6:7]
	s_waitcnt lgkmcnt(0)
	s_barrier
	s_mov_b64 s[2:3], exec
	v_readlane_b32 s6, v48, 32
	v_readlane_b32 s7, v48, 33
	s_and_b64 s[6:7], s[2:3], s[6:7]
	s_mov_b64 exec, s[6:7]
	s_cbranch_execz .LBB6_317
; %bb.316:
	v_readlane_b32 s20, v48, 6
	v_readlane_b32 s22, v48, 8
	;; [unrolled: 1-line block ×3, first 2 shown]
	s_mul_i32 s6, s26, s23
	s_mul_hi_u32 s7, s26, s22
	s_add_i32 s6, s7, s6
	s_mul_i32 s7, s27, s22
	s_add_i32 s6, s6, s7
	s_mul_i32 s7, s26, s22
	v_readlane_b32 s10, v48, 12
	s_sub_u32 s8, s24, s7
	v_readlane_b32 s11, v48, 13
	s_subb_u32 s6, 0, s6
	s_mul_i32 s7, s8, s11
	s_mul_hi_u32 s9, s8, s10
	v_readlane_b32 s16, v48, 0
	s_add_i32 s7, s9, s7
	s_mul_i32 s6, s6, s10
	v_readlane_b32 s17, v48, 1
	v_readlane_b32 s22, v48, 10
	s_add_i32 s7, s7, s6
	s_mul_i32 s6, s8, s10
	v_readlane_b32 s23, v48, 11
	s_mul_i32 s8, s22, s17
	s_mul_hi_u32 s9, s22, s16
	s_add_i32 s8, s9, s8
	s_mul_i32 s9, s23, s16
	s_add_i32 s8, s8, s9
	s_mul_i32 s9, s22, s16
	v_readlane_b32 s16, v48, 4
	v_readlane_b32 s28, v48, 20
	;; [unrolled: 1-line block ×3, first 2 shown]
	s_sub_u32 s9, s16, s9
	v_readlane_b32 s30, v48, 22
	v_readlane_b32 s31, v48, 23
	s_subb_u32 s8, s17, s8
	s_mul_i32 s10, s9, s31
	s_mul_hi_u32 s11, s9, s30
	v_readlane_b32 s29, v48, 21
	s_add_i32 s10, s11, s10
	s_mul_i32 s8, s8, s30
	s_add_i32 s12, s10, s8
	s_mul_i32 s13, s9, s30
	s_mul_i32 s8, s22, s29
	s_mul_hi_u32 s9, s22, s28
	v_readlane_b32 s18, v48, 2
	v_readlane_b32 s19, v48, 3
	s_add_i32 s8, s9, s8
	s_mul_i32 s9, s23, s28
	s_add_i32 s14, s8, s9
	s_mul_i32 s8, s16, s19
	s_mul_hi_u32 s9, s16, s18
	s_add_i32 s8, s9, s8
	s_mul_i32 s9, s17, s18
	s_add_i32 s8, s8, s9
	s_mul_i32 s9, s16, s18
	v_readlane_b32 s18, v48, 18
	s_sub_u32 s9, s24, s9
	v_readlane_b32 s19, v48, 19
	s_subb_u32 s8, 0, s8
	s_mul_i32 s10, s9, s19
	s_mul_hi_u32 s11, s9, s18
	v_readlane_b32 s21, v48, 7
	s_add_i32 s10, s11, s10
	s_mul_i32 s8, s8, s18
	s_mul_i32 s17, s9, s18
	v_readlane_b32 s18, v48, 24
	s_add_i32 s16, s10, s8
	v_readlane_b32 s19, v48, 25
	s_mul_i32 s8, s18, s21
	s_mul_hi_u32 s9, s18, s20
	s_add_i32 s8, s9, s8
	s_mul_i32 s9, s19, s20
	s_mul_i32 s15, s22, s28
	s_add_i32 s8, s8, s9
	s_mul_i32 s9, s18, s20
	v_readlane_b32 s20, v48, 14
	s_sub_u32 s10, s26, s9
	v_readlane_b32 s22, v48, 16
	v_readlane_b32 s23, v48, 17
	s_subb_u32 s8, s27, s8
	s_mul_i32 s9, s10, s23
	s_mul_hi_u32 s11, s10, s22
	v_readlane_b32 s21, v48, 15
	s_add_i32 s9, s11, s9
	s_mul_i32 s8, s8, s22
	s_add_i32 s9, s9, s8
	s_mul_i32 s8, s10, s22
	s_mul_i32 s10, s18, s21
	s_mul_hi_u32 s11, s18, s20
	s_add_i32 s10, s11, s10
	s_mul_i32 s11, s19, s20
	s_add_i32 s11, s10, s11
	s_mul_i32 s10, s18, s20
	v_readlane_b32 s18, v48, 30
	v_readlane_b32 s19, v48, 31
	s_add_u32 s15, s18, s15
	s_addc_u32 s14, s19, s14
	s_add_u32 s13, s15, s13
	s_addc_u32 s14, s14, s12
	;; [unrolled: 2-line block ×3, first 2 shown]
	s_lshl_b64 s[10:11], s[10:11], 3
	v_readlane_b32 s14, v48, 28
	v_mov_b32_e32 v2, 0
	v_readlane_b32 s15, v48, 29
	s_add_u32 s10, s14, s10
	ds_read_b32 v0, v2 offset:5140
	s_addc_u32 s11, s15, s11
	s_lshl_b64 s[8:9], s[8:9], 3
	s_add_u32 s8, s10, s8
	s_addc_u32 s9, s11, s9
	s_lshl_b64 s[6:7], s[6:7], 3
	s_add_u32 s6, s8, s6
	s_addc_u32 s7, s9, s7
	s_waitcnt lgkmcnt(0)
	v_ashrrev_i32_e32 v1, 31, v0
	global_store_dwordx2 v2, v[0:1], s[6:7]
	global_store_byte v2, v43, s[12:13]
.LBB6_317:
	s_or_b64 exec, exec, s[2:3]
.LBB6_318:
	s_or_saveexec_b64 s[2:3], s[4:5]
	s_mov_b64 s[4:5], 0
	s_xor_b64 exec, exec, s[2:3]
	s_cbranch_execnz .LBB6_321
.LBB6_319:
	s_or_b64 exec, exec, s[2:3]
	s_and_b64 s[4:5], s[4:5], exec
	s_andn2_saveexec_b64 s[0:1], s[0:1]
	s_cbranch_execz .LBB6_295
.LBB6_320:
	s_or_b64 s[4:5], s[4:5], exec
	s_trap 2
	s_or_b64 exec, exec, s[0:1]
	s_and_saveexec_b64 s[0:1], s[4:5]
	s_cbranch_execnz .LBB6_296
	s_branch .LBB6_297
.LBB6_321:
	s_mov_b64 s[4:5], exec
	s_trap 2
	s_branch .LBB6_319
	.section	.rodata,"a",@progbits
	.p2align	6, 0x0
	.amdhsa_kernel _ZN2at6native12_GLOBAL__N_114gatherKthValueIhlLi3EEEvNS_4cuda6detail10TensorInfoIKT_T0_EES8_S8_S8_S8_NS5_IS6_S8_EENS5_IlS8_EE
		.amdhsa_group_segment_fixed_size 5144
		.amdhsa_private_segment_fixed_size 0
		.amdhsa_kernarg_size 1536
		.amdhsa_user_sgpr_count 6
		.amdhsa_user_sgpr_private_segment_buffer 1
		.amdhsa_user_sgpr_dispatch_ptr 0
		.amdhsa_user_sgpr_queue_ptr 0
		.amdhsa_user_sgpr_kernarg_segment_ptr 1
		.amdhsa_user_sgpr_dispatch_id 0
		.amdhsa_user_sgpr_flat_scratch_init 0
		.amdhsa_user_sgpr_kernarg_preload_length 0
		.amdhsa_user_sgpr_kernarg_preload_offset 0
		.amdhsa_user_sgpr_private_segment_size 0
		.amdhsa_uses_dynamic_stack 0
		.amdhsa_system_sgpr_private_segment_wavefront_offset 0
		.amdhsa_system_sgpr_workgroup_id_x 1
		.amdhsa_system_sgpr_workgroup_id_y 1
		.amdhsa_system_sgpr_workgroup_id_z 1
		.amdhsa_system_sgpr_workgroup_info 0
		.amdhsa_system_vgpr_workitem_id 0
		.amdhsa_next_free_vgpr 49
		.amdhsa_next_free_sgpr 96
		.amdhsa_accum_offset 52
		.amdhsa_reserve_vcc 1
		.amdhsa_reserve_flat_scratch 0
		.amdhsa_float_round_mode_32 0
		.amdhsa_float_round_mode_16_64 0
		.amdhsa_float_denorm_mode_32 3
		.amdhsa_float_denorm_mode_16_64 3
		.amdhsa_dx10_clamp 1
		.amdhsa_ieee_mode 1
		.amdhsa_fp16_overflow 0
		.amdhsa_tg_split 0
		.amdhsa_exception_fp_ieee_invalid_op 0
		.amdhsa_exception_fp_denorm_src 0
		.amdhsa_exception_fp_ieee_div_zero 0
		.amdhsa_exception_fp_ieee_overflow 0
		.amdhsa_exception_fp_ieee_underflow 0
		.amdhsa_exception_fp_ieee_inexact 0
		.amdhsa_exception_int_div_zero 0
	.end_amdhsa_kernel
	.section	.text._ZN2at6native12_GLOBAL__N_114gatherKthValueIhlLi3EEEvNS_4cuda6detail10TensorInfoIKT_T0_EES8_S8_S8_S8_NS5_IS6_S8_EENS5_IlS8_EE,"axG",@progbits,_ZN2at6native12_GLOBAL__N_114gatherKthValueIhlLi3EEEvNS_4cuda6detail10TensorInfoIKT_T0_EES8_S8_S8_S8_NS5_IS6_S8_EENS5_IlS8_EE,comdat
.Lfunc_end6:
	.size	_ZN2at6native12_GLOBAL__N_114gatherKthValueIhlLi3EEEvNS_4cuda6detail10TensorInfoIKT_T0_EES8_S8_S8_S8_NS5_IS6_S8_EENS5_IlS8_EE, .Lfunc_end6-_ZN2at6native12_GLOBAL__N_114gatherKthValueIhlLi3EEEvNS_4cuda6detail10TensorInfoIKT_T0_EES8_S8_S8_S8_NS5_IS6_S8_EENS5_IlS8_EE
                                        ; -- End function
	.section	.AMDGPU.csdata,"",@progbits
; Kernel info:
; codeLenInByte = 20452
; NumSgprs: 100
; NumVgprs: 49
; NumAgprs: 0
; TotalNumVgprs: 49
; ScratchSize: 0
; MemoryBound: 0
; FloatMode: 240
; IeeeMode: 1
; LDSByteSize: 5144 bytes/workgroup (compile time only)
; SGPRBlocks: 12
; VGPRBlocks: 6
; NumSGPRsForWavesPerEU: 100
; NumVGPRsForWavesPerEU: 49
; AccumOffset: 52
; Occupancy: 8
; WaveLimiterHint : 1
; COMPUTE_PGM_RSRC2:SCRATCH_EN: 0
; COMPUTE_PGM_RSRC2:USER_SGPR: 6
; COMPUTE_PGM_RSRC2:TRAP_HANDLER: 0
; COMPUTE_PGM_RSRC2:TGID_X_EN: 1
; COMPUTE_PGM_RSRC2:TGID_Y_EN: 1
; COMPUTE_PGM_RSRC2:TGID_Z_EN: 1
; COMPUTE_PGM_RSRC2:TIDIG_COMP_CNT: 0
; COMPUTE_PGM_RSRC3_GFX90A:ACCUM_OFFSET: 12
; COMPUTE_PGM_RSRC3_GFX90A:TG_SPLIT: 0
	.section	.text._ZN2at6native12_GLOBAL__N_114gatherKthValueIhlLin1EEEvNS_4cuda6detail10TensorInfoIKT_T0_EES8_S8_S8_S8_NS5_IS6_S8_EENS5_IlS8_EE,"axG",@progbits,_ZN2at6native12_GLOBAL__N_114gatherKthValueIhlLin1EEEvNS_4cuda6detail10TensorInfoIKT_T0_EES8_S8_S8_S8_NS5_IS6_S8_EENS5_IlS8_EE,comdat
	.globl	_ZN2at6native12_GLOBAL__N_114gatherKthValueIhlLin1EEEvNS_4cuda6detail10TensorInfoIKT_T0_EES8_S8_S8_S8_NS5_IS6_S8_EENS5_IlS8_EE ; -- Begin function _ZN2at6native12_GLOBAL__N_114gatherKthValueIhlLin1EEEvNS_4cuda6detail10TensorInfoIKT_T0_EES8_S8_S8_S8_NS5_IS6_S8_EENS5_IlS8_EE
	.p2align	8
	.type	_ZN2at6native12_GLOBAL__N_114gatherKthValueIhlLin1EEEvNS_4cuda6detail10TensorInfoIKT_T0_EES8_S8_S8_S8_NS5_IS6_S8_EENS5_IlS8_EE,@function
_ZN2at6native12_GLOBAL__N_114gatherKthValueIhlLin1EEEvNS_4cuda6detail10TensorInfoIKT_T0_EES8_S8_S8_S8_NS5_IS6_S8_EENS5_IlS8_EE: ; @_ZN2at6native12_GLOBAL__N_114gatherKthValueIhlLin1EEEvNS_4cuda6detail10TensorInfoIKT_T0_EES8_S8_S8_S8_NS5_IS6_S8_EENS5_IlS8_EE
; %bb.0:
	s_load_dwordx8 s[52:59], s[4:5], 0x1a0
	s_load_dwordx2 s[12:13], s[4:5], 0x500
	s_add_u32 s10, s4, 0x500
	s_addc_u32 s11, s5, 0
	s_mov_b32 s3, 0
	s_waitcnt lgkmcnt(0)
	v_mov_b32_e32 v2, s56
	s_mul_i32 s0, s13, s8
	s_add_i32 s0, s0, s7
	s_mul_i32 s0, s0, s12
	v_mov_b32_e32 v3, s57
	s_add_i32 s2, s0, s6
	v_cmp_ge_i64_e32 vcc, s[2:3], v[2:3]
	s_cbranch_vccnz .LBB7_296
; %bb.1:
	s_load_dword s0, s[4:5], 0x198
	s_mov_b64 s[14:15], 0
	s_mov_b64 s[8:9], s[2:3]
	s_waitcnt lgkmcnt(0)
	s_cmp_lt_i32 s0, 2
	s_cbranch_scc1 .LBB7_9
; %bb.2:
	s_mov_b32 s16, 0
	s_add_i32 s7, s0, 1
	s_add_i32 s0, s0, -1
	s_mov_b32 s1, s16
	s_lshl_b64 s[0:1], s[0:1], 3
	s_add_u32 s0, s0, s4
	s_addc_u32 s1, s1, s5
	s_add_u32 s18, s0, 8
	s_addc_u32 s19, s1, 0
	s_mov_b64 s[20:21], s[2:3]
.LBB7_3:                                ; =>This Inner Loop Header: Depth=1
	s_load_dwordx2 s[22:23], s[18:19], 0x0
	s_waitcnt lgkmcnt(0)
	s_or_b64 s[0:1], s[20:21], s[22:23]
	s_mov_b32 s17, s1
	s_cmp_lg_u64 s[16:17], 0
	s_cbranch_scc0 .LBB7_8
; %bb.4:                                ;   in Loop: Header=BB7_3 Depth=1
	s_ashr_i32 s8, s23, 31
	s_add_u32 s0, s22, s8
	s_mov_b32 s9, s8
	s_addc_u32 s1, s23, s8
	s_xor_b64 s[24:25], s[0:1], s[8:9]
	v_cvt_f32_u32_e32 v1, s24
	v_cvt_f32_u32_e32 v2, s25
	s_sub_u32 s0, 0, s24
	s_subb_u32 s1, 0, s25
	v_mac_f32_e32 v1, 0x4f800000, v2
	v_rcp_f32_e32 v1, v1
	v_mul_f32_e32 v1, 0x5f7ffffc, v1
	v_mul_f32_e32 v2, 0x2f800000, v1
	v_trunc_f32_e32 v2, v2
	v_mac_f32_e32 v1, 0xcf800000, v2
	v_cvt_u32_f32_e32 v2, v2
	v_cvt_u32_f32_e32 v1, v1
	v_readfirstlane_b32 s13, v2
	v_readfirstlane_b32 s17, v1
	s_mul_i32 s26, s0, s13
	s_mul_hi_u32 s28, s0, s17
	s_mul_i32 s27, s1, s17
	s_add_i32 s26, s28, s26
	s_add_i32 s26, s26, s27
	s_mul_i32 s29, s0, s17
	s_mul_hi_u32 s27, s17, s26
	s_mul_i32 s28, s17, s26
	s_mul_hi_u32 s17, s17, s29
	s_add_u32 s17, s17, s28
	s_addc_u32 s27, 0, s27
	s_mul_hi_u32 s30, s13, s29
	s_mul_i32 s29, s13, s29
	s_add_u32 s17, s17, s29
	s_mul_hi_u32 s28, s13, s26
	s_addc_u32 s17, s27, s30
	s_addc_u32 s27, s28, 0
	s_mul_i32 s26, s13, s26
	s_add_u32 s17, s17, s26
	s_addc_u32 s26, 0, s27
	v_add_co_u32_e32 v1, vcc, s17, v1
	s_cmp_lg_u64 vcc, 0
	s_addc_u32 s13, s13, s26
	v_readfirstlane_b32 s26, v1
	s_mul_i32 s17, s0, s13
	s_mul_hi_u32 s27, s0, s26
	s_add_i32 s17, s27, s17
	s_mul_i32 s1, s1, s26
	s_add_i32 s17, s17, s1
	s_mul_i32 s0, s0, s26
	s_mul_hi_u32 s27, s13, s0
	s_mul_i32 s28, s13, s0
	s_mul_i32 s30, s26, s17
	s_mul_hi_u32 s0, s26, s0
	s_mul_hi_u32 s29, s26, s17
	s_add_u32 s0, s0, s30
	s_addc_u32 s26, 0, s29
	s_add_u32 s0, s0, s28
	s_mul_hi_u32 s1, s13, s17
	s_addc_u32 s0, s26, s27
	s_addc_u32 s1, s1, 0
	s_mul_i32 s17, s13, s17
	s_add_u32 s0, s0, s17
	s_addc_u32 s1, 0, s1
	v_add_co_u32_e32 v1, vcc, s0, v1
	s_cmp_lg_u64 vcc, 0
	s_addc_u32 s13, s13, s1
	s_ashr_i32 s26, s21, 31
	s_add_u32 s0, s20, s26
	s_mov_b32 s27, s26
	s_addc_u32 s1, s21, s26
	s_xor_b64 s[28:29], s[0:1], s[26:27]
	v_readfirstlane_b32 s17, v1
	s_mul_i32 s1, s28, s13
	s_mul_hi_u32 s30, s28, s17
	s_mul_hi_u32 s0, s28, s13
	s_add_u32 s1, s30, s1
	s_addc_u32 s0, 0, s0
	s_mul_hi_u32 s31, s29, s17
	s_mul_i32 s17, s29, s17
	s_add_u32 s1, s1, s17
	s_mul_hi_u32 s30, s29, s13
	s_addc_u32 s0, s0, s31
	s_addc_u32 s1, s30, 0
	s_mul_i32 s13, s29, s13
	s_add_u32 s13, s0, s13
	s_addc_u32 s17, 0, s1
	s_mul_i32 s0, s24, s17
	s_mul_hi_u32 s1, s24, s13
	s_add_i32 s0, s1, s0
	s_mul_i32 s1, s25, s13
	s_add_i32 s30, s0, s1
	s_mul_i32 s1, s24, s13
	v_mov_b32_e32 v1, s1
	s_sub_i32 s0, s29, s30
	v_sub_co_u32_e32 v1, vcc, s28, v1
	s_cmp_lg_u64 vcc, 0
	s_subb_u32 s28, s0, s25
	v_subrev_co_u32_e64 v2, s[0:1], s24, v1
	s_cmp_lg_u64 s[0:1], 0
	s_subb_u32 s0, s28, 0
	s_cmp_ge_u32 s0, s25
	v_readfirstlane_b32 s28, v2
	s_cselect_b32 s1, -1, 0
	s_cmp_ge_u32 s28, s24
	s_cselect_b32 s28, -1, 0
	s_cmp_eq_u32 s0, s25
	s_cselect_b32 s0, s28, s1
	s_add_u32 s1, s13, 1
	s_addc_u32 s28, s17, 0
	s_add_u32 s31, s13, 2
	s_addc_u32 s33, s17, 0
	s_cmp_lg_u32 s0, 0
	s_cselect_b32 s0, s31, s1
	s_cselect_b32 s1, s33, s28
	s_cmp_lg_u64 vcc, 0
	s_subb_u32 s28, s29, s30
	s_cmp_ge_u32 s28, s25
	v_readfirstlane_b32 s30, v1
	s_cselect_b32 s29, -1, 0
	s_cmp_ge_u32 s30, s24
	s_cselect_b32 s24, -1, 0
	s_cmp_eq_u32 s28, s25
	s_cselect_b32 s24, s24, s29
	s_cmp_lg_u32 s24, 0
	s_cselect_b32 s1, s1, s17
	s_cselect_b32 s0, s0, s13
	s_xor_b64 s[8:9], s[26:27], s[8:9]
	s_xor_b64 s[0:1], s[0:1], s[8:9]
	s_sub_u32 s8, s0, s8
	s_subb_u32 s9, s1, s9
	s_cbranch_execnz .LBB7_6
.LBB7_5:                                ;   in Loop: Header=BB7_3 Depth=1
	v_cvt_f32_u32_e32 v1, s22
	s_sub_i32 s0, 0, s22
	v_rcp_iflag_f32_e32 v1, v1
	v_mul_f32_e32 v1, 0x4f7ffffe, v1
	v_cvt_u32_f32_e32 v1, v1
	v_readfirstlane_b32 s1, v1
	s_mul_i32 s0, s0, s1
	s_mul_hi_u32 s0, s1, s0
	s_add_i32 s1, s1, s0
	s_mul_hi_u32 s0, s20, s1
	s_mul_i32 s8, s0, s22
	s_sub_i32 s8, s20, s8
	s_add_i32 s1, s0, 1
	s_sub_i32 s9, s8, s22
	s_cmp_ge_u32 s8, s22
	s_cselect_b32 s0, s1, s0
	s_cselect_b32 s8, s9, s8
	s_add_i32 s1, s0, 1
	s_cmp_ge_u32 s8, s22
	s_cselect_b32 s8, s1, s0
	s_mov_b32 s9, s16
.LBB7_6:                                ;   in Loop: Header=BB7_3 Depth=1
	s_mul_i32 s0, s8, s23
	s_mul_hi_u32 s1, s8, s22
	s_add_i32 s13, s1, s0
	s_load_dwordx2 s[0:1], s[18:19], 0xc8
	s_mul_i32 s17, s9, s22
	s_add_i32 s13, s13, s17
	s_mul_i32 s17, s8, s22
	s_sub_u32 s17, s20, s17
	s_subb_u32 s13, s21, s13
	s_waitcnt lgkmcnt(0)
	s_mul_i32 s13, s0, s13
	s_mul_hi_u32 s20, s0, s17
	s_add_i32 s13, s20, s13
	s_mul_i32 s1, s1, s17
	s_add_i32 s13, s13, s1
	s_mul_i32 s0, s0, s17
	s_add_u32 s14, s0, s14
	s_addc_u32 s15, s13, s15
	s_add_i32 s7, s7, -1
	s_add_u32 s18, s18, -8
	s_addc_u32 s19, s19, -1
	s_cmp_gt_u32 s7, 2
	s_cbranch_scc0 .LBB7_9
; %bb.7:                                ;   in Loop: Header=BB7_3 Depth=1
	s_mov_b64 s[20:21], s[8:9]
	s_branch .LBB7_3
.LBB7_8:                                ;   in Loop: Header=BB7_3 Depth=1
                                        ; implicit-def: $sgpr8_sgpr9
	s_branch .LBB7_5
.LBB7_9:
	s_load_dword s0, s[4:5], 0x358
	s_load_dwordx2 s[16:17], s[4:5], 0xd0
	s_add_u32 s18, s4, 0x1c0
	s_addc_u32 s19, s5, 0
	s_mov_b64 s[56:57], 0
	s_waitcnt lgkmcnt(0)
	s_cmp_lt_i32 s0, 2
	s_mov_b64 s[28:29], s[2:3]
	s_cbranch_scc1 .LBB7_17
; %bb.10:
	s_mov_b32 s20, 0
	s_add_i32 s7, s0, 1
	s_add_i32 s0, s0, -1
	s_mov_b32 s1, s20
	s_lshl_b64 s[0:1], s[0:1], 3
	s_add_u32 s0, s0, s18
	s_addc_u32 s1, s1, s19
	s_add_u32 s22, s0, 8
	s_addc_u32 s23, s1, 0
	s_mov_b64 s[24:25], s[2:3]
.LBB7_11:                               ; =>This Inner Loop Header: Depth=1
	s_load_dwordx2 s[26:27], s[22:23], 0x0
	s_waitcnt lgkmcnt(0)
	s_or_b64 s[0:1], s[24:25], s[26:27]
	s_mov_b32 s21, s1
	s_cmp_lg_u64 s[20:21], 0
	s_cbranch_scc0 .LBB7_16
; %bb.12:                               ;   in Loop: Header=BB7_11 Depth=1
	s_ashr_i32 s28, s27, 31
	s_add_u32 s0, s26, s28
	s_mov_b32 s29, s28
	s_addc_u32 s1, s27, s28
	s_xor_b64 s[30:31], s[0:1], s[28:29]
	v_cvt_f32_u32_e32 v1, s30
	v_cvt_f32_u32_e32 v2, s31
	s_sub_u32 s0, 0, s30
	s_subb_u32 s1, 0, s31
	v_mac_f32_e32 v1, 0x4f800000, v2
	v_rcp_f32_e32 v1, v1
	v_mul_f32_e32 v1, 0x5f7ffffc, v1
	v_mul_f32_e32 v2, 0x2f800000, v1
	v_trunc_f32_e32 v2, v2
	v_mac_f32_e32 v1, 0xcf800000, v2
	v_cvt_u32_f32_e32 v2, v2
	v_cvt_u32_f32_e32 v1, v1
	v_readfirstlane_b32 s13, v2
	v_readfirstlane_b32 s21, v1
	s_mul_i32 s33, s0, s13
	s_mul_hi_u32 s35, s0, s21
	s_mul_i32 s34, s1, s21
	s_add_i32 s33, s35, s33
	s_add_i32 s33, s33, s34
	s_mul_i32 s36, s0, s21
	s_mul_hi_u32 s34, s21, s33
	s_mul_i32 s35, s21, s33
	s_mul_hi_u32 s21, s21, s36
	s_add_u32 s21, s21, s35
	s_addc_u32 s34, 0, s34
	s_mul_hi_u32 s37, s13, s36
	s_mul_i32 s36, s13, s36
	s_add_u32 s21, s21, s36
	s_mul_hi_u32 s35, s13, s33
	s_addc_u32 s21, s34, s37
	s_addc_u32 s34, s35, 0
	s_mul_i32 s33, s13, s33
	s_add_u32 s21, s21, s33
	s_addc_u32 s33, 0, s34
	v_add_co_u32_e32 v1, vcc, s21, v1
	s_cmp_lg_u64 vcc, 0
	s_addc_u32 s13, s13, s33
	v_readfirstlane_b32 s33, v1
	s_mul_i32 s21, s0, s13
	s_mul_hi_u32 s34, s0, s33
	s_add_i32 s21, s34, s21
	s_mul_i32 s1, s1, s33
	s_add_i32 s21, s21, s1
	s_mul_i32 s0, s0, s33
	s_mul_hi_u32 s34, s13, s0
	s_mul_i32 s35, s13, s0
	s_mul_i32 s37, s33, s21
	s_mul_hi_u32 s0, s33, s0
	s_mul_hi_u32 s36, s33, s21
	s_add_u32 s0, s0, s37
	s_addc_u32 s33, 0, s36
	s_add_u32 s0, s0, s35
	s_mul_hi_u32 s1, s13, s21
	s_addc_u32 s0, s33, s34
	s_addc_u32 s1, s1, 0
	s_mul_i32 s21, s13, s21
	s_add_u32 s0, s0, s21
	s_addc_u32 s1, 0, s1
	v_add_co_u32_e32 v1, vcc, s0, v1
	s_cmp_lg_u64 vcc, 0
	s_addc_u32 s13, s13, s1
	s_ashr_i32 s34, s25, 31
	s_add_u32 s0, s24, s34
	s_mov_b32 s35, s34
	s_addc_u32 s1, s25, s34
	s_xor_b64 s[36:37], s[0:1], s[34:35]
	v_readfirstlane_b32 s21, v1
	s_mul_i32 s1, s36, s13
	s_mul_hi_u32 s33, s36, s21
	s_mul_hi_u32 s0, s36, s13
	s_add_u32 s1, s33, s1
	s_addc_u32 s0, 0, s0
	s_mul_hi_u32 s38, s37, s21
	s_mul_i32 s21, s37, s21
	s_add_u32 s1, s1, s21
	s_mul_hi_u32 s33, s37, s13
	s_addc_u32 s0, s0, s38
	s_addc_u32 s1, s33, 0
	s_mul_i32 s13, s37, s13
	s_add_u32 s13, s0, s13
	s_addc_u32 s21, 0, s1
	s_mul_i32 s0, s30, s21
	s_mul_hi_u32 s1, s30, s13
	s_add_i32 s0, s1, s0
	s_mul_i32 s1, s31, s13
	s_add_i32 s33, s0, s1
	s_mul_i32 s1, s30, s13
	v_mov_b32_e32 v1, s1
	s_sub_i32 s0, s37, s33
	v_sub_co_u32_e32 v1, vcc, s36, v1
	s_cmp_lg_u64 vcc, 0
	s_subb_u32 s36, s0, s31
	v_subrev_co_u32_e64 v2, s[0:1], s30, v1
	s_cmp_lg_u64 s[0:1], 0
	s_subb_u32 s0, s36, 0
	s_cmp_ge_u32 s0, s31
	v_readfirstlane_b32 s36, v2
	s_cselect_b32 s1, -1, 0
	s_cmp_ge_u32 s36, s30
	s_cselect_b32 s36, -1, 0
	s_cmp_eq_u32 s0, s31
	s_cselect_b32 s0, s36, s1
	s_add_u32 s1, s13, 1
	s_addc_u32 s36, s21, 0
	s_add_u32 s38, s13, 2
	s_addc_u32 s39, s21, 0
	s_cmp_lg_u32 s0, 0
	s_cselect_b32 s0, s38, s1
	s_cselect_b32 s1, s39, s36
	s_cmp_lg_u64 vcc, 0
	s_subb_u32 s33, s37, s33
	s_cmp_ge_u32 s33, s31
	v_readfirstlane_b32 s37, v1
	s_cselect_b32 s36, -1, 0
	s_cmp_ge_u32 s37, s30
	s_cselect_b32 s30, -1, 0
	s_cmp_eq_u32 s33, s31
	s_cselect_b32 s30, s30, s36
	s_cmp_lg_u32 s30, 0
	s_cselect_b32 s1, s1, s21
	s_cselect_b32 s0, s0, s13
	s_xor_b64 s[28:29], s[34:35], s[28:29]
	s_xor_b64 s[0:1], s[0:1], s[28:29]
	s_sub_u32 s28, s0, s28
	s_subb_u32 s29, s1, s29
	s_cbranch_execnz .LBB7_14
.LBB7_13:                               ;   in Loop: Header=BB7_11 Depth=1
	v_cvt_f32_u32_e32 v1, s26
	s_sub_i32 s0, 0, s26
	s_mov_b32 s29, s20
	v_rcp_iflag_f32_e32 v1, v1
	v_mul_f32_e32 v1, 0x4f7ffffe, v1
	v_cvt_u32_f32_e32 v1, v1
	v_readfirstlane_b32 s1, v1
	s_mul_i32 s0, s0, s1
	s_mul_hi_u32 s0, s1, s0
	s_add_i32 s1, s1, s0
	s_mul_hi_u32 s0, s24, s1
	s_mul_i32 s13, s0, s26
	s_sub_i32 s13, s24, s13
	s_add_i32 s1, s0, 1
	s_sub_i32 s21, s13, s26
	s_cmp_ge_u32 s13, s26
	s_cselect_b32 s0, s1, s0
	s_cselect_b32 s13, s21, s13
	s_add_i32 s1, s0, 1
	s_cmp_ge_u32 s13, s26
	s_cselect_b32 s28, s1, s0
.LBB7_14:                               ;   in Loop: Header=BB7_11 Depth=1
	s_mul_i32 s0, s28, s27
	s_mul_hi_u32 s1, s28, s26
	s_add_i32 s13, s1, s0
	s_load_dwordx2 s[0:1], s[22:23], 0xc8
	s_mul_i32 s21, s29, s26
	s_add_i32 s13, s13, s21
	s_mul_i32 s21, s28, s26
	s_sub_u32 s21, s24, s21
	s_subb_u32 s13, s25, s13
	s_waitcnt lgkmcnt(0)
	s_mul_i32 s13, s0, s13
	s_mul_hi_u32 s24, s0, s21
	s_add_i32 s13, s24, s13
	s_mul_i32 s1, s1, s21
	s_add_i32 s13, s13, s1
	s_mul_i32 s0, s0, s21
	s_add_u32 s56, s0, s56
	s_addc_u32 s57, s13, s57
	s_add_i32 s7, s7, -1
	s_add_u32 s22, s22, -8
	s_addc_u32 s23, s23, -1
	s_cmp_gt_u32 s7, 2
	s_cbranch_scc0 .LBB7_17
; %bb.15:                               ;   in Loop: Header=BB7_11 Depth=1
	s_mov_b64 s[24:25], s[28:29]
	s_branch .LBB7_11
.LBB7_16:                               ;   in Loop: Header=BB7_11 Depth=1
                                        ; implicit-def: $sgpr28_sgpr29
	s_branch .LBB7_13
.LBB7_17:
	s_load_dword s13, s[4:5], 0x4f8
	s_load_dwordx2 s[0:1], s[18:19], 0xd0
                                        ; implicit-def: $vgpr48 : SGPR spill to VGPR lane
	s_mov_b64 s[62:63], 0
	v_writelane_b32 v48, s28, 0
	v_writelane_b32 v48, s29, 1
                                        ; kill: killed $sgpr18 killed $sgpr19
	s_waitcnt lgkmcnt(0)
	v_writelane_b32 v48, s0, 2
	v_writelane_b32 v48, s1, 3
	s_add_u32 s0, s4, 0x360
	s_addc_u32 s1, s5, 0
	s_cmp_lt_i32 s13, 2
	s_cbranch_scc1 .LBB7_25
; %bb.18:
	s_mov_b32 s18, 0
	s_add_i32 s20, s13, -1
	s_mov_b32 s21, s18
	s_add_i32 s7, s13, 1
	s_lshl_b64 s[20:21], s[20:21], 3
	s_add_u32 s0, s20, s0
	s_addc_u32 s1, s21, s1
	s_add_u32 s20, s0, 8
	s_addc_u32 s21, s1, 0
.LBB7_19:                               ; =>This Inner Loop Header: Depth=1
	s_load_dwordx2 s[22:23], s[20:21], 0x0
	s_waitcnt lgkmcnt(0)
	s_or_b64 s[0:1], s[2:3], s[22:23]
	s_mov_b32 s19, s1
	s_cmp_lg_u64 s[18:19], 0
	s_cbranch_scc0 .LBB7_24
; %bb.20:                               ;   in Loop: Header=BB7_19 Depth=1
	s_ashr_i32 s24, s23, 31
	s_add_u32 s0, s22, s24
	s_mov_b32 s25, s24
	s_addc_u32 s1, s23, s24
	s_xor_b64 s[26:27], s[0:1], s[24:25]
	v_cvt_f32_u32_e32 v1, s26
	v_cvt_f32_u32_e32 v2, s27
	s_sub_u32 s0, 0, s26
	s_subb_u32 s1, 0, s27
	v_mac_f32_e32 v1, 0x4f800000, v2
	v_rcp_f32_e32 v1, v1
	v_mul_f32_e32 v1, 0x5f7ffffc, v1
	v_mul_f32_e32 v2, 0x2f800000, v1
	v_trunc_f32_e32 v2, v2
	v_mac_f32_e32 v1, 0xcf800000, v2
	v_cvt_u32_f32_e32 v2, v2
	v_cvt_u32_f32_e32 v1, v1
	v_readfirstlane_b32 s13, v2
	v_readfirstlane_b32 s19, v1
	s_mul_i32 s28, s0, s13
	s_mul_hi_u32 s30, s0, s19
	s_mul_i32 s29, s1, s19
	s_add_i32 s28, s30, s28
	s_add_i32 s28, s28, s29
	s_mul_i32 s31, s0, s19
	s_mul_hi_u32 s29, s19, s28
	s_mul_i32 s30, s19, s28
	s_mul_hi_u32 s19, s19, s31
	s_add_u32 s19, s19, s30
	s_addc_u32 s29, 0, s29
	s_mul_hi_u32 s33, s13, s31
	s_mul_i32 s31, s13, s31
	s_add_u32 s19, s19, s31
	s_mul_hi_u32 s30, s13, s28
	s_addc_u32 s19, s29, s33
	s_addc_u32 s29, s30, 0
	s_mul_i32 s28, s13, s28
	s_add_u32 s19, s19, s28
	s_addc_u32 s28, 0, s29
	v_add_co_u32_e32 v1, vcc, s19, v1
	s_cmp_lg_u64 vcc, 0
	s_addc_u32 s13, s13, s28
	v_readfirstlane_b32 s28, v1
	s_mul_i32 s19, s0, s13
	s_mul_hi_u32 s29, s0, s28
	s_add_i32 s19, s29, s19
	s_mul_i32 s1, s1, s28
	s_add_i32 s19, s19, s1
	s_mul_i32 s0, s0, s28
	s_mul_hi_u32 s29, s13, s0
	s_mul_i32 s30, s13, s0
	s_mul_i32 s33, s28, s19
	s_mul_hi_u32 s0, s28, s0
	s_mul_hi_u32 s31, s28, s19
	s_add_u32 s0, s0, s33
	s_addc_u32 s28, 0, s31
	s_add_u32 s0, s0, s30
	s_mul_hi_u32 s1, s13, s19
	s_addc_u32 s0, s28, s29
	s_addc_u32 s1, s1, 0
	s_mul_i32 s19, s13, s19
	s_add_u32 s0, s0, s19
	s_addc_u32 s1, 0, s1
	v_add_co_u32_e32 v1, vcc, s0, v1
	s_cmp_lg_u64 vcc, 0
	s_addc_u32 s13, s13, s1
	s_ashr_i32 s28, s3, 31
	s_add_u32 s0, s2, s28
	s_mov_b32 s29, s28
	s_addc_u32 s1, s3, s28
	s_xor_b64 s[30:31], s[0:1], s[28:29]
	v_readfirstlane_b32 s19, v1
	s_mul_i32 s1, s30, s13
	s_mul_hi_u32 s33, s30, s19
	s_mul_hi_u32 s0, s30, s13
	s_add_u32 s1, s33, s1
	s_addc_u32 s0, 0, s0
	s_mul_hi_u32 s34, s31, s19
	s_mul_i32 s19, s31, s19
	s_add_u32 s1, s1, s19
	s_mul_hi_u32 s33, s31, s13
	s_addc_u32 s0, s0, s34
	s_addc_u32 s1, s33, 0
	s_mul_i32 s13, s31, s13
	s_add_u32 s13, s0, s13
	s_addc_u32 s19, 0, s1
	s_mul_i32 s0, s26, s19
	s_mul_hi_u32 s1, s26, s13
	s_add_i32 s0, s1, s0
	s_mul_i32 s1, s27, s13
	s_add_i32 s33, s0, s1
	s_mul_i32 s1, s26, s13
	v_mov_b32_e32 v1, s1
	s_sub_i32 s0, s31, s33
	v_sub_co_u32_e32 v1, vcc, s30, v1
	s_cmp_lg_u64 vcc, 0
	s_subb_u32 s30, s0, s27
	v_subrev_co_u32_e64 v2, s[0:1], s26, v1
	s_cmp_lg_u64 s[0:1], 0
	s_subb_u32 s0, s30, 0
	s_cmp_ge_u32 s0, s27
	v_readfirstlane_b32 s30, v2
	s_cselect_b32 s1, -1, 0
	s_cmp_ge_u32 s30, s26
	s_cselect_b32 s30, -1, 0
	s_cmp_eq_u32 s0, s27
	s_cselect_b32 s0, s30, s1
	s_add_u32 s1, s13, 1
	s_addc_u32 s30, s19, 0
	s_add_u32 s34, s13, 2
	s_addc_u32 s35, s19, 0
	s_cmp_lg_u32 s0, 0
	s_cselect_b32 s0, s34, s1
	s_cselect_b32 s1, s35, s30
	s_cmp_lg_u64 vcc, 0
	s_subb_u32 s30, s31, s33
	s_cmp_ge_u32 s30, s27
	v_readfirstlane_b32 s33, v1
	s_cselect_b32 s31, -1, 0
	s_cmp_ge_u32 s33, s26
	s_cselect_b32 s26, -1, 0
	s_cmp_eq_u32 s30, s27
	s_cselect_b32 s26, s26, s31
	s_cmp_lg_u32 s26, 0
	s_cselect_b32 s1, s1, s19
	s_cselect_b32 s0, s0, s13
	s_xor_b64 s[24:25], s[28:29], s[24:25]
	s_xor_b64 s[0:1], s[0:1], s[24:25]
	s_sub_u32 s66, s0, s24
	s_subb_u32 s67, s1, s25
	s_cbranch_execnz .LBB7_22
.LBB7_21:                               ;   in Loop: Header=BB7_19 Depth=1
	v_cvt_f32_u32_e32 v1, s22
	s_sub_i32 s0, 0, s22
	s_mov_b32 s67, s18
	v_rcp_iflag_f32_e32 v1, v1
	v_mul_f32_e32 v1, 0x4f7ffffe, v1
	v_cvt_u32_f32_e32 v1, v1
	v_readfirstlane_b32 s1, v1
	s_mul_i32 s0, s0, s1
	s_mul_hi_u32 s0, s1, s0
	s_add_i32 s1, s1, s0
	s_mul_hi_u32 s0, s2, s1
	s_mul_i32 s13, s0, s22
	s_sub_i32 s13, s2, s13
	s_add_i32 s1, s0, 1
	s_sub_i32 s19, s13, s22
	s_cmp_ge_u32 s13, s22
	s_cselect_b32 s0, s1, s0
	s_cselect_b32 s13, s19, s13
	s_add_i32 s1, s0, 1
	s_cmp_ge_u32 s13, s22
	s_cselect_b32 s66, s1, s0
.LBB7_22:                               ;   in Loop: Header=BB7_19 Depth=1
	s_mul_i32 s0, s66, s23
	s_mul_hi_u32 s1, s66, s22
	s_add_i32 s13, s1, s0
	s_load_dwordx2 s[0:1], s[20:21], 0xc8
	s_mul_i32 s19, s67, s22
	s_add_i32 s13, s13, s19
	s_mul_i32 s19, s66, s22
	s_sub_u32 s2, s2, s19
	s_subb_u32 s3, s3, s13
	s_waitcnt lgkmcnt(0)
	s_mul_i32 s3, s0, s3
	s_mul_hi_u32 s13, s0, s2
	s_add_i32 s3, s13, s3
	s_mul_i32 s1, s1, s2
	s_add_i32 s3, s3, s1
	s_mul_i32 s0, s0, s2
	s_add_u32 s62, s0, s62
	s_addc_u32 s63, s3, s63
	s_add_i32 s7, s7, -1
	s_add_u32 s20, s20, -8
	s_addc_u32 s21, s21, -1
	s_cmp_gt_u32 s7, 2
	s_cbranch_scc0 .LBB7_26
; %bb.23:                               ;   in Loop: Header=BB7_19 Depth=1
	s_mov_b64 s[2:3], s[66:67]
	s_branch .LBB7_19
.LBB7_24:                               ;   in Loop: Header=BB7_19 Depth=1
                                        ; implicit-def: $sgpr66_sgpr67
	s_branch .LBB7_21
.LBB7_25:
	s_mov_b64 s[66:67], s[2:3]
.LBB7_26:
	s_load_dwordx2 s[0:1], s[4:5], 0x0
	s_load_dwordx2 s[2:3], s[4:5], 0x1c0
	s_mov_b32 s75, 0
                                        ; kill: killed $sgpr4 killed $sgpr5
	s_waitcnt lgkmcnt(0)
	v_writelane_b32 v48, s2, 4
	v_writelane_b32 v48, s3, 5
	s_load_dwordx2 s[2:3], s[4:5], 0x430
	s_waitcnt lgkmcnt(0)
	v_writelane_b32 v48, s2, 6
	v_writelane_b32 v48, s3, 7
	s_load_dwordx2 s[2:3], s[4:5], 0x360
	v_cmp_eq_u32_e64 s[4:5], 0, v0
	s_waitcnt lgkmcnt(0)
	v_writelane_b32 v48, s2, 8
	v_writelane_b32 v48, s3, 9
	s_mov_b64 s[2:3], exec
	v_writelane_b32 v48, s4, 10
	v_writelane_b32 v48, s5, 11
	s_and_b64 s[4:5], s[2:3], s[4:5]
	s_mov_b64 exec, s[4:5]
	s_cbranch_execz .LBB7_28
; %bb.27:
	v_mov_b32_e32 v2, 0
	v_mov_b32_e32 v4, s52
	v_mov_b32_e32 v5, s53
	v_mov_b32_e32 v3, v2
	ds_write_b32 v2, v2 offset:5136
	ds_write_b128 v2, v[2:5] offset:5120
.LBB7_28:
	s_or_b64 exec, exec, s[2:3]
	s_mul_i32 s2, s16, s9
	s_mul_hi_u32 s3, s16, s8
	s_add_i32 s2, s3, s2
	s_mul_i32 s3, s17, s8
	s_add_i32 s7, s2, s3
	s_mul_i32 s8, s16, s8
	s_add_u32 s2, s0, s8
	s_addc_u32 s3, s1, s7
	v_mbcnt_lo_u32_b32 v1, -1, 0
	s_add_u32 s16, s2, s14
	v_mbcnt_hi_u32_b32 v36, -1, v1
	s_addc_u32 s17, s3, s15
	v_cmp_gt_u32_e32 vcc, 64, v0
	v_cmp_gt_i32_e64 s[2:3], 4, v36
	s_and_b64 s[44:45], vcc, s[2:3]
	v_cmp_gt_u32_e64 s[2:3], 2, v0
	v_mov_b32_e32 v2, 0xc00
	v_writelane_b32 v48, s2, 12
	v_mov_b32_e32 v3, 0
	v_writelane_b32 v48, s3, 13
	v_cmp_gt_i64_e64 s[2:3], s[52:53], v[2:3]
	v_writelane_b32 v48, s2, 14
	v_writelane_b32 v48, s3, 15
	v_mov_b32_e32 v13, 0
	v_writelane_b32 v48, s16, 16
	v_pk_mov_b32 v[4:5], s[16:17], s[16:17] op_sel:[0,1]
	v_mov_b32_e32 v1, v13
	v_mad_u64_u32 v[2:3], s[2:3], v0, s58, 0
	v_mad_u64_u32 v[14:15], s[2:3], v0, s58, v[4:5]
	v_writelane_b32 v48, s17, 17
	v_cmp_gt_i64_e64 s[2:3], s[52:53], v[0:1]
	v_writelane_b32 v48, s2, 18
	s_waitcnt lgkmcnt(0)
	s_barrier
	v_writelane_b32 v48, s3, 19
	s_load_dword s2, s[10:11], 0xc
	v_lshrrev_b32_e32 v4, 4, v0
	v_and_b32_e32 v37, 60, v4
	v_lshlrev_b32_e32 v4, 2, v36
	v_lshlrev_b32_e32 v16, 2, v0
	s_waitcnt lgkmcnt(0)
	s_and_b32 s33, s2, 0xffff
	s_bfe_u32 s3, s2, 0xa0006
	v_cmp_gt_u16_e64 s[16:17], s2, 63
	s_add_u32 s2, s33, -1
	s_addc_u32 s9, 0, -1
	s_add_u32 s83, s2, s52
	v_writelane_b32 v48, s16, 20
	s_addc_u32 s47, s9, s53
	v_writelane_b32 v48, s17, 21
	s_cmp_lt_u32 s6, s12
	v_writelane_b32 v48, s2, 22
	s_cselect_b32 s2, 12, 18
	s_add_u32 s48, s10, s2
	s_addc_u32 s49, s11, 0
	s_add_i32 s2, s3, -1
	s_bfe_u32 s6, s33, 0x30006
	s_cmp_gt_u32 s2, 6
	v_writelane_b32 v48, s9, 23
	s_cselect_b64 s[10:11], -1, 0
	v_writelane_b32 v48, s10, 24
	s_and_b32 s79, s3, 0x3f8
	v_writelane_b32 v48, s11, 25
	s_cmp_lg_u32 s6, 0
	v_writelane_b32 v48, s6, 26
	s_cselect_b64 s[2:3], -1, 0
	v_writelane_b32 v48, s2, 27
	v_writelane_b32 v48, s3, 28
	s_add_u32 s2, s14, s8
	v_and_b32_e32 v38, 0x100, v4
	v_lshlrev_b64 v[4:5], v36, -1
	s_addc_u32 s3, s15, s7
	v_not_b32_e32 v19, v5
	s_add_u32 s2, s0, s2
	v_or_b32_e32 v5, 3, v16
	s_addc_u32 s3, s1, s3
	v_mad_u64_u32 v[20:21], s[0:1], s58, v5, 0
	v_not_b32_e32 v18, v4
	v_mov_b32_e32 v4, v21
	v_mad_u64_u32 v[4:5], s[0:1], s59, v5, v[4:5]
	s_lshl_b64 s[0:1], s[58:59], 2
	v_writelane_b32 v48, s0, 29
	v_or_b32_e32 v5, 2, v16
	v_writelane_b32 v48, s1, 30
	v_mad_u64_u32 v[22:23], s[0:1], s58, v5, 0
	v_mul_lo_u32 v6, v0, s59
	v_mov_b32_e32 v21, v4
	v_mov_b32_e32 v4, v23
	v_add_u32_e32 v3, v3, v6
	v_mad_u64_u32 v[4:5], s[0:1], s59, v5, v[4:5]
	v_mov_b32_e32 v23, v4
	v_pk_mov_b32 v[4:5], s[58:59], s[58:59] op_sel:[0,1]
	v_lshlrev_b64 v[26:27], 2, v[2:3]
	v_mov_b32_e32 v2, s53
	v_add_co_u32_e32 v39, vcc, s52, v0
	v_writelane_b32 v48, s2, 31
	v_mad_u64_u32 v[24:25], s[0:1], s58, v16, v[4:5]
	v_addc_co_u32_e32 v40, vcc, 0, v2, vcc
	v_mov_b32_e32 v2, 0xc00
	v_writelane_b32 v48, s3, 32
	v_mov_b32_e32 v4, v25
	v_lshl_or_b32 v41, v36, 3, v2
	v_pk_mov_b32 v[2:3], s[2:3], s[2:3] op_sel:[0,1]
	v_writelane_b32 v48, s44, 33
	v_mad_u64_u32 v[4:5], s[0:1], s59, v16, v[4:5]
	v_mad_u64_u32 v[10:11], s[0:1], v0, s58, v[2:3]
	v_writelane_b32 v48, s45, 34
	s_mul_i32 s0, s59, s33
	s_mul_hi_u32 s1, s58, s33
	v_writelane_b32 v48, s48, 35
	v_cmp_eq_u32_e64 s[4:5], 0, v36
	v_add_u32_e32 v15, v6, v15
	v_mov_b32_e32 v17, v13
	s_mov_b32 s92, s75
	s_mov_b32 s50, 6
	v_mov_b32_e32 v25, v4
	v_add_u32_e32 v11, v6, v11
	s_add_i32 s93, s1, s0
	s_mul_i32 s60, s58, s33
	s_mov_b64 s[94:95], 0
	v_cvt_f32_ubyte0_e32 v42, 0
	v_mov_b32_e32 v43, 0
	s_mov_b32 s78, 0
	s_mov_b32 s82, 0
	;; [unrolled: 1-line block ×3, first 2 shown]
	v_writelane_b32 v48, s49, 36
                                        ; implicit-def: $sgpr70_sgpr71
                                        ; implicit-def: $sgpr72_sgpr73
                                        ; implicit-def: $sgpr64_sgpr65
                                        ; implicit-def: $sgpr68_sgpr69
                                        ; implicit-def: $sgpr86_sgpr87
                                        ; implicit-def: $sgpr88_sgpr89
	v_writelane_b32 v48, s60, 37
	s_branch .LBB7_33
.LBB7_29:                               ;   in Loop: Header=BB7_33 Depth=1
	s_xor_b32 s78, s78, 1
	s_add_i32 s8, s50, -2
	s_cmp_eq_u32 s50, 0
	s_mov_b64 s[2:3], 0
	s_cselect_b64 s[6:7], -1, 0
	s_mov_b32 s50, s8
.LBB7_30:                               ;   in Loop: Header=BB7_33 Depth=1
	s_andn2_b64 s[8:9], s[18:19], exec
	s_and_b64 s[2:3], s[2:3], exec
	s_or_b64 s[18:19], s[8:9], s[2:3]
	s_andn2_b64 s[20:21], s[20:21], exec
	s_andn2_b64 s[16:17], s[16:17], exec
	s_orn2_b64 s[12:13], s[6:7], exec
.LBB7_31:                               ;   in Loop: Header=BB7_33 Depth=1
	s_or_b64 exec, exec, s[0:1]
	s_andn2_b64 s[0:1], s[88:89], exec
	s_and_b64 s[2:3], s[18:19], exec
	s_or_b64 s[88:89], s[0:1], s[2:3]
	s_andn2_b64 s[0:1], s[86:87], exec
	s_and_b64 s[2:3], s[20:21], exec
	s_or_b64 s[86:87], s[0:1], s[2:3]
	s_andn2_b64 s[0:1], s[68:69], exec
	s_and_b64 s[2:3], s[16:17], exec
	s_or_b64 s[68:69], s[0:1], s[2:3]
	s_orn2_b64 s[12:13], s[12:13], exec
.LBB7_32:                               ;   in Loop: Header=BB7_33 Depth=1
	s_or_b64 exec, exec, s[10:11]
	s_and_b64 s[0:1], exec, s[12:13]
	s_or_b64 s[94:95], s[0:1], s[94:95]
	s_andn2_b64 s[0:1], s[64:65], exec
	s_and_b64 s[2:3], s[88:89], exec
	s_or_b64 s[64:65], s[0:1], s[2:3]
	s_andn2_b64 s[0:1], s[72:73], exec
	s_and_b64 s[2:3], s[86:87], exec
	s_or_b64 s[72:73], s[0:1], s[2:3]
	s_andn2_b64 s[0:1], s[70:71], exec
	s_and_b64 s[2:3], s[68:69], exec
	v_mov_b32_e32 v2, s82
	s_or_b64 s[70:71], s[0:1], s[2:3]
	s_andn2_b64 exec, exec, s[94:95]
	s_cbranch_execz .LBB7_292
.LBB7_33:                               ; =>This Loop Header: Depth=1
                                        ;     Child Loop BB7_38 Depth 2
                                        ;     Child Loop BB7_57 Depth 2
                                        ;     Child Loop BB7_84 Depth 2
                                        ;     Child Loop BB7_88 Depth 2
                                        ;     Child Loop BB7_70 Depth 2
                                        ;     Child Loop BB7_77 Depth 2
                                        ;     Child Loop BB7_97 Depth 2
                                        ;     Child Loop BB7_103 Depth 2
                                        ;     Child Loop BB7_129 Depth 2
                                        ;     Child Loop BB7_115 Depth 2
                                        ;     Child Loop BB7_174 Depth 2
                                        ;     Child Loop BB7_158 Depth 2
                                        ;     Child Loop BB7_219 Depth 2
                                        ;     Child Loop BB7_203 Depth 2
                                        ;     Child Loop BB7_264 Depth 2
                                        ;     Child Loop BB7_248 Depth 2
	ds_read_b128 v[2:5], v13 offset:5120
	s_waitcnt lgkmcnt(0)
	v_readfirstlane_b32 s1, v3
	v_readfirstlane_b32 s0, v2
	v_cmp_gt_i64_e64 s[2:3], s[0:1], 0
	s_and_b64 vcc, exec, s[2:3]
	s_cbranch_vccnz .LBB7_64
; %bb.34:                               ;   in Loop: Header=BB7_33 Depth=1
	v_readlane_b32 s2, v48, 14
	v_readlane_b32 s3, v48, 15
	s_and_b64 vcc, exec, s[2:3]
	s_cbranch_vccz .LBB7_46
; %bb.35:                               ;   in Loop: Header=BB7_33 Depth=1
	s_mov_b64 s[2:3], 0xc01
	v_cmp_gt_i64_e32 vcc, s[2:3], v[4:5]
	s_mov_b64 s[2:3], 0
	s_mov_b64 s[6:7], 0
	s_cbranch_vccz .LBB7_51
; %bb.36:                               ;   in Loop: Header=BB7_33 Depth=1
	global_load_ushort v6, v13, s[48:49]
	global_load_ubyte v7, v[14:15], off
	v_readlane_b32 s0, v48, 31
	v_readlane_b32 s1, v48, 32
	v_pk_mov_b32 v[2:3], s[0:1], s[0:1] op_sel:[0,1]
	s_mov_b64 s[0:1], 0
	s_waitcnt vmcnt(1)
	v_readfirstlane_b32 s6, v6
	s_and_b32 s6, 0xffff, s6
	v_add_u32_e32 v5, s6, v0
	s_mul_i32 s8, s59, s6
	s_mul_hi_u32 s9, s58, s6
	s_mul_i32 s16, s58, s6
	v_mad_u64_u32 v[2:3], s[6:7], s58, v5, v[2:3]
	v_mov_b32_e32 v4, v3
	v_mad_u64_u32 v[4:5], s[6:7], s59, v5, v[4:5]
	s_add_i32 s17, s9, s8
	v_mov_b32_e32 v3, v4
	v_pk_mov_b32 v[4:5], v[0:1], v[0:1] op_sel:[0,1]
	s_branch .LBB7_38
.LBB7_37:                               ;   in Loop: Header=BB7_38 Depth=2
	s_or_b64 exec, exec, s[6:7]
	v_mov_b32_e32 v7, s17
	v_add_co_u32_e32 v2, vcc, s16, v2
	v_addc_co_u32_e32 v3, vcc, v3, v7, vcc
	v_mov_b32_e32 v7, v8
	s_andn2_b64 exec, exec, s[0:1]
	s_cbranch_execz .LBB7_47
.LBB7_38:                               ;   Parent Loop BB7_33 Depth=1
                                        ; =>  This Inner Loop Header: Depth=2
	v_add_co_u32_sdwa v4, vcc, v4, v6 dst_sel:DWORD dst_unused:UNUSED_PAD src0_sel:DWORD src1_sel:WORD_0
	v_addc_co_u32_e32 v5, vcc, 0, v5, vcc
	v_cmp_gt_i64_e64 s[6:7], s[52:53], v[4:5]
	v_cmp_le_i64_e32 vcc, s[52:53], v[4:5]
	s_waitcnt lgkmcnt(0)
	v_mov_b32_e32 v9, 0
	v_mov_b32_e32 v8, 0
	s_and_saveexec_b64 s[8:9], s[6:7]
	s_cbranch_execz .LBB7_40
; %bb.39:                               ;   in Loop: Header=BB7_38 Depth=2
	global_load_ubyte v8, v[2:3], off
.LBB7_40:                               ;   in Loop: Header=BB7_38 Depth=2
	s_or_b64 exec, exec, s[8:9]
	s_waitcnt vmcnt(0)
	v_and_b32_e32 v12, s85, v7
	v_cmp_eq_u32_sdwa s[8:9], v12, s82 src0_sel:BYTE_0 src1_sel:DWORD
	s_cmp_lg_u64 s[8:9], 0
	s_cselect_b64 s[6:7], -1, 0
	s_and_b64 s[6:7], s[4:5], s[6:7]
	s_and_saveexec_b64 s[10:11], s[6:7]
	s_cbranch_execz .LBB7_44
; %bb.41:                               ;   in Loop: Header=BB7_38 Depth=2
	s_mov_b64 s[14:15], exec
	v_mbcnt_lo_u32_b32 v9, s14, 0
	v_mbcnt_hi_u32_b32 v9, s15, v9
	s_bcnt1_i32_b64 s18, s[8:9]
	v_cmp_eq_u32_e64 s[6:7], 0, v9
                                        ; implicit-def: $vgpr12
	s_and_saveexec_b64 s[12:13], s[6:7]
	s_cbranch_execz .LBB7_43
; %bb.42:                               ;   in Loop: Header=BB7_38 Depth=2
	s_bcnt1_i32_b64 s6, s[14:15]
	s_mul_i32 s6, s18, s6
	v_mov_b32_e32 v12, s6
	ds_add_rtn_u32 v12, v13, v12 offset:5136
.LBB7_43:                               ;   in Loop: Header=BB7_38 Depth=2
	s_or_b64 exec, exec, s[12:13]
	s_waitcnt lgkmcnt(0)
	v_readfirstlane_b32 s6, v12
	v_mov_b32_e32 v12, s6
	v_mad_u32_u24 v9, s18, v9, v12
.LBB7_44:                               ;   in Loop: Header=BB7_38 Depth=2
	s_or_b64 exec, exec, s[10:11]
	ds_bpermute_b32 v9, v38, v9
	s_and_b64 s[6:7], exec, vcc
	s_or_b64 s[0:1], s[6:7], s[0:1]
	s_and_saveexec_b64 s[6:7], s[8:9]
	s_cbranch_execz .LBB7_37
; %bb.45:                               ;   in Loop: Header=BB7_38 Depth=2
	v_and_b32_e32 v28, s8, v18
	v_and_b32_e32 v12, s9, v19
	v_bcnt_u32_b32 v28, v28, 0
	v_bcnt_u32_b32 v12, v12, v28
	s_waitcnt lgkmcnt(0)
	v_add_u32_e32 v9, v9, v12
	ds_write_b8 v9, v7
	s_branch .LBB7_37
.LBB7_46:                               ;   in Loop: Header=BB7_33 Depth=1
	s_mov_b64 s[2:3], -1
	s_mov_b64 s[6:7], 0
	s_branch .LBB7_50
.LBB7_47:                               ;   in Loop: Header=BB7_33 Depth=1
	s_or_b64 exec, exec, s[0:1]
	s_waitcnt lgkmcnt(0)
	s_barrier
	s_mov_b64 s[0:1], exec
	v_readlane_b32 s6, v48, 10
	v_readlane_b32 s7, v48, 11
	s_and_b64 s[6:7], s[0:1], s[6:7]
	s_mov_b64 exec, s[6:7]
	s_cbranch_execz .LBB7_49
; %bb.48:                               ;   in Loop: Header=BB7_33 Depth=1
	ds_read_b32 v2, v13 offset:5136
	s_waitcnt lgkmcnt(0)
	v_ashrrev_i32_e32 v3, 31, v2
	ds_write_b64 v13, v[2:3] offset:5120
.LBB7_49:                               ;   in Loop: Header=BB7_33 Depth=1
	s_or_b64 exec, exec, s[0:1]
	s_waitcnt lgkmcnt(0)
	s_barrier
	s_mov_b64 s[6:7], -1
.LBB7_50:                               ;   in Loop: Header=BB7_33 Depth=1
                                        ; implicit-def: $sgpr0_sgpr1
.LBB7_51:                               ;   in Loop: Header=BB7_33 Depth=1
	s_and_b64 vcc, exec, s[2:3]
	s_cbranch_vccz .LBB7_62
; %bb.52:                               ;   in Loop: Header=BB7_33 Depth=1
	v_mov_b32_e32 v6, 0
	s_mov_b64 s[0:1], exec
	v_readlane_b32 s2, v48, 18
	v_readlane_b32 s3, v48, 19
	s_and_b64 s[2:3], s[0:1], s[2:3]
	s_mov_b64 exec, s[2:3]
	s_cbranch_execz .LBB7_54
; %bb.53:                               ;   in Loop: Header=BB7_33 Depth=1
	global_load_ubyte v6, v[14:15], off
.LBB7_54:                               ;   in Loop: Header=BB7_33 Depth=1
	s_or_b64 exec, exec, s[0:1]
	s_mov_b64 s[0:1], exec
	v_readlane_b32 s2, v48, 18
	v_readlane_b32 s3, v48, 19
	s_and_b64 s[2:3], s[0:1], s[2:3]
	s_mov_b64 exec, s[2:3]
	s_cbranch_execz .LBB7_59
; %bb.55:                               ;   in Loop: Header=BB7_33 Depth=1
	global_load_ushort v7, v13, s[48:49]
	v_readlane_b32 s2, v48, 31
	v_readlane_b32 s3, v48, 32
	v_pk_mov_b32 v[2:3], s[2:3], s[2:3] op_sel:[0,1]
	s_mov_b64 s[2:3], 0
	v_mov_b32_e32 v8, v0
	s_waitcnt vmcnt(0)
	v_readfirstlane_b32 s6, v7
	s_and_b32 s10, 0xffff, s6
	v_add_u32_e32 v5, s10, v0
	v_mad_u64_u32 v[2:3], s[6:7], s58, v5, v[2:3]
	v_mov_b32_e32 v4, v3
	s_mul_i32 s8, s59, s10
	s_mul_hi_u32 s9, s58, s10
	v_mad_u64_u32 v[4:5], s[6:7], s59, v5, v[4:5]
	s_mul_i32 s11, s58, s10
	s_add_i32 s12, s9, s8
	v_mov_b32_e32 v3, v4
	v_pk_mov_b32 v[4:5], v[0:1], v[0:1] op_sel:[0,1]
	s_branch .LBB7_57
.LBB7_56:                               ;   in Loop: Header=BB7_57 Depth=2
	s_or_b64 exec, exec, s[8:9]
	s_and_b64 s[6:7], exec, vcc
	ds_write_b8 v8, v6
	v_mov_b32_e32 v6, s12
	v_add_co_u32_e32 v2, vcc, s11, v2
	s_or_b64 s[2:3], s[6:7], s[2:3]
	v_add_u32_e32 v8, s10, v8
	v_addc_co_u32_e32 v3, vcc, v3, v6, vcc
	s_waitcnt vmcnt(0)
	v_mov_b32_e32 v6, v9
	s_andn2_b64 exec, exec, s[2:3]
	s_cbranch_execz .LBB7_59
.LBB7_57:                               ;   Parent Loop BB7_33 Depth=1
                                        ; =>  This Inner Loop Header: Depth=2
	v_add_co_u32_sdwa v4, vcc, v4, v7 dst_sel:DWORD dst_unused:UNUSED_PAD src0_sel:DWORD src1_sel:WORD_0
	v_addc_co_u32_e32 v5, vcc, 0, v5, vcc
	v_cmp_gt_i64_e64 s[6:7], s[52:53], v[4:5]
	v_cmp_le_i64_e32 vcc, s[52:53], v[4:5]
	v_mov_b32_e32 v9, 0
	s_and_saveexec_b64 s[8:9], s[6:7]
	s_cbranch_execz .LBB7_56
; %bb.58:                               ;   in Loop: Header=BB7_57 Depth=2
	global_load_ubyte v9, v[2:3], off
	s_branch .LBB7_56
.LBB7_59:                               ;   in Loop: Header=BB7_33 Depth=1
	s_or_b64 exec, exec, s[0:1]
	s_waitcnt lgkmcnt(0)
	s_barrier
	s_mov_b64 s[0:1], exec
	v_readlane_b32 s2, v48, 10
	v_readlane_b32 s3, v48, 11
	s_and_b64 s[2:3], s[0:1], s[2:3]
	s_mov_b64 exec, s[2:3]
	s_cbranch_execz .LBB7_61
; %bb.60:                               ;   in Loop: Header=BB7_33 Depth=1
	v_pk_mov_b32 v[2:3], s[52:53], s[52:53] op_sel:[0,1]
	ds_write_b64 v13, v[2:3] offset:5120
.LBB7_61:                               ;   in Loop: Header=BB7_33 Depth=1
	s_or_b64 exec, exec, s[0:1]
	s_mov_b64 s[6:7], -1
	s_waitcnt lgkmcnt(0)
	s_barrier
                                        ; implicit-def: $sgpr0_sgpr1
.LBB7_62:                               ;   in Loop: Header=BB7_33 Depth=1
	s_and_b64 vcc, exec, s[6:7]
	s_cbranch_vccz .LBB7_64
; %bb.63:                               ;   in Loop: Header=BB7_33 Depth=1
	ds_read_b64 v[2:3], v13 offset:5120
	s_waitcnt lgkmcnt(0)
	v_readfirstlane_b32 s0, v2
.LBB7_64:                               ;   in Loop: Header=BB7_33 Depth=1
	s_cmp_lt_i32 s0, 1
	s_cbranch_scc0 .LBB7_79
; %bb.65:                               ;   in Loop: Header=BB7_33 Depth=1
	global_load_ushort v2, v13, s[48:49]
	s_mov_b32 s2, s75
	s_mov_b32 s3, s53
	s_waitcnt vmcnt(0)
	v_readfirstlane_b32 s1, v2
	s_and_b32 s1, 0xffff, s1
	s_lshl_b32 s1, s1, 2
	s_cmp_lg_u64 s[2:3], 0
	s_cbranch_scc0 .LBB7_99
; %bb.66:                               ;   in Loop: Header=BB7_33 Depth=1
	v_cvt_f32_u32_e32 v3, s1
	s_sub_u32 s2, 0, s1
	s_subb_u32 s3, 0, 0
	v_mac_f32_e32 v3, 0x4f800000, v42
	v_rcp_f32_e32 v3, v3
	v_mul_f32_e32 v3, 0x5f7ffffc, v3
	v_mul_f32_e32 v4, 0x2f800000, v3
	v_trunc_f32_e32 v4, v4
	v_mac_f32_e32 v3, 0xcf800000, v4
	v_cvt_u32_f32_e32 v4, v4
	v_cvt_u32_f32_e32 v3, v3
	v_readfirstlane_b32 s6, v4
	v_readfirstlane_b32 s7, v3
	s_mul_i32 s8, s2, s6
	s_mul_hi_u32 s10, s2, s7
	s_mul_i32 s9, s3, s7
	s_add_i32 s8, s10, s8
	s_mul_i32 s11, s2, s7
	s_add_i32 s8, s8, s9
	s_mul_hi_u32 s10, s7, s11
	s_mul_hi_u32 s9, s7, s8
	s_mul_i32 s7, s7, s8
	s_add_u32 s7, s10, s7
	s_addc_u32 s9, 0, s9
	s_mul_hi_u32 s12, s6, s11
	s_mul_i32 s11, s6, s11
	s_add_u32 s7, s7, s11
	s_mul_hi_u32 s10, s6, s8
	s_addc_u32 s7, s9, s12
	s_addc_u32 s9, s10, 0
	s_mul_i32 s8, s6, s8
	s_add_u32 s7, s7, s8
	s_addc_u32 s8, 0, s9
	v_add_co_u32_e32 v3, vcc, s7, v3
	s_cmp_lg_u64 vcc, 0
	s_addc_u32 s6, s6, s8
	v_readfirstlane_b32 s8, v3
	s_mul_i32 s7, s2, s6
	s_mul_hi_u32 s9, s2, s8
	s_add_i32 s7, s9, s7
	s_mul_i32 s3, s3, s8
	s_add_i32 s7, s7, s3
	s_mul_i32 s2, s2, s8
	s_mul_hi_u32 s9, s6, s2
	s_mul_i32 s10, s6, s2
	s_mul_i32 s12, s8, s7
	s_mul_hi_u32 s2, s8, s2
	s_mul_hi_u32 s11, s8, s7
	s_add_u32 s2, s2, s12
	s_addc_u32 s8, 0, s11
	s_add_u32 s2, s2, s10
	s_mul_hi_u32 s3, s6, s7
	s_addc_u32 s2, s8, s9
	s_addc_u32 s3, s3, 0
	s_mul_i32 s7, s6, s7
	s_add_u32 s2, s2, s7
	s_addc_u32 s3, 0, s3
	v_add_co_u32_e32 v3, vcc, s2, v3
	s_cmp_lg_u64 vcc, 0
	s_addc_u32 s8, s6, s3
	s_ashr_i32 s2, s53, 31
	s_add_u32 s6, s52, s2
	s_mov_b32 s3, s2
	s_addc_u32 s7, s53, s2
	s_xor_b64 s[6:7], s[6:7], s[2:3]
	v_readfirstlane_b32 s10, v3
	s_mul_i32 s9, s6, s8
	s_mul_hi_u32 s11, s6, s10
	s_mul_hi_u32 s3, s6, s8
	s_add_u32 s9, s11, s9
	s_addc_u32 s3, 0, s3
	s_mul_hi_u32 s12, s7, s10
	s_mul_i32 s10, s7, s10
	s_add_u32 s9, s9, s10
	s_mul_hi_u32 s11, s7, s8
	s_addc_u32 s3, s3, s12
	s_addc_u32 s9, s11, 0
	s_mul_i32 s8, s7, s8
	s_add_u32 s3, s3, s8
	s_addc_u32 s8, 0, s9
	s_mul_hi_u32 s9, s1, s3
	s_mul_i32 s3, s1, s3
	s_mul_i32 s8, s1, s8
	v_mov_b32_e32 v3, s3
	s_add_i32 s9, s9, s8
	v_sub_co_u32_e32 v3, vcc, s6, v3
	s_cmp_lg_u64 vcc, 0
	s_subb_u32 s3, s7, s9
	v_subrev_co_u32_e32 v4, vcc, s1, v3
	s_cmp_lg_u64 vcc, 0
	s_subb_u32 s6, s3, 0
	v_subrev_co_u32_e32 v5, vcc, s1, v4
	s_cmp_lg_u64 vcc, 0
	s_subb_u32 s7, s6, 0
	v_cmp_le_u32_e32 vcc, s1, v4
	s_cmp_eq_u32 s6, 0
	v_cndmask_b32_e64 v6, 0, -1, vcc
	s_cselect_b64 vcc, -1, 0
	v_cndmask_b32_e32 v6, -1, v6, vcc
	v_mov_b32_e32 v7, s6
	v_mov_b32_e32 v8, s7
	v_cmp_ne_u32_e32 vcc, 0, v6
	v_cndmask_b32_e32 v6, v7, v8, vcc
	v_cndmask_b32_e32 v4, v4, v5, vcc
	v_cmp_le_u32_e32 vcc, s1, v3
	s_cmp_eq_u32 s3, 0
	v_cndmask_b32_e64 v5, 0, -1, vcc
	s_cselect_b64 vcc, -1, 0
	v_cndmask_b32_e32 v5, -1, v5, vcc
	v_cmp_ne_u32_e32 vcc, 0, v5
	v_mov_b32_e32 v7, s3
	v_cndmask_b32_e32 v3, v3, v4, vcc
	v_cndmask_b32_e32 v5, v7, v6, vcc
	v_xor_b32_e32 v3, s2, v3
	v_xor_b32_e32 v4, s2, v5
	v_mov_b32_e32 v5, s2
	v_subrev_co_u32_e32 v28, vcc, s2, v3
	v_subb_co_u32_e32 v29, vcc, v4, v5, vcc
	s_cbranch_execnz .LBB7_68
.LBB7_67:                               ;   in Loop: Header=BB7_33 Depth=1
	v_cvt_f32_u32_e32 v3, s1
	s_sub_i32 s2, 0, s1
	v_rcp_iflag_f32_e32 v3, v3
	v_mul_f32_e32 v3, 0x4f7ffffe, v3
	v_cvt_u32_f32_e32 v3, v3
	v_mul_lo_u32 v4, s2, v3
	v_mul_hi_u32 v4, v3, v4
	v_add_u32_e32 v3, v3, v4
	v_mul_hi_u32 v3, s52, v3
	v_mul_lo_u32 v3, v3, s1
	v_sub_u32_e32 v3, s52, v3
	v_subrev_u32_e32 v4, s1, v3
	v_cmp_le_u32_e32 vcc, s1, v3
	v_cndmask_b32_e32 v3, v3, v4, vcc
	v_subrev_u32_e32 v4, s1, v3
	v_cmp_le_u32_e32 vcc, s1, v3
	v_cndmask_b32_e32 v12, v3, v4, vcc
	v_pk_mov_b32 v[28:29], v[12:13], v[12:13] op_sel:[0,1]
.LBB7_68:                               ;   in Loop: Header=BB7_33 Depth=1
	v_and_b32_e32 v12, 0xffff, v2
	v_mov_b32_e32 v2, s53
	v_sub_co_u32_e32 v30, vcc, s52, v28
	v_subb_co_u32_e32 v31, vcc, v2, v29, vcc
	v_pk_mov_b32 v[2:3], 0, 0
	v_cmp_gt_i64_e32 vcc, v[30:31], v[16:17]
	s_mov_b64 s[80:81], 0
	v_pk_mov_b32 v[4:5], v[2:3], v[2:3] op_sel:[0,1]
	v_pk_mov_b32 v[6:7], v[2:3], v[2:3] op_sel:[0,1]
	;; [unrolled: 1-line block ×3, first 2 shown]
	s_and_saveexec_b64 s[8:9], vcc
	s_cbranch_execz .LBB7_72
; %bb.69:                               ;   in Loop: Header=BB7_33 Depth=1
	v_readlane_b32 s2, v48, 29
	v_readlane_b32 s3, v48, 30
	v_mul_lo_u32 v2, s3, v12
	v_mul_hi_u32 v3, s2, v12
	v_mul_lo_u32 v45, s2, v12
	v_readlane_b32 s2, v48, 16
	v_readlane_b32 s3, v48, 17
	s_mov_b32 s61, s47
	s_mov_b32 s84, s50
	s_and_b32 s74, s50, 0xfe
	v_add_u32_e32 v44, v3, v2
	v_pk_mov_b32 v[32:33], s[2:3], s[2:3] op_sel:[0,1]
	s_mov_b64 s[2:3], 0
	s_mov_b64 s[76:77], 0
	;; [unrolled: 1-line block ×4, first 2 shown]
	v_pk_mov_b32 v[34:35], v[16:17], v[16:17] op_sel:[0,1]
.LBB7_70:                               ;   Parent Loop BB7_33 Depth=1
                                        ; =>  This Inner Loop Header: Depth=2
	v_add_co_u32_e32 v2, vcc, v32, v26
	v_addc_co_u32_e32 v3, vcc, v33, v27, vcc
	v_add_co_u32_e32 v4, vcc, v32, v24
	v_addc_co_u32_e32 v5, vcc, v33, v25, vcc
	;; [unrolled: 2-line block ×4, first 2 shown]
	global_load_ubyte v2, v[2:3], off
	s_nop 0
	global_load_ubyte v3, v[4:5], off
	s_nop 0
	global_load_ubyte v4, v[6:7], off
	global_load_ubyte v5, v[8:9], off
	v_add_co_u32_e32 v34, vcc, s1, v34
	v_addc_co_u32_e32 v35, vcc, 0, v35, vcc
	v_add_co_u32_e32 v32, vcc, v32, v45
	v_addc_co_u32_e32 v33, vcc, v33, v44, vcc
	v_cmp_ge_i64_e32 vcc, v[34:35], v[30:31]
	s_waitcnt vmcnt(3)
	v_and_b32_e32 v6, s85, v2
	v_bfe_u32 v2, v2, s74, 2
	s_waitcnt vmcnt(2)
	v_and_b32_e32 v7, s85, v3
	v_bfe_u32 v3, v3, s74, 2
	v_cmp_eq_u32_e64 s[16:17], s82, v6
	v_cmp_eq_u32_e64 s[6:7], 0, v2
	s_waitcnt vmcnt(1)
	v_and_b32_e32 v8, s85, v4
	v_bfe_u32 v4, v4, s74, 2
	v_cmp_eq_u32_e64 s[14:15], s82, v7
	v_cmp_eq_u32_e64 s[28:29], 0, v3
	s_and_b64 s[6:7], s[16:17], s[6:7]
	s_waitcnt vmcnt(0)
	v_and_b32_e32 v9, s85, v5
	v_bfe_u32 v5, v5, s74, 2
	v_cmp_eq_u32_e64 s[12:13], s82, v8
	v_cmp_eq_u32_e64 s[30:31], 0, v4
	;; [unrolled: 1-line block ×5, first 2 shown]
	v_cndmask_b32_e64 v2, 0, 1, s[6:7]
	s_and_b64 s[6:7], s[14:15], s[28:29]
	v_cmp_eq_u32_e64 s[10:11], s82, v9
	v_cmp_eq_u32_e64 s[34:35], 0, v5
	;; [unrolled: 1-line block ×5, first 2 shown]
	v_cndmask_b32_e64 v3, 0, 1, s[6:7]
	s_and_b64 s[6:7], s[12:13], s[30:31]
	v_cmp_eq_u32_e64 s[40:41], 1, v4
	v_cmp_eq_u32_e64 s[48:49], 2, v4
	;; [unrolled: 1-line block ×3, first 2 shown]
	v_cndmask_b32_e64 v4, 0, 1, s[6:7]
	s_and_b64 s[6:7], s[10:11], s[34:35]
	v_cmp_eq_u32_e64 s[42:43], 1, v5
	v_cmp_eq_u32_e64 s[50:51], 2, v5
	;; [unrolled: 1-line block ×3, first 2 shown]
	v_cndmask_b32_e64 v5, 0, 1, s[6:7]
	v_cmp_ne_u32_e64 s[6:7], 0, v2
	v_cmp_ne_u32_e64 s[28:29], 0, v3
	v_cmp_ne_u32_e64 s[30:31], 0, v4
	v_cmp_ne_u32_e64 s[34:35], 0, v5
	s_bcnt1_i32_b64 s6, s[6:7]
	s_bcnt1_i32_b64 s7, s[28:29]
	s_bcnt1_i32_b64 s28, s[30:31]
	s_bcnt1_i32_b64 s29, s[34:35]
	s_add_u32 s6, s6, s26
	s_addc_u32 s26, 0, s27
	s_add_u32 s6, s6, s7
	s_addc_u32 s7, s26, 0
	s_add_u32 s6, s6, s28
	s_addc_u32 s7, s7, 0
	s_add_u32 s26, s6, s29
	s_addc_u32 s27, s7, 0
	s_and_b64 s[6:7], s[16:17], s[36:37]
	v_cndmask_b32_e64 v4, 0, 1, s[6:7]
	s_and_b64 s[6:7], s[14:15], s[38:39]
	v_cndmask_b32_e64 v5, 0, 1, s[6:7]
	s_and_b64 s[6:7], s[12:13], s[40:41]
	v_cndmask_b32_e64 v6, 0, 1, s[6:7]
	s_and_b64 s[6:7], s[10:11], s[42:43]
	v_cndmask_b32_e64 v7, 0, 1, s[6:7]
	v_cmp_ne_u32_e64 s[6:7], 0, v4
	v_cmp_ne_u32_e64 s[28:29], 0, v5
	v_cmp_ne_u32_e64 s[30:31], 0, v6
	v_cmp_ne_u32_e64 s[34:35], 0, v7
	s_bcnt1_i32_b64 s6, s[6:7]
	s_bcnt1_i32_b64 s7, s[28:29]
	s_bcnt1_i32_b64 s28, s[30:31]
	s_bcnt1_i32_b64 s29, s[34:35]
	s_add_u32 s6, s6, s90
	s_addc_u32 s30, 0, s91
	s_add_u32 s6, s6, s7
	s_addc_u32 s7, s30, 0
	s_add_u32 s6, s6, s28
	s_addc_u32 s7, s7, 0
	s_add_u32 s90, s6, s29
	s_addc_u32 s91, s7, 0
	s_and_b64 s[6:7], s[16:17], s[44:45]
	v_cndmask_b32_e64 v6, 0, 1, s[6:7]
	s_and_b64 s[6:7], s[14:15], s[46:47]
	v_cndmask_b32_e64 v7, 0, 1, s[6:7]
	s_and_b64 s[6:7], s[12:13], s[48:49]
	v_cndmask_b32_e64 v8, 0, 1, s[6:7]
	s_and_b64 s[6:7], s[10:11], s[50:51]
	;; [unrolled: 24-line block ×3, first 2 shown]
	v_cndmask_b32_e64 v47, 0, 1, s[6:7]
	v_cmp_ne_u32_e64 s[6:7], 0, v8
	v_cmp_ne_u32_e64 s[10:11], 0, v9
	;; [unrolled: 1-line block ×4, first 2 shown]
	s_bcnt1_i32_b64 s6, s[6:7]
	s_bcnt1_i32_b64 s7, s[10:11]
	;; [unrolled: 1-line block ×4, first 2 shown]
	s_add_u32 s2, s6, s2
	s_addc_u32 s3, 0, s3
	s_add_u32 s2, s2, s7
	s_addc_u32 s3, s3, 0
	;; [unrolled: 2-line block ×4, first 2 shown]
	v_pk_mov_b32 v[2:3], s[26:27], s[26:27] op_sel:[0,1]
	v_pk_mov_b32 v[4:5], s[90:91], s[90:91] op_sel:[0,1]
	;; [unrolled: 1-line block ×3, first 2 shown]
	s_or_b64 s[80:81], vcc, s[80:81]
	v_pk_mov_b32 v[8:9], s[2:3], s[2:3] op_sel:[0,1]
	s_andn2_b64 exec, exec, s[80:81]
	s_cbranch_execnz .LBB7_70
; %bb.71:                               ;   in Loop: Header=BB7_33 Depth=1
	s_or_b64 exec, exec, s[80:81]
	v_readlane_b32 s44, v48, 33
	v_readlane_b32 s48, v48, 35
	;; [unrolled: 1-line block ×3, first 2 shown]
	s_mov_b32 s47, s61
	v_readlane_b32 s49, v48, 36
	s_mov_b32 s50, s84
	v_readlane_b32 s60, v48, 37
.LBB7_72:                               ;   in Loop: Header=BB7_33 Depth=1
	s_or_b64 exec, exec, s[8:9]
	v_add_co_u32_e32 v30, vcc, v30, v0
	v_addc_co_u32_e32 v31, vcc, 0, v31, vcc
	v_cmp_gt_i64_e32 vcc, s[52:53], v[30:31]
	v_mov_b32_e32 v34, 0
	s_and_saveexec_b64 s[2:3], vcc
	s_cbranch_execz .LBB7_74
; %bb.73:                               ;   in Loop: Header=BB7_33 Depth=1
	v_readlane_b32 s6, v48, 16
	v_readlane_b32 s7, v48, 17
	v_pk_mov_b32 v[32:33], s[6:7], s[6:7] op_sel:[0,1]
	v_mad_u64_u32 v[32:33], s[6:7], v30, s58, v[32:33]
	v_mul_lo_u32 v34, v30, s59
	v_mul_lo_u32 v35, v31, s58
	v_add3_u32 v33, v35, v33, v34
	global_load_ubyte v34, v[32:33], off
.LBB7_74:                               ;   in Loop: Header=BB7_33 Depth=1
	s_or_b64 exec, exec, s[2:3]
	s_and_saveexec_b64 s[2:3], vcc
	s_cbranch_execz .LBB7_81
; %bb.75:                               ;   in Loop: Header=BB7_33 Depth=1
	v_add_co_u32_e32 v32, vcc, v39, v12
	v_addc_co_u32_e32 v33, vcc, 0, v40, vcc
	v_sub_co_u32_e32 v32, vcc, v32, v28
	v_readlane_b32 s6, v48, 31
	v_subb_co_u32_e32 v28, vcc, v33, v29, vcc
	v_readlane_b32 s7, v48, 32
	v_mul_lo_u32 v33, s58, v28
	v_pk_mov_b32 v[28:29], s[6:7], s[6:7] op_sel:[0,1]
	v_mul_lo_u32 v35, s59, v32
	v_mad_u64_u32 v[28:29], s[6:7], s58, v32, v[28:29]
	v_add3_u32 v29, v35, v29, v33
	v_mul_lo_u32 v32, s59, v12
	v_mul_hi_u32 v33, s58, v12
	s_and_b32 s1, s50, 0xfe
	v_add_u32_e32 v32, v33, v32
	v_mul_lo_u32 v33, s58, v12
	s_mov_b64 s[8:9], 0
	s_branch .LBB7_77
.LBB7_76:                               ;   in Loop: Header=BB7_77 Depth=2
	s_or_b64 exec, exec, s[10:11]
	s_waitcnt vmcnt(0)
	v_and_b32_e32 v34, 0xff, v34
	s_and_b64 s[6:7], exec, vcc
	v_and_b32_e32 v44, s85, v34
	v_bfe_u32 v34, v34, s1, 2
	s_or_b64 s[8:9], s[6:7], s[8:9]
	v_cmp_eq_u32_e32 vcc, s82, v44
	v_cmp_eq_u32_e64 s[6:7], 0, v34
	s_and_b64 s[6:7], vcc, s[6:7]
	v_cndmask_b32_e64 v44, 0, 1, s[6:7]
	v_cmp_ne_u32_e64 s[6:7], 0, v44
	s_bcnt1_i32_b64 s6, s[6:7]
	v_add_co_u32_e64 v2, s[6:7], s6, v2
	v_addc_co_u32_e64 v3, s[6:7], 0, v3, s[6:7]
	v_cmp_eq_u32_e64 s[6:7], 1, v34
	s_and_b64 s[6:7], vcc, s[6:7]
	v_cndmask_b32_e64 v44, 0, 1, s[6:7]
	v_cmp_ne_u32_e64 s[6:7], 0, v44
	s_bcnt1_i32_b64 s6, s[6:7]
	v_add_co_u32_e64 v4, s[6:7], s6, v4
	v_addc_co_u32_e64 v5, s[6:7], 0, v5, s[6:7]
	;; [unrolled: 7-line block ×3, first 2 shown]
	v_cmp_eq_u32_e64 s[6:7], 3, v34
	s_and_b64 s[6:7], vcc, s[6:7]
	v_cndmask_b32_e64 v34, 0, 1, s[6:7]
	v_cmp_ne_u32_e32 vcc, 0, v34
	s_bcnt1_i32_b64 s6, vcc
	v_add_co_u32_e32 v8, vcc, s6, v8
	v_addc_co_u32_e32 v9, vcc, 0, v9, vcc
	v_add_co_u32_e32 v28, vcc, v28, v33
	v_addc_co_u32_e32 v29, vcc, v29, v32, vcc
	v_mov_b32_e32 v34, v35
	s_andn2_b64 exec, exec, s[8:9]
	s_cbranch_execz .LBB7_80
.LBB7_77:                               ;   Parent Loop BB7_33 Depth=1
                                        ; =>  This Inner Loop Header: Depth=2
	v_add_co_u32_e32 v30, vcc, v30, v12
	v_addc_co_u32_e32 v31, vcc, 0, v31, vcc
	v_cmp_gt_i64_e64 s[6:7], s[52:53], v[30:31]
	v_cmp_le_i64_e32 vcc, s[52:53], v[30:31]
	v_mov_b32_e32 v35, 0
	s_and_saveexec_b64 s[10:11], s[6:7]
	s_cbranch_execz .LBB7_76
; %bb.78:                               ;   in Loop: Header=BB7_77 Depth=2
	global_load_ubyte v35, v[28:29], off
	s_branch .LBB7_76
.LBB7_79:                               ;   in Loop: Header=BB7_33 Depth=1
                                        ; implicit-def: $vgpr8_vgpr9
                                        ; implicit-def: $vgpr4_vgpr5
	s_cbranch_execnz .LBB7_82
	s_branch .LBB7_91
.LBB7_80:                               ;   in Loop: Header=BB7_33 Depth=1
	s_or_b64 exec, exec, s[8:9]
.LBB7_81:                               ;   in Loop: Header=BB7_33 Depth=1
	s_or_b64 exec, exec, s[2:3]
	s_branch .LBB7_91
.LBB7_82:                               ;   in Loop: Header=BB7_33 Depth=1
	global_load_ushort v12, v13, s[48:49]
	s_mov_b64 s[8:9], 0
	s_waitcnt vmcnt(0)
	v_readfirstlane_b32 s1, v12
	s_and_b32 s1, 0xffff, s1
	s_lshl_b32 s1, s1, 2
	v_cvt_f32_u32_e32 v2, s1
	s_sub_i32 s2, 0, s1
	v_rcp_iflag_f32_e32 v4, v2
	v_pk_mov_b32 v[2:3], 0, 0
	v_pk_mov_b32 v[6:7], v[2:3], v[2:3] op_sel:[0,1]
	v_mul_f32_e32 v4, 0x4f7ffffe, v4
	v_cvt_u32_f32_e32 v8, v4
	v_pk_mov_b32 v[4:5], v[2:3], v[2:3] op_sel:[0,1]
	v_readfirstlane_b32 s3, v8
	s_mul_i32 s2, s2, s3
	s_mul_hi_u32 s2, s3, s2
	s_add_i32 s3, s3, s2
	s_mul_hi_u32 s2, s0, s3
	s_mul_i32 s2, s2, s1
	s_sub_i32 s2, s0, s2
	s_sub_i32 s3, s2, s1
	s_cmp_ge_u32 s2, s1
	s_cselect_b32 s2, s3, s2
	s_sub_i32 s3, s2, s1
	s_cmp_ge_u32 s2, s1
	s_cselect_b32 s2, s3, s2
	s_sub_i32 s74, s0, s2
	v_cmp_gt_u32_e32 vcc, s74, v16
	v_pk_mov_b32 v[8:9], v[2:3], v[2:3] op_sel:[0,1]
	s_and_saveexec_b64 s[2:3], vcc
	s_cbranch_execz .LBB7_86
; %bb.83:                               ;   in Loop: Header=BB7_33 Depth=1
	s_mov_b32 s61, s47
	s_mov_b32 s84, s83
	;; [unrolled: 1-line block ×3, first 2 shown]
	s_and_b32 s83, s50, 0xfe
	v_mov_b32_e32 v30, v16
	s_mov_b64 s[26:27], 0
	s_mov_b64 s[76:77], 0
	;; [unrolled: 1-line block ×4, first 2 shown]
	v_pk_mov_b32 v[28:29], v[16:17], v[16:17] op_sel:[0,1]
.LBB7_84:                               ;   Parent Loop BB7_33 Depth=1
                                        ; =>  This Inner Loop Header: Depth=2
	ds_read_b32 v2, v30
	v_add_co_u32_e32 v28, vcc, s1, v28
	v_addc_co_u32_e32 v29, vcc, 0, v29, vcc
	s_waitcnt lgkmcnt(0)
	v_and_b32_e32 v4, 0xff, v2
	v_bfe_u32 v5, v2, 8, 8
	v_and_b32_e32 v6, s85, v4
	v_bfe_u32 v4, v4, s83, 2
	v_lshrrev_b32_e32 v3, 24, v2
	v_bfe_u32 v2, v2, 16, 8
	v_and_b32_e32 v7, s85, v5
	v_bfe_u32 v5, v5, s83, 2
	v_cmp_eq_u32_e64 s[16:17], s82, v6
	v_cmp_eq_u32_e64 s[6:7], 0, v4
	v_and_b32_e32 v8, s85, v2
	v_bfe_u32 v2, v2, s83, 2
	v_cmp_eq_u32_e64 s[14:15], s82, v7
	v_cmp_eq_u32_e64 s[28:29], 0, v5
	s_and_b64 s[6:7], s[16:17], s[6:7]
	v_and_b32_e32 v9, s85, v3
	v_bfe_u32 v3, v3, s83, 2
	v_cmp_eq_u32_e64 s[12:13], s82, v8
	v_cmp_eq_u32_e64 s[30:31], 0, v2
	;; [unrolled: 1-line block ×5, first 2 shown]
	v_cndmask_b32_e64 v2, 0, 1, s[6:7]
	s_and_b64 s[6:7], s[14:15], s[28:29]
	v_cmp_eq_u32_e64 s[10:11], s82, v9
	v_cmp_eq_u32_e64 s[34:35], 0, v3
	;; [unrolled: 1-line block ×5, first 2 shown]
	v_cndmask_b32_e64 v3, 0, 1, s[6:7]
	s_and_b64 s[6:7], s[12:13], s[30:31]
	v_cmp_eq_u32_e64 s[36:37], 1, v4
	v_cmp_eq_u32_e64 s[44:45], 2, v4
	;; [unrolled: 1-line block ×3, first 2 shown]
	v_cndmask_b32_e64 v4, 0, 1, s[6:7]
	s_and_b64 s[6:7], s[10:11], s[34:35]
	v_cmp_eq_u32_e64 s[38:39], 1, v5
	v_cmp_eq_u32_e64 s[46:47], 2, v5
	;; [unrolled: 1-line block ×3, first 2 shown]
	v_cndmask_b32_e64 v5, 0, 1, s[6:7]
	v_cmp_ne_u32_e64 s[6:7], 0, v2
	v_cmp_ne_u32_e64 s[28:29], 0, v3
	v_cmp_ne_u32_e64 s[30:31], 0, v4
	v_cmp_ne_u32_e64 s[34:35], 0, v5
	s_bcnt1_i32_b64 s6, s[6:7]
	s_bcnt1_i32_b64 s7, s[28:29]
	s_bcnt1_i32_b64 s28, s[30:31]
	s_bcnt1_i32_b64 s29, s[34:35]
	s_add_u32 s6, s6, s90
	s_addc_u32 s30, 0, s91
	s_add_u32 s6, s6, s7
	s_addc_u32 s7, s30, 0
	s_add_u32 s6, s6, s28
	s_addc_u32 s7, s7, 0
	s_add_u32 s90, s6, s29
	s_addc_u32 s91, s7, 0
	s_and_b64 s[6:7], s[16:17], s[36:37]
	v_cndmask_b32_e64 v4, 0, 1, s[6:7]
	s_and_b64 s[6:7], s[14:15], s[38:39]
	v_cndmask_b32_e64 v5, 0, 1, s[6:7]
	s_and_b64 s[6:7], s[12:13], s[40:41]
	v_cndmask_b32_e64 v6, 0, 1, s[6:7]
	s_and_b64 s[6:7], s[10:11], s[42:43]
	v_cndmask_b32_e64 v7, 0, 1, s[6:7]
	v_cmp_ne_u32_e64 s[6:7], 0, v4
	v_cmp_ne_u32_e64 s[28:29], 0, v5
	v_cmp_ne_u32_e64 s[30:31], 0, v6
	v_cmp_ne_u32_e64 s[34:35], 0, v7
	s_bcnt1_i32_b64 s6, s[6:7]
	s_bcnt1_i32_b64 s7, s[28:29]
	s_bcnt1_i32_b64 s28, s[30:31]
	s_bcnt1_i32_b64 s29, s[34:35]
	s_add_u32 s6, s6, s80
	s_addc_u32 s30, 0, s81
	s_add_u32 s6, s6, s7
	s_addc_u32 s7, s30, 0
	s_add_u32 s6, s6, s28
	s_addc_u32 s7, s7, 0
	s_add_u32 s80, s6, s29
	s_addc_u32 s81, s7, 0
	s_and_b64 s[6:7], s[16:17], s[44:45]
	v_cndmask_b32_e64 v6, 0, 1, s[6:7]
	s_and_b64 s[6:7], s[14:15], s[46:47]
	v_cndmask_b32_e64 v7, 0, 1, s[6:7]
	s_and_b64 s[6:7], s[12:13], s[48:49]
	v_cndmask_b32_e64 v8, 0, 1, s[6:7]
	s_and_b64 s[6:7], s[10:11], s[50:51]
	v_cndmask_b32_e64 v9, 0, 1, s[6:7]
	v_cmp_ne_u32_e64 s[6:7], 0, v6
	v_cmp_ne_u32_e64 s[28:29], 0, v7
	v_cmp_ne_u32_e64 s[30:31], 0, v8
	v_cmp_ne_u32_e64 s[34:35], 0, v9
	s_bcnt1_i32_b64 s6, s[6:7]
	s_bcnt1_i32_b64 s7, s[28:29]
	s_bcnt1_i32_b64 s28, s[30:31]
	s_bcnt1_i32_b64 s29, s[34:35]
	s_add_u32 s6, s6, s76
	s_addc_u32 s30, 0, s77
	s_add_u32 s6, s6, s7
	s_addc_u32 s7, s30, 0
	s_add_u32 s6, s6, s28
	s_addc_u32 s7, s7, 0
	s_add_u32 s76, s6, s29
	s_addc_u32 s77, s7, 0
	s_and_b64 s[6:7], s[16:17], s[24:25]
	v_cndmask_b32_e64 v8, 0, 1, s[6:7]
	s_and_b64 s[6:7], s[14:15], s[22:23]
	v_cndmask_b32_e64 v9, 0, 1, s[6:7]
	s_and_b64 s[6:7], s[12:13], s[20:21]
	v_cndmask_b32_e64 v31, 0, 1, s[6:7]
	s_and_b64 s[6:7], s[10:11], s[18:19]
	v_cndmask_b32_e64 v32, 0, 1, s[6:7]
	v_cmp_ne_u32_e64 s[6:7], 0, v8
	v_cmp_ne_u32_e64 s[10:11], 0, v9
	;; [unrolled: 1-line block ×4, first 2 shown]
	s_bcnt1_i32_b64 s6, s[6:7]
	s_bcnt1_i32_b64 s7, s[10:11]
	;; [unrolled: 1-line block ×4, first 2 shown]
	s_add_u32 s6, s6, s26
	s_addc_u32 s12, 0, s27
	s_add_u32 s6, s6, s7
	s_addc_u32 s7, s12, 0
	;; [unrolled: 2-line block ×3, first 2 shown]
	s_add_u32 s26, s6, s11
	v_cmp_le_u64_e32 vcc, s[74:75], v[28:29]
	s_addc_u32 s27, s7, 0
	v_add_u32_e32 v30, s1, v30
	v_pk_mov_b32 v[2:3], s[90:91], s[90:91] op_sel:[0,1]
	v_pk_mov_b32 v[4:5], s[80:81], s[80:81] op_sel:[0,1]
	;; [unrolled: 1-line block ×3, first 2 shown]
	s_or_b64 s[8:9], vcc, s[8:9]
	v_pk_mov_b32 v[8:9], s[26:27], s[26:27] op_sel:[0,1]
	s_andn2_b64 exec, exec, s[8:9]
	s_cbranch_execnz .LBB7_84
; %bb.85:                               ;   in Loop: Header=BB7_33 Depth=1
	s_or_b64 exec, exec, s[8:9]
	v_readlane_b32 s44, v48, 33
	v_readlane_b32 s48, v48, 35
	;; [unrolled: 1-line block ×3, first 2 shown]
	s_mov_b32 s83, s84
	s_mov_b32 s47, s61
	v_readlane_b32 s49, v48, 36
	s_mov_b32 s50, s60
	v_readlane_b32 s60, v48, 37
.LBB7_86:                               ;   in Loop: Header=BB7_33 Depth=1
	s_or_b64 exec, exec, s[2:3]
	v_and_b32_e32 v30, 0xffff, v12
	v_add_u32_e32 v12, s74, v0
	v_cmp_gt_u32_e32 vcc, s0, v12
	s_and_saveexec_b64 s[2:3], vcc
	s_cbranch_execz .LBB7_90
; %bb.87:                               ;   in Loop: Header=BB7_33 Depth=1
	s_and_b32 s74, s0, 0x7fffffff
	s_and_b32 s8, s50, 0xfe
	s_mov_b64 s[0:1], 0
	v_pk_mov_b32 v[28:29], v[12:13], v[12:13] op_sel:[0,1]
.LBB7_88:                               ;   Parent Loop BB7_33 Depth=1
                                        ; =>  This Inner Loop Header: Depth=2
	ds_read_u8 v31, v12
	v_add_co_u32_e32 v28, vcc, v28, v30
	v_addc_co_u32_e32 v29, vcc, 0, v29, vcc
	s_waitcnt lgkmcnt(0)
	v_and_b32_e32 v32, s85, v31
	v_bfe_u32 v31, v31, s8, 2
	v_cmp_eq_u32_e64 s[6:7], s82, v32
	v_cmp_eq_u32_e64 s[10:11], 0, v31
	;; [unrolled: 1-line block ×3, first 2 shown]
	s_and_b64 s[10:11], s[6:7], s[10:11]
	v_cmp_eq_u32_e64 s[14:15], 2, v31
	v_cmp_eq_u32_e64 s[16:17], 3, v31
	v_cndmask_b32_e64 v31, 0, 1, s[10:11]
	s_and_b64 s[10:11], s[6:7], s[12:13]
	v_cndmask_b32_e64 v32, 0, 1, s[10:11]
	s_and_b64 s[10:11], s[6:7], s[14:15]
	s_and_b64 s[6:7], s[6:7], s[16:17]
	v_cndmask_b32_e64 v34, 0, 1, s[6:7]
	v_cmp_ne_u32_e64 s[6:7], 0, v31
	s_bcnt1_i32_b64 s6, s[6:7]
	v_cndmask_b32_e64 v33, 0, 1, s[10:11]
	v_cmp_ne_u32_e64 s[10:11], 0, v32
	v_add_co_u32_e64 v2, s[6:7], s6, v2
	s_bcnt1_i32_b64 s9, s[10:11]
	v_addc_co_u32_e64 v3, s[6:7], 0, v3, s[6:7]
	v_cmp_ne_u32_e64 s[12:13], 0, v33
	v_cmp_ne_u32_e64 s[14:15], 0, v34
	v_add_co_u32_e64 v4, s[6:7], s9, v4
	v_cmp_le_u64_e32 vcc, s[74:75], v[28:29]
	s_bcnt1_i32_b64 s10, s[12:13]
	s_bcnt1_i32_b64 s11, s[14:15]
	v_addc_co_u32_e64 v5, s[6:7], 0, v5, s[6:7]
	v_add_co_u32_e64 v6, s[6:7], s10, v6
	s_or_b64 s[0:1], vcc, s[0:1]
	v_add_co_u32_e32 v8, vcc, s11, v8
	v_add_u32_e32 v12, v12, v30
	v_addc_co_u32_e64 v7, s[6:7], 0, v7, s[6:7]
	v_addc_co_u32_e32 v9, vcc, 0, v9, vcc
	s_andn2_b64 exec, exec, s[0:1]
	s_cbranch_execnz .LBB7_88
; %bb.89:                               ;   in Loop: Header=BB7_33 Depth=1
	s_or_b64 exec, exec, s[0:1]
.LBB7_90:                               ;   in Loop: Header=BB7_33 Depth=1
	s_or_b64 exec, exec, s[2:3]
.LBB7_91:                               ;   in Loop: Header=BB7_33 Depth=1
	s_lshl_b32 s2, s78, 6
	s_and_saveexec_b64 s[0:1], s[4:5]
	s_cbranch_execz .LBB7_93
; %bb.92:                               ;   in Loop: Header=BB7_33 Depth=1
	v_or_b32_e32 v12, s2, v37
	v_lshlrev_b32_e32 v12, 3, v12
	ds_write_b128 v12, v[2:5] offset:3072
	s_waitcnt vmcnt(0)
	ds_write_b128 v12, v[6:9] offset:3088
.LBB7_93:                               ;   in Loop: Header=BB7_33 Depth=1
	s_or_b64 exec, exec, s[0:1]
	s_waitcnt lgkmcnt(0)
	s_barrier
	s_and_saveexec_b64 s[0:1], s[44:45]
	s_cbranch_execz .LBB7_105
; %bb.94:                               ;   in Loop: Header=BB7_33 Depth=1
	v_readlane_b32 s6, v48, 20
	v_readlane_b32 s7, v48, 21
	s_andn2_b64 vcc, exec, s[6:7]
	v_pk_mov_b32 v[2:3], 0, 0
	s_cbranch_vccnz .LBB7_104
; %bb.95:                               ;   in Loop: Header=BB7_33 Depth=1
	v_readlane_b32 s6, v48, 24
	v_readlane_b32 s7, v48, 25
	s_andn2_b64 vcc, exec, s[6:7]
	s_cbranch_vccnz .LBB7_100
; %bb.96:                               ;   in Loop: Header=BB7_33 Depth=1
	v_lshl_add_u32 v4, s78, 9, v41
	s_mov_b32 s3, 0
	v_pk_mov_b32 v[2:3], 0, 0
.LBB7_97:                               ;   Parent Loop BB7_33 Depth=1
                                        ; =>  This Inner Loop Header: Depth=2
	s_waitcnt vmcnt(0)
	ds_read2_b64 v[6:9], v4 offset1:4
	ds_read2_b64 v[28:31], v4 offset0:8 offset1:12
	ds_read2_b64 v[32:35], v4 offset0:16 offset1:20
	;; [unrolled: 1-line block ×3, first 2 shown]
	s_add_i32 s3, s3, 8
	s_waitcnt lgkmcnt(3)
	v_add_co_u32_e32 v2, vcc, v6, v2
	v_addc_co_u32_e32 v3, vcc, v7, v3, vcc
	v_add_co_u32_e32 v2, vcc, v8, v2
	v_addc_co_u32_e32 v3, vcc, v9, v3, vcc
	s_waitcnt lgkmcnt(2)
	v_add_co_u32_e32 v2, vcc, v28, v2
	v_addc_co_u32_e32 v3, vcc, v29, v3, vcc
	v_add_co_u32_e32 v2, vcc, v30, v2
	v_addc_co_u32_e32 v3, vcc, v31, v3, vcc
	;; [unrolled: 5-line block ×3, first 2 shown]
	s_waitcnt lgkmcnt(0)
	v_add_co_u32_e32 v2, vcc, v44, v2
	v_addc_co_u32_e32 v3, vcc, v45, v3, vcc
	v_add_co_u32_e32 v2, vcc, v46, v2
	v_add_u32_e32 v4, 0x100, v4
	s_cmp_eq_u32 s79, s3
	v_addc_co_u32_e32 v3, vcc, v47, v3, vcc
	s_cbranch_scc0 .LBB7_97
; %bb.98:                               ;   in Loop: Header=BB7_33 Depth=1
	s_mov_b32 s3, s79
	s_branch .LBB7_101
.LBB7_99:                               ;   in Loop: Header=BB7_33 Depth=1
                                        ; implicit-def: $vgpr28_vgpr29
	s_branch .LBB7_67
.LBB7_100:                              ;   in Loop: Header=BB7_33 Depth=1
	s_mov_b32 s3, 0
	v_pk_mov_b32 v[2:3], 0, 0
.LBB7_101:                              ;   in Loop: Header=BB7_33 Depth=1
	v_readlane_b32 s6, v48, 27
	v_readlane_b32 s7, v48, 28
	s_andn2_b64 vcc, exec, s[6:7]
	s_cbranch_vccnz .LBB7_104
; %bb.102:                              ;   in Loop: Header=BB7_33 Depth=1
	s_lshl_b32 s6, s78, 9
	s_lshl_b32 s3, s3, 5
	s_add_i32 s6, s6, s3
	v_add_u32_e32 v4, s6, v41
	v_readlane_b32 s3, v48, 26
.LBB7_103:                              ;   Parent Loop BB7_33 Depth=1
                                        ; =>  This Inner Loop Header: Depth=2
	s_waitcnt vmcnt(0)
	ds_read_b64 v[6:7], v4
	s_add_i32 s3, s3, -1
	v_add_u32_e32 v4, 32, v4
	s_cmp_lg_u32 s3, 0
	s_waitcnt lgkmcnt(0)
	v_add_co_u32_e32 v2, vcc, v6, v2
	v_addc_co_u32_e32 v3, vcc, v7, v3, vcc
	s_cbranch_scc1 .LBB7_103
.LBB7_104:                              ;   in Loop: Header=BB7_33 Depth=1
	v_add_lshl_u32 v4, s2, v36, 3
	ds_write_b64 v4, v[2:3] offset:3072
.LBB7_105:                              ;   in Loop: Header=BB7_33 Depth=1
	s_or_b64 exec, exec, s[0:1]
	s_lshl_b32 s0, s2, 3
	s_waitcnt vmcnt(0)
	v_mov_b32_e32 v6, s0
	s_waitcnt lgkmcnt(0)
	s_barrier
	ds_read_b128 v[2:5], v6 offset:3072
	ds_read_b128 v[6:9], v6 offset:3088
	s_and_b32 s26, s50, 0xfe
	s_lshl_b32 s42, 3, s26
	s_not_b32 s27, s42
	s_waitcnt lgkmcnt(1)
	v_readfirstlane_b32 s1, v3
	v_readfirstlane_b32 s0, v2
	s_cmp_eq_u64 s[0:1], 1
	s_cselect_b64 s[2:3], -1, 0
	s_cmp_eq_u64 s[54:55], 1
	s_cselect_b64 s[8:9], -1, 0
	s_and_b64 s[16:17], s[2:3], s[8:9]
	v_readfirstlane_b32 s24, v4
	v_readfirstlane_b32 s25, v5
	s_waitcnt lgkmcnt(0)
	v_readfirstlane_b32 s14, v6
	v_readfirstlane_b32 s15, v7
	;; [unrolled: 1-line block ×4, first 2 shown]
	s_mov_b64 s[12:13], -1
	s_and_b64 vcc, exec, s[16:17]
	s_cbranch_vccz .LBB7_119
; %bb.106:                              ;   in Loop: Header=BB7_33 Depth=1
	ds_read_b64 v[2:3], v13 offset:5120
	s_waitcnt lgkmcnt(0)
	s_barrier
	v_readfirstlane_b32 s10, v2
	v_readfirstlane_b32 s11, v3
	s_mov_b64 s[2:3], exec
	v_readlane_b32 s8, v48, 12
	v_readlane_b32 s9, v48, 13
	s_and_b64 s[8:9], s[2:3], s[8:9]
	s_mov_b64 exec, s[8:9]
	s_cbranch_execz .LBB7_108
; %bb.107:                              ;   in Loop: Header=BB7_33 Depth=1
	ds_write_b8 v0, v13 offset:3072
.LBB7_108:                              ;   in Loop: Header=BB7_33 Depth=1
	s_or_b64 exec, exec, s[2:3]
	v_cmp_lt_i64_e64 s[2:3], s[10:11], 1
	s_and_b32 s82, s82, s27
	s_or_b32 s85, s85, s42
	s_and_b64 vcc, exec, s[2:3]
	s_waitcnt lgkmcnt(0)
	s_barrier
	s_cbranch_vccz .LBB7_120
; %bb.109:                              ;   in Loop: Header=BB7_33 Depth=1
	s_mov_b32 s46, s75
	s_cmp_lg_u64 s[46:47], 0
	s_cbranch_scc0 .LBB7_163
; %bb.110:                              ;   in Loop: Header=BB7_33 Depth=1
	v_cvt_f32_u32_e32 v2, s33
	s_sub_u32 s2, 0, s33
	s_subb_u32 s3, 0, 0
	v_mac_f32_e32 v2, 0x4f800000, v42
	v_rcp_f32_e32 v2, v2
	v_mul_f32_e32 v2, 0x5f7ffffc, v2
	v_mul_f32_e32 v3, 0x2f800000, v2
	v_trunc_f32_e32 v3, v3
	v_mac_f32_e32 v2, 0xcf800000, v3
	v_cvt_u32_f32_e32 v3, v3
	v_cvt_u32_f32_e32 v2, v2
	v_readfirstlane_b32 s8, v3
	v_readfirstlane_b32 s9, v2
	s_mul_i32 s18, s2, s8
	s_mul_hi_u32 s20, s2, s9
	s_mul_i32 s19, s3, s9
	s_add_i32 s18, s20, s18
	s_mul_i32 s21, s2, s9
	s_add_i32 s18, s18, s19
	s_mul_hi_u32 s20, s9, s21
	s_mul_hi_u32 s19, s9, s18
	s_mul_i32 s9, s9, s18
	s_add_u32 s9, s20, s9
	s_addc_u32 s19, 0, s19
	s_mul_hi_u32 s22, s8, s21
	s_mul_i32 s21, s8, s21
	s_add_u32 s9, s9, s21
	s_mul_hi_u32 s20, s8, s18
	s_addc_u32 s9, s19, s22
	s_addc_u32 s19, s20, 0
	s_mul_i32 s18, s8, s18
	s_add_u32 s9, s9, s18
	s_addc_u32 s18, 0, s19
	v_add_co_u32_e32 v2, vcc, s9, v2
	s_cmp_lg_u64 vcc, 0
	s_addc_u32 s8, s8, s18
	v_readfirstlane_b32 s18, v2
	s_mul_i32 s9, s2, s8
	s_mul_hi_u32 s19, s2, s18
	s_add_i32 s9, s19, s9
	s_mul_i32 s3, s3, s18
	s_add_i32 s9, s9, s3
	s_mul_i32 s2, s2, s18
	s_mul_hi_u32 s19, s8, s2
	s_mul_i32 s20, s8, s2
	s_mul_i32 s22, s18, s9
	s_mul_hi_u32 s2, s18, s2
	s_mul_hi_u32 s21, s18, s9
	s_add_u32 s2, s2, s22
	s_addc_u32 s18, 0, s21
	s_add_u32 s2, s2, s20
	s_mul_hi_u32 s3, s8, s9
	s_addc_u32 s2, s18, s19
	s_addc_u32 s3, s3, 0
	s_mul_i32 s9, s8, s9
	s_add_u32 s2, s2, s9
	s_addc_u32 s3, 0, s3
	v_add_co_u32_e32 v2, vcc, s2, v2
	s_cmp_lg_u64 vcc, 0
	s_addc_u32 s18, s8, s3
	s_ashr_i32 s2, s47, 31
	s_add_u32 s8, s83, s2
	s_mov_b32 s3, s2
	s_addc_u32 s9, s47, s2
	s_xor_b64 s[8:9], s[8:9], s[2:3]
	v_readfirstlane_b32 s20, v2
	s_mul_i32 s19, s8, s18
	s_mul_hi_u32 s21, s8, s20
	s_mul_hi_u32 s3, s8, s18
	s_add_u32 s19, s21, s19
	s_addc_u32 s3, 0, s3
	s_mul_hi_u32 s22, s9, s20
	s_mul_i32 s20, s9, s20
	s_add_u32 s19, s19, s20
	s_mul_hi_u32 s21, s9, s18
	s_addc_u32 s3, s3, s22
	s_addc_u32 s19, s21, 0
	s_mul_i32 s18, s9, s18
	s_add_u32 s3, s3, s18
	s_addc_u32 s18, 0, s19
	s_mul_hi_u32 s19, s33, s3
	s_mul_i32 s3, s33, s3
	s_mul_i32 s18, s33, s18
	v_mov_b32_e32 v2, s3
	s_add_i32 s19, s19, s18
	v_sub_co_u32_e32 v2, vcc, s8, v2
	s_cmp_lg_u64 vcc, 0
	s_subb_u32 s3, s9, s19
	v_subrev_co_u32_e32 v3, vcc, s33, v2
	s_cmp_lg_u64 vcc, 0
	s_subb_u32 s8, s3, 0
	v_subrev_co_u32_e32 v4, vcc, s33, v3
	s_cmp_lg_u64 vcc, 0
	s_subb_u32 s9, s8, 0
	v_cmp_le_u32_e32 vcc, s33, v3
	s_cmp_eq_u32 s8, 0
	v_cndmask_b32_e64 v5, 0, -1, vcc
	s_cselect_b64 vcc, -1, 0
	v_cndmask_b32_e32 v5, -1, v5, vcc
	v_mov_b32_e32 v6, s8
	v_mov_b32_e32 v7, s9
	v_cmp_ne_u32_e32 vcc, 0, v5
	v_cndmask_b32_e32 v5, v6, v7, vcc
	v_cndmask_b32_e32 v3, v3, v4, vcc
	v_cmp_le_u32_e32 vcc, s33, v2
	s_cmp_eq_u32 s3, 0
	v_cndmask_b32_e64 v4, 0, -1, vcc
	s_cselect_b64 vcc, -1, 0
	v_cndmask_b32_e32 v4, -1, v4, vcc
	v_cmp_ne_u32_e32 vcc, 0, v4
	v_mov_b32_e32 v6, s3
	v_cndmask_b32_e32 v2, v2, v3, vcc
	v_cndmask_b32_e32 v4, v6, v5, vcc
	v_xor_b32_e32 v2, s2, v2
	v_xor_b32_e32 v3, s2, v4
	v_mov_b32_e32 v4, s2
	v_subrev_co_u32_e32 v2, vcc, s2, v2
	v_subb_co_u32_e32 v3, vcc, v3, v4, vcc
	s_cbranch_execnz .LBB7_112
.LBB7_111:                              ;   in Loop: Header=BB7_33 Depth=1
	v_cvt_f32_u32_e32 v2, s33
	s_sub_i32 s2, 0, s33
	v_rcp_iflag_f32_e32 v2, v2
	v_mul_f32_e32 v2, 0x4f7ffffe, v2
	v_cvt_u32_f32_e32 v2, v2
	v_mul_lo_u32 v3, s2, v2
	v_mul_hi_u32 v3, v2, v3
	v_add_u32_e32 v2, v2, v3
	v_mul_hi_u32 v2, s83, v2
	v_mul_lo_u32 v2, v2, s33
	v_sub_u32_e32 v2, s83, v2
	v_subrev_u32_e32 v3, s33, v2
	v_cmp_le_u32_e32 vcc, s33, v2
	v_cndmask_b32_e32 v2, v2, v3, vcc
	v_subrev_u32_e32 v3, s33, v2
	v_cmp_le_u32_e32 vcc, s33, v2
	v_cndmask_b32_e32 v12, v2, v3, vcc
	v_pk_mov_b32 v[2:3], v[12:13], v[12:13] op_sel:[0,1]
.LBB7_112:                              ;   in Loop: Header=BB7_33 Depth=1
	v_mov_b32_e32 v4, s47
	v_sub_co_u32_e32 v2, vcc, s83, v2
	v_subb_co_u32_e32 v3, vcc, v4, v3, vcc
	v_cmp_gt_i64_e32 vcc, v[2:3], v[0:1]
	s_mov_b64 s[2:3], 0
                                        ; implicit-def: $vgpr43
	s_and_saveexec_b64 s[8:9], vcc
	s_cbranch_execz .LBB7_122
; %bb.113:                              ;   in Loop: Header=BB7_33 Depth=1
	v_pk_mov_b32 v[4:5], v[10:11], v[10:11] op_sel:[0,1]
	v_pk_mov_b32 v[6:7], v[0:1], v[0:1] op_sel:[0,1]
                                        ; implicit-def: $sgpr18_sgpr19
	s_branch .LBB7_115
.LBB7_114:                              ;   in Loop: Header=BB7_115 Depth=2
	s_or_b64 exec, exec, s[20:21]
	s_waitcnt lgkmcnt(0)
	s_barrier
	ds_read_u16 v8, v13 offset:3072
	v_mov_b32_e32 v9, s92
	v_add_co_u32_e32 v6, vcc, s33, v6
	v_addc_co_u32_e32 v7, vcc, v7, v9, vcc
	s_waitcnt lgkmcnt(0)
	v_cmp_ne_u16_sdwa s[20:21], v8, v13 src0_sel:BYTE_0 src1_sel:DWORD
	v_cmp_ge_i64_e32 vcc, v[6:7], v[2:3]
	s_or_b64 s[22:23], s[20:21], vcc
	s_and_b64 s[22:23], exec, s[22:23]
	s_or_b64 s[2:3], s[22:23], s[2:3]
	v_mov_b32_e32 v9, s93
	v_add_co_u32_e32 v4, vcc, s60, v4
	s_andn2_b64 s[18:19], s[18:19], exec
	s_and_b64 s[20:21], s[20:21], exec
	v_addc_co_u32_e32 v5, vcc, v5, v9, vcc
	s_or_b64 s[18:19], s[18:19], s[20:21]
	s_barrier
	s_andn2_b64 exec, exec, s[2:3]
	s_cbranch_execz .LBB7_121
.LBB7_115:                              ;   Parent Loop BB7_33 Depth=1
                                        ; =>  This Inner Loop Header: Depth=2
	v_cmp_gt_i64_e32 vcc, s[52:53], v[6:7]
	v_mov_b32_e32 v8, 0
	s_and_saveexec_b64 s[20:21], vcc
	s_cbranch_execz .LBB7_117
; %bb.116:                              ;   in Loop: Header=BB7_115 Depth=2
	global_load_ubyte v8, v[4:5], off
.LBB7_117:                              ;   in Loop: Header=BB7_115 Depth=2
	s_or_b64 exec, exec, s[20:21]
	s_waitcnt vmcnt(0)
	v_and_b32_e32 v9, s85, v8
	v_cmp_eq_u32_sdwa s[20:21], v9, s82 src0_sel:BYTE_0 src1_sel:DWORD
	s_and_b64 s[22:23], vcc, s[20:21]
	s_and_saveexec_b64 s[20:21], s[22:23]
	s_cbranch_execz .LBB7_114
; %bb.118:                              ;   in Loop: Header=BB7_115 Depth=2
	v_lshlrev_b16_e32 v8, 8, v8
	v_or_b32_e32 v8, 1, v8
	ds_write_b16 v13, v8 offset:3072
	s_branch .LBB7_114
.LBB7_119:                              ;   in Loop: Header=BB7_33 Depth=1
	s_mov_b64 s[2:3], -1
                                        ; implicit-def: $sgpr8_sgpr9
                                        ; implicit-def: $sgpr20_sgpr21
                                        ; implicit-def: $sgpr18_sgpr19
	s_branch .LBB7_135
.LBB7_120:                              ;   in Loop: Header=BB7_33 Depth=1
	s_mov_b64 s[8:9], -1
	s_mov_b64 s[2:3], 0
                                        ; implicit-def: $sgpr18_sgpr19
                                        ; implicit-def: $vgpr43
	s_mov_b64 s[20:21], s[8:9]
	s_cbranch_execnz .LBB7_123
	s_branch .LBB7_135
.LBB7_121:                              ;   in Loop: Header=BB7_33 Depth=1
	s_or_b64 exec, exec, s[2:3]
	v_lshrrev_b16_e32 v43, 8, v8
	s_and_b64 s[2:3], s[18:19], exec
.LBB7_122:                              ;   in Loop: Header=BB7_33 Depth=1
	s_or_b64 exec, exec, s[8:9]
	s_mov_b64 s[18:19], -1
	s_mov_b64 s[8:9], 0
	s_mov_b64 s[20:21], s[8:9]
	s_branch .LBB7_135
.LBB7_123:                              ;   in Loop: Header=BB7_33 Depth=1
	v_readlane_b32 s2, v48, 22
	s_add_u32 s18, s2, s10
	v_readlane_b32 s2, v48, 23
	s_addc_u32 s3, s2, s11
	s_mov_b32 s2, s75
	s_cmp_lg_u64 s[2:3], 0
	s_cbranch_scc0 .LBB7_164
; %bb.124:                              ;   in Loop: Header=BB7_33 Depth=1
	v_cvt_f32_u32_e32 v2, s33
	s_sub_u32 s2, 0, s33
	s_subb_u32 s8, 0, 0
	v_mac_f32_e32 v2, 0x4f800000, v42
	v_rcp_f32_e32 v2, v2
	v_mul_f32_e32 v2, 0x5f7ffffc, v2
	v_mul_f32_e32 v3, 0x2f800000, v2
	v_trunc_f32_e32 v3, v3
	v_mac_f32_e32 v2, 0xcf800000, v3
	v_cvt_u32_f32_e32 v3, v3
	v_cvt_u32_f32_e32 v2, v2
	v_readfirstlane_b32 s9, v3
	v_readfirstlane_b32 s19, v2
	s_mul_i32 s20, s2, s9
	s_mul_hi_u32 s22, s2, s19
	s_mul_i32 s21, s8, s19
	s_add_i32 s20, s22, s20
	s_mul_i32 s23, s2, s19
	s_add_i32 s20, s20, s21
	s_mul_hi_u32 s22, s19, s23
	s_mul_hi_u32 s21, s19, s20
	s_mul_i32 s19, s19, s20
	s_add_u32 s19, s22, s19
	s_addc_u32 s21, 0, s21
	s_mul_hi_u32 s28, s9, s23
	s_mul_i32 s23, s9, s23
	s_add_u32 s19, s19, s23
	s_mul_hi_u32 s22, s9, s20
	s_addc_u32 s19, s21, s28
	s_addc_u32 s21, s22, 0
	s_mul_i32 s20, s9, s20
	s_add_u32 s19, s19, s20
	s_addc_u32 s20, 0, s21
	v_add_co_u32_e32 v2, vcc, s19, v2
	s_cmp_lg_u64 vcc, 0
	s_addc_u32 s9, s9, s20
	v_readfirstlane_b32 s20, v2
	s_mul_i32 s19, s2, s9
	s_mul_hi_u32 s21, s2, s20
	s_add_i32 s19, s21, s19
	s_mul_i32 s8, s8, s20
	s_add_i32 s19, s19, s8
	s_mul_i32 s2, s2, s20
	s_mul_hi_u32 s21, s9, s2
	s_mul_i32 s22, s9, s2
	s_mul_i32 s28, s20, s19
	s_mul_hi_u32 s2, s20, s2
	s_mul_hi_u32 s23, s20, s19
	s_add_u32 s2, s2, s28
	s_addc_u32 s20, 0, s23
	s_add_u32 s2, s2, s22
	s_mul_hi_u32 s8, s9, s19
	s_addc_u32 s2, s20, s21
	s_addc_u32 s8, s8, 0
	s_mul_i32 s19, s9, s19
	s_add_u32 s2, s2, s19
	s_addc_u32 s8, 0, s8
	v_add_co_u32_e32 v2, vcc, s2, v2
	s_cmp_lg_u64 vcc, 0
	s_addc_u32 s2, s9, s8
	s_ashr_i32 s8, s3, 31
	s_add_u32 s20, s18, s8
	s_mov_b32 s9, s8
	s_addc_u32 s21, s3, s8
	s_xor_b64 s[20:21], s[20:21], s[8:9]
	v_readfirstlane_b32 s22, v2
	s_mul_i32 s19, s20, s2
	s_mul_hi_u32 s23, s20, s22
	s_mul_hi_u32 s9, s20, s2
	s_add_u32 s19, s23, s19
	s_addc_u32 s9, 0, s9
	s_mul_hi_u32 s28, s21, s22
	s_mul_i32 s22, s21, s22
	s_add_u32 s19, s19, s22
	s_mul_hi_u32 s23, s21, s2
	s_addc_u32 s9, s9, s28
	s_addc_u32 s19, s23, 0
	s_mul_i32 s2, s21, s2
	s_add_u32 s2, s9, s2
	s_addc_u32 s9, 0, s19
	s_mul_hi_u32 s19, s33, s2
	s_mul_i32 s2, s33, s2
	s_mul_i32 s9, s33, s9
	v_mov_b32_e32 v2, s2
	s_add_i32 s19, s19, s9
	v_sub_co_u32_e32 v2, vcc, s20, v2
	s_cmp_lg_u64 vcc, 0
	s_subb_u32 s2, s21, s19
	v_subrev_co_u32_e32 v3, vcc, s33, v2
	s_cmp_lg_u64 vcc, 0
	s_subb_u32 s9, s2, 0
	v_subrev_co_u32_e32 v4, vcc, s33, v3
	s_cmp_lg_u64 vcc, 0
	s_subb_u32 s19, s9, 0
	v_cmp_le_u32_e32 vcc, s33, v3
	s_cmp_eq_u32 s9, 0
	v_cndmask_b32_e64 v5, 0, -1, vcc
	s_cselect_b64 vcc, -1, 0
	v_cndmask_b32_e32 v5, -1, v5, vcc
	v_mov_b32_e32 v6, s9
	v_mov_b32_e32 v7, s19
	v_cmp_ne_u32_e32 vcc, 0, v5
	v_cndmask_b32_e32 v5, v6, v7, vcc
	v_cndmask_b32_e32 v3, v3, v4, vcc
	v_cmp_le_u32_e32 vcc, s33, v2
	s_cmp_eq_u32 s2, 0
	v_cndmask_b32_e64 v4, 0, -1, vcc
	s_cselect_b64 vcc, -1, 0
	v_cndmask_b32_e32 v4, -1, v4, vcc
	v_cmp_ne_u32_e32 vcc, 0, v4
	v_mov_b32_e32 v6, s2
	v_cndmask_b32_e32 v2, v2, v3, vcc
	v_cndmask_b32_e32 v4, v6, v5, vcc
	v_xor_b32_e32 v2, s8, v2
	v_xor_b32_e32 v3, s8, v4
	v_mov_b32_e32 v4, s8
	v_subrev_co_u32_e32 v2, vcc, s8, v2
	v_subb_co_u32_e32 v3, vcc, v3, v4, vcc
	s_cbranch_execnz .LBB7_126
.LBB7_125:                              ;   in Loop: Header=BB7_33 Depth=1
	v_cvt_f32_u32_e32 v2, s33
	s_sub_i32 s2, 0, s33
	v_rcp_iflag_f32_e32 v2, v2
	v_mul_f32_e32 v2, 0x4f7ffffe, v2
	v_cvt_u32_f32_e32 v2, v2
	v_mul_lo_u32 v3, s2, v2
	v_mul_hi_u32 v3, v2, v3
	v_add_u32_e32 v2, v2, v3
	v_mul_hi_u32 v2, s18, v2
	v_mul_lo_u32 v2, v2, s33
	v_sub_u32_e32 v2, s18, v2
	v_subrev_u32_e32 v3, s33, v2
	v_cmp_le_u32_e32 vcc, s33, v2
	v_cndmask_b32_e32 v2, v2, v3, vcc
	v_subrev_u32_e32 v3, s33, v2
	v_cmp_le_u32_e32 vcc, s33, v2
	v_cndmask_b32_e32 v12, v2, v3, vcc
	v_pk_mov_b32 v[2:3], v[12:13], v[12:13] op_sel:[0,1]
.LBB7_126:                              ;   in Loop: Header=BB7_33 Depth=1
	v_mov_b32_e32 v4, s3
	v_sub_co_u32_e32 v2, vcc, s18, v2
	v_subb_co_u32_e32 v3, vcc, v4, v3, vcc
	v_cmp_gt_i64_e32 vcc, v[2:3], v[0:1]
	s_mov_b64 s[2:3], 0
                                        ; implicit-def: $vgpr43
	s_and_saveexec_b64 s[8:9], vcc
	s_cbranch_execz .LBB7_134
; %bb.127:                              ;   in Loop: Header=BB7_33 Depth=1
	v_mov_b32_e32 v6, v0
	v_pk_mov_b32 v[4:5], v[0:1], v[0:1] op_sel:[0,1]
                                        ; implicit-def: $sgpr18_sgpr19
	s_branch .LBB7_129
.LBB7_128:                              ;   in Loop: Header=BB7_129 Depth=2
	s_or_b64 exec, exec, s[20:21]
	s_waitcnt lgkmcnt(0)
	s_barrier
	ds_read_u16 v7, v13 offset:3072
	v_mov_b32_e32 v8, s92
	v_add_co_u32_e32 v4, vcc, s33, v4
	v_addc_co_u32_e32 v5, vcc, v5, v8, vcc
	s_waitcnt lgkmcnt(0)
	v_cmp_ne_u16_sdwa s[20:21], v7, v13 src0_sel:BYTE_0 src1_sel:DWORD
	v_cmp_ge_i64_e32 vcc, v[4:5], v[2:3]
	s_or_b64 s[22:23], s[20:21], vcc
	s_and_b64 s[22:23], exec, s[22:23]
	s_or_b64 s[2:3], s[22:23], s[2:3]
	s_andn2_b64 s[18:19], s[18:19], exec
	s_and_b64 s[20:21], s[20:21], exec
	v_add_u32_e32 v6, s33, v6
	s_or_b64 s[18:19], s[18:19], s[20:21]
	s_barrier
	s_andn2_b64 exec, exec, s[2:3]
	s_cbranch_execz .LBB7_133
.LBB7_129:                              ;   Parent Loop BB7_33 Depth=1
                                        ; =>  This Inner Loop Header: Depth=2
	v_cmp_gt_i64_e32 vcc, s[10:11], v[4:5]
	v_mov_b32_e32 v7, 0
	s_and_saveexec_b64 s[20:21], vcc
	s_cbranch_execz .LBB7_131
; %bb.130:                              ;   in Loop: Header=BB7_129 Depth=2
	ds_read_u8 v7, v6
.LBB7_131:                              ;   in Loop: Header=BB7_129 Depth=2
	s_or_b64 exec, exec, s[20:21]
	s_waitcnt lgkmcnt(0)
	v_and_b32_e32 v8, s85, v7
	v_cmp_eq_u32_sdwa s[20:21], v8, s82 src0_sel:BYTE_0 src1_sel:DWORD
	s_and_b64 s[22:23], vcc, s[20:21]
	s_and_saveexec_b64 s[20:21], s[22:23]
	s_cbranch_execz .LBB7_128
; %bb.132:                              ;   in Loop: Header=BB7_129 Depth=2
	v_lshlrev_b16_e32 v7, 8, v7
	v_or_b32_e32 v7, 1, v7
	ds_write_b16 v13, v7 offset:3072
	s_branch .LBB7_128
.LBB7_133:                              ;   in Loop: Header=BB7_33 Depth=1
	s_or_b64 exec, exec, s[2:3]
	v_lshrrev_b16_e32 v43, 8, v7
	s_and_b64 s[2:3], s[18:19], exec
.LBB7_134:                              ;   in Loop: Header=BB7_33 Depth=1
	s_or_b64 exec, exec, s[8:9]
	s_mov_b64 s[20:21], -1
	s_mov_b64 s[8:9], 0
	s_mov_b64 s[18:19], 0
.LBB7_135:                              ;   in Loop: Header=BB7_33 Depth=1
	s_andn2_b64 s[10:11], s[88:89], exec
	s_and_b64 s[8:9], s[8:9], exec
	s_or_b64 s[88:89], s[10:11], s[8:9]
	s_andn2_b64 s[8:9], s[86:87], exec
	s_and_b64 s[10:11], s[20:21], exec
	s_or_b64 s[86:87], s[8:9], s[10:11]
	;; [unrolled: 3-line block ×3, first 2 shown]
	s_and_saveexec_b64 s[10:11], s[2:3]
	s_cbranch_execz .LBB7_32
; %bb.136:                              ;   in Loop: Header=BB7_33 Depth=1
	s_xor_b64 s[2:3], s[16:17], -1
	s_andn2_b64 vcc, exec, s[2:3]
	s_mov_b32 s43, 1
	s_cbranch_vccnz .LBB7_147
; %bb.137:                              ;   in Loop: Header=BB7_33 Depth=1
	v_pk_mov_b32 v[2:3], s[0:1], s[0:1] op_sel:[0,1]
	v_cmp_gt_i64_e32 vcc, s[54:55], v[2:3]
	s_mov_b64 s[2:3], -1
                                        ; implicit-def: $sgpr43
                                        ; implicit-def: $sgpr8
                                        ; implicit-def: $sgpr9
	s_cbranch_vccnz .LBB7_143
; %bb.138:                              ;   in Loop: Header=BB7_33 Depth=1
	ds_read_b64 v[2:3], v13 offset:5120
	s_waitcnt lgkmcnt(0)
	v_cmp_ne_u64_e32 vcc, 0, v[2:3]
	s_cbranch_vccnz .LBB7_142
; %bb.139:                              ;   in Loop: Header=BB7_33 Depth=1
	s_mov_b64 s[2:3], exec
	v_readlane_b32 s8, v48, 10
	v_readlane_b32 s9, v48, 11
	s_and_b64 s[8:9], s[2:3], s[8:9]
	s_mov_b64 exec, s[8:9]
	s_cbranch_execz .LBB7_141
; %bb.140:                              ;   in Loop: Header=BB7_33 Depth=1
	v_pk_mov_b32 v[2:3], s[0:1], s[0:1] op_sel:[0,1]
	ds_write_b64 v13, v[2:3] offset:5128
.LBB7_141:                              ;   in Loop: Header=BB7_33 Depth=1
	s_or_b64 exec, exec, s[2:3]
	s_waitcnt lgkmcnt(0)
	s_barrier
.LBB7_142:                              ;   in Loop: Header=BB7_33 Depth=1
	s_and_b32 s8, s82, s27
	s_or_b32 s9, s85, s42
	s_mov_b64 s[2:3], 0
	s_mov_b32 s43, 8
.LBB7_143:                              ;   in Loop: Header=BB7_33 Depth=1
	s_andn2_b64 vcc, exec, s[2:3]
	s_cbranch_vccnz .LBB7_145
; %bb.144:                              ;   in Loop: Header=BB7_33 Depth=1
	s_sub_u32 s54, s54, s0
	s_subb_u32 s55, s55, s1
	s_mov_b64 s[2:3], -1
	s_mov_b32 s43, 0
	s_mov_b32 s8, s82
	;; [unrolled: 1-line block ×3, first 2 shown]
.LBB7_145:                              ;   in Loop: Header=BB7_33 Depth=1
	s_mov_b32 s85, s9
	s_mov_b32 s82, s8
	s_mov_b64 s[12:13], -1
	s_and_b64 vcc, exec, s[2:3]
	s_cbranch_vccnz .LBB7_148
.LBB7_146:                              ;   in Loop: Header=BB7_33 Depth=1
	s_mov_b64 s[8:9], -1
                                        ; implicit-def: $sgpr16_sgpr17
                                        ; implicit-def: $sgpr20_sgpr21
                                        ; implicit-def: $sgpr18_sgpr19
	s_and_saveexec_b64 s[0:1], s[8:9]
	s_xor_b64 s[0:1], exec, s[0:1]
	s_cbranch_execz .LBB7_31
	s_branch .LBB7_288
.LBB7_147:                              ;   in Loop: Header=BB7_33 Depth=1
	s_mov_b64 s[54:55], 1
	s_mov_b64 s[12:13], -1
	s_branch .LBB7_146
.LBB7_148:                              ;   in Loop: Header=BB7_33 Depth=1
	s_cmp_eq_u64 s[24:25], 1
	s_cselect_b64 s[0:1], -1, 0
	s_cmp_eq_u64 s[54:55], 1
	s_cselect_b64 s[2:3], -1, 0
	s_and_b64 s[0:1], s[0:1], s[2:3]
	s_mov_b64 s[2:3], -1
	s_and_b64 vcc, exec, s[0:1]
	s_cbranch_vccz .LBB7_162
; %bb.149:                              ;   in Loop: Header=BB7_33 Depth=1
	ds_read_b64 v[2:3], v13 offset:5120
	s_waitcnt lgkmcnt(0)
	s_barrier
	v_readfirstlane_b32 s22, v2
	v_readfirstlane_b32 s23, v3
	s_mov_b64 s[2:3], exec
	v_readlane_b32 s8, v48, 12
	v_readlane_b32 s9, v48, 13
	s_and_b64 s[8:9], s[2:3], s[8:9]
	s_mov_b64 exec, s[8:9]
	s_cbranch_execz .LBB7_151
; %bb.150:                              ;   in Loop: Header=BB7_33 Depth=1
	ds_write_b8 v0, v13 offset:3072
.LBB7_151:                              ;   in Loop: Header=BB7_33 Depth=1
	s_or_b64 exec, exec, s[2:3]
	s_lshl_b32 s2, 1, s26
	s_and_b32 s3, s82, s27
	s_or_b32 s82, s3, s2
	v_cmp_gt_i64_e64 s[2:3], s[22:23], 0
	s_or_b32 s85, s85, s42
	s_and_b64 vcc, exec, s[2:3]
	s_waitcnt lgkmcnt(0)
	s_barrier
	s_cbranch_vccnz .LBB7_165
; %bb.152:                              ;   in Loop: Header=BB7_33 Depth=1
	s_mov_b32 s46, s75
	s_cmp_lg_u64 s[46:47], 0
	s_cbranch_scc0 .LBB7_208
; %bb.153:                              ;   in Loop: Header=BB7_33 Depth=1
	v_cvt_f32_u32_e32 v2, s33
	s_sub_u32 s2, 0, s33
	s_subb_u32 s3, 0, 0
	v_mac_f32_e32 v2, 0x4f800000, v42
	v_rcp_f32_e32 v2, v2
	v_mul_f32_e32 v2, 0x5f7ffffc, v2
	v_mul_f32_e32 v3, 0x2f800000, v2
	v_trunc_f32_e32 v3, v3
	v_mac_f32_e32 v2, 0xcf800000, v3
	v_cvt_u32_f32_e32 v3, v3
	v_cvt_u32_f32_e32 v2, v2
	v_readfirstlane_b32 s8, v3
	v_readfirstlane_b32 s9, v2
	s_mul_i32 s16, s2, s8
	s_mul_hi_u32 s18, s2, s9
	s_mul_i32 s17, s3, s9
	s_add_i32 s16, s18, s16
	s_mul_i32 s19, s2, s9
	s_add_i32 s16, s16, s17
	s_mul_hi_u32 s18, s9, s19
	s_mul_hi_u32 s17, s9, s16
	s_mul_i32 s9, s9, s16
	s_add_u32 s9, s18, s9
	s_addc_u32 s17, 0, s17
	s_mul_hi_u32 s20, s8, s19
	s_mul_i32 s19, s8, s19
	s_add_u32 s9, s9, s19
	s_mul_hi_u32 s18, s8, s16
	s_addc_u32 s9, s17, s20
	s_addc_u32 s17, s18, 0
	s_mul_i32 s16, s8, s16
	s_add_u32 s9, s9, s16
	s_addc_u32 s16, 0, s17
	v_add_co_u32_e32 v2, vcc, s9, v2
	s_cmp_lg_u64 vcc, 0
	s_addc_u32 s8, s8, s16
	v_readfirstlane_b32 s16, v2
	s_mul_i32 s9, s2, s8
	s_mul_hi_u32 s17, s2, s16
	s_add_i32 s9, s17, s9
	s_mul_i32 s3, s3, s16
	s_add_i32 s9, s9, s3
	s_mul_i32 s2, s2, s16
	s_mul_hi_u32 s17, s8, s2
	s_mul_i32 s18, s8, s2
	s_mul_i32 s20, s16, s9
	s_mul_hi_u32 s2, s16, s2
	s_mul_hi_u32 s19, s16, s9
	s_add_u32 s2, s2, s20
	s_addc_u32 s16, 0, s19
	s_add_u32 s2, s2, s18
	s_mul_hi_u32 s3, s8, s9
	s_addc_u32 s2, s16, s17
	s_addc_u32 s3, s3, 0
	s_mul_i32 s9, s8, s9
	s_add_u32 s2, s2, s9
	s_addc_u32 s3, 0, s3
	v_add_co_u32_e32 v2, vcc, s2, v2
	s_cmp_lg_u64 vcc, 0
	s_addc_u32 s16, s8, s3
	s_ashr_i32 s2, s47, 31
	s_add_u32 s8, s83, s2
	s_mov_b32 s3, s2
	s_addc_u32 s9, s47, s2
	s_xor_b64 s[8:9], s[8:9], s[2:3]
	v_readfirstlane_b32 s18, v2
	s_mul_i32 s17, s8, s16
	s_mul_hi_u32 s19, s8, s18
	s_mul_hi_u32 s3, s8, s16
	s_add_u32 s17, s19, s17
	s_addc_u32 s3, 0, s3
	s_mul_hi_u32 s20, s9, s18
	s_mul_i32 s18, s9, s18
	s_add_u32 s17, s17, s18
	s_mul_hi_u32 s19, s9, s16
	s_addc_u32 s3, s3, s20
	s_addc_u32 s17, s19, 0
	s_mul_i32 s16, s9, s16
	s_add_u32 s3, s3, s16
	s_addc_u32 s16, 0, s17
	s_mul_hi_u32 s17, s33, s3
	s_mul_i32 s3, s33, s3
	s_mul_i32 s16, s33, s16
	v_mov_b32_e32 v2, s3
	s_add_i32 s17, s17, s16
	v_sub_co_u32_e32 v2, vcc, s8, v2
	s_cmp_lg_u64 vcc, 0
	s_subb_u32 s3, s9, s17
	v_subrev_co_u32_e32 v3, vcc, s33, v2
	s_cmp_lg_u64 vcc, 0
	s_subb_u32 s8, s3, 0
	v_subrev_co_u32_e32 v4, vcc, s33, v3
	s_cmp_lg_u64 vcc, 0
	s_subb_u32 s9, s8, 0
	v_cmp_le_u32_e32 vcc, s33, v3
	s_cmp_eq_u32 s8, 0
	v_cndmask_b32_e64 v5, 0, -1, vcc
	s_cselect_b64 vcc, -1, 0
	v_cndmask_b32_e32 v5, -1, v5, vcc
	v_mov_b32_e32 v6, s8
	v_mov_b32_e32 v7, s9
	v_cmp_ne_u32_e32 vcc, 0, v5
	v_cndmask_b32_e32 v5, v6, v7, vcc
	v_cndmask_b32_e32 v3, v3, v4, vcc
	v_cmp_le_u32_e32 vcc, s33, v2
	s_cmp_eq_u32 s3, 0
	v_cndmask_b32_e64 v4, 0, -1, vcc
	s_cselect_b64 vcc, -1, 0
	v_cndmask_b32_e32 v4, -1, v4, vcc
	v_cmp_ne_u32_e32 vcc, 0, v4
	v_mov_b32_e32 v6, s3
	v_cndmask_b32_e32 v2, v2, v3, vcc
	v_cndmask_b32_e32 v4, v6, v5, vcc
	v_xor_b32_e32 v2, s2, v2
	v_xor_b32_e32 v3, s2, v4
	v_mov_b32_e32 v4, s2
	v_subrev_co_u32_e32 v2, vcc, s2, v2
	v_subb_co_u32_e32 v3, vcc, v3, v4, vcc
	s_cbranch_execnz .LBB7_155
.LBB7_154:                              ;   in Loop: Header=BB7_33 Depth=1
	v_cvt_f32_u32_e32 v2, s33
	s_sub_i32 s2, 0, s33
	v_rcp_iflag_f32_e32 v2, v2
	v_mul_f32_e32 v2, 0x4f7ffffe, v2
	v_cvt_u32_f32_e32 v2, v2
	v_mul_lo_u32 v3, s2, v2
	v_mul_hi_u32 v3, v2, v3
	v_add_u32_e32 v2, v2, v3
	v_mul_hi_u32 v2, s83, v2
	v_mul_lo_u32 v2, v2, s33
	v_sub_u32_e32 v2, s83, v2
	v_subrev_u32_e32 v3, s33, v2
	v_cmp_le_u32_e32 vcc, s33, v2
	v_cndmask_b32_e32 v2, v2, v3, vcc
	v_subrev_u32_e32 v3, s33, v2
	v_cmp_le_u32_e32 vcc, s33, v2
	v_cndmask_b32_e32 v12, v2, v3, vcc
	v_pk_mov_b32 v[2:3], v[12:13], v[12:13] op_sel:[0,1]
.LBB7_155:                              ;   in Loop: Header=BB7_33 Depth=1
	v_mov_b32_e32 v4, s47
	v_sub_co_u32_e32 v2, vcc, s83, v2
	v_subb_co_u32_e32 v3, vcc, v4, v3, vcc
	v_cmp_gt_i64_e32 vcc, v[2:3], v[0:1]
	s_mov_b64 s[2:3], 0
                                        ; implicit-def: $vgpr43
	s_and_saveexec_b64 s[8:9], vcc
	s_cbranch_execz .LBB7_167
; %bb.156:                              ;   in Loop: Header=BB7_33 Depth=1
	v_pk_mov_b32 v[4:5], v[10:11], v[10:11] op_sel:[0,1]
	v_pk_mov_b32 v[6:7], v[0:1], v[0:1] op_sel:[0,1]
                                        ; implicit-def: $sgpr16_sgpr17
	s_branch .LBB7_158
.LBB7_157:                              ;   in Loop: Header=BB7_158 Depth=2
	s_or_b64 exec, exec, s[18:19]
	s_waitcnt lgkmcnt(0)
	s_barrier
	ds_read_u16 v8, v13 offset:3072
	v_mov_b32_e32 v9, s92
	v_add_co_u32_e32 v6, vcc, s33, v6
	v_addc_co_u32_e32 v7, vcc, v7, v9, vcc
	s_waitcnt lgkmcnt(0)
	v_cmp_ne_u16_sdwa s[18:19], v8, v13 src0_sel:BYTE_0 src1_sel:DWORD
	v_cmp_ge_i64_e32 vcc, v[6:7], v[2:3]
	s_or_b64 s[20:21], s[18:19], vcc
	s_and_b64 s[20:21], exec, s[20:21]
	s_or_b64 s[2:3], s[20:21], s[2:3]
	v_mov_b32_e32 v9, s93
	v_add_co_u32_e32 v4, vcc, s60, v4
	s_andn2_b64 s[16:17], s[16:17], exec
	s_and_b64 s[18:19], s[18:19], exec
	v_addc_co_u32_e32 v5, vcc, v5, v9, vcc
	s_or_b64 s[16:17], s[16:17], s[18:19]
	s_barrier
	s_andn2_b64 exec, exec, s[2:3]
	s_cbranch_execz .LBB7_166
.LBB7_158:                              ;   Parent Loop BB7_33 Depth=1
                                        ; =>  This Inner Loop Header: Depth=2
	v_cmp_gt_i64_e32 vcc, s[52:53], v[6:7]
	v_mov_b32_e32 v8, 0
	s_and_saveexec_b64 s[18:19], vcc
	s_cbranch_execz .LBB7_160
; %bb.159:                              ;   in Loop: Header=BB7_158 Depth=2
	global_load_ubyte v8, v[4:5], off
.LBB7_160:                              ;   in Loop: Header=BB7_158 Depth=2
	s_or_b64 exec, exec, s[18:19]
	s_waitcnt vmcnt(0)
	v_and_b32_e32 v9, s85, v8
	v_cmp_eq_u32_sdwa s[18:19], v9, s82 src0_sel:BYTE_0 src1_sel:DWORD
	s_and_b64 s[20:21], vcc, s[18:19]
	s_and_saveexec_b64 s[18:19], s[20:21]
	s_cbranch_execz .LBB7_157
; %bb.161:                              ;   in Loop: Header=BB7_158 Depth=2
	v_lshlrev_b16_e32 v8, 8, v8
	v_or_b32_e32 v8, 1, v8
	ds_write_b16 v13, v8 offset:3072
	s_branch .LBB7_157
.LBB7_162:                              ;   in Loop: Header=BB7_33 Depth=1
                                        ; implicit-def: $sgpr18_sgpr19
                                        ; implicit-def: $sgpr20_sgpr21
                                        ; implicit-def: $sgpr16_sgpr17
	s_branch .LBB7_180
.LBB7_163:                              ;   in Loop: Header=BB7_33 Depth=1
                                        ; implicit-def: $vgpr2_vgpr3
	s_branch .LBB7_111
.LBB7_164:                              ;   in Loop: Header=BB7_33 Depth=1
                                        ; implicit-def: $vgpr2_vgpr3
	s_branch .LBB7_125
.LBB7_165:                              ;   in Loop: Header=BB7_33 Depth=1
	s_mov_b64 s[18:19], -1
	s_mov_b64 s[2:3], 0
                                        ; implicit-def: $sgpr16_sgpr17
                                        ; implicit-def: $vgpr43
	s_mov_b64 s[20:21], s[18:19]
	s_cbranch_execnz .LBB7_168
	s_branch .LBB7_180
.LBB7_166:                              ;   in Loop: Header=BB7_33 Depth=1
	s_or_b64 exec, exec, s[2:3]
	v_lshrrev_b16_e32 v43, 8, v8
	s_and_b64 s[2:3], s[16:17], exec
.LBB7_167:                              ;   in Loop: Header=BB7_33 Depth=1
	s_or_b64 exec, exec, s[8:9]
	s_mov_b64 s[16:17], -1
	s_mov_b64 s[18:19], 0
	s_mov_b64 s[20:21], s[18:19]
	s_branch .LBB7_180
.LBB7_168:                              ;   in Loop: Header=BB7_33 Depth=1
	v_readlane_b32 s2, v48, 22
	s_add_u32 s16, s2, s22
	v_readlane_b32 s2, v48, 23
	s_addc_u32 s3, s2, s23
	s_mov_b32 s2, s75
	s_cmp_lg_u64 s[2:3], 0
	s_cbranch_scc0 .LBB7_209
; %bb.169:                              ;   in Loop: Header=BB7_33 Depth=1
	v_cvt_f32_u32_e32 v2, s33
	s_sub_u32 s2, 0, s33
	s_subb_u32 s8, 0, 0
	v_mac_f32_e32 v2, 0x4f800000, v42
	v_rcp_f32_e32 v2, v2
	v_mul_f32_e32 v2, 0x5f7ffffc, v2
	v_mul_f32_e32 v3, 0x2f800000, v2
	v_trunc_f32_e32 v3, v3
	v_mac_f32_e32 v2, 0xcf800000, v3
	v_cvt_u32_f32_e32 v3, v3
	v_cvt_u32_f32_e32 v2, v2
	v_readfirstlane_b32 s9, v3
	v_readfirstlane_b32 s17, v2
	s_mul_i32 s18, s2, s9
	s_mul_hi_u32 s20, s2, s17
	s_mul_i32 s19, s8, s17
	s_add_i32 s18, s20, s18
	s_mul_i32 s21, s2, s17
	s_add_i32 s18, s18, s19
	s_mul_hi_u32 s20, s17, s21
	s_mul_hi_u32 s19, s17, s18
	s_mul_i32 s17, s17, s18
	s_add_u32 s17, s20, s17
	s_addc_u32 s19, 0, s19
	s_mul_hi_u32 s28, s9, s21
	s_mul_i32 s21, s9, s21
	s_add_u32 s17, s17, s21
	s_mul_hi_u32 s20, s9, s18
	s_addc_u32 s17, s19, s28
	s_addc_u32 s19, s20, 0
	s_mul_i32 s18, s9, s18
	s_add_u32 s17, s17, s18
	s_addc_u32 s18, 0, s19
	v_add_co_u32_e32 v2, vcc, s17, v2
	s_cmp_lg_u64 vcc, 0
	s_addc_u32 s9, s9, s18
	v_readfirstlane_b32 s18, v2
	s_mul_i32 s17, s2, s9
	s_mul_hi_u32 s19, s2, s18
	s_add_i32 s17, s19, s17
	s_mul_i32 s8, s8, s18
	s_add_i32 s17, s17, s8
	s_mul_i32 s2, s2, s18
	s_mul_hi_u32 s19, s9, s2
	s_mul_i32 s20, s9, s2
	s_mul_i32 s28, s18, s17
	s_mul_hi_u32 s2, s18, s2
	s_mul_hi_u32 s21, s18, s17
	s_add_u32 s2, s2, s28
	s_addc_u32 s18, 0, s21
	s_add_u32 s2, s2, s20
	s_mul_hi_u32 s8, s9, s17
	s_addc_u32 s2, s18, s19
	s_addc_u32 s8, s8, 0
	s_mul_i32 s17, s9, s17
	s_add_u32 s2, s2, s17
	s_addc_u32 s8, 0, s8
	v_add_co_u32_e32 v2, vcc, s2, v2
	s_cmp_lg_u64 vcc, 0
	s_addc_u32 s2, s9, s8
	s_ashr_i32 s8, s3, 31
	s_add_u32 s18, s16, s8
	s_mov_b32 s9, s8
	s_addc_u32 s19, s3, s8
	s_xor_b64 s[18:19], s[18:19], s[8:9]
	v_readfirstlane_b32 s20, v2
	s_mul_i32 s17, s18, s2
	s_mul_hi_u32 s21, s18, s20
	s_mul_hi_u32 s9, s18, s2
	s_add_u32 s17, s21, s17
	s_addc_u32 s9, 0, s9
	s_mul_hi_u32 s28, s19, s20
	s_mul_i32 s20, s19, s20
	s_add_u32 s17, s17, s20
	s_mul_hi_u32 s21, s19, s2
	s_addc_u32 s9, s9, s28
	s_addc_u32 s17, s21, 0
	s_mul_i32 s2, s19, s2
	s_add_u32 s2, s9, s2
	s_addc_u32 s9, 0, s17
	s_mul_hi_u32 s17, s33, s2
	s_mul_i32 s2, s33, s2
	s_mul_i32 s9, s33, s9
	v_mov_b32_e32 v2, s2
	s_add_i32 s17, s17, s9
	v_sub_co_u32_e32 v2, vcc, s18, v2
	s_cmp_lg_u64 vcc, 0
	s_subb_u32 s2, s19, s17
	v_subrev_co_u32_e32 v3, vcc, s33, v2
	s_cmp_lg_u64 vcc, 0
	s_subb_u32 s9, s2, 0
	v_subrev_co_u32_e32 v4, vcc, s33, v3
	s_cmp_lg_u64 vcc, 0
	s_subb_u32 s17, s9, 0
	v_cmp_le_u32_e32 vcc, s33, v3
	s_cmp_eq_u32 s9, 0
	v_cndmask_b32_e64 v5, 0, -1, vcc
	s_cselect_b64 vcc, -1, 0
	v_cndmask_b32_e32 v5, -1, v5, vcc
	v_mov_b32_e32 v6, s9
	v_mov_b32_e32 v7, s17
	v_cmp_ne_u32_e32 vcc, 0, v5
	v_cndmask_b32_e32 v5, v6, v7, vcc
	v_cndmask_b32_e32 v3, v3, v4, vcc
	v_cmp_le_u32_e32 vcc, s33, v2
	s_cmp_eq_u32 s2, 0
	v_cndmask_b32_e64 v4, 0, -1, vcc
	s_cselect_b64 vcc, -1, 0
	v_cndmask_b32_e32 v4, -1, v4, vcc
	v_cmp_ne_u32_e32 vcc, 0, v4
	v_mov_b32_e32 v6, s2
	v_cndmask_b32_e32 v2, v2, v3, vcc
	v_cndmask_b32_e32 v4, v6, v5, vcc
	v_xor_b32_e32 v2, s8, v2
	v_xor_b32_e32 v3, s8, v4
	v_mov_b32_e32 v4, s8
	v_subrev_co_u32_e32 v2, vcc, s8, v2
	v_subb_co_u32_e32 v3, vcc, v3, v4, vcc
	s_cbranch_execnz .LBB7_171
.LBB7_170:                              ;   in Loop: Header=BB7_33 Depth=1
	v_cvt_f32_u32_e32 v2, s33
	s_sub_i32 s2, 0, s33
	v_rcp_iflag_f32_e32 v2, v2
	v_mul_f32_e32 v2, 0x4f7ffffe, v2
	v_cvt_u32_f32_e32 v2, v2
	v_mul_lo_u32 v3, s2, v2
	v_mul_hi_u32 v3, v2, v3
	v_add_u32_e32 v2, v2, v3
	v_mul_hi_u32 v2, s16, v2
	v_mul_lo_u32 v2, v2, s33
	v_sub_u32_e32 v2, s16, v2
	v_subrev_u32_e32 v3, s33, v2
	v_cmp_le_u32_e32 vcc, s33, v2
	v_cndmask_b32_e32 v2, v2, v3, vcc
	v_subrev_u32_e32 v3, s33, v2
	v_cmp_le_u32_e32 vcc, s33, v2
	v_cndmask_b32_e32 v12, v2, v3, vcc
	v_pk_mov_b32 v[2:3], v[12:13], v[12:13] op_sel:[0,1]
.LBB7_171:                              ;   in Loop: Header=BB7_33 Depth=1
	v_mov_b32_e32 v4, s3
	v_sub_co_u32_e32 v2, vcc, s16, v2
	v_subb_co_u32_e32 v3, vcc, v4, v3, vcc
	v_cmp_gt_i64_e32 vcc, v[2:3], v[0:1]
	s_mov_b64 s[2:3], 0
                                        ; implicit-def: $vgpr43
	s_and_saveexec_b64 s[8:9], vcc
	s_cbranch_execz .LBB7_179
; %bb.172:                              ;   in Loop: Header=BB7_33 Depth=1
	v_mov_b32_e32 v6, v0
	v_pk_mov_b32 v[4:5], v[0:1], v[0:1] op_sel:[0,1]
                                        ; implicit-def: $sgpr16_sgpr17
	s_branch .LBB7_174
.LBB7_173:                              ;   in Loop: Header=BB7_174 Depth=2
	s_or_b64 exec, exec, s[18:19]
	s_waitcnt lgkmcnt(0)
	s_barrier
	ds_read_u16 v7, v13 offset:3072
	v_mov_b32_e32 v8, s92
	v_add_co_u32_e32 v4, vcc, s33, v4
	v_addc_co_u32_e32 v5, vcc, v5, v8, vcc
	s_waitcnt lgkmcnt(0)
	v_cmp_ne_u16_sdwa s[18:19], v7, v13 src0_sel:BYTE_0 src1_sel:DWORD
	v_cmp_ge_i64_e32 vcc, v[4:5], v[2:3]
	s_or_b64 s[20:21], s[18:19], vcc
	s_and_b64 s[20:21], exec, s[20:21]
	s_or_b64 s[2:3], s[20:21], s[2:3]
	s_andn2_b64 s[16:17], s[16:17], exec
	s_and_b64 s[18:19], s[18:19], exec
	v_add_u32_e32 v6, s33, v6
	s_or_b64 s[16:17], s[16:17], s[18:19]
	s_barrier
	s_andn2_b64 exec, exec, s[2:3]
	s_cbranch_execz .LBB7_178
.LBB7_174:                              ;   Parent Loop BB7_33 Depth=1
                                        ; =>  This Inner Loop Header: Depth=2
	v_cmp_gt_i64_e32 vcc, s[22:23], v[4:5]
	v_mov_b32_e32 v7, 0
	s_and_saveexec_b64 s[18:19], vcc
	s_cbranch_execz .LBB7_176
; %bb.175:                              ;   in Loop: Header=BB7_174 Depth=2
	ds_read_u8 v7, v6
.LBB7_176:                              ;   in Loop: Header=BB7_174 Depth=2
	s_or_b64 exec, exec, s[18:19]
	s_waitcnt lgkmcnt(0)
	v_and_b32_e32 v8, s85, v7
	v_cmp_eq_u32_sdwa s[18:19], v8, s82 src0_sel:BYTE_0 src1_sel:DWORD
	s_and_b64 s[20:21], vcc, s[18:19]
	s_and_saveexec_b64 s[18:19], s[20:21]
	s_cbranch_execz .LBB7_173
; %bb.177:                              ;   in Loop: Header=BB7_174 Depth=2
	v_lshlrev_b16_e32 v7, 8, v7
	v_or_b32_e32 v7, 1, v7
	ds_write_b16 v13, v7 offset:3072
	s_branch .LBB7_173
.LBB7_178:                              ;   in Loop: Header=BB7_33 Depth=1
	s_or_b64 exec, exec, s[2:3]
	v_lshrrev_b16_e32 v43, 8, v7
	s_and_b64 s[2:3], s[16:17], exec
.LBB7_179:                              ;   in Loop: Header=BB7_33 Depth=1
	s_or_b64 exec, exec, s[8:9]
	s_mov_b64 s[20:21], -1
	s_mov_b64 s[18:19], 0
	s_mov_b64 s[16:17], 0
.LBB7_180:                              ;   in Loop: Header=BB7_33 Depth=1
	s_mov_b64 s[8:9], 0
                                        ; implicit-def: $sgpr43
	s_and_saveexec_b64 s[22:23], s[2:3]
	s_cbranch_execz .LBB7_287
; %bb.181:                              ;   in Loop: Header=BB7_33 Depth=1
	s_xor_b64 s[0:1], s[0:1], -1
	s_andn2_b64 vcc, exec, s[0:1]
	s_mov_b32 s43, 1
	s_cbranch_vccnz .LBB7_192
; %bb.182:                              ;   in Loop: Header=BB7_33 Depth=1
	v_pk_mov_b32 v[2:3], s[24:25], s[24:25] op_sel:[0,1]
	v_cmp_gt_i64_e32 vcc, s[54:55], v[2:3]
	s_mov_b64 s[0:1], -1
                                        ; implicit-def: $sgpr43
                                        ; implicit-def: $sgpr2
                                        ; implicit-def: $sgpr3
	s_cbranch_vccnz .LBB7_188
; %bb.183:                              ;   in Loop: Header=BB7_33 Depth=1
	ds_read_b64 v[2:3], v13 offset:5120
	s_waitcnt lgkmcnt(0)
	v_cmp_ne_u64_e32 vcc, 0, v[2:3]
	s_cbranch_vccnz .LBB7_187
; %bb.184:                              ;   in Loop: Header=BB7_33 Depth=1
	s_mov_b64 s[0:1], exec
	v_readlane_b32 s2, v48, 10
	v_readlane_b32 s3, v48, 11
	s_and_b64 s[2:3], s[0:1], s[2:3]
	s_mov_b64 exec, s[2:3]
	s_cbranch_execz .LBB7_186
; %bb.185:                              ;   in Loop: Header=BB7_33 Depth=1
	v_pk_mov_b32 v[2:3], s[24:25], s[24:25] op_sel:[0,1]
	ds_write_b64 v13, v[2:3] offset:5128
.LBB7_186:                              ;   in Loop: Header=BB7_33 Depth=1
	s_or_b64 exec, exec, s[0:1]
	s_waitcnt lgkmcnt(0)
	s_barrier
.LBB7_187:                              ;   in Loop: Header=BB7_33 Depth=1
	s_lshl_b32 s0, 1, s26
	s_and_b32 s1, s82, s27
	s_or_b32 s2, s1, s0
	s_or_b32 s3, s85, s42
	s_mov_b64 s[0:1], 0
	s_mov_b32 s43, 8
.LBB7_188:                              ;   in Loop: Header=BB7_33 Depth=1
	s_andn2_b64 vcc, exec, s[0:1]
	s_cbranch_vccnz .LBB7_190
; %bb.189:                              ;   in Loop: Header=BB7_33 Depth=1
	s_sub_u32 s54, s54, s24
	s_subb_u32 s55, s55, s25
	s_mov_b64 s[0:1], -1
	s_mov_b32 s43, 0
	s_mov_b32 s2, s82
	;; [unrolled: 1-line block ×3, first 2 shown]
.LBB7_190:                              ;   in Loop: Header=BB7_33 Depth=1
	s_mov_b32 s85, s3
	s_mov_b32 s82, s2
	s_andn2_b64 vcc, exec, s[0:1]
	s_mov_b64 s[8:9], -1
	s_cbranch_vccz .LBB7_193
.LBB7_191:                              ;   in Loop: Header=BB7_33 Depth=1
                                        ; implicit-def: $sgpr24_sgpr25
                                        ; implicit-def: $sgpr28_sgpr29
                                        ; implicit-def: $sgpr0_sgpr1
	s_branch .LBB7_286
.LBB7_192:                              ;   in Loop: Header=BB7_33 Depth=1
	s_mov_b64 s[54:55], 1
	s_mov_b64 s[8:9], -1
	s_cbranch_execnz .LBB7_191
.LBB7_193:                              ;   in Loop: Header=BB7_33 Depth=1
	s_cmp_eq_u64 s[14:15], 1
	s_cselect_b64 s[0:1], -1, 0
	s_cmp_eq_u64 s[54:55], 1
	s_cselect_b64 s[2:3], -1, 0
	s_and_b64 s[34:35], s[0:1], s[2:3]
	s_mov_b64 s[2:3], -1
	s_and_b64 vcc, exec, s[34:35]
	s_cbranch_vccz .LBB7_207
; %bb.194:                              ;   in Loop: Header=BB7_33 Depth=1
	ds_read_b64 v[2:3], v13 offset:5120
	s_waitcnt lgkmcnt(0)
	s_barrier
	v_readfirstlane_b32 s30, v2
	v_readfirstlane_b32 s31, v3
	s_mov_b64 s[0:1], exec
	v_readlane_b32 s2, v48, 12
	v_readlane_b32 s3, v48, 13
	s_and_b64 s[2:3], s[0:1], s[2:3]
	s_mov_b64 exec, s[2:3]
	s_cbranch_execz .LBB7_196
; %bb.195:                              ;   in Loop: Header=BB7_33 Depth=1
	ds_write_b8 v0, v13 offset:3072
.LBB7_196:                              ;   in Loop: Header=BB7_33 Depth=1
	s_or_b64 exec, exec, s[0:1]
	s_lshl_b32 s0, 2, s26
	s_and_b32 s1, s82, s27
	s_or_b32 s82, s1, s0
	v_cmp_gt_i64_e64 s[0:1], s[30:31], 0
	s_or_b32 s85, s85, s42
	s_and_b64 vcc, exec, s[0:1]
	s_waitcnt lgkmcnt(0)
	s_barrier
	s_cbranch_vccnz .LBB7_210
; %bb.197:                              ;   in Loop: Header=BB7_33 Depth=1
	s_mov_b32 s46, s75
	s_cmp_lg_u64 s[46:47], 0
	s_cbranch_scc0 .LBB7_253
; %bb.198:                              ;   in Loop: Header=BB7_33 Depth=1
	v_cvt_f32_u32_e32 v2, s33
	s_sub_u32 s0, 0, s33
	s_subb_u32 s1, 0, 0
	v_mac_f32_e32 v2, 0x4f800000, v42
	v_rcp_f32_e32 v2, v2
	v_mul_f32_e32 v2, 0x5f7ffffc, v2
	v_mul_f32_e32 v3, 0x2f800000, v2
	v_trunc_f32_e32 v3, v3
	v_mac_f32_e32 v2, 0xcf800000, v3
	v_cvt_u32_f32_e32 v3, v3
	v_cvt_u32_f32_e32 v2, v2
	v_readfirstlane_b32 s2, v3
	v_readfirstlane_b32 s3, v2
	s_mul_i32 s8, s0, s2
	s_mul_hi_u32 s24, s0, s3
	s_mul_i32 s9, s1, s3
	s_add_i32 s8, s24, s8
	s_mul_i32 s25, s0, s3
	s_add_i32 s8, s8, s9
	s_mul_hi_u32 s24, s3, s25
	s_mul_hi_u32 s9, s3, s8
	s_mul_i32 s3, s3, s8
	s_add_u32 s3, s24, s3
	s_addc_u32 s9, 0, s9
	s_mul_hi_u32 s28, s2, s25
	s_mul_i32 s25, s2, s25
	s_add_u32 s3, s3, s25
	s_mul_hi_u32 s24, s2, s8
	s_addc_u32 s3, s9, s28
	s_addc_u32 s9, s24, 0
	s_mul_i32 s8, s2, s8
	s_add_u32 s3, s3, s8
	s_addc_u32 s8, 0, s9
	v_add_co_u32_e32 v2, vcc, s3, v2
	s_cmp_lg_u64 vcc, 0
	s_addc_u32 s2, s2, s8
	v_readfirstlane_b32 s8, v2
	s_mul_i32 s3, s0, s2
	s_mul_hi_u32 s9, s0, s8
	s_add_i32 s3, s9, s3
	s_mul_i32 s1, s1, s8
	s_add_i32 s3, s3, s1
	s_mul_i32 s0, s0, s8
	s_mul_hi_u32 s9, s2, s0
	s_mul_i32 s24, s2, s0
	s_mul_i32 s28, s8, s3
	s_mul_hi_u32 s0, s8, s0
	s_mul_hi_u32 s25, s8, s3
	s_add_u32 s0, s0, s28
	s_addc_u32 s8, 0, s25
	s_add_u32 s0, s0, s24
	s_mul_hi_u32 s1, s2, s3
	s_addc_u32 s0, s8, s9
	s_addc_u32 s1, s1, 0
	s_mul_i32 s3, s2, s3
	s_add_u32 s0, s0, s3
	s_addc_u32 s1, 0, s1
	v_add_co_u32_e32 v2, vcc, s0, v2
	s_cmp_lg_u64 vcc, 0
	s_addc_u32 s8, s2, s1
	s_ashr_i32 s0, s47, 31
	s_add_u32 s2, s83, s0
	s_mov_b32 s1, s0
	s_addc_u32 s3, s47, s0
	s_xor_b64 s[2:3], s[2:3], s[0:1]
	v_readfirstlane_b32 s24, v2
	s_mul_i32 s9, s2, s8
	s_mul_hi_u32 s25, s2, s24
	s_mul_hi_u32 s1, s2, s8
	s_add_u32 s9, s25, s9
	s_addc_u32 s1, 0, s1
	s_mul_hi_u32 s28, s3, s24
	s_mul_i32 s24, s3, s24
	s_add_u32 s9, s9, s24
	s_mul_hi_u32 s25, s3, s8
	s_addc_u32 s1, s1, s28
	s_addc_u32 s9, s25, 0
	s_mul_i32 s8, s3, s8
	s_add_u32 s1, s1, s8
	s_addc_u32 s8, 0, s9
	s_mul_hi_u32 s9, s33, s1
	s_mul_i32 s1, s33, s1
	s_mul_i32 s8, s33, s8
	v_mov_b32_e32 v2, s1
	s_add_i32 s9, s9, s8
	v_sub_co_u32_e32 v2, vcc, s2, v2
	s_cmp_lg_u64 vcc, 0
	s_subb_u32 s1, s3, s9
	v_subrev_co_u32_e32 v3, vcc, s33, v2
	s_cmp_lg_u64 vcc, 0
	s_subb_u32 s2, s1, 0
	v_subrev_co_u32_e32 v4, vcc, s33, v3
	s_cmp_lg_u64 vcc, 0
	s_subb_u32 s3, s2, 0
	v_cmp_le_u32_e32 vcc, s33, v3
	s_cmp_eq_u32 s2, 0
	v_cndmask_b32_e64 v5, 0, -1, vcc
	s_cselect_b64 vcc, -1, 0
	v_cndmask_b32_e32 v5, -1, v5, vcc
	v_mov_b32_e32 v6, s2
	v_mov_b32_e32 v7, s3
	v_cmp_ne_u32_e32 vcc, 0, v5
	v_cndmask_b32_e32 v5, v6, v7, vcc
	v_cndmask_b32_e32 v3, v3, v4, vcc
	v_cmp_le_u32_e32 vcc, s33, v2
	s_cmp_eq_u32 s1, 0
	v_cndmask_b32_e64 v4, 0, -1, vcc
	s_cselect_b64 vcc, -1, 0
	v_cndmask_b32_e32 v4, -1, v4, vcc
	v_cmp_ne_u32_e32 vcc, 0, v4
	v_mov_b32_e32 v6, s1
	v_cndmask_b32_e32 v2, v2, v3, vcc
	v_cndmask_b32_e32 v4, v6, v5, vcc
	v_xor_b32_e32 v2, s0, v2
	v_xor_b32_e32 v3, s0, v4
	v_mov_b32_e32 v4, s0
	v_subrev_co_u32_e32 v2, vcc, s0, v2
	v_subb_co_u32_e32 v3, vcc, v3, v4, vcc
	s_cbranch_execnz .LBB7_200
.LBB7_199:                              ;   in Loop: Header=BB7_33 Depth=1
	v_cvt_f32_u32_e32 v2, s33
	s_sub_i32 s0, 0, s33
	v_rcp_iflag_f32_e32 v2, v2
	v_mul_f32_e32 v2, 0x4f7ffffe, v2
	v_cvt_u32_f32_e32 v2, v2
	v_mul_lo_u32 v3, s0, v2
	v_mul_hi_u32 v3, v2, v3
	v_add_u32_e32 v2, v2, v3
	v_mul_hi_u32 v2, s83, v2
	v_mul_lo_u32 v2, v2, s33
	v_sub_u32_e32 v2, s83, v2
	v_subrev_u32_e32 v3, s33, v2
	v_cmp_le_u32_e32 vcc, s33, v2
	v_cndmask_b32_e32 v2, v2, v3, vcc
	v_subrev_u32_e32 v3, s33, v2
	v_cmp_le_u32_e32 vcc, s33, v2
	v_cndmask_b32_e32 v12, v2, v3, vcc
	v_pk_mov_b32 v[2:3], v[12:13], v[12:13] op_sel:[0,1]
.LBB7_200:                              ;   in Loop: Header=BB7_33 Depth=1
	v_mov_b32_e32 v4, s47
	v_sub_co_u32_e32 v2, vcc, s83, v2
	v_subb_co_u32_e32 v3, vcc, v4, v3, vcc
	v_cmp_gt_i64_e32 vcc, v[2:3], v[0:1]
	s_mov_b64 s[2:3], 0
                                        ; implicit-def: $vgpr43
	s_and_saveexec_b64 s[0:1], vcc
	s_cbranch_execz .LBB7_212
; %bb.201:                              ;   in Loop: Header=BB7_33 Depth=1
	v_pk_mov_b32 v[4:5], v[10:11], v[10:11] op_sel:[0,1]
	v_pk_mov_b32 v[6:7], v[0:1], v[0:1] op_sel:[0,1]
                                        ; implicit-def: $sgpr8_sgpr9
	s_branch .LBB7_203
.LBB7_202:                              ;   in Loop: Header=BB7_203 Depth=2
	s_or_b64 exec, exec, s[24:25]
	s_waitcnt lgkmcnt(0)
	s_barrier
	ds_read_u16 v8, v13 offset:3072
	v_mov_b32_e32 v9, s92
	v_add_co_u32_e32 v6, vcc, s33, v6
	v_addc_co_u32_e32 v7, vcc, v7, v9, vcc
	s_waitcnt lgkmcnt(0)
	v_cmp_ne_u16_sdwa s[24:25], v8, v13 src0_sel:BYTE_0 src1_sel:DWORD
	v_cmp_ge_i64_e32 vcc, v[6:7], v[2:3]
	s_or_b64 s[28:29], s[24:25], vcc
	s_and_b64 s[28:29], exec, s[28:29]
	s_or_b64 s[2:3], s[28:29], s[2:3]
	v_mov_b32_e32 v9, s93
	v_add_co_u32_e32 v4, vcc, s60, v4
	s_andn2_b64 s[8:9], s[8:9], exec
	s_and_b64 s[24:25], s[24:25], exec
	v_addc_co_u32_e32 v5, vcc, v5, v9, vcc
	s_or_b64 s[8:9], s[8:9], s[24:25]
	s_barrier
	s_andn2_b64 exec, exec, s[2:3]
	s_cbranch_execz .LBB7_211
.LBB7_203:                              ;   Parent Loop BB7_33 Depth=1
                                        ; =>  This Inner Loop Header: Depth=2
	v_cmp_gt_i64_e32 vcc, s[52:53], v[6:7]
	v_mov_b32_e32 v8, 0
	s_and_saveexec_b64 s[24:25], vcc
	s_cbranch_execz .LBB7_205
; %bb.204:                              ;   in Loop: Header=BB7_203 Depth=2
	global_load_ubyte v8, v[4:5], off
.LBB7_205:                              ;   in Loop: Header=BB7_203 Depth=2
	s_or_b64 exec, exec, s[24:25]
	s_waitcnt vmcnt(0)
	v_and_b32_e32 v9, s85, v8
	v_cmp_eq_u32_sdwa s[24:25], v9, s82 src0_sel:BYTE_0 src1_sel:DWORD
	s_and_b64 s[28:29], vcc, s[24:25]
	s_and_saveexec_b64 s[24:25], s[28:29]
	s_cbranch_execz .LBB7_202
; %bb.206:                              ;   in Loop: Header=BB7_203 Depth=2
	v_lshlrev_b16_e32 v8, 8, v8
	v_or_b32_e32 v8, 1, v8
	ds_write_b16 v13, v8 offset:3072
	s_branch .LBB7_202
.LBB7_207:                              ;   in Loop: Header=BB7_33 Depth=1
                                        ; implicit-def: $sgpr0_sgpr1
                                        ; implicit-def: $sgpr28_sgpr29
                                        ; implicit-def: $sgpr24_sgpr25
	s_branch .LBB7_225
.LBB7_208:                              ;   in Loop: Header=BB7_33 Depth=1
                                        ; implicit-def: $vgpr2_vgpr3
	s_branch .LBB7_154
.LBB7_209:                              ;   in Loop: Header=BB7_33 Depth=1
                                        ; implicit-def: $vgpr2_vgpr3
	s_branch .LBB7_170
.LBB7_210:                              ;   in Loop: Header=BB7_33 Depth=1
	s_mov_b64 s[0:1], -1
	s_mov_b64 s[2:3], 0
                                        ; implicit-def: $sgpr24_sgpr25
                                        ; implicit-def: $vgpr43
	s_mov_b64 s[28:29], s[0:1]
	s_cbranch_execnz .LBB7_213
	s_branch .LBB7_225
.LBB7_211:                              ;   in Loop: Header=BB7_33 Depth=1
	s_or_b64 exec, exec, s[2:3]
	v_lshrrev_b16_e32 v43, 8, v8
	s_and_b64 s[2:3], s[8:9], exec
.LBB7_212:                              ;   in Loop: Header=BB7_33 Depth=1
	s_or_b64 exec, exec, s[0:1]
	s_mov_b64 s[24:25], -1
	s_mov_b64 s[0:1], 0
	s_mov_b64 s[28:29], s[0:1]
	s_branch .LBB7_225
.LBB7_213:                              ;   in Loop: Header=BB7_33 Depth=1
	v_readlane_b32 s0, v48, 22
	s_add_u32 s8, s0, s30
	v_readlane_b32 s0, v48, 23
	s_addc_u32 s1, s0, s31
	s_mov_b32 s0, s75
	s_cmp_lg_u64 s[0:1], 0
	s_cbranch_scc0 .LBB7_254
; %bb.214:                              ;   in Loop: Header=BB7_33 Depth=1
	v_cvt_f32_u32_e32 v2, s33
	s_sub_u32 s0, 0, s33
	s_subb_u32 s2, 0, 0
	v_mac_f32_e32 v2, 0x4f800000, v42
	v_rcp_f32_e32 v2, v2
	v_mul_f32_e32 v2, 0x5f7ffffc, v2
	v_mul_f32_e32 v3, 0x2f800000, v2
	v_trunc_f32_e32 v3, v3
	v_mac_f32_e32 v2, 0xcf800000, v3
	v_cvt_u32_f32_e32 v3, v3
	v_cvt_u32_f32_e32 v2, v2
	v_readfirstlane_b32 s3, v3
	v_readfirstlane_b32 s9, v2
	s_mul_i32 s24, s0, s3
	s_mul_hi_u32 s28, s0, s9
	s_mul_i32 s25, s2, s9
	s_add_i32 s24, s28, s24
	s_mul_i32 s29, s0, s9
	s_add_i32 s24, s24, s25
	s_mul_hi_u32 s28, s9, s29
	s_mul_hi_u32 s25, s9, s24
	s_mul_i32 s9, s9, s24
	s_add_u32 s9, s28, s9
	s_addc_u32 s25, 0, s25
	s_mul_hi_u32 s36, s3, s29
	s_mul_i32 s29, s3, s29
	s_add_u32 s9, s9, s29
	s_mul_hi_u32 s28, s3, s24
	s_addc_u32 s9, s25, s36
	s_addc_u32 s25, s28, 0
	s_mul_i32 s24, s3, s24
	s_add_u32 s9, s9, s24
	s_addc_u32 s24, 0, s25
	v_add_co_u32_e32 v2, vcc, s9, v2
	s_cmp_lg_u64 vcc, 0
	s_addc_u32 s3, s3, s24
	v_readfirstlane_b32 s24, v2
	s_mul_i32 s9, s0, s3
	s_mul_hi_u32 s25, s0, s24
	s_add_i32 s9, s25, s9
	s_mul_i32 s2, s2, s24
	s_add_i32 s9, s9, s2
	s_mul_i32 s0, s0, s24
	s_mul_hi_u32 s25, s3, s0
	s_mul_i32 s28, s3, s0
	s_mul_i32 s36, s24, s9
	s_mul_hi_u32 s0, s24, s0
	s_mul_hi_u32 s29, s24, s9
	s_add_u32 s0, s0, s36
	s_addc_u32 s24, 0, s29
	s_add_u32 s0, s0, s28
	s_mul_hi_u32 s2, s3, s9
	s_addc_u32 s0, s24, s25
	s_addc_u32 s2, s2, 0
	s_mul_i32 s9, s3, s9
	s_add_u32 s0, s0, s9
	s_addc_u32 s2, 0, s2
	v_add_co_u32_e32 v2, vcc, s0, v2
	s_cmp_lg_u64 vcc, 0
	s_addc_u32 s0, s3, s2
	s_ashr_i32 s2, s1, 31
	s_add_u32 s24, s8, s2
	s_mov_b32 s3, s2
	s_addc_u32 s25, s1, s2
	s_xor_b64 s[24:25], s[24:25], s[2:3]
	v_readfirstlane_b32 s28, v2
	s_mul_i32 s9, s24, s0
	s_mul_hi_u32 s29, s24, s28
	s_mul_hi_u32 s3, s24, s0
	s_add_u32 s9, s29, s9
	s_addc_u32 s3, 0, s3
	s_mul_hi_u32 s36, s25, s28
	s_mul_i32 s28, s25, s28
	s_add_u32 s9, s9, s28
	s_mul_hi_u32 s29, s25, s0
	s_addc_u32 s3, s3, s36
	s_addc_u32 s9, s29, 0
	s_mul_i32 s0, s25, s0
	s_add_u32 s0, s3, s0
	s_addc_u32 s3, 0, s9
	s_mul_hi_u32 s9, s33, s0
	s_mul_i32 s0, s33, s0
	s_mul_i32 s3, s33, s3
	v_mov_b32_e32 v2, s0
	s_add_i32 s9, s9, s3
	v_sub_co_u32_e32 v2, vcc, s24, v2
	s_cmp_lg_u64 vcc, 0
	s_subb_u32 s0, s25, s9
	v_subrev_co_u32_e32 v3, vcc, s33, v2
	s_cmp_lg_u64 vcc, 0
	s_subb_u32 s3, s0, 0
	v_subrev_co_u32_e32 v4, vcc, s33, v3
	s_cmp_lg_u64 vcc, 0
	s_subb_u32 s9, s3, 0
	v_cmp_le_u32_e32 vcc, s33, v3
	s_cmp_eq_u32 s3, 0
	v_cndmask_b32_e64 v5, 0, -1, vcc
	s_cselect_b64 vcc, -1, 0
	v_cndmask_b32_e32 v5, -1, v5, vcc
	v_mov_b32_e32 v6, s3
	v_mov_b32_e32 v7, s9
	v_cmp_ne_u32_e32 vcc, 0, v5
	v_cndmask_b32_e32 v5, v6, v7, vcc
	v_cndmask_b32_e32 v3, v3, v4, vcc
	v_cmp_le_u32_e32 vcc, s33, v2
	s_cmp_eq_u32 s0, 0
	v_cndmask_b32_e64 v4, 0, -1, vcc
	s_cselect_b64 vcc, -1, 0
	v_cndmask_b32_e32 v4, -1, v4, vcc
	v_cmp_ne_u32_e32 vcc, 0, v4
	v_mov_b32_e32 v6, s0
	v_cndmask_b32_e32 v2, v2, v3, vcc
	v_cndmask_b32_e32 v4, v6, v5, vcc
	v_xor_b32_e32 v2, s2, v2
	v_xor_b32_e32 v3, s2, v4
	v_mov_b32_e32 v4, s2
	v_subrev_co_u32_e32 v2, vcc, s2, v2
	v_subb_co_u32_e32 v3, vcc, v3, v4, vcc
	s_cbranch_execnz .LBB7_216
.LBB7_215:                              ;   in Loop: Header=BB7_33 Depth=1
	v_cvt_f32_u32_e32 v2, s33
	s_sub_i32 s0, 0, s33
	v_rcp_iflag_f32_e32 v2, v2
	v_mul_f32_e32 v2, 0x4f7ffffe, v2
	v_cvt_u32_f32_e32 v2, v2
	v_mul_lo_u32 v3, s0, v2
	v_mul_hi_u32 v3, v2, v3
	v_add_u32_e32 v2, v2, v3
	v_mul_hi_u32 v2, s8, v2
	v_mul_lo_u32 v2, v2, s33
	v_sub_u32_e32 v2, s8, v2
	v_subrev_u32_e32 v3, s33, v2
	v_cmp_le_u32_e32 vcc, s33, v2
	v_cndmask_b32_e32 v2, v2, v3, vcc
	v_subrev_u32_e32 v3, s33, v2
	v_cmp_le_u32_e32 vcc, s33, v2
	v_cndmask_b32_e32 v12, v2, v3, vcc
	v_pk_mov_b32 v[2:3], v[12:13], v[12:13] op_sel:[0,1]
.LBB7_216:                              ;   in Loop: Header=BB7_33 Depth=1
	v_mov_b32_e32 v4, s1
	v_sub_co_u32_e32 v2, vcc, s8, v2
	v_subb_co_u32_e32 v3, vcc, v4, v3, vcc
	v_cmp_gt_i64_e32 vcc, v[2:3], v[0:1]
	s_mov_b64 s[2:3], 0
                                        ; implicit-def: $vgpr43
	s_and_saveexec_b64 s[0:1], vcc
	s_cbranch_execz .LBB7_224
; %bb.217:                              ;   in Loop: Header=BB7_33 Depth=1
	v_mov_b32_e32 v6, v0
	v_pk_mov_b32 v[4:5], v[0:1], v[0:1] op_sel:[0,1]
                                        ; implicit-def: $sgpr8_sgpr9
	s_branch .LBB7_219
.LBB7_218:                              ;   in Loop: Header=BB7_219 Depth=2
	s_or_b64 exec, exec, s[24:25]
	s_waitcnt lgkmcnt(0)
	s_barrier
	ds_read_u16 v7, v13 offset:3072
	v_mov_b32_e32 v8, s92
	v_add_co_u32_e32 v4, vcc, s33, v4
	v_addc_co_u32_e32 v5, vcc, v5, v8, vcc
	s_waitcnt lgkmcnt(0)
	v_cmp_ne_u16_sdwa s[24:25], v7, v13 src0_sel:BYTE_0 src1_sel:DWORD
	v_cmp_ge_i64_e32 vcc, v[4:5], v[2:3]
	s_or_b64 s[28:29], s[24:25], vcc
	s_and_b64 s[28:29], exec, s[28:29]
	s_or_b64 s[2:3], s[28:29], s[2:3]
	s_andn2_b64 s[8:9], s[8:9], exec
	s_and_b64 s[24:25], s[24:25], exec
	v_add_u32_e32 v6, s33, v6
	s_or_b64 s[8:9], s[8:9], s[24:25]
	s_barrier
	s_andn2_b64 exec, exec, s[2:3]
	s_cbranch_execz .LBB7_223
.LBB7_219:                              ;   Parent Loop BB7_33 Depth=1
                                        ; =>  This Inner Loop Header: Depth=2
	v_cmp_gt_i64_e32 vcc, s[30:31], v[4:5]
	v_mov_b32_e32 v7, 0
	s_and_saveexec_b64 s[24:25], vcc
	s_cbranch_execz .LBB7_221
; %bb.220:                              ;   in Loop: Header=BB7_219 Depth=2
	ds_read_u8 v7, v6
.LBB7_221:                              ;   in Loop: Header=BB7_219 Depth=2
	s_or_b64 exec, exec, s[24:25]
	s_waitcnt lgkmcnt(0)
	v_and_b32_e32 v8, s85, v7
	v_cmp_eq_u32_sdwa s[24:25], v8, s82 src0_sel:BYTE_0 src1_sel:DWORD
	s_and_b64 s[28:29], vcc, s[24:25]
	s_and_saveexec_b64 s[24:25], s[28:29]
	s_cbranch_execz .LBB7_218
; %bb.222:                              ;   in Loop: Header=BB7_219 Depth=2
	v_lshlrev_b16_e32 v7, 8, v7
	v_or_b32_e32 v7, 1, v7
	ds_write_b16 v13, v7 offset:3072
	s_branch .LBB7_218
.LBB7_223:                              ;   in Loop: Header=BB7_33 Depth=1
	s_or_b64 exec, exec, s[2:3]
	v_lshrrev_b16_e32 v43, 8, v7
	s_and_b64 s[2:3], s[8:9], exec
.LBB7_224:                              ;   in Loop: Header=BB7_33 Depth=1
	s_or_b64 exec, exec, s[0:1]
	s_mov_b64 s[28:29], -1
	s_mov_b64 s[0:1], 0
	s_mov_b64 s[24:25], 0
.LBB7_225:                              ;   in Loop: Header=BB7_33 Depth=1
	s_mov_b64 s[8:9], 0
                                        ; implicit-def: $sgpr43
	s_and_saveexec_b64 s[30:31], s[2:3]
	s_cbranch_execz .LBB7_285
; %bb.226:                              ;   in Loop: Header=BB7_33 Depth=1
	s_xor_b64 s[2:3], s[34:35], -1
	s_andn2_b64 vcc, exec, s[2:3]
	s_mov_b32 s43, 1
	s_cbranch_vccnz .LBB7_237
; %bb.227:                              ;   in Loop: Header=BB7_33 Depth=1
	v_pk_mov_b32 v[2:3], s[14:15], s[14:15] op_sel:[0,1]
	v_cmp_gt_i64_e32 vcc, s[54:55], v[2:3]
	s_mov_b64 s[2:3], -1
                                        ; implicit-def: $sgpr43
                                        ; implicit-def: $sgpr8
                                        ; implicit-def: $sgpr9
	s_cbranch_vccnz .LBB7_233
; %bb.228:                              ;   in Loop: Header=BB7_33 Depth=1
	ds_read_b64 v[2:3], v13 offset:5120
	s_waitcnt lgkmcnt(0)
	v_cmp_ne_u64_e32 vcc, 0, v[2:3]
	s_cbranch_vccnz .LBB7_232
; %bb.229:                              ;   in Loop: Header=BB7_33 Depth=1
	s_mov_b64 s[2:3], exec
	v_readlane_b32 s8, v48, 10
	v_readlane_b32 s9, v48, 11
	s_and_b64 s[8:9], s[2:3], s[8:9]
	s_mov_b64 exec, s[8:9]
	s_cbranch_execz .LBB7_231
; %bb.230:                              ;   in Loop: Header=BB7_33 Depth=1
	v_pk_mov_b32 v[2:3], s[14:15], s[14:15] op_sel:[0,1]
	ds_write_b64 v13, v[2:3] offset:5128
.LBB7_231:                              ;   in Loop: Header=BB7_33 Depth=1
	s_or_b64 exec, exec, s[2:3]
	s_waitcnt lgkmcnt(0)
	s_barrier
.LBB7_232:                              ;   in Loop: Header=BB7_33 Depth=1
	s_lshl_b32 s2, 2, s26
	s_and_b32 s3, s82, s27
	s_or_b32 s8, s3, s2
	s_or_b32 s9, s85, s42
	s_mov_b64 s[2:3], 0
	s_mov_b32 s43, 8
.LBB7_233:                              ;   in Loop: Header=BB7_33 Depth=1
	s_andn2_b64 vcc, exec, s[2:3]
	s_cbranch_vccnz .LBB7_235
; %bb.234:                              ;   in Loop: Header=BB7_33 Depth=1
	s_sub_u32 s54, s54, s14
	s_subb_u32 s55, s55, s15
	s_mov_b64 s[2:3], -1
	s_mov_b32 s43, 0
	s_mov_b32 s8, s82
	;; [unrolled: 1-line block ×3, first 2 shown]
.LBB7_235:                              ;   in Loop: Header=BB7_33 Depth=1
	s_mov_b32 s85, s9
	s_mov_b32 s82, s8
	s_andn2_b64 vcc, exec, s[2:3]
	s_mov_b64 s[38:39], -1
	s_cbranch_vccz .LBB7_238
.LBB7_236:                              ;   in Loop: Header=BB7_33 Depth=1
                                        ; implicit-def: $sgpr2_sgpr3
                                        ; implicit-def: $sgpr26_sgpr27
                                        ; implicit-def: $sgpr8_sgpr9
	s_branch .LBB7_284
.LBB7_237:                              ;   in Loop: Header=BB7_33 Depth=1
	s_mov_b64 s[54:55], 1
	s_mov_b64 s[38:39], -1
	s_cbranch_execnz .LBB7_236
.LBB7_238:                              ;   in Loop: Header=BB7_33 Depth=1
	s_cmp_eq_u64 s[6:7], 1
	s_cselect_b64 s[2:3], -1, 0
	s_cmp_eq_u64 s[54:55], 1
	s_cselect_b64 s[8:9], -1, 0
	s_and_b64 s[14:15], s[2:3], s[8:9]
	s_mov_b64 s[36:37], -1
	s_and_b64 vcc, exec, s[14:15]
	s_cbranch_vccz .LBB7_252
; %bb.239:                              ;   in Loop: Header=BB7_33 Depth=1
	ds_read_b64 v[2:3], v13 offset:5120
	s_waitcnt lgkmcnt(0)
	s_barrier
	v_readfirstlane_b32 s34, v2
	v_readfirstlane_b32 s35, v3
	s_mov_b64 s[2:3], exec
	v_readlane_b32 s8, v48, 12
	v_readlane_b32 s9, v48, 13
	s_and_b64 s[8:9], s[2:3], s[8:9]
	s_mov_b64 exec, s[8:9]
	s_cbranch_execz .LBB7_241
; %bb.240:                              ;   in Loop: Header=BB7_33 Depth=1
	ds_write_b8 v0, v13 offset:3072
.LBB7_241:                              ;   in Loop: Header=BB7_33 Depth=1
	s_or_b64 exec, exec, s[2:3]
	v_cmp_gt_i64_e64 s[2:3], s[34:35], 0
	s_or_b32 s82, s82, s42
	s_or_b32 s85, s85, s42
	s_and_b64 vcc, exec, s[2:3]
	s_waitcnt lgkmcnt(0)
	s_barrier
	s_cbranch_vccnz .LBB7_255
; %bb.242:                              ;   in Loop: Header=BB7_33 Depth=1
	s_mov_b32 s46, s75
	s_cmp_lg_u64 s[46:47], 0
	s_cbranch_scc0 .LBB7_290
; %bb.243:                              ;   in Loop: Header=BB7_33 Depth=1
	v_cvt_f32_u32_e32 v2, s33
	s_sub_u32 s2, 0, s33
	s_subb_u32 s3, 0, 0
	v_mac_f32_e32 v2, 0x4f800000, v42
	v_rcp_f32_e32 v2, v2
	v_mul_f32_e32 v2, 0x5f7ffffc, v2
	v_mul_f32_e32 v3, 0x2f800000, v2
	v_trunc_f32_e32 v3, v3
	v_mac_f32_e32 v2, 0xcf800000, v3
	v_cvt_u32_f32_e32 v3, v3
	v_cvt_u32_f32_e32 v2, v2
	v_readfirstlane_b32 s8, v3
	v_readfirstlane_b32 s9, v2
	s_mul_i32 s26, s2, s8
	s_mul_hi_u32 s36, s2, s9
	s_mul_i32 s27, s3, s9
	s_add_i32 s26, s36, s26
	s_mul_i32 s37, s2, s9
	s_add_i32 s26, s26, s27
	s_mul_hi_u32 s36, s9, s37
	s_mul_hi_u32 s27, s9, s26
	s_mul_i32 s9, s9, s26
	s_add_u32 s9, s36, s9
	s_addc_u32 s27, 0, s27
	s_mul_hi_u32 s38, s8, s37
	s_mul_i32 s37, s8, s37
	s_add_u32 s9, s9, s37
	s_mul_hi_u32 s36, s8, s26
	s_addc_u32 s9, s27, s38
	s_addc_u32 s27, s36, 0
	s_mul_i32 s26, s8, s26
	s_add_u32 s9, s9, s26
	s_addc_u32 s26, 0, s27
	v_add_co_u32_e32 v2, vcc, s9, v2
	s_cmp_lg_u64 vcc, 0
	s_addc_u32 s8, s8, s26
	v_readfirstlane_b32 s26, v2
	s_mul_i32 s9, s2, s8
	s_mul_hi_u32 s27, s2, s26
	s_add_i32 s9, s27, s9
	s_mul_i32 s3, s3, s26
	s_add_i32 s9, s9, s3
	s_mul_i32 s2, s2, s26
	s_mul_hi_u32 s27, s8, s2
	s_mul_i32 s36, s8, s2
	s_mul_i32 s38, s26, s9
	s_mul_hi_u32 s2, s26, s2
	s_mul_hi_u32 s37, s26, s9
	s_add_u32 s2, s2, s38
	s_addc_u32 s26, 0, s37
	s_add_u32 s2, s2, s36
	s_mul_hi_u32 s3, s8, s9
	s_addc_u32 s2, s26, s27
	s_addc_u32 s3, s3, 0
	s_mul_i32 s9, s8, s9
	s_add_u32 s2, s2, s9
	s_addc_u32 s3, 0, s3
	v_add_co_u32_e32 v2, vcc, s2, v2
	s_cmp_lg_u64 vcc, 0
	s_addc_u32 s26, s8, s3
	s_ashr_i32 s2, s47, 31
	s_add_u32 s8, s83, s2
	s_mov_b32 s3, s2
	s_addc_u32 s9, s47, s2
	s_xor_b64 s[8:9], s[8:9], s[2:3]
	v_readfirstlane_b32 s36, v2
	s_mul_i32 s27, s8, s26
	s_mul_hi_u32 s37, s8, s36
	s_mul_hi_u32 s3, s8, s26
	s_add_u32 s27, s37, s27
	s_addc_u32 s3, 0, s3
	s_mul_hi_u32 s38, s9, s36
	s_mul_i32 s36, s9, s36
	s_add_u32 s27, s27, s36
	s_mul_hi_u32 s37, s9, s26
	s_addc_u32 s3, s3, s38
	s_addc_u32 s27, s37, 0
	s_mul_i32 s26, s9, s26
	s_add_u32 s3, s3, s26
	s_addc_u32 s26, 0, s27
	s_mul_hi_u32 s27, s33, s3
	s_mul_i32 s3, s33, s3
	s_mul_i32 s26, s33, s26
	v_mov_b32_e32 v2, s3
	s_add_i32 s27, s27, s26
	v_sub_co_u32_e32 v2, vcc, s8, v2
	s_cmp_lg_u64 vcc, 0
	s_subb_u32 s3, s9, s27
	v_subrev_co_u32_e32 v3, vcc, s33, v2
	s_cmp_lg_u64 vcc, 0
	s_subb_u32 s8, s3, 0
	v_subrev_co_u32_e32 v4, vcc, s33, v3
	s_cmp_lg_u64 vcc, 0
	s_subb_u32 s9, s8, 0
	v_cmp_le_u32_e32 vcc, s33, v3
	s_cmp_eq_u32 s8, 0
	v_cndmask_b32_e64 v5, 0, -1, vcc
	s_cselect_b64 vcc, -1, 0
	v_cndmask_b32_e32 v5, -1, v5, vcc
	v_mov_b32_e32 v6, s8
	v_mov_b32_e32 v7, s9
	v_cmp_ne_u32_e32 vcc, 0, v5
	v_cndmask_b32_e32 v5, v6, v7, vcc
	v_cndmask_b32_e32 v3, v3, v4, vcc
	v_cmp_le_u32_e32 vcc, s33, v2
	s_cmp_eq_u32 s3, 0
	v_cndmask_b32_e64 v4, 0, -1, vcc
	s_cselect_b64 vcc, -1, 0
	v_cndmask_b32_e32 v4, -1, v4, vcc
	v_cmp_ne_u32_e32 vcc, 0, v4
	v_mov_b32_e32 v6, s3
	v_cndmask_b32_e32 v2, v2, v3, vcc
	v_cndmask_b32_e32 v4, v6, v5, vcc
	v_xor_b32_e32 v2, s2, v2
	v_xor_b32_e32 v3, s2, v4
	v_mov_b32_e32 v4, s2
	v_subrev_co_u32_e32 v2, vcc, s2, v2
	v_subb_co_u32_e32 v3, vcc, v3, v4, vcc
	s_cbranch_execnz .LBB7_245
.LBB7_244:                              ;   in Loop: Header=BB7_33 Depth=1
	v_cvt_f32_u32_e32 v2, s33
	s_sub_i32 s2, 0, s33
	v_rcp_iflag_f32_e32 v2, v2
	v_mul_f32_e32 v2, 0x4f7ffffe, v2
	v_cvt_u32_f32_e32 v2, v2
	v_mul_lo_u32 v3, s2, v2
	v_mul_hi_u32 v3, v2, v3
	v_add_u32_e32 v2, v2, v3
	v_mul_hi_u32 v2, s83, v2
	v_mul_lo_u32 v2, v2, s33
	v_sub_u32_e32 v2, s83, v2
	v_subrev_u32_e32 v3, s33, v2
	v_cmp_le_u32_e32 vcc, s33, v2
	v_cndmask_b32_e32 v2, v2, v3, vcc
	v_subrev_u32_e32 v3, s33, v2
	v_cmp_le_u32_e32 vcc, s33, v2
	v_cndmask_b32_e32 v12, v2, v3, vcc
	v_pk_mov_b32 v[2:3], v[12:13], v[12:13] op_sel:[0,1]
.LBB7_245:                              ;   in Loop: Header=BB7_33 Depth=1
	v_mov_b32_e32 v4, s47
	v_sub_co_u32_e32 v2, vcc, s83, v2
	v_subb_co_u32_e32 v3, vcc, v4, v3, vcc
	v_cmp_gt_i64_e32 vcc, v[2:3], v[0:1]
	s_mov_b64 s[36:37], 0
                                        ; implicit-def: $vgpr43
	s_and_saveexec_b64 s[2:3], vcc
	s_cbranch_execz .LBB7_257
; %bb.246:                              ;   in Loop: Header=BB7_33 Depth=1
	s_mov_b64 s[8:9], 0
	v_pk_mov_b32 v[4:5], v[10:11], v[10:11] op_sel:[0,1]
	v_pk_mov_b32 v[6:7], v[0:1], v[0:1] op_sel:[0,1]
                                        ; implicit-def: $sgpr26_sgpr27
	s_branch .LBB7_248
.LBB7_247:                              ;   in Loop: Header=BB7_248 Depth=2
	s_or_b64 exec, exec, s[36:37]
	s_waitcnt lgkmcnt(0)
	s_barrier
	ds_read_u16 v8, v13 offset:3072
	v_mov_b32_e32 v9, s92
	v_add_co_u32_e32 v6, vcc, s33, v6
	v_addc_co_u32_e32 v7, vcc, v7, v9, vcc
	s_waitcnt lgkmcnt(0)
	v_cmp_ne_u16_sdwa s[36:37], v8, v13 src0_sel:BYTE_0 src1_sel:DWORD
	v_cmp_ge_i64_e32 vcc, v[6:7], v[2:3]
	s_or_b64 s[38:39], s[36:37], vcc
	s_and_b64 s[38:39], exec, s[38:39]
	s_or_b64 s[8:9], s[38:39], s[8:9]
	v_mov_b32_e32 v9, s93
	v_add_co_u32_e32 v4, vcc, s60, v4
	s_andn2_b64 s[26:27], s[26:27], exec
	s_and_b64 s[36:37], s[36:37], exec
	v_addc_co_u32_e32 v5, vcc, v5, v9, vcc
	s_or_b64 s[26:27], s[26:27], s[36:37]
	s_barrier
	s_andn2_b64 exec, exec, s[8:9]
	s_cbranch_execz .LBB7_256
.LBB7_248:                              ;   Parent Loop BB7_33 Depth=1
                                        ; =>  This Inner Loop Header: Depth=2
	v_cmp_gt_i64_e32 vcc, s[52:53], v[6:7]
	v_mov_b32_e32 v8, 0
	s_and_saveexec_b64 s[36:37], vcc
	s_cbranch_execz .LBB7_250
; %bb.249:                              ;   in Loop: Header=BB7_248 Depth=2
	global_load_ubyte v8, v[4:5], off
.LBB7_250:                              ;   in Loop: Header=BB7_248 Depth=2
	s_or_b64 exec, exec, s[36:37]
	s_waitcnt vmcnt(0)
	v_and_b32_e32 v9, s85, v8
	v_cmp_eq_u32_sdwa s[36:37], v9, s82 src0_sel:BYTE_0 src1_sel:DWORD
	s_and_b64 s[38:39], vcc, s[36:37]
	s_and_saveexec_b64 s[36:37], s[38:39]
	s_cbranch_execz .LBB7_247
; %bb.251:                              ;   in Loop: Header=BB7_248 Depth=2
	v_lshlrev_b16_e32 v8, 8, v8
	v_or_b32_e32 v8, 1, v8
	ds_write_b16 v13, v8 offset:3072
	s_branch .LBB7_247
.LBB7_252:                              ;   in Loop: Header=BB7_33 Depth=1
                                        ; implicit-def: $sgpr2_sgpr3
                                        ; implicit-def: $sgpr26_sgpr27
                                        ; implicit-def: $sgpr8_sgpr9
	s_branch .LBB7_270
.LBB7_253:                              ;   in Loop: Header=BB7_33 Depth=1
                                        ; implicit-def: $vgpr2_vgpr3
	s_branch .LBB7_199
.LBB7_254:                              ;   in Loop: Header=BB7_33 Depth=1
                                        ; implicit-def: $vgpr2_vgpr3
	s_branch .LBB7_215
.LBB7_255:                              ;   in Loop: Header=BB7_33 Depth=1
	s_mov_b64 s[2:3], -1
	s_mov_b64 s[36:37], 0
                                        ; implicit-def: $sgpr8_sgpr9
                                        ; implicit-def: $vgpr43
	s_mov_b64 s[26:27], s[2:3]
	s_cbranch_execnz .LBB7_258
	s_branch .LBB7_270
.LBB7_256:                              ;   in Loop: Header=BB7_33 Depth=1
	s_or_b64 exec, exec, s[8:9]
	v_lshrrev_b16_e32 v43, 8, v8
	s_and_b64 s[36:37], s[26:27], exec
.LBB7_257:                              ;   in Loop: Header=BB7_33 Depth=1
	s_or_b64 exec, exec, s[2:3]
	s_mov_b64 s[8:9], -1
	s_mov_b64 s[2:3], 0
	s_mov_b64 s[26:27], s[2:3]
	s_branch .LBB7_270
.LBB7_258:                              ;   in Loop: Header=BB7_33 Depth=1
	v_readlane_b32 s2, v48, 22
	s_add_u32 s26, s2, s34
	v_readlane_b32 s2, v48, 23
	s_addc_u32 s3, s2, s35
	s_mov_b32 s2, s75
	s_cmp_lg_u64 s[2:3], 0
	s_cbranch_scc0 .LBB7_291
; %bb.259:                              ;   in Loop: Header=BB7_33 Depth=1
	v_cvt_f32_u32_e32 v2, s33
	s_sub_u32 s2, 0, s33
	s_subb_u32 s8, 0, 0
	v_mac_f32_e32 v2, 0x4f800000, v42
	v_rcp_f32_e32 v2, v2
	v_mul_f32_e32 v2, 0x5f7ffffc, v2
	v_mul_f32_e32 v3, 0x2f800000, v2
	v_trunc_f32_e32 v3, v3
	v_mac_f32_e32 v2, 0xcf800000, v3
	v_cvt_u32_f32_e32 v3, v3
	v_cvt_u32_f32_e32 v2, v2
	v_readfirstlane_b32 s9, v3
	v_readfirstlane_b32 s27, v2
	s_mul_i32 s36, s2, s9
	s_mul_hi_u32 s38, s2, s27
	s_mul_i32 s37, s8, s27
	s_add_i32 s36, s38, s36
	s_mul_i32 s39, s2, s27
	s_add_i32 s36, s36, s37
	s_mul_hi_u32 s38, s27, s39
	s_mul_hi_u32 s37, s27, s36
	s_mul_i32 s27, s27, s36
	s_add_u32 s27, s38, s27
	s_addc_u32 s37, 0, s37
	s_mul_hi_u32 s40, s9, s39
	s_mul_i32 s39, s9, s39
	s_add_u32 s27, s27, s39
	s_mul_hi_u32 s38, s9, s36
	s_addc_u32 s27, s37, s40
	s_addc_u32 s37, s38, 0
	s_mul_i32 s36, s9, s36
	s_add_u32 s27, s27, s36
	s_addc_u32 s36, 0, s37
	v_add_co_u32_e32 v2, vcc, s27, v2
	s_cmp_lg_u64 vcc, 0
	s_addc_u32 s9, s9, s36
	v_readfirstlane_b32 s36, v2
	s_mul_i32 s27, s2, s9
	s_mul_hi_u32 s37, s2, s36
	s_add_i32 s27, s37, s27
	s_mul_i32 s8, s8, s36
	s_add_i32 s27, s27, s8
	s_mul_i32 s2, s2, s36
	s_mul_hi_u32 s37, s9, s2
	s_mul_i32 s38, s9, s2
	s_mul_i32 s40, s36, s27
	s_mul_hi_u32 s2, s36, s2
	s_mul_hi_u32 s39, s36, s27
	s_add_u32 s2, s2, s40
	s_addc_u32 s36, 0, s39
	s_add_u32 s2, s2, s38
	s_mul_hi_u32 s8, s9, s27
	s_addc_u32 s2, s36, s37
	s_addc_u32 s8, s8, 0
	s_mul_i32 s27, s9, s27
	s_add_u32 s2, s2, s27
	s_addc_u32 s8, 0, s8
	v_add_co_u32_e32 v2, vcc, s2, v2
	s_cmp_lg_u64 vcc, 0
	s_addc_u32 s2, s9, s8
	s_ashr_i32 s8, s3, 31
	s_add_u32 s36, s26, s8
	s_mov_b32 s9, s8
	s_addc_u32 s37, s3, s8
	s_xor_b64 s[36:37], s[36:37], s[8:9]
	v_readfirstlane_b32 s38, v2
	s_mul_i32 s27, s36, s2
	s_mul_hi_u32 s39, s36, s38
	s_mul_hi_u32 s9, s36, s2
	s_add_u32 s27, s39, s27
	s_addc_u32 s9, 0, s9
	s_mul_hi_u32 s40, s37, s38
	s_mul_i32 s38, s37, s38
	s_add_u32 s27, s27, s38
	s_mul_hi_u32 s39, s37, s2
	s_addc_u32 s9, s9, s40
	s_addc_u32 s27, s39, 0
	s_mul_i32 s2, s37, s2
	s_add_u32 s2, s9, s2
	s_addc_u32 s9, 0, s27
	s_mul_hi_u32 s27, s33, s2
	s_mul_i32 s2, s33, s2
	s_mul_i32 s9, s33, s9
	v_mov_b32_e32 v2, s2
	s_add_i32 s27, s27, s9
	v_sub_co_u32_e32 v2, vcc, s36, v2
	s_cmp_lg_u64 vcc, 0
	s_subb_u32 s2, s37, s27
	v_subrev_co_u32_e32 v3, vcc, s33, v2
	s_cmp_lg_u64 vcc, 0
	s_subb_u32 s9, s2, 0
	v_subrev_co_u32_e32 v4, vcc, s33, v3
	s_cmp_lg_u64 vcc, 0
	s_subb_u32 s27, s9, 0
	v_cmp_le_u32_e32 vcc, s33, v3
	s_cmp_eq_u32 s9, 0
	v_cndmask_b32_e64 v5, 0, -1, vcc
	s_cselect_b64 vcc, -1, 0
	v_cndmask_b32_e32 v5, -1, v5, vcc
	v_mov_b32_e32 v6, s9
	v_mov_b32_e32 v7, s27
	v_cmp_ne_u32_e32 vcc, 0, v5
	v_cndmask_b32_e32 v5, v6, v7, vcc
	v_cndmask_b32_e32 v3, v3, v4, vcc
	v_cmp_le_u32_e32 vcc, s33, v2
	s_cmp_eq_u32 s2, 0
	v_cndmask_b32_e64 v4, 0, -1, vcc
	s_cselect_b64 vcc, -1, 0
	v_cndmask_b32_e32 v4, -1, v4, vcc
	v_cmp_ne_u32_e32 vcc, 0, v4
	v_mov_b32_e32 v6, s2
	v_cndmask_b32_e32 v2, v2, v3, vcc
	v_cndmask_b32_e32 v4, v6, v5, vcc
	v_xor_b32_e32 v2, s8, v2
	v_xor_b32_e32 v3, s8, v4
	v_mov_b32_e32 v4, s8
	v_subrev_co_u32_e32 v2, vcc, s8, v2
	v_subb_co_u32_e32 v3, vcc, v3, v4, vcc
	s_cbranch_execnz .LBB7_261
.LBB7_260:                              ;   in Loop: Header=BB7_33 Depth=1
	v_cvt_f32_u32_e32 v2, s33
	s_sub_i32 s2, 0, s33
	v_rcp_iflag_f32_e32 v2, v2
	v_mul_f32_e32 v2, 0x4f7ffffe, v2
	v_cvt_u32_f32_e32 v2, v2
	v_mul_lo_u32 v3, s2, v2
	v_mul_hi_u32 v3, v2, v3
	v_add_u32_e32 v2, v2, v3
	v_mul_hi_u32 v2, s26, v2
	v_mul_lo_u32 v2, v2, s33
	v_sub_u32_e32 v2, s26, v2
	v_subrev_u32_e32 v3, s33, v2
	v_cmp_le_u32_e32 vcc, s33, v2
	v_cndmask_b32_e32 v2, v2, v3, vcc
	v_subrev_u32_e32 v3, s33, v2
	v_cmp_le_u32_e32 vcc, s33, v2
	v_cndmask_b32_e32 v12, v2, v3, vcc
	v_pk_mov_b32 v[2:3], v[12:13], v[12:13] op_sel:[0,1]
.LBB7_261:                              ;   in Loop: Header=BB7_33 Depth=1
	v_mov_b32_e32 v4, s3
	v_sub_co_u32_e32 v2, vcc, s26, v2
	v_subb_co_u32_e32 v3, vcc, v4, v3, vcc
	v_cmp_gt_i64_e32 vcc, v[2:3], v[0:1]
	s_mov_b64 s[36:37], 0
                                        ; implicit-def: $vgpr43
	s_and_saveexec_b64 s[2:3], vcc
	s_cbranch_execz .LBB7_269
; %bb.262:                              ;   in Loop: Header=BB7_33 Depth=1
	s_mov_b64 s[8:9], 0
	v_mov_b32_e32 v6, v0
	v_pk_mov_b32 v[4:5], v[0:1], v[0:1] op_sel:[0,1]
                                        ; implicit-def: $sgpr26_sgpr27
	s_branch .LBB7_264
.LBB7_263:                              ;   in Loop: Header=BB7_264 Depth=2
	s_or_b64 exec, exec, s[36:37]
	s_waitcnt lgkmcnt(0)
	s_barrier
	ds_read_u16 v7, v13 offset:3072
	v_mov_b32_e32 v8, s92
	v_add_co_u32_e32 v4, vcc, s33, v4
	v_addc_co_u32_e32 v5, vcc, v5, v8, vcc
	s_waitcnt lgkmcnt(0)
	v_cmp_ne_u16_sdwa s[36:37], v7, v13 src0_sel:BYTE_0 src1_sel:DWORD
	v_cmp_ge_i64_e32 vcc, v[4:5], v[2:3]
	s_or_b64 s[38:39], s[36:37], vcc
	s_and_b64 s[38:39], exec, s[38:39]
	s_or_b64 s[8:9], s[38:39], s[8:9]
	s_andn2_b64 s[26:27], s[26:27], exec
	s_and_b64 s[36:37], s[36:37], exec
	v_add_u32_e32 v6, s33, v6
	s_or_b64 s[26:27], s[26:27], s[36:37]
	s_barrier
	s_andn2_b64 exec, exec, s[8:9]
	s_cbranch_execz .LBB7_268
.LBB7_264:                              ;   Parent Loop BB7_33 Depth=1
                                        ; =>  This Inner Loop Header: Depth=2
	v_cmp_gt_i64_e32 vcc, s[34:35], v[4:5]
	v_mov_b32_e32 v7, 0
	s_and_saveexec_b64 s[36:37], vcc
	s_cbranch_execz .LBB7_266
; %bb.265:                              ;   in Loop: Header=BB7_264 Depth=2
	ds_read_u8 v7, v6
.LBB7_266:                              ;   in Loop: Header=BB7_264 Depth=2
	s_or_b64 exec, exec, s[36:37]
	s_waitcnt lgkmcnt(0)
	v_and_b32_e32 v8, s85, v7
	v_cmp_eq_u32_sdwa s[36:37], v8, s82 src0_sel:BYTE_0 src1_sel:DWORD
	s_and_b64 s[38:39], vcc, s[36:37]
	s_and_saveexec_b64 s[36:37], s[38:39]
	s_cbranch_execz .LBB7_263
; %bb.267:                              ;   in Loop: Header=BB7_264 Depth=2
	v_lshlrev_b16_e32 v7, 8, v7
	v_or_b32_e32 v7, 1, v7
	ds_write_b16 v13, v7 offset:3072
	s_branch .LBB7_263
.LBB7_268:                              ;   in Loop: Header=BB7_33 Depth=1
	s_or_b64 exec, exec, s[8:9]
	v_lshrrev_b16_e32 v43, 8, v7
	s_and_b64 s[36:37], s[26:27], exec
.LBB7_269:                              ;   in Loop: Header=BB7_33 Depth=1
	s_or_b64 exec, exec, s[2:3]
	s_mov_b64 s[26:27], -1
	s_mov_b64 s[2:3], 0
	s_mov_b64 s[8:9], 0
.LBB7_270:                              ;   in Loop: Header=BB7_33 Depth=1
	s_mov_b64 s[38:39], 0
                                        ; implicit-def: $sgpr43
                                        ; implicit-def: $sgpr40_sgpr41
	s_and_saveexec_b64 s[34:35], s[36:37]
	s_cbranch_execz .LBB7_283
; %bb.271:                              ;   in Loop: Header=BB7_33 Depth=1
	s_xor_b64 s[14:15], s[14:15], -1
	s_mov_b64 s[40:41], 1
	s_andn2_b64 vcc, exec, s[14:15]
	s_mov_b32 s43, 1
	s_cbranch_vccnz .LBB7_282
; %bb.272:                              ;   in Loop: Header=BB7_33 Depth=1
	v_pk_mov_b32 v[2:3], s[6:7], s[6:7] op_sel:[0,1]
	v_cmp_gt_i64_e32 vcc, s[54:55], v[2:3]
	s_cbranch_vccnz .LBB7_278
; %bb.273:                              ;   in Loop: Header=BB7_33 Depth=1
	ds_read_b64 v[2:3], v13 offset:5120
	s_waitcnt lgkmcnt(0)
	v_cmp_ne_u64_e32 vcc, 0, v[2:3]
	s_cbranch_vccnz .LBB7_277
; %bb.274:                              ;   in Loop: Header=BB7_33 Depth=1
	s_mov_b64 s[14:15], exec
	v_readlane_b32 s36, v48, 10
	v_readlane_b32 s37, v48, 11
	s_and_b64 s[36:37], s[14:15], s[36:37]
	s_mov_b64 exec, s[36:37]
	s_cbranch_execz .LBB7_276
; %bb.275:                              ;   in Loop: Header=BB7_33 Depth=1
	v_pk_mov_b32 v[2:3], s[6:7], s[6:7] op_sel:[0,1]
	ds_write_b64 v13, v[2:3] offset:5128
.LBB7_276:                              ;   in Loop: Header=BB7_33 Depth=1
	s_or_b64 exec, exec, s[14:15]
	s_waitcnt lgkmcnt(0)
	s_barrier
.LBB7_277:                              ;   in Loop: Header=BB7_33 Depth=1
	s_or_b32 s36, s82, s42
	s_or_b32 s37, s85, s42
	s_mov_b64 s[14:15], 0
	s_mov_b32 s43, 8
	s_branch .LBB7_279
.LBB7_278:                              ;   in Loop: Header=BB7_33 Depth=1
	s_mov_b64 s[14:15], -1
                                        ; implicit-def: $sgpr43
                                        ; implicit-def: $sgpr36
                                        ; implicit-def: $sgpr37
.LBB7_279:                              ;   in Loop: Header=BB7_33 Depth=1
	s_andn2_b64 vcc, exec, s[14:15]
	s_cbranch_vccnz .LBB7_281
; %bb.280:                              ;   in Loop: Header=BB7_33 Depth=1
	s_sub_u32 s54, s54, s6
	s_subb_u32 s55, s55, s7
	s_mov_b32 s43, 8
	s_mov_b32 s36, s82
	;; [unrolled: 1-line block ×3, first 2 shown]
.LBB7_281:                              ;   in Loop: Header=BB7_33 Depth=1
	s_mov_b64 s[40:41], s[54:55]
	s_mov_b32 s82, s36
	s_mov_b32 s85, s37
.LBB7_282:                              ;   in Loop: Header=BB7_33 Depth=1
	s_mov_b64 s[38:39], exec
.LBB7_283:                              ;   in Loop: Header=BB7_33 Depth=1
	s_or_b64 exec, exec, s[34:35]
	s_mov_b64 s[54:55], s[40:41]
.LBB7_284:                              ;   in Loop: Header=BB7_33 Depth=1
	s_andn2_b64 s[0:1], s[0:1], exec
	s_and_b64 s[2:3], s[2:3], exec
	s_or_b64 s[0:1], s[0:1], s[2:3]
	s_andn2_b64 s[2:3], s[28:29], exec
	s_and_b64 s[6:7], s[26:27], exec
	s_or_b64 s[28:29], s[2:3], s[6:7]
	;; [unrolled: 3-line block ×3, first 2 shown]
	s_and_b64 s[8:9], s[38:39], exec
.LBB7_285:                              ;   in Loop: Header=BB7_33 Depth=1
	s_or_b64 exec, exec, s[30:31]
.LBB7_286:                              ;   in Loop: Header=BB7_33 Depth=1
	s_andn2_b64 s[2:3], s[18:19], exec
	s_and_b64 s[0:1], s[0:1], exec
	s_or_b64 s[18:19], s[2:3], s[0:1]
	s_andn2_b64 s[0:1], s[20:21], exec
	s_and_b64 s[2:3], s[28:29], exec
	s_or_b64 s[20:21], s[0:1], s[2:3]
	;; [unrolled: 3-line block ×3, first 2 shown]
	s_and_b64 s[8:9], s[8:9], exec
.LBB7_287:                              ;   in Loop: Header=BB7_33 Depth=1
	s_or_b64 exec, exec, s[22:23]
	s_and_saveexec_b64 s[0:1], s[8:9]
	s_xor_b64 s[0:1], exec, s[0:1]
	s_cbranch_execz .LBB7_31
.LBB7_288:                              ;   in Loop: Header=BB7_33 Depth=1
	s_and_b32 s2, s43, -9
	s_cmp_eq_u32 s2, 0
	s_cbranch_scc1 .LBB7_29
; %bb.289:                              ;   in Loop: Header=BB7_33 Depth=1
	s_mov_b64 s[2:3], -1
                                        ; implicit-def: $sgpr85
                                        ; implicit-def: $sgpr50
                                        ; implicit-def: $sgpr78
	s_mov_b64 s[6:7], -1
	s_branch .LBB7_30
.LBB7_290:                              ;   in Loop: Header=BB7_33 Depth=1
                                        ; implicit-def: $vgpr2_vgpr3
	s_branch .LBB7_244
.LBB7_291:                              ;   in Loop: Header=BB7_33 Depth=1
                                        ; implicit-def: $vgpr2_vgpr3
	s_branch .LBB7_260
.LBB7_292:
	s_or_b64 exec, exec, s[94:95]
	s_xor_b64 s[6:7], s[72:73], -1
	s_xor_b64 s[0:1], s[70:71], -1
	;; [unrolled: 1-line block ×3, first 2 shown]
	s_mov_b64 s[2:3], 0
	s_and_saveexec_b64 s[8:9], s[0:1]
	s_xor_b64 s[0:1], exec, s[8:9]
	s_cbranch_execnz .LBB7_297
; %bb.293:
	s_andn2_saveexec_b64 s[0:1], s[0:1]
	s_cbranch_execnz .LBB7_319
.LBB7_294:
	s_or_b64 exec, exec, s[0:1]
	s_and_saveexec_b64 s[0:1], s[2:3]
.LBB7_295:
	; divergent unreachable
.LBB7_296:
	s_endpgm
.LBB7_297:
	s_and_saveexec_b64 s[2:3], s[6:7]
	s_xor_b64 s[2:3], exec, s[2:3]
	s_cbranch_execz .LBB7_317
; %bb.298:
	s_and_saveexec_b64 s[6:7], s[4:5]
	s_xor_b64 s[4:5], exec, s[6:7]
; %bb.299:
	v_mov_b32_e32 v43, v2
; %bb.300:
	s_or_b64 exec, exec, s[4:5]
	s_mov_b64 s[4:5], exec
	v_readlane_b32 s6, v48, 10
	v_readlane_b32 s7, v48, 11
	s_and_b64 s[6:7], s[4:5], s[6:7]
	s_mov_b64 exec, s[6:7]
	s_cbranch_execz .LBB7_302
; %bb.301:
	v_mov_b32_e32 v2, 0
	v_mov_b32_e32 v3, s52
	ds_write_b32 v2, v3 offset:5140
.LBB7_302:
	s_or_b64 exec, exec, s[4:5]
	s_waitcnt lgkmcnt(0)
	s_barrier
	s_mov_b64 s[4:5], exec
	v_readlane_b32 s6, v48, 18
	v_readlane_b32 s7, v48, 19
	s_and_b64 s[6:7], s[4:5], s[6:7]
	s_mov_b64 exec, s[6:7]
	s_cbranch_execz .LBB7_314
; %bb.303:
	v_mov_b32_e32 v2, 0
	ds_read_b32 v4, v2 offset:5140
	s_mov_b64 s[6:7], 0
                                        ; implicit-def: $sgpr8_sgpr9
                                        ; implicit-def: $sgpr10_sgpr11
                                        ; implicit-def: $sgpr12_sgpr13
	s_waitcnt lgkmcnt(0)
	v_ashrrev_i32_e32 v5, 31, v4
	s_branch .LBB7_306
.LBB7_304:                              ;   in Loop: Header=BB7_306 Depth=1
	s_or_b64 exec, exec, s[18:19]
	s_andn2_b64 s[12:13], s[12:13], exec
	s_and_b64 s[16:17], s[16:17], exec
	s_or_b64 s[12:13], s[12:13], s[16:17]
	s_andn2_b64 s[10:11], s[10:11], exec
	s_and_b64 s[16:17], s[20:21], exec
	s_or_b64 s[10:11], s[10:11], s[16:17]
.LBB7_305:                              ;   in Loop: Header=BB7_306 Depth=1
	s_or_b64 exec, exec, s[14:15]
	s_and_b64 s[14:15], exec, s[10:11]
	s_or_b64 s[6:7], s[14:15], s[6:7]
	s_andn2_b64 s[8:9], s[8:9], exec
	s_and_b64 s[14:15], s[12:13], exec
	s_or_b64 s[8:9], s[8:9], s[14:15]
	s_andn2_b64 exec, exec, s[6:7]
	s_cbranch_execz .LBB7_309
.LBB7_306:                              ; =>This Inner Loop Header: Depth=1
	v_pk_mov_b32 v[2:3], v[0:1], v[0:1] op_sel:[0,1]
	v_cmp_lt_i64_e32 vcc, v[2:3], v[4:5]
	s_or_b64 s[12:13], s[12:13], exec
	s_or_b64 s[10:11], s[10:11], exec
                                        ; implicit-def: $vgpr0_vgpr1
	s_and_saveexec_b64 s[14:15], vcc
	s_cbranch_execz .LBB7_305
; %bb.307:                              ;   in Loop: Header=BB7_306 Depth=1
	global_load_ubyte v0, v[10:11], off
	s_mov_b64 s[20:21], -1
	s_mov_b64 s[16:17], 0
	s_waitcnt vmcnt(0)
	v_cmp_ne_u16_sdwa s[22:23], v0, v43 src0_sel:DWORD src1_sel:BYTE_0
                                        ; implicit-def: $vgpr0_vgpr1
	s_and_saveexec_b64 s[18:19], s[22:23]
	s_cbranch_execz .LBB7_304
; %bb.308:                              ;   in Loop: Header=BB7_306 Depth=1
	v_mov_b32_e32 v1, s92
	v_add_co_u32_e32 v0, vcc, s33, v2
	v_addc_co_u32_e32 v1, vcc, v3, v1, vcc
	v_mov_b32_e32 v3, s93
	v_add_co_u32_e32 v10, vcc, s60, v10
	v_addc_co_u32_e32 v11, vcc, v11, v3, vcc
	v_cmp_le_i64_e32 vcc, s[52:53], v[0:1]
	s_mov_b64 s[16:17], exec
	s_orn2_b64 s[20:21], vcc, exec
	s_branch .LBB7_304
.LBB7_309:
	s_or_b64 exec, exec, s[6:7]
	s_xor_b64 s[6:7], s[8:9], -1
	s_and_saveexec_b64 s[8:9], s[6:7]
	s_xor_b64 s[8:9], exec, s[8:9]
	s_cbranch_execz .LBB7_314
; %bb.310:
	s_mov_b64 s[6:7], exec
	s_brev_b32 s8, -2
.LBB7_311:                              ; =>This Inner Loop Header: Depth=1
	s_ff1_i32_b64 s9, s[6:7]
	v_readlane_b32 s12, v2, s9
	s_lshl_b64 s[10:11], 1, s9
	s_min_i32 s8, s8, s12
	s_andn2_b64 s[6:7], s[6:7], s[10:11]
	s_cmp_lg_u64 s[6:7], 0
	s_cbranch_scc1 .LBB7_311
; %bb.312:
	v_mbcnt_lo_u32_b32 v0, exec_lo, 0
	v_mbcnt_hi_u32_b32 v0, exec_hi, v0
	v_cmp_eq_u32_e32 vcc, 0, v0
	s_and_saveexec_b64 s[6:7], vcc
	s_xor_b64 s[6:7], exec, s[6:7]
	s_cbranch_execz .LBB7_314
; %bb.313:
	v_mov_b32_e32 v0, 0
	v_mov_b32_e32 v1, s8
	ds_min_i32 v0, v1 offset:5140
.LBB7_314:
	s_or_b64 exec, exec, s[4:5]
	s_waitcnt lgkmcnt(0)
	s_barrier
	s_mov_b64 s[4:5], exec
	v_readlane_b32 s6, v48, 10
	v_readlane_b32 s7, v48, 11
	s_and_b64 s[6:7], s[4:5], s[6:7]
	s_mov_b64 exec, s[6:7]
	s_cbranch_execz .LBB7_316
; %bb.315:
	v_readlane_b32 s12, v48, 0
	v_readlane_b32 s10, v48, 2
	v_readlane_b32 s13, v48, 1
	v_readlane_b32 s11, v48, 3
	s_mul_i32 s6, s10, s13
	s_mul_hi_u32 s7, s10, s12
	s_add_i32 s6, s7, s6
	s_mul_i32 s7, s11, s12
	s_mul_i32 s9, s10, s12
	v_readlane_b32 s10, v48, 6
	s_add_i32 s8, s6, s7
	v_readlane_b32 s11, v48, 7
	s_mul_i32 s6, s10, s67
	s_mul_hi_u32 s7, s10, s66
	s_add_i32 s6, s7, s6
	s_mul_i32 s7, s11, s66
	s_add_i32 s7, s6, s7
	s_mul_i32 s6, s10, s66
	v_readlane_b32 s10, v48, 4
	v_readlane_b32 s11, v48, 5
	s_add_u32 s9, s10, s9
	s_addc_u32 s10, s11, s8
	v_mov_b32_e32 v2, 0
	s_add_u32 s8, s9, s56
	ds_read_b32 v0, v2 offset:5140
	s_addc_u32 s9, s10, s57
	s_lshl_b64 s[6:7], s[6:7], 3
	v_readlane_b32 s10, v48, 8
	v_readlane_b32 s11, v48, 9
	s_add_u32 s10, s10, s6
	s_addc_u32 s11, s11, s7
	s_lshl_b64 s[6:7], s[62:63], 3
	s_add_u32 s6, s10, s6
	s_addc_u32 s7, s11, s7
	s_waitcnt lgkmcnt(0)
	v_ashrrev_i32_e32 v1, 31, v0
	global_store_dwordx2 v2, v[0:1], s[6:7]
	global_store_byte v2, v43, s[8:9]
.LBB7_316:
	s_or_b64 exec, exec, s[4:5]
.LBB7_317:
	s_or_saveexec_b64 s[2:3], s[2:3]
	s_mov_b64 s[4:5], 0
	s_xor_b64 exec, exec, s[2:3]
	s_cbranch_execnz .LBB7_320
.LBB7_318:
	s_or_b64 exec, exec, s[2:3]
	s_and_b64 s[2:3], s[4:5], exec
	s_andn2_saveexec_b64 s[0:1], s[0:1]
	s_cbranch_execz .LBB7_294
.LBB7_319:
	s_or_b64 s[2:3], s[2:3], exec
	s_trap 2
	s_or_b64 exec, exec, s[0:1]
	s_and_saveexec_b64 s[0:1], s[2:3]
	s_cbranch_execnz .LBB7_295
	s_branch .LBB7_296
.LBB7_320:
	s_mov_b64 s[4:5], exec
	s_trap 2
	s_branch .LBB7_318
	.section	.rodata,"a",@progbits
	.p2align	6, 0x0
	.amdhsa_kernel _ZN2at6native12_GLOBAL__N_114gatherKthValueIhlLin1EEEvNS_4cuda6detail10TensorInfoIKT_T0_EES8_S8_S8_S8_NS5_IS6_S8_EENS5_IlS8_EE
		.amdhsa_group_segment_fixed_size 5144
		.amdhsa_private_segment_fixed_size 0
		.amdhsa_kernarg_size 1536
		.amdhsa_user_sgpr_count 6
		.amdhsa_user_sgpr_private_segment_buffer 1
		.amdhsa_user_sgpr_dispatch_ptr 0
		.amdhsa_user_sgpr_queue_ptr 0
		.amdhsa_user_sgpr_kernarg_segment_ptr 1
		.amdhsa_user_sgpr_dispatch_id 0
		.amdhsa_user_sgpr_flat_scratch_init 0
		.amdhsa_user_sgpr_kernarg_preload_length 0
		.amdhsa_user_sgpr_kernarg_preload_offset 0
		.amdhsa_user_sgpr_private_segment_size 0
		.amdhsa_uses_dynamic_stack 0
		.amdhsa_system_sgpr_private_segment_wavefront_offset 0
		.amdhsa_system_sgpr_workgroup_id_x 1
		.amdhsa_system_sgpr_workgroup_id_y 1
		.amdhsa_system_sgpr_workgroup_id_z 1
		.amdhsa_system_sgpr_workgroup_info 0
		.amdhsa_system_vgpr_workitem_id 0
		.amdhsa_next_free_vgpr 49
		.amdhsa_next_free_sgpr 96
		.amdhsa_accum_offset 52
		.amdhsa_reserve_vcc 1
		.amdhsa_reserve_flat_scratch 0
		.amdhsa_float_round_mode_32 0
		.amdhsa_float_round_mode_16_64 0
		.amdhsa_float_denorm_mode_32 3
		.amdhsa_float_denorm_mode_16_64 3
		.amdhsa_dx10_clamp 1
		.amdhsa_ieee_mode 1
		.amdhsa_fp16_overflow 0
		.amdhsa_tg_split 0
		.amdhsa_exception_fp_ieee_invalid_op 0
		.amdhsa_exception_fp_denorm_src 0
		.amdhsa_exception_fp_ieee_div_zero 0
		.amdhsa_exception_fp_ieee_overflow 0
		.amdhsa_exception_fp_ieee_underflow 0
		.amdhsa_exception_fp_ieee_inexact 0
		.amdhsa_exception_int_div_zero 0
	.end_amdhsa_kernel
	.section	.text._ZN2at6native12_GLOBAL__N_114gatherKthValueIhlLin1EEEvNS_4cuda6detail10TensorInfoIKT_T0_EES8_S8_S8_S8_NS5_IS6_S8_EENS5_IlS8_EE,"axG",@progbits,_ZN2at6native12_GLOBAL__N_114gatherKthValueIhlLin1EEEvNS_4cuda6detail10TensorInfoIKT_T0_EES8_S8_S8_S8_NS5_IS6_S8_EENS5_IlS8_EE,comdat
.Lfunc_end7:
	.size	_ZN2at6native12_GLOBAL__N_114gatherKthValueIhlLin1EEEvNS_4cuda6detail10TensorInfoIKT_T0_EES8_S8_S8_S8_NS5_IS6_S8_EENS5_IlS8_EE, .Lfunc_end7-_ZN2at6native12_GLOBAL__N_114gatherKthValueIhlLin1EEEvNS_4cuda6detail10TensorInfoIKT_T0_EES8_S8_S8_S8_NS5_IS6_S8_EENS5_IlS8_EE
                                        ; -- End function
	.section	.AMDGPU.csdata,"",@progbits
; Kernel info:
; codeLenInByte = 18256
; NumSgprs: 100
; NumVgprs: 49
; NumAgprs: 0
; TotalNumVgprs: 49
; ScratchSize: 0
; MemoryBound: 0
; FloatMode: 240
; IeeeMode: 1
; LDSByteSize: 5144 bytes/workgroup (compile time only)
; SGPRBlocks: 12
; VGPRBlocks: 6
; NumSGPRsForWavesPerEU: 100
; NumVGPRsForWavesPerEU: 49
; AccumOffset: 52
; Occupancy: 8
; WaveLimiterHint : 1
; COMPUTE_PGM_RSRC2:SCRATCH_EN: 0
; COMPUTE_PGM_RSRC2:USER_SGPR: 6
; COMPUTE_PGM_RSRC2:TRAP_HANDLER: 0
; COMPUTE_PGM_RSRC2:TGID_X_EN: 1
; COMPUTE_PGM_RSRC2:TGID_Y_EN: 1
; COMPUTE_PGM_RSRC2:TGID_Z_EN: 1
; COMPUTE_PGM_RSRC2:TIDIG_COMP_CNT: 0
; COMPUTE_PGM_RSRC3_GFX90A:ACCUM_OFFSET: 12
; COMPUTE_PGM_RSRC3_GFX90A:TG_SPLIT: 0
	.section	.text._ZN2at6native12_GLOBAL__N_114gatherKthValueIaiLi1EEEvNS_4cuda6detail10TensorInfoIKT_T0_EES8_S8_S8_S8_NS5_IS6_S8_EENS5_IlS8_EE,"axG",@progbits,_ZN2at6native12_GLOBAL__N_114gatherKthValueIaiLi1EEEvNS_4cuda6detail10TensorInfoIKT_T0_EES8_S8_S8_S8_NS5_IS6_S8_EENS5_IlS8_EE,comdat
	.globl	_ZN2at6native12_GLOBAL__N_114gatherKthValueIaiLi1EEEvNS_4cuda6detail10TensorInfoIKT_T0_EES8_S8_S8_S8_NS5_IS6_S8_EENS5_IlS8_EE ; -- Begin function _ZN2at6native12_GLOBAL__N_114gatherKthValueIaiLi1EEEvNS_4cuda6detail10TensorInfoIKT_T0_EES8_S8_S8_S8_NS5_IS6_S8_EENS5_IlS8_EE
	.p2align	8
	.type	_ZN2at6native12_GLOBAL__N_114gatherKthValueIaiLi1EEEvNS_4cuda6detail10TensorInfoIKT_T0_EES8_S8_S8_S8_NS5_IS6_S8_EENS5_IlS8_EE,@function
_ZN2at6native12_GLOBAL__N_114gatherKthValueIaiLi1EEEvNS_4cuda6detail10TensorInfoIKT_T0_EES8_S8_S8_S8_NS5_IS6_S8_EENS5_IlS8_EE: ; @_ZN2at6native12_GLOBAL__N_114gatherKthValueIaiLi1EEEvNS_4cuda6detail10TensorInfoIKT_T0_EES8_S8_S8_S8_NS5_IS6_S8_EENS5_IlS8_EE
; %bb.0:
	s_load_dwordx2 s[12:13], s[4:5], 0x298
	s_load_dwordx4 s[60:63], s[4:5], 0xd8
	s_add_u32 s10, s4, 0x298
	s_addc_u32 s11, s5, 0
	s_waitcnt lgkmcnt(0)
	s_mul_i32 s0, s13, s8
	s_add_i32 s0, s0, s7
	s_mul_i32 s0, s0, s12
	s_add_i32 s7, s0, s6
	s_cmp_ge_i32 s7, s62
	s_cbranch_scc1 .LBB8_247
; %bb.1:
	s_load_dwordx2 s[0:1], s[4:5], 0x1c0
                                        ; implicit-def: $vgpr42 : SGPR spill to VGPR lane
	s_mov_b32 s70, 0
	v_cmp_eq_u32_e64 s[14:15], 0, v0
	s_waitcnt lgkmcnt(0)
	v_writelane_b32 v42, s0, 0
	v_writelane_b32 v42, s1, 1
	s_load_dwordx2 s[0:1], s[4:5], 0xe8
	s_waitcnt lgkmcnt(0)
	v_writelane_b32 v42, s0, 2
	v_writelane_b32 v42, s1, 3
	s_load_dword s0, s[4:5], 0x6c
	s_load_dwordx2 s[2:3], s[4:5], 0x0
	s_mov_b64 s[8:9], exec
	v_writelane_b32 v42, s14, 4
	v_writelane_b32 v42, s15, 5
	s_and_b64 s[14:15], s[8:9], s[14:15]
	s_mov_b64 exec, s[14:15]
	s_cbranch_execz .LBB8_3
; %bb.2:
	v_mov_b32_e32 v2, 0
	v_mov_b32_e32 v3, s60
	;; [unrolled: 1-line block ×3, first 2 shown]
	ds_write_b96 v2, v[2:4] offset:4096
.LBB8_3:
	s_or_b64 exec, exec, s[8:9]
	s_load_dword s1, s[4:5], 0x22c
	s_waitcnt lgkmcnt(0)
	s_barrier
	s_mul_i32 s0, s0, s7
	v_writelane_b32 v42, s1, 6
	s_load_dword s1, s[4:5], 0x154
                                        ; kill: killed $sgpr4 killed $sgpr5
	s_ashr_i32 s4, s0, 31
	s_add_u32 s68, s2, s0
	v_mbcnt_lo_u32_b32 v1, -1, 0
	s_addc_u32 s69, s3, s4
	s_waitcnt lgkmcnt(0)
	v_writelane_b32 v42, s1, 7
	s_load_dword s1, s[10:11], 0xc
	v_mbcnt_hi_u32_b32 v12, -1, v1
	v_cmp_gt_u32_e32 vcc, 64, v0
	v_cmp_gt_i32_e64 s[2:3], 4, v12
	v_writelane_b32 v42, s7, 8
	s_waitcnt lgkmcnt(0)
	s_and_b32 s62, s1, 0xffff
	s_add_i32 s0, s62, -1
	s_lshl_b32 s33, s62, 2
	s_bfe_u32 s7, s1, 0xa0006
	s_and_b64 s[72:73], vcc, s[2:3]
	s_add_i32 s9, s0, s60
	s_cmpk_gt_i32 s60, 0xc00
	v_writelane_b32 v42, s0, 9
	s_cselect_b64 s[0:1], -1, 0
	v_writelane_b32 v42, s0, 10
	s_cmp_gt_u32 s62, 63
	v_writelane_b32 v42, s1, 11
	s_cselect_b64 s[0:1], -1, 0
	v_writelane_b32 v42, s0, 12
	s_cmp_lt_u32 s6, s12
	v_writelane_b32 v42, s1, 13
	s_cselect_b32 s0, 12, 18
	s_add_u32 s0, s10, s0
	s_addc_u32 s1, s11, 0
	v_writelane_b32 v42, s0, 14
	v_writelane_b32 v42, s1, 15
	s_add_i32 s0, s7, -2
	s_lshr_b32 s1, s0, 1
	s_add_i32 s1, s1, 1
	s_cmpk_gt_u32 s62, 0x7f
	s_cselect_b64 s[2:3], -1, 0
	v_writelane_b32 v42, s2, 16
	v_writelane_b32 v42, s3, 17
	v_cmp_gt_u32_e64 s[10:11], s60, v0
	v_lshlrev_b64 v[2:3], v12, -1
	v_writelane_b32 v42, s10, 18
	v_not_b32_e32 v8, v2
	v_cvt_f32_u32_e32 v2, s33
	v_writelane_b32 v42, s11, 19
	v_cmp_gt_i32_e64 s[10:11], s60, v0
	s_and_b32 s6, s7, 0x3fe
	s_and_b32 s8, s1, 7
	v_writelane_b32 v42, s10, 20
	s_cmp_gt_u32 s0, 13
	v_writelane_b32 v42, s11, 21
	s_cselect_b64 s[10:11], -1, 0
	v_writelane_b32 v42, s10, 22
	v_rcp_iflag_f32_e32 v2, v2
	v_writelane_b32 v42, s11, 23
	s_and_b32 s0, s1, -8
	v_writelane_b32 v42, s0, 24
	s_cmp_lg_u32 s8, 0
	v_writelane_b32 v42, s8, 25
	s_cselect_b64 s[0:1], -1, 0
	v_writelane_b32 v42, s0, 26
	v_mul_f32_e32 v2, 0x4f7ffffe, v2
	v_writelane_b32 v42, s1, 27
	v_cvt_u32_f32_e32 v2, v2
	v_writelane_b32 v42, s7, 28
	s_cmp_lg_u32 s6, s7
	v_writelane_b32 v42, s6, 29
	s_cselect_b64 s[0:1], -1, 0
	v_writelane_b32 v42, s0, 30
	v_writelane_b32 v42, s1, 31
	v_readfirstlane_b32 s1, v2
	v_cvt_f32_u32_e32 v2, s62
	s_sub_i32 s0, 0, s33
	s_mul_i32 s0, s0, s1
	s_mul_hi_u32 s0, s1, s0
	s_add_i32 s6, s1, s0
	v_rcp_iflag_f32_e32 v2, v2
	s_mul_hi_u32 s0, s60, s6
	s_mul_i32 s0, s0, s33
	s_sub_i32 s0, s60, s0
	s_sub_i32 s1, s0, s33
	v_mul_f32_e32 v2, 0x4f7ffffe, v2
	s_cmp_ge_u32 s0, s33
	v_cvt_u32_f32_e32 v2, v2
	s_cselect_b32 s0, s1, s0
	s_sub_i32 s1, s0, s33
	s_cmp_ge_u32 s0, s33
	s_cselect_b32 s0, s1, s0
	s_sub_i32 s16, 0, s62
	v_readfirstlane_b32 s17, v2
	s_mul_i32 s16, s16, s17
	s_mul_hi_u32 s16, s17, s16
	s_abs_i32 s8, s9
	s_add_i32 s16, s17, s16
	v_writelane_b32 v42, s16, 32
	s_mul_hi_u32 s16, s8, s16
	s_mul_i32 s16, s16, s62
	s_sub_i32 s8, s8, s16
	s_sub_i32 s7, s60, s0
	s_ashr_i32 s1, s9, 31
	s_sub_i32 s16, s8, s62
	s_cmp_ge_u32 s8, s62
	s_cselect_b32 s8, s16, s8
	s_sub_i32 s16, s8, s62
	s_cmp_ge_u32 s8, s62
	v_lshlrev_b32_e32 v13, 2, v0
	s_cselect_b32 s8, s16, s8
	v_mul_lo_u32 v9, v0, s63
	s_xor_b32 s8, s8, s1
	v_mul_lo_u32 v2, s63, v13
	v_mov_b32_e32 v1, s69
	v_add_co_u32_e32 v6, vcc, s68, v9
	s_sub_i32 s1, s1, s8
	v_add_u32_e32 v17, s63, v2
	v_or_b32_e32 v2, 2, v13
	v_addc_co_u32_e32 v7, vcc, 0, v1, vcc
	v_lshrrev_b32_e32 v1, 4, v0
	v_add_u32_e32 v16, s7, v0
	s_add_i32 s9, s9, s1
	v_mul_lo_u32 v18, s63, v2
	v_or_b32_e32 v2, 3, v13
	s_add_i32 s1, s62, s60
	v_and_b32_e32 v14, 60, v1
	v_not_b32_e32 v1, v3
	v_mul_lo_u32 v3, v16, s63
	v_cmp_gt_i32_e64 s[16:17], s9, v0
	v_mul_lo_u32 v19, s63, v2
	v_add_u32_e32 v2, s1, v0
	v_lshlrev_b32_e32 v4, 2, v12
	v_ashrrev_i32_e32 v5, 31, v3
	v_mov_b32_e32 v11, s69
	v_add_co_u32_e32 v10, vcc, s68, v3
	v_writelane_b32 v42, s16, 33
	s_mul_i32 s80, s63, s62
	v_subrev_u32_e32 v2, s0, v2
	v_cmp_eq_u32_e64 s[2:3], 0, v12
	v_cmp_gt_u32_e64 s[4:5], 2, v0
	v_and_b32_e32 v15, 0x100, v4
	v_cmp_gt_i32_e64 s[10:11], s7, v13
	v_cmp_gt_u32_e64 s[12:13], s60, v16
	v_addc_co_u32_e32 v11, vcc, v11, v5, vcc
	v_cmp_gt_i32_e64 s[14:15], s60, v16
	v_writelane_b32 v42, s17, 34
	s_lshl_b32 s78, s80, 2
	v_lshlrev_b32_e32 v20, 2, v9
	v_mul_lo_u32 v21, s63, v2
	v_or_b32_e32 v22, 0xc00, v4
	s_mov_b32 s16, 6
	s_mov_b64 s[88:89], 0
	v_mov_b32_e32 v23, 0
	s_movk_i32 s79, 0x80
	v_mov_b32_e32 v24, 0xc00
	v_mov_b32_e32 v25, 0
	s_mov_b32 s17, 0
	s_mov_b32 s8, 0
	;; [unrolled: 1-line block ×3, first 2 shown]
                                        ; implicit-def: $sgpr90_sgpr91
                                        ; implicit-def: $sgpr94_sgpr95
                                        ; implicit-def: $sgpr92_sgpr93
                                        ; implicit-def: $sgpr64_sgpr65
                                        ; implicit-def: $sgpr66_sgpr67
                                        ; implicit-def: $sgpr82_sgpr83
	s_branch .LBB8_8
.LBB8_4:                                ;   in Loop: Header=BB8_8 Depth=1
	s_xor_b32 s17, s17, 1
	s_add_i32 s0, s16, -2
	s_cmp_eq_u32 s16, 0
	s_mov_b64 s[22:23], 0
	s_cselect_b64 s[30:31], -1, 0
	s_mov_b32 s16, s0
.LBB8_5:                                ;   in Loop: Header=BB8_8 Depth=1
	s_andn2_b64 s[0:1], s[26:27], exec
	s_and_b64 s[22:23], s[22:23], exec
	s_or_b64 s[26:27], s[0:1], s[22:23]
	s_andn2_b64 s[28:29], s[28:29], exec
	s_andn2_b64 s[24:25], s[24:25], exec
	s_orn2_b64 s[22:23], s[30:31], exec
	s_mov_b32 s61, s39
.LBB8_6:                                ;   in Loop: Header=BB8_8 Depth=1
	s_or_b64 exec, exec, s[18:19]
	s_andn2_b64 s[0:1], s[82:83], exec
	s_and_b64 s[18:19], s[26:27], exec
	s_or_b64 s[82:83], s[0:1], s[18:19]
	s_andn2_b64 s[0:1], s[66:67], exec
	s_and_b64 s[18:19], s[28:29], exec
	s_or_b64 s[66:67], s[0:1], s[18:19]
	;; [unrolled: 3-line block ×3, first 2 shown]
	s_orn2_b64 s[22:23], s[22:23], exec
.LBB8_7:                                ;   in Loop: Header=BB8_8 Depth=1
	s_or_b64 exec, exec, s[20:21]
	s_and_b64 s[0:1], exec, s[22:23]
	s_or_b64 s[88:89], s[0:1], s[88:89]
	s_andn2_b64 s[0:1], s[92:93], exec
	s_and_b64 s[18:19], s[82:83], exec
	s_or_b64 s[92:93], s[0:1], s[18:19]
	s_andn2_b64 s[0:1], s[94:95], exec
	s_and_b64 s[18:19], s[66:67], exec
	;; [unrolled: 3-line block ×3, first 2 shown]
	v_mov_b32_e32 v2, s8
	s_or_b64 s[90:91], s[0:1], s[18:19]
	s_andn2_b64 exec, exec, s[88:89]
	s_cbranch_execz .LBB8_243
.LBB8_8:                                ; =>This Loop Header: Depth=1
                                        ;     Child Loop BB8_13 Depth 2
                                        ;     Child Loop BB8_32 Depth 2
	;; [unrolled: 1-line block ×17, first 2 shown]
	ds_read_b64 v[2:3], v23 offset:4096
	s_waitcnt lgkmcnt(0)
	v_readfirstlane_b32 s71, v2
	s_cmp_gt_i32 s71, 0
	s_cbranch_scc1 .LBB8_39
; %bb.9:                                ;   in Loop: Header=BB8_8 Depth=1
	v_readlane_b32 s0, v42, 10
	v_readlane_b32 s1, v42, 11
	s_and_b64 vcc, exec, s[0:1]
	s_cbranch_vccz .LBB8_21
; %bb.10:                               ;   in Loop: Header=BB8_8 Depth=1
	s_movk_i32 s0, 0xc01
	v_cmp_gt_i32_e32 vcc, s0, v3
	s_mov_b64 s[20:21], 0
	s_mov_b64 s[18:19], 0
	s_cbranch_vccz .LBB8_26
; %bb.11:                               ;   in Loop: Header=BB8_8 Depth=1
	v_readlane_b32 s0, v42, 14
	v_readlane_b32 s1, v42, 15
	s_nop 4
	global_load_ushort v2, v23, s[0:1]
	global_load_ubyte v5, v[6:7], off
	s_mov_b64 s[22:23], 0
	v_mov_b32_e32 v26, v0
	s_waitcnt vmcnt(1)
	v_add_u32_e32 v4, v0, v2
	v_mul_lo_u32 v3, s63, v2
	v_mul_lo_u32 v4, s63, v4
	s_branch .LBB8_13
.LBB8_12:                               ;   in Loop: Header=BB8_13 Depth=2
	s_or_b64 exec, exec, s[18:19]
	v_cmp_le_i32_e32 vcc, s60, v26
	v_add_u32_e32 v4, v4, v3
	s_or_b64 s[22:23], vcc, s[22:23]
	v_mov_b32_e32 v5, v27
	s_andn2_b64 exec, exec, s[22:23]
	s_cbranch_execz .LBB8_22
.LBB8_13:                               ;   Parent Loop BB8_8 Depth=1
                                        ; =>  This Inner Loop Header: Depth=2
	v_add_u32_e32 v26, v26, v2
	v_cmp_gt_u32_e32 vcc, s60, v26
	s_waitcnt lgkmcnt(0)
	v_mov_b32_e32 v28, 0
	v_mov_b32_e32 v27, 0
	s_and_saveexec_b64 s[18:19], vcc
	s_cbranch_execz .LBB8_15
; %bb.14:                               ;   in Loop: Header=BB8_13 Depth=2
	global_load_ubyte v27, v4, s[68:69]
.LBB8_15:                               ;   in Loop: Header=BB8_13 Depth=2
	s_or_b64 exec, exec, s[18:19]
	s_waitcnt vmcnt(0)
	v_add_u32_sdwa v29, sext(v5), s79 dst_sel:DWORD dst_unused:UNUSED_PAD src0_sel:BYTE_0 src1_sel:DWORD
	v_and_b32_e32 v29, s81, v29
	v_cmp_eq_u32_e32 vcc, s8, v29
	s_cmp_lg_u64 vcc, 0
	s_cselect_b64 s[0:1], -1, 0
	s_and_b64 s[0:1], s[2:3], s[0:1]
	s_and_saveexec_b64 s[24:25], s[0:1]
	s_cbranch_execz .LBB8_19
; %bb.16:                               ;   in Loop: Header=BB8_13 Depth=2
	s_mov_b64 s[28:29], exec
	v_mbcnt_lo_u32_b32 v28, s28, 0
	v_mbcnt_hi_u32_b32 v28, s29, v28
	s_bcnt1_i32_b64 s0, vcc
	v_cmp_eq_u32_e64 s[18:19], 0, v28
                                        ; implicit-def: $vgpr29
	s_and_saveexec_b64 s[26:27], s[18:19]
	s_cbranch_execz .LBB8_18
; %bb.17:                               ;   in Loop: Header=BB8_13 Depth=2
	s_bcnt1_i32_b64 s1, s[28:29]
	s_mul_i32 s1, s0, s1
	v_mov_b32_e32 v29, s1
	ds_add_rtn_u32 v29, v23, v29 offset:4104
.LBB8_18:                               ;   in Loop: Header=BB8_13 Depth=2
	s_or_b64 exec, exec, s[26:27]
	s_waitcnt lgkmcnt(0)
	v_readfirstlane_b32 s1, v29
	v_mov_b32_e32 v29, s1
	v_mad_u32_u24 v28, s0, v28, v29
.LBB8_19:                               ;   in Loop: Header=BB8_13 Depth=2
	s_or_b64 exec, exec, s[24:25]
	ds_bpermute_b32 v28, v15, v28
	s_and_saveexec_b64 s[18:19], vcc
	s_cbranch_execz .LBB8_12
; %bb.20:                               ;   in Loop: Header=BB8_13 Depth=2
	v_and_b32_e32 v30, vcc_lo, v8
	v_and_b32_e32 v29, vcc_hi, v1
	v_bcnt_u32_b32 v30, v30, 0
	v_bcnt_u32_b32 v29, v29, v30
	s_waitcnt lgkmcnt(0)
	v_add_u32_e32 v28, v28, v29
	ds_write_b8 v28, v5
	s_branch .LBB8_12
.LBB8_21:                               ;   in Loop: Header=BB8_8 Depth=1
	s_mov_b64 s[20:21], -1
	s_mov_b64 s[18:19], 0
	s_branch .LBB8_25
.LBB8_22:                               ;   in Loop: Header=BB8_8 Depth=1
	s_or_b64 exec, exec, s[22:23]
	s_waitcnt lgkmcnt(0)
	s_barrier
	s_mov_b64 s[18:19], exec
	v_readlane_b32 s0, v42, 4
	v_readlane_b32 s1, v42, 5
	s_and_b64 s[0:1], s[18:19], s[0:1]
	s_mov_b64 exec, s[0:1]
	s_cbranch_execz .LBB8_24
; %bb.23:                               ;   in Loop: Header=BB8_8 Depth=1
	ds_read_b32 v2, v23 offset:4104
	s_waitcnt lgkmcnt(0)
	ds_write_b32 v23, v2 offset:4096
.LBB8_24:                               ;   in Loop: Header=BB8_8 Depth=1
	s_or_b64 exec, exec, s[18:19]
	s_waitcnt lgkmcnt(0)
	s_barrier
	s_mov_b64 s[18:19], -1
.LBB8_25:                               ;   in Loop: Header=BB8_8 Depth=1
                                        ; implicit-def: $sgpr71
.LBB8_26:                               ;   in Loop: Header=BB8_8 Depth=1
	s_and_b64 vcc, exec, s[20:21]
	s_cbranch_vccz .LBB8_37
; %bb.27:                               ;   in Loop: Header=BB8_8 Depth=1
	v_mov_b32_e32 v2, 0
	s_mov_b64 s[18:19], exec
	v_readlane_b32 s0, v42, 18
	v_readlane_b32 s1, v42, 19
	s_and_b64 s[0:1], s[18:19], s[0:1]
	s_mov_b64 exec, s[0:1]
	s_cbranch_execz .LBB8_29
; %bb.28:                               ;   in Loop: Header=BB8_8 Depth=1
	global_load_ubyte v2, v[6:7], off
.LBB8_29:                               ;   in Loop: Header=BB8_8 Depth=1
	s_or_b64 exec, exec, s[18:19]
	s_mov_b64 s[18:19], exec
	v_readlane_b32 s0, v42, 20
	v_readlane_b32 s1, v42, 21
	s_and_b64 s[0:1], s[18:19], s[0:1]
	s_mov_b64 exec, s[0:1]
	s_cbranch_execz .LBB8_34
; %bb.30:                               ;   in Loop: Header=BB8_8 Depth=1
	v_readlane_b32 s0, v42, 14
	v_readlane_b32 s1, v42, 15
	s_mov_b64 s[20:21], 0
	v_mov_b32_e32 v26, v0
	s_nop 2
	global_load_ushort v3, v23, s[0:1]
	s_waitcnt vmcnt(0)
	v_add_u32_e32 v5, v0, v3
	v_mul_lo_u32 v4, s63, v3
	v_mul_lo_u32 v5, s63, v5
	s_branch .LBB8_32
.LBB8_31:                               ;   in Loop: Header=BB8_32 Depth=2
	s_or_b64 exec, exec, s[22:23]
	v_cmp_le_i32_e32 vcc, s60, v27
	ds_write_b8 v26, v2
	v_add_u32_e32 v5, v5, v4
	s_or_b64 s[20:21], vcc, s[20:21]
	s_waitcnt vmcnt(0)
	v_mov_b32_e32 v2, v28
	v_mov_b32_e32 v26, v27
	s_andn2_b64 exec, exec, s[20:21]
	s_cbranch_execz .LBB8_34
.LBB8_32:                               ;   Parent Loop BB8_8 Depth=1
                                        ; =>  This Inner Loop Header: Depth=2
	v_add_u32_e32 v27, v26, v3
	v_cmp_gt_u32_e32 vcc, s60, v27
	v_mov_b32_e32 v28, 0
	s_and_saveexec_b64 s[22:23], vcc
	s_cbranch_execz .LBB8_31
; %bb.33:                               ;   in Loop: Header=BB8_32 Depth=2
	global_load_ubyte v28, v5, s[68:69]
	s_branch .LBB8_31
.LBB8_34:                               ;   in Loop: Header=BB8_8 Depth=1
	s_or_b64 exec, exec, s[18:19]
	s_waitcnt lgkmcnt(0)
	s_barrier
	s_mov_b64 s[18:19], exec
	v_readlane_b32 s0, v42, 4
	v_readlane_b32 s1, v42, 5
	s_and_b64 s[0:1], s[18:19], s[0:1]
	s_mov_b64 exec, s[0:1]
	s_cbranch_execz .LBB8_36
; %bb.35:                               ;   in Loop: Header=BB8_8 Depth=1
	s_waitcnt vmcnt(0)
	v_mov_b32_e32 v2, s60
	ds_write_b32 v23, v2 offset:4096
.LBB8_36:                               ;   in Loop: Header=BB8_8 Depth=1
	s_or_b64 exec, exec, s[18:19]
	s_mov_b64 s[18:19], -1
	s_waitcnt lgkmcnt(0)
	s_barrier
                                        ; implicit-def: $sgpr71
.LBB8_37:                               ;   in Loop: Header=BB8_8 Depth=1
	s_and_b64 vcc, exec, s[18:19]
	s_cbranch_vccz .LBB8_39
; %bb.38:                               ;   in Loop: Header=BB8_8 Depth=1
	s_waitcnt vmcnt(0)
	ds_read_b32 v2, v23 offset:4096
	s_waitcnt lgkmcnt(0)
	v_readfirstlane_b32 s71, v2
.LBB8_39:                               ;   in Loop: Header=BB8_8 Depth=1
	s_cmp_lt_i32 s71, 1
	s_cbranch_scc0 .LBB8_43
; %bb.40:                               ;   in Loop: Header=BB8_8 Depth=1
	s_waitcnt vmcnt(0)
	v_mov_b32_e32 v2, 0
	s_mov_b32 s0, 0
	v_mov_b32_e32 v3, 0
	v_mov_b32_e32 v4, v2
	v_mov_b32_e32 v5, 0
	s_and_saveexec_b64 s[84:85], s[10:11]
	s_cbranch_execnz .LBB8_44
; %bb.41:                               ;   in Loop: Header=BB8_8 Depth=1
	s_or_b64 exec, exec, s[84:85]
	v_mov_b32_e32 v28, 0
	s_and_saveexec_b64 s[18:19], s[12:13]
	s_cbranch_execnz .LBB8_47
.LBB8_42:                               ;   in Loop: Header=BB8_8 Depth=1
	s_or_b64 exec, exec, s[18:19]
	s_and_saveexec_b64 s[20:21], s[14:15]
	s_cbranch_execnz .LBB8_48
	s_branch .LBB8_53
.LBB8_43:                               ;   in Loop: Header=BB8_8 Depth=1
                                        ; implicit-def: $vgpr5
	s_cbranch_execnz .LBB8_54
	s_branch .LBB8_63
.LBB8_44:                               ;   in Loop: Header=BB8_8 Depth=1
	s_and_b32 s1, s16, 0xfe
	s_mov_b64 s[86:87], 0
	s_mov_b32 s74, 0
	s_mov_b32 s75, 0
	;; [unrolled: 1-line block ×4, first 2 shown]
	v_mov_b32_e32 v26, v13
.LBB8_45:                               ;   Parent Loop BB8_8 Depth=1
                                        ; =>  This Inner Loop Header: Depth=2
	v_add_u32_e32 v3, s0, v20
	v_add_u32_e32 v2, s0, v17
	v_mov_b32_e32 v27, s69
	v_add_u32_e32 v4, s0, v18
	v_add_u32_e32 v5, s0, v19
	v_ashrrev_i32_e32 v29, 31, v3
	v_ashrrev_i32_e32 v32, 31, v2
	v_add_co_u32_e64 v2, s[18:19], s68, v2
	v_add_co_u32_e64 v30, s[24:25], s68, v3
	v_ashrrev_i32_e32 v33, 31, v4
	v_add_co_u32_e64 v4, s[20:21], s68, v4
	v_ashrrev_i32_e32 v34, 31, v5
	v_add_co_u32_e64 v28, s[22:23], s68, v5
	v_addc_co_u32_e64 v31, s[24:25], v27, v29, s[24:25]
	v_addc_co_u32_e64 v3, s[18:19], v27, v32, s[18:19]
	;; [unrolled: 1-line block ×4, first 2 shown]
	global_load_sbyte v27, v[30:31], off
	s_nop 0
	global_load_sbyte v2, v[2:3], off
	s_nop 0
	;; [unrolled: 2-line block ×3, first 2 shown]
	global_load_sbyte v4, v[28:29], off
	v_add_u32_e32 v26, s33, v26
	s_add_i32 s0, s0, s78
	v_cmp_le_i32_e32 vcc, s7, v26
	s_waitcnt vmcnt(3)
	v_add_u32_e32 v5, 0x80, v27
	s_waitcnt vmcnt(2)
	v_add_u32_e32 v2, 0x80, v2
	v_and_b32_e32 v27, s81, v5
	v_bfe_u32 v5, v5, s1, 2
	s_waitcnt vmcnt(1)
	v_add_u32_e32 v3, 0x80, v3
	v_and_b32_e32 v28, s81, v2
	v_bfe_u32 v2, v2, s1, 2
	v_cmp_eq_u32_e64 s[18:19], s8, v27
	v_cmp_eq_u32_e64 s[26:27], 0, v5
	s_waitcnt vmcnt(0)
	v_add_u32_e32 v4, 0x80, v4
	v_and_b32_e32 v29, s81, v3
	v_bfe_u32 v3, v3, s1, 2
	v_cmp_eq_u32_e64 s[20:21], s8, v28
	v_cmp_eq_u32_e64 s[28:29], 0, v2
	s_and_b64 s[26:27], s[18:19], s[26:27]
	v_and_b32_e32 v30, s81, v4
	v_bfe_u32 v4, v4, s1, 2
	v_cmp_eq_u32_e64 s[22:23], s8, v29
	v_cmp_eq_u32_e64 s[30:31], 0, v3
	;; [unrolled: 1-line block ×5, first 2 shown]
	v_cndmask_b32_e64 v2, 0, 1, s[26:27]
	s_and_b64 s[26:27], s[20:21], s[28:29]
	v_cmp_eq_u32_e64 s[24:25], s8, v30
	v_cmp_eq_u32_e64 s[34:35], 0, v4
	;; [unrolled: 1-line block ×5, first 2 shown]
	v_cndmask_b32_e64 v3, 0, 1, s[26:27]
	s_and_b64 s[26:27], s[22:23], s[30:31]
	v_cmp_eq_u32_e64 s[36:37], 1, v5
	v_cmp_eq_u32_e64 s[42:43], 1, v4
	;; [unrolled: 1-line block ×4, first 2 shown]
	v_cndmask_b32_e64 v4, 0, 1, s[26:27]
	s_and_b64 s[26:27], s[24:25], s[34:35]
	v_cmp_eq_u32_e64 s[44:45], 2, v5
	v_cmp_eq_u32_e64 s[52:53], 3, v5
	v_cndmask_b32_e64 v5, 0, 1, s[26:27]
	s_and_b64 s[26:27], s[18:19], s[36:37]
	v_cndmask_b32_e64 v27, 0, 1, s[26:27]
	s_and_b64 s[26:27], s[20:21], s[38:39]
	;; [unrolled: 2-line block ×5, first 2 shown]
	s_and_b64 s[18:19], s[18:19], s[52:53]
	v_cndmask_b32_e64 v31, 0, 1, s[26:27]
	s_and_b64 s[26:27], s[20:21], s[46:47]
	v_cndmask_b32_e64 v35, 0, 1, s[18:19]
	s_and_b64 s[18:19], s[20:21], s[54:55]
	v_cndmask_b32_e64 v32, 0, 1, s[26:27]
	s_and_b64 s[26:27], s[22:23], s[48:49]
	v_cndmask_b32_e64 v36, 0, 1, s[18:19]
	s_and_b64 s[18:19], s[22:23], s[56:57]
	v_cndmask_b32_e64 v33, 0, 1, s[26:27]
	s_and_b64 s[26:27], s[24:25], s[50:51]
	v_cndmask_b32_e64 v37, 0, 1, s[18:19]
	s_and_b64 s[18:19], s[24:25], s[58:59]
	v_cndmask_b32_e64 v34, 0, 1, s[26:27]
	v_cndmask_b32_e64 v38, 0, 1, s[18:19]
	v_cmp_ne_u32_e64 s[18:19], 0, v2
	v_cmp_ne_u32_e64 s[20:21], 0, v3
	;; [unrolled: 1-line block ×11, first 2 shown]
	s_bcnt1_i32_b64 s18, s[18:19]
	s_bcnt1_i32_b64 s19, s[20:21]
	;; [unrolled: 1-line block ×8, first 2 shown]
	v_cmp_ne_u32_e64 s[34:35], 0, v30
	v_cmp_ne_u32_e64 s[40:41], 0, v33
	;; [unrolled: 1-line block ×3, first 2 shown]
	s_bcnt1_i32_b64 s23, s[28:29]
	s_bcnt1_i32_b64 s27, s[38:39]
	;; [unrolled: 1-line block ×3, first 2 shown]
	s_add_i32 s18, s77, s18
	s_add_i32 s22, s76, s22
	;; [unrolled: 1-line block ×4, first 2 shown]
	v_cmp_ne_u32_e64 s[42:43], 0, v34
	v_cmp_ne_u32_e64 s[50:51], 0, v38
	s_bcnt1_i32_b64 s25, s[34:35]
	s_bcnt1_i32_b64 s28, s[40:41]
	;; [unrolled: 1-line block ×3, first 2 shown]
	s_add_i32 s18, s18, s19
	s_add_i32 s19, s22, s23
	;; [unrolled: 1-line block ×4, first 2 shown]
	s_bcnt1_i32_b64 s29, s[42:43]
	s_bcnt1_i32_b64 s35, s[50:51]
	s_add_i32 s18, s18, s20
	s_add_i32 s19, s19, s24
	;; [unrolled: 1-line block ×8, first 2 shown]
	s_or_b64 s[86:87], vcc, s[86:87]
	v_mov_b32_e32 v2, s77
	v_mov_b32_e32 v3, s76
	;; [unrolled: 1-line block ×4, first 2 shown]
	s_andn2_b64 exec, exec, s[86:87]
	s_cbranch_execnz .LBB8_45
; %bb.46:                               ;   in Loop: Header=BB8_8 Depth=1
	s_or_b64 exec, exec, s[86:87]
	s_or_b64 exec, exec, s[84:85]
	v_mov_b32_e32 v28, 0
	s_and_saveexec_b64 s[18:19], s[12:13]
	s_cbranch_execz .LBB8_42
.LBB8_47:                               ;   in Loop: Header=BB8_8 Depth=1
	global_load_ubyte v28, v[10:11], off
	s_or_b64 exec, exec, s[18:19]
	s_and_saveexec_b64 s[20:21], s[14:15]
	s_cbranch_execz .LBB8_53
.LBB8_48:                               ;   in Loop: Header=BB8_8 Depth=1
	s_and_b32 s0, s16, 0xfe
	s_mov_b64 s[22:23], 0
	v_mov_b32_e32 v26, v21
	v_mov_b32_e32 v27, v16
	s_branch .LBB8_50
.LBB8_49:                               ;   in Loop: Header=BB8_50 Depth=2
	s_or_b64 exec, exec, s[18:19]
	s_waitcnt vmcnt(0)
	v_add_u32_sdwa v28, sext(v28), s79 dst_sel:DWORD dst_unused:UNUSED_PAD src0_sel:BYTE_0 src1_sel:DWORD
	v_and_b32_e32 v30, s81, v28
	v_bfe_u32 v28, v28, s0, 2
	v_cmp_eq_u32_e32 vcc, s8, v30
	v_cmp_eq_u32_e64 s[18:19], 0, v28
	s_and_b64 s[18:19], vcc, s[18:19]
	v_cndmask_b32_e64 v30, 0, 1, s[18:19]
	v_cmp_ne_u32_e64 s[18:19], 0, v30
	s_bcnt1_i32_b64 s1, s[18:19]
	v_cmp_eq_u32_e64 s[18:19], 1, v28
	s_and_b64 s[18:19], vcc, s[18:19]
	v_cndmask_b32_e64 v30, 0, 1, s[18:19]
	v_cmp_ne_u32_e64 s[18:19], 0, v30
	v_add_u32_e32 v2, s1, v2
	s_bcnt1_i32_b64 s1, s[18:19]
	v_cmp_eq_u32_e64 s[18:19], 2, v28
	s_and_b64 s[18:19], vcc, s[18:19]
	v_cndmask_b32_e64 v30, 0, 1, s[18:19]
	v_cmp_ne_u32_e64 s[18:19], 0, v30
	v_add_u32_e32 v3, s1, v3
	s_bcnt1_i32_b64 s1, s[18:19]
	v_cmp_eq_u32_e64 s[18:19], 3, v28
	s_and_b64 s[18:19], vcc, s[18:19]
	v_cndmask_b32_e64 v28, 0, 1, s[18:19]
	v_cmp_ne_u32_e32 vcc, 0, v28
	v_add_u32_e32 v4, s1, v4
	s_bcnt1_i32_b64 s1, vcc
	v_cmp_le_i32_e32 vcc, s60, v27
	v_add_u32_e32 v5, s1, v5
	v_add_u32_e32 v26, s80, v26
	s_or_b64 s[22:23], vcc, s[22:23]
	v_mov_b32_e32 v28, v29
	s_andn2_b64 exec, exec, s[22:23]
	s_cbranch_execz .LBB8_52
.LBB8_50:                               ;   Parent Loop BB8_8 Depth=1
                                        ; =>  This Inner Loop Header: Depth=2
	v_add_u32_e32 v27, s62, v27
	v_cmp_gt_u32_e32 vcc, s60, v27
	v_mov_b32_e32 v29, 0
	s_and_saveexec_b64 s[18:19], vcc
	s_cbranch_execz .LBB8_49
; %bb.51:                               ;   in Loop: Header=BB8_50 Depth=2
	v_ashrrev_i32_e32 v29, 31, v26
	v_mov_b32_e32 v31, s69
	v_add_co_u32_e32 v30, vcc, s68, v26
	v_addc_co_u32_e32 v31, vcc, v31, v29, vcc
	global_load_ubyte v29, v[30:31], off
	s_branch .LBB8_49
.LBB8_52:                               ;   in Loop: Header=BB8_8 Depth=1
	s_or_b64 exec, exec, s[22:23]
.LBB8_53:                               ;   in Loop: Header=BB8_8 Depth=1
	s_or_b64 exec, exec, s[20:21]
	s_branch .LBB8_63
.LBB8_54:                               ;   in Loop: Header=BB8_8 Depth=1
	s_mul_hi_u32 s0, s71, s6
	s_mul_i32 s0, s0, s33
	s_sub_i32 s0, s71, s0
	s_sub_i32 s1, s0, s33
	s_cmp_ge_u32 s0, s33
	s_cselect_b32 s0, s1, s0
	s_sub_i32 s1, s0, s33
	s_cmp_ge_u32 s0, s33
	s_cselect_b32 s0, s1, s0
	s_sub_i32 s0, s71, s0
	v_cmp_gt_u32_e32 vcc, s0, v13
	s_mov_b32 s74, 0
	s_waitcnt vmcnt(0)
	v_mov_b32_e32 v2, 0
	v_mov_b32_e32 v3, 0
	;; [unrolled: 1-line block ×4, first 2 shown]
	s_and_saveexec_b64 s[84:85], vcc
	s_cbranch_execz .LBB8_58
; %bb.55:                               ;   in Loop: Header=BB8_8 Depth=1
	s_and_b32 s1, s16, 0xfe
	s_mov_b64 s[86:87], 0
	s_mov_b32 s75, 0
	s_mov_b32 s76, 0
	;; [unrolled: 1-line block ×3, first 2 shown]
	v_mov_b32_e32 v26, v13
.LBB8_56:                               ;   Parent Loop BB8_8 Depth=1
                                        ; =>  This Inner Loop Header: Depth=2
	ds_read_b32 v2, v26
	v_add_u32_e32 v26, s33, v26
	v_cmp_le_i32_e32 vcc, s0, v26
	s_waitcnt lgkmcnt(0)
	v_add_u32_sdwa v3, sext(v2), s79 dst_sel:DWORD dst_unused:UNUSED_PAD src0_sel:BYTE_0 src1_sel:DWORD
	v_add_u32_sdwa v4, sext(v2), s79 dst_sel:DWORD dst_unused:UNUSED_PAD src0_sel:BYTE_1 src1_sel:DWORD
	v_and_b32_e32 v27, s81, v3
	v_bfe_u32 v3, v3, s1, 2
	v_add_u32_sdwa v5, sext(v2), s79 dst_sel:DWORD dst_unused:UNUSED_PAD src0_sel:BYTE_2 src1_sel:DWORD
	v_add_u32_sdwa v2, sext(v2), s79 dst_sel:DWORD dst_unused:UNUSED_PAD src0_sel:BYTE_3 src1_sel:DWORD
	v_and_b32_e32 v28, s81, v4
	v_bfe_u32 v4, v4, s1, 2
	v_cmp_eq_u32_e64 s[18:19], s8, v27
	v_cmp_eq_u32_e64 s[26:27], 0, v3
	v_and_b32_e32 v29, s81, v5
	v_and_b32_e32 v30, s81, v2
	v_bfe_u32 v5, v5, s1, 2
	v_bfe_u32 v2, v2, s1, 2
	v_cmp_eq_u32_e64 s[20:21], s8, v28
	v_cmp_eq_u32_e64 s[28:29], 0, v4
	s_and_b64 s[26:27], s[18:19], s[26:27]
	v_cmp_eq_u32_e64 s[22:23], s8, v29
	v_cmp_eq_u32_e64 s[30:31], 0, v5
	;; [unrolled: 1-line block ×6, first 2 shown]
	v_cndmask_b32_e64 v2, 0, 1, s[26:27]
	s_and_b64 s[26:27], s[20:21], s[28:29]
	v_cmp_eq_u32_e64 s[24:25], s8, v30
	v_cmp_eq_u32_e64 s[36:37], 1, v3
	;; [unrolled: 1-line block ×4, first 2 shown]
	v_cndmask_b32_e64 v3, 0, 1, s[26:27]
	s_and_b64 s[26:27], s[22:23], s[30:31]
	v_cmp_eq_u32_e64 s[38:39], 1, v4
	v_cmp_eq_u32_e64 s[46:47], 2, v4
	;; [unrolled: 1-line block ×3, first 2 shown]
	v_cndmask_b32_e64 v4, 0, 1, s[26:27]
	s_and_b64 s[26:27], s[24:25], s[34:35]
	v_cmp_eq_u32_e64 s[40:41], 1, v5
	v_cmp_eq_u32_e64 s[48:49], 2, v5
	;; [unrolled: 1-line block ×3, first 2 shown]
	v_cndmask_b32_e64 v5, 0, 1, s[26:27]
	s_and_b64 s[26:27], s[18:19], s[36:37]
	v_cndmask_b32_e64 v27, 0, 1, s[26:27]
	s_and_b64 s[26:27], s[20:21], s[38:39]
	;; [unrolled: 2-line block ×5, first 2 shown]
	s_and_b64 s[18:19], s[18:19], s[52:53]
	v_cndmask_b32_e64 v31, 0, 1, s[26:27]
	s_and_b64 s[26:27], s[20:21], s[46:47]
	v_cndmask_b32_e64 v35, 0, 1, s[18:19]
	;; [unrolled: 2-line block ×7, first 2 shown]
	v_cndmask_b32_e64 v38, 0, 1, s[18:19]
	v_cmp_ne_u32_e64 s[18:19], 0, v2
	v_cmp_ne_u32_e64 s[20:21], 0, v3
	;; [unrolled: 1-line block ×11, first 2 shown]
	s_bcnt1_i32_b64 s18, s[18:19]
	s_bcnt1_i32_b64 s19, s[20:21]
	;; [unrolled: 1-line block ×8, first 2 shown]
	v_cmp_ne_u32_e64 s[34:35], 0, v30
	v_cmp_ne_u32_e64 s[40:41], 0, v33
	;; [unrolled: 1-line block ×3, first 2 shown]
	s_bcnt1_i32_b64 s23, s[28:29]
	s_bcnt1_i32_b64 s27, s[38:39]
	;; [unrolled: 1-line block ×3, first 2 shown]
	s_add_i32 s18, s77, s18
	s_add_i32 s22, s76, s22
	;; [unrolled: 1-line block ×4, first 2 shown]
	v_cmp_ne_u32_e64 s[42:43], 0, v34
	v_cmp_ne_u32_e64 s[50:51], 0, v38
	s_bcnt1_i32_b64 s25, s[34:35]
	s_bcnt1_i32_b64 s28, s[40:41]
	;; [unrolled: 1-line block ×3, first 2 shown]
	s_add_i32 s18, s18, s19
	s_add_i32 s19, s22, s23
	;; [unrolled: 1-line block ×4, first 2 shown]
	s_bcnt1_i32_b64 s29, s[42:43]
	s_bcnt1_i32_b64 s35, s[50:51]
	s_add_i32 s18, s18, s20
	s_add_i32 s19, s19, s24
	;; [unrolled: 1-line block ×8, first 2 shown]
	s_or_b64 s[86:87], vcc, s[86:87]
	v_mov_b32_e32 v2, s77
	v_mov_b32_e32 v3, s76
	;; [unrolled: 1-line block ×4, first 2 shown]
	s_andn2_b64 exec, exec, s[86:87]
	s_cbranch_execnz .LBB8_56
; %bb.57:                               ;   in Loop: Header=BB8_8 Depth=1
	s_or_b64 exec, exec, s[86:87]
.LBB8_58:                               ;   in Loop: Header=BB8_8 Depth=1
	s_or_b64 exec, exec, s[84:85]
	v_add_u32_e32 v26, s0, v0
	v_cmp_gt_i32_e32 vcc, s71, v26
	s_and_saveexec_b64 s[28:29], vcc
	s_cbranch_execz .LBB8_62
; %bb.59:                               ;   in Loop: Header=BB8_8 Depth=1
	s_and_b32 s0, s16, 0xfe
	s_mov_b64 s[30:31], 0
.LBB8_60:                               ;   Parent Loop BB8_8 Depth=1
                                        ; =>  This Inner Loop Header: Depth=2
	ds_read_i8 v27, v26
	v_add_u32_e32 v26, s62, v26
	v_cmp_le_i32_e32 vcc, s71, v26
	s_waitcnt lgkmcnt(0)
	v_add_u32_e32 v27, 0x80, v27
	v_and_b32_e32 v28, s81, v27
	v_bfe_u32 v27, v27, s0, 2
	v_cmp_eq_u32_e64 s[18:19], s8, v28
	v_cmp_eq_u32_e64 s[20:21], 0, v27
	;; [unrolled: 1-line block ×3, first 2 shown]
	s_and_b64 s[20:21], s[18:19], s[20:21]
	v_cmp_eq_u32_e64 s[24:25], 2, v27
	v_cmp_eq_u32_e64 s[26:27], 3, v27
	v_cndmask_b32_e64 v27, 0, 1, s[20:21]
	s_and_b64 s[20:21], s[18:19], s[22:23]
	v_cndmask_b32_e64 v28, 0, 1, s[20:21]
	s_and_b64 s[20:21], s[18:19], s[24:25]
	s_and_b64 s[18:19], s[18:19], s[26:27]
	v_cndmask_b32_e64 v29, 0, 1, s[20:21]
	v_cndmask_b32_e64 v30, 0, 1, s[18:19]
	v_cmp_ne_u32_e64 s[18:19], 0, v27
	v_cmp_ne_u32_e64 s[20:21], 0, v28
	;; [unrolled: 1-line block ×4, first 2 shown]
	s_bcnt1_i32_b64 s1, s[18:19]
	s_bcnt1_i32_b64 s18, s[20:21]
	;; [unrolled: 1-line block ×4, first 2 shown]
	v_add_u32_e32 v2, s1, v2
	v_add_u32_e32 v3, s18, v3
	;; [unrolled: 1-line block ×3, first 2 shown]
	s_or_b64 s[30:31], vcc, s[30:31]
	v_add_u32_e32 v5, s20, v5
	s_andn2_b64 exec, exec, s[30:31]
	s_cbranch_execnz .LBB8_60
; %bb.61:                               ;   in Loop: Header=BB8_8 Depth=1
	s_or_b64 exec, exec, s[30:31]
.LBB8_62:                               ;   in Loop: Header=BB8_8 Depth=1
	s_or_b64 exec, exec, s[28:29]
.LBB8_63:                               ;   in Loop: Header=BB8_8 Depth=1
	s_lshl_b32 s0, s17, 6
	s_and_saveexec_b64 s[18:19], s[2:3]
	s_cbranch_execz .LBB8_65
; %bb.64:                               ;   in Loop: Header=BB8_8 Depth=1
	v_or_b32_e32 v26, s0, v14
	v_lshlrev_b32_e32 v26, 2, v26
	s_waitcnt vmcnt(0)
	ds_write_b128 v26, v[2:5] offset:3072
.LBB8_65:                               ;   in Loop: Header=BB8_8 Depth=1
	s_or_b64 exec, exec, s[18:19]
	s_waitcnt lgkmcnt(0)
	s_barrier
	s_and_saveexec_b64 s[18:19], s[72:73]
	s_cbranch_execz .LBB8_79
; %bb.66:                               ;   in Loop: Header=BB8_8 Depth=1
	v_readlane_b32 s20, v42, 12
	v_readlane_b32 s21, v42, 13
	v_add_u32_e32 v4, s0, v12
	s_andn2_b64 vcc, exec, s[20:21]
	s_waitcnt vmcnt(0)
	v_mov_b32_e32 v2, 0
	s_cbranch_vccnz .LBB8_78
; %bb.67:                               ;   in Loop: Header=BB8_8 Depth=1
	v_readlane_b32 s20, v42, 16
	v_readlane_b32 s21, v42, 17
	s_mov_b32 s1, 0
	s_and_b64 vcc, exec, s[20:21]
	v_mov_b32_e32 v2, 0
	s_cbranch_vccz .LBB8_71
; %bb.68:                               ;   in Loop: Header=BB8_8 Depth=1
	v_readlane_b32 s20, v42, 22
	v_readlane_b32 s21, v42, 23
	v_lshl_add_u32 v5, v4, 2, v24
	s_andn2_b64 vcc, exec, s[20:21]
	s_cbranch_vccnz .LBB8_72
; %bb.69:                               ;   in Loop: Header=BB8_8 Depth=1
	s_mov_b32 s21, 1
	s_mov_b32 s20, 0
	v_mov_b32_e32 v2, 0
	v_readlane_b32 s1, v42, 24
	v_mov_b32_e32 v3, 0
.LBB8_70:                               ;   Parent Loop BB8_8 Depth=1
                                        ; =>  This Inner Loop Header: Depth=2
	v_lshl_add_u32 v38, s20, 4, v5
	v_lshl_add_u32 v40, s21, 4, v5
	ds_read2_b32 v[26:27], v38 offset1:8
	ds_read2_b32 v[28:29], v40 offset1:8
	ds_read2_b32 v[30:31], v38 offset0:16 offset1:24
	ds_read2_b32 v[32:33], v40 offset0:16 offset1:24
	;; [unrolled: 1-line block ×6, first 2 shown]
	s_waitcnt lgkmcnt(7)
	v_add3_u32 v2, v26, v2, v27
	s_waitcnt lgkmcnt(6)
	v_add3_u32 v3, v28, v3, v29
	;; [unrolled: 2-line block ×3, first 2 shown]
	v_add3_u32 v2, v30, v2, v31
	s_add_i32 s21, s21, 16
	s_add_i32 s20, s20, 16
	s_add_i32 s1, s1, -8
	s_waitcnt lgkmcnt(3)
	v_add3_u32 v2, v34, v2, v35
	s_waitcnt lgkmcnt(2)
	v_add3_u32 v3, v36, v3, v37
	s_cmp_lg_u32 s1, 0
	s_waitcnt lgkmcnt(0)
	v_add3_u32 v3, v40, v3, v41
	v_add3_u32 v2, v38, v2, v39
	s_cbranch_scc1 .LBB8_70
	s_branch .LBB8_73
.LBB8_71:                               ;   in Loop: Header=BB8_8 Depth=1
	s_cbranch_execnz .LBB8_76
	s_branch .LBB8_78
.LBB8_72:                               ;   in Loop: Header=BB8_8 Depth=1
	s_mov_b32 s71, s70
	v_pk_mov_b32 v[2:3], s[70:71], s[70:71] op_sel:[0,1]
	s_mov_b32 s71, 1
	s_mov_b64 s[20:21], s[70:71]
.LBB8_73:                               ;   in Loop: Header=BB8_8 Depth=1
	v_readlane_b32 s22, v42, 26
	v_readlane_b32 s23, v42, 27
	s_andn2_b64 vcc, exec, s[22:23]
	v_readlane_b32 s1, v42, 25
	s_cbranch_vccnz .LBB8_75
.LBB8_74:                               ;   Parent Loop BB8_8 Depth=1
                                        ; =>  This Inner Loop Header: Depth=2
	v_lshl_add_u32 v26, s20, 4, v5
	v_lshl_add_u32 v27, s21, 4, v5
	ds_read_b32 v27, v27
	ds_read_b32 v26, v26
	s_add_i32 s21, s21, 2
	s_add_i32 s20, s20, 2
	s_add_i32 s1, s1, -1
	s_cmp_lg_u32 s1, 0
	s_waitcnt lgkmcnt(1)
	v_add_u32_e32 v3, v27, v3
	s_waitcnt lgkmcnt(0)
	v_add_u32_e32 v2, v26, v2
	s_cbranch_scc1 .LBB8_74
.LBB8_75:                               ;   in Loop: Header=BB8_8 Depth=1
	v_readlane_b32 s20, v42, 30
	v_add_u32_e32 v2, v2, v3
	v_readlane_b32 s1, v42, 29
	v_readlane_b32 s21, v42, 31
	s_and_b64 vcc, exec, s[20:21]
	s_cbranch_vccz .LBB8_78
.LBB8_76:                               ;   in Loop: Header=BB8_8 Depth=1
	s_lshl_b32 s20, s17, 8
	s_lshl_b32 s21, s1, 4
	s_add_i32 s20, s20, s21
	v_add_u32_e32 v3, s20, v22
	v_readlane_b32 s20, v42, 28
	s_sub_i32 s1, s20, s1
.LBB8_77:                               ;   Parent Loop BB8_8 Depth=1
                                        ; =>  This Inner Loop Header: Depth=2
	ds_read_b32 v5, v3
	s_add_i32 s1, s1, -1
	v_add_u32_e32 v3, 16, v3
	s_cmp_eq_u32 s1, 0
	s_waitcnt lgkmcnt(0)
	v_add_u32_e32 v2, v5, v2
	s_cbranch_scc0 .LBB8_77
.LBB8_78:                               ;   in Loop: Header=BB8_8 Depth=1
	v_lshlrev_b32_e32 v3, 2, v4
	ds_write_b32 v3, v2 offset:3072
.LBB8_79:                               ;   in Loop: Header=BB8_8 Depth=1
	s_or_b64 exec, exec, s[18:19]
	s_lshl_b32 s0, s0, 2
	s_waitcnt vmcnt(0)
	v_mov_b32_e32 v2, s0
	s_waitcnt lgkmcnt(0)
	s_barrier
	ds_read_b128 v[2:5], v2 offset:3072
	s_and_b32 s47, s16, 0xfe
	s_lshl_b32 s55, 3, s47
	s_not_b32 s48, s55
	s_mov_b64 s[22:23], -1
	s_waitcnt lgkmcnt(0)
	v_readfirstlane_b32 s34, v2
	s_cmp_eq_u32 s34, 1
	s_cselect_b64 s[0:1], -1, 0
	s_cmp_eq_u32 s61, 1
	s_cselect_b64 s[18:19], -1, 0
	s_and_b64 s[24:25], s[0:1], s[18:19]
	v_readfirstlane_b32 s38, v3
	v_readfirstlane_b32 s46, v4
	;; [unrolled: 1-line block ×3, first 2 shown]
	s_and_b64 vcc, exec, s[24:25]
	s_cbranch_vccz .LBB8_91
; %bb.80:                               ;   in Loop: Header=BB8_8 Depth=1
	ds_read_b32 v2, v23 offset:4096
	s_waitcnt lgkmcnt(0)
	s_barrier
	v_readfirstlane_b32 s0, v2
	s_and_saveexec_b64 s[18:19], s[4:5]
	s_cbranch_execz .LBB8_82
; %bb.81:                               ;   in Loop: Header=BB8_8 Depth=1
	ds_write_b8 v0, v23 offset:3072
.LBB8_82:                               ;   in Loop: Header=BB8_8 Depth=1
	s_or_b64 exec, exec, s[18:19]
	s_and_b32 s8, s8, s48
	s_or_b32 s81, s81, s55
	s_cmp_lt_i32 s0, 1
	s_waitcnt lgkmcnt(0)
	s_barrier
	s_cbranch_scc0 .LBB8_92
; %bb.83:                               ;   in Loop: Header=BB8_8 Depth=1
	s_mov_b64 s[18:19], 0
                                        ; implicit-def: $vgpr25
	s_mov_b64 s[20:21], exec
	v_readlane_b32 s26, v42, 33
	v_readlane_b32 s27, v42, 34
	s_and_b64 s[26:27], s[20:21], s[26:27]
	s_mov_b64 exec, s[26:27]
	s_cbranch_execz .LBB8_94
; %bb.84:                               ;   in Loop: Header=BB8_8 Depth=1
	s_mov_b64 s[26:27], 0
	v_mov_b32_e32 v2, v9
	v_mov_b32_e32 v3, v0
                                        ; implicit-def: $sgpr28_sgpr29
	s_branch .LBB8_86
.LBB8_85:                               ;   in Loop: Header=BB8_86 Depth=2
	s_or_b64 exec, exec, s[18:19]
	s_waitcnt lgkmcnt(0)
	s_barrier
	s_waitcnt vmcnt(0)
	ds_read_u16 v4, v23 offset:3072
	v_add_u32_e32 v3, s62, v3
	v_cmp_le_i32_e32 vcc, s9, v3
	v_add_u32_e32 v2, s80, v2
	s_waitcnt lgkmcnt(0)
	v_cmp_ne_u16_sdwa s[18:19], v4, v23 src0_sel:BYTE_0 src1_sel:DWORD
	s_or_b64 s[30:31], vcc, s[18:19]
	s_and_b64 s[30:31], exec, s[30:31]
	s_or_b64 s[26:27], s[30:31], s[26:27]
	s_andn2_b64 s[28:29], s[28:29], exec
	s_and_b64 s[18:19], s[18:19], exec
	s_or_b64 s[28:29], s[28:29], s[18:19]
	s_barrier
	s_andn2_b64 exec, exec, s[26:27]
	s_cbranch_execz .LBB8_93
.LBB8_86:                               ;   Parent Loop BB8_8 Depth=1
                                        ; =>  This Inner Loop Header: Depth=2
	v_cmp_gt_i32_e32 vcc, s60, v3
	v_mov_b32_e32 v4, 0
	s_and_saveexec_b64 s[30:31], vcc
	s_cbranch_execz .LBB8_88
; %bb.87:                               ;   in Loop: Header=BB8_86 Depth=2
	v_ashrrev_i32_e32 v5, 31, v2
	v_mov_b32_e32 v25, s69
	v_add_co_u32_e64 v4, s[18:19], s68, v2
	v_addc_co_u32_e64 v5, s[18:19], v25, v5, s[18:19]
	global_load_ubyte v4, v[4:5], off
.LBB8_88:                               ;   in Loop: Header=BB8_86 Depth=2
	s_or_b64 exec, exec, s[30:31]
	s_and_saveexec_b64 s[18:19], vcc
	s_cbranch_execz .LBB8_85
; %bb.89:                               ;   in Loop: Header=BB8_86 Depth=2
	s_waitcnt vmcnt(0)
	v_add_u32_sdwa v5, sext(v4), s79 dst_sel:DWORD dst_unused:UNUSED_PAD src0_sel:BYTE_0 src1_sel:DWORD
	v_and_b32_e32 v5, s81, v5
	v_cmp_eq_u32_e32 vcc, s8, v5
	s_and_b64 exec, exec, vcc
	s_cbranch_execz .LBB8_85
; %bb.90:                               ;   in Loop: Header=BB8_86 Depth=2
	v_lshlrev_b16_e32 v4, 8, v4
	v_or_b32_e32 v4, 1, v4
	ds_write_b16 v23, v4 offset:3072
	s_branch .LBB8_85
.LBB8_91:                               ;   in Loop: Header=BB8_8 Depth=1
	s_mov_b64 s[18:19], -1
                                        ; implicit-def: $sgpr20_sgpr21
                                        ; implicit-def: $sgpr28_sgpr29
                                        ; implicit-def: $sgpr26_sgpr27
	s_branch .LBB8_105
.LBB8_92:                               ;   in Loop: Header=BB8_8 Depth=1
	s_mov_b64 s[20:21], -1
	s_mov_b64 s[18:19], 0
                                        ; implicit-def: $sgpr26_sgpr27
                                        ; implicit-def: $vgpr25
	s_mov_b64 s[28:29], s[20:21]
	s_cbranch_execnz .LBB8_95
	s_branch .LBB8_105
.LBB8_93:                               ;   in Loop: Header=BB8_8 Depth=1
	s_or_b64 exec, exec, s[26:27]
	v_lshrrev_b16_e32 v25, 8, v4
	s_and_b64 s[18:19], s[28:29], exec
.LBB8_94:                               ;   in Loop: Header=BB8_8 Depth=1
	s_or_b64 exec, exec, s[20:21]
	s_mov_b64 s[26:27], -1
	s_mov_b64 s[20:21], 0
	s_mov_b64 s[28:29], s[20:21]
	s_branch .LBB8_105
.LBB8_95:                               ;   in Loop: Header=BB8_8 Depth=1
	v_readlane_b32 s1, v42, 9
	s_add_i32 s1, s0, s1
	s_abs_i32 s19, s1
	v_readlane_b32 s20, v42, 32
	s_mul_hi_u32 s20, s19, s20
	s_mul_i32 s20, s20, s62
	s_sub_i32 s19, s19, s20
	s_ashr_i32 s18, s1, 31
	s_sub_i32 s20, s19, s62
	s_cmp_ge_u32 s19, s62
	s_cselect_b32 s19, s20, s19
	s_sub_i32 s20, s19, s62
	s_cmp_ge_u32 s19, s62
	s_cselect_b32 s19, s20, s19
	s_xor_b32 s19, s19, s18
	s_sub_i32 s18, s18, s19
	s_add_i32 s1, s1, s18
	v_cmp_gt_i32_e32 vcc, s1, v0
	s_mov_b64 s[18:19], 0
                                        ; implicit-def: $vgpr25
	s_and_saveexec_b64 s[20:21], vcc
	s_cbranch_execz .LBB8_104
; %bb.96:                               ;   in Loop: Header=BB8_8 Depth=1
	v_mov_b32_e32 v2, v0
                                        ; implicit-def: $sgpr26_sgpr27
	s_branch .LBB8_98
.LBB8_97:                               ;   in Loop: Header=BB8_98 Depth=2
	s_or_b64 exec, exec, s[28:29]
	s_waitcnt lgkmcnt(0)
	s_barrier
	ds_read_u16 v3, v23 offset:3072
	v_add_u32_e32 v2, s62, v2
	v_cmp_le_i32_e32 vcc, s1, v2
	s_waitcnt lgkmcnt(0)
	s_barrier
	v_cmp_ne_u16_sdwa s[28:29], v3, v23 src0_sel:BYTE_0 src1_sel:DWORD
	s_or_b64 s[30:31], vcc, s[28:29]
	s_and_b64 s[30:31], exec, s[30:31]
	s_or_b64 s[18:19], s[30:31], s[18:19]
	s_andn2_b64 s[26:27], s[26:27], exec
	s_and_b64 s[28:29], s[28:29], exec
	s_or_b64 s[26:27], s[26:27], s[28:29]
	s_andn2_b64 exec, exec, s[18:19]
	s_cbranch_execz .LBB8_103
.LBB8_98:                               ;   Parent Loop BB8_8 Depth=1
                                        ; =>  This Inner Loop Header: Depth=2
	v_cmp_gt_i32_e32 vcc, s0, v2
	v_mov_b32_e32 v3, 0
	s_and_saveexec_b64 s[28:29], vcc
	s_cbranch_execz .LBB8_100
; %bb.99:                               ;   in Loop: Header=BB8_98 Depth=2
	ds_read_u8 v3, v2
.LBB8_100:                              ;   in Loop: Header=BB8_98 Depth=2
	s_or_b64 exec, exec, s[28:29]
	s_and_saveexec_b64 s[28:29], vcc
	s_cbranch_execz .LBB8_97
; %bb.101:                              ;   in Loop: Header=BB8_98 Depth=2
	s_waitcnt lgkmcnt(0)
	v_add_u32_sdwa v4, sext(v3), s79 dst_sel:DWORD dst_unused:UNUSED_PAD src0_sel:BYTE_0 src1_sel:DWORD
	v_and_b32_e32 v4, s81, v4
	v_cmp_eq_u32_e32 vcc, s8, v4
	s_and_b64 exec, exec, vcc
	s_cbranch_execz .LBB8_97
; %bb.102:                              ;   in Loop: Header=BB8_98 Depth=2
	v_lshlrev_b16_e32 v3, 8, v3
	v_or_b32_e32 v3, 1, v3
	ds_write_b16 v23, v3 offset:3072
	s_branch .LBB8_97
.LBB8_103:                              ;   in Loop: Header=BB8_8 Depth=1
	s_or_b64 exec, exec, s[18:19]
	v_lshrrev_b16_e32 v25, 8, v3
	s_and_b64 s[18:19], s[26:27], exec
.LBB8_104:                              ;   in Loop: Header=BB8_8 Depth=1
	s_or_b64 exec, exec, s[20:21]
	s_mov_b64 s[28:29], -1
	s_mov_b64 s[20:21], 0
	s_mov_b64 s[26:27], 0
.LBB8_105:                              ;   in Loop: Header=BB8_8 Depth=1
	s_andn2_b64 s[0:1], s[82:83], exec
	s_and_b64 s[20:21], s[20:21], exec
	s_or_b64 s[82:83], s[0:1], s[20:21]
	s_andn2_b64 s[0:1], s[66:67], exec
	s_and_b64 s[20:21], s[28:29], exec
	s_or_b64 s[66:67], s[0:1], s[20:21]
	;; [unrolled: 3-line block ×3, first 2 shown]
	s_and_saveexec_b64 s[20:21], s[18:19]
	s_cbranch_execz .LBB8_7
; %bb.106:                              ;   in Loop: Header=BB8_8 Depth=1
	s_xor_b64 s[0:1], s[24:25], -1
	s_mov_b64 s[18:19], 0
	s_andn2_b64 vcc, exec, s[0:1]
	s_mov_b32 s39, 1
	s_cbranch_vccnz .LBB8_117
; %bb.107:                              ;   in Loop: Header=BB8_8 Depth=1
	s_cmp_gt_i32 s61, s34
	s_mov_b64 s[18:19], -1
                                        ; implicit-def: $sgpr57
                                        ; implicit-def: $sgpr0
                                        ; implicit-def: $sgpr1
	s_cbranch_scc1 .LBB8_113
; %bb.108:                              ;   in Loop: Header=BB8_8 Depth=1
	ds_read_b32 v2, v23 offset:4096
	s_waitcnt lgkmcnt(0)
	v_cmp_ne_u32_e32 vcc, 0, v2
	s_cbranch_vccnz .LBB8_112
; %bb.109:                              ;   in Loop: Header=BB8_8 Depth=1
	s_mov_b64 s[18:19], exec
	v_readlane_b32 s0, v42, 4
	v_readlane_b32 s1, v42, 5
	s_and_b64 s[0:1], s[18:19], s[0:1]
	s_mov_b64 exec, s[0:1]
	s_cbranch_execz .LBB8_111
; %bb.110:                              ;   in Loop: Header=BB8_8 Depth=1
	v_mov_b32_e32 v2, s34
	ds_write_b32 v23, v2 offset:4100
.LBB8_111:                              ;   in Loop: Header=BB8_8 Depth=1
	s_or_b64 exec, exec, s[18:19]
	s_waitcnt lgkmcnt(0)
	s_barrier
.LBB8_112:                              ;   in Loop: Header=BB8_8 Depth=1
	s_and_b32 s0, s8, s48
	s_or_b32 s1, s81, s55
	s_mov_b64 s[18:19], 0
	s_mov_b32 s57, 8
.LBB8_113:                              ;   in Loop: Header=BB8_8 Depth=1
	s_andn2_b64 vcc, exec, s[18:19]
	s_cbranch_vccnz .LBB8_115
; %bb.114:                              ;   in Loop: Header=BB8_8 Depth=1
	s_sub_i32 s61, s61, s34
	s_mov_b64 s[18:19], -1
	s_mov_b32 s57, 0
	s_mov_b32 s0, s8
	;; [unrolled: 1-line block ×3, first 2 shown]
.LBB8_115:                              ;   in Loop: Header=BB8_8 Depth=1
	s_mov_b32 s81, s1
	s_mov_b32 s8, s0
	;; [unrolled: 1-line block ×3, first 2 shown]
	s_mov_b64 s[22:23], -1
	s_and_b64 vcc, exec, s[18:19]
	s_cbranch_vccnz .LBB8_118
.LBB8_116:                              ;   in Loop: Header=BB8_8 Depth=1
	s_mov_b64 s[36:37], -1
                                        ; implicit-def: $sgpr24_sgpr25
                                        ; implicit-def: $sgpr28_sgpr29
                                        ; implicit-def: $sgpr26_sgpr27
	s_and_saveexec_b64 s[0:1], s[36:37]
	s_xor_b64 s[18:19], exec, s[0:1]
	s_cbranch_execz .LBB8_6
	s_branch .LBB8_241
.LBB8_117:                              ;   in Loop: Header=BB8_8 Depth=1
	s_mov_b32 s57, 1
	s_mov_b64 s[22:23], -1
	s_and_b64 vcc, exec, s[18:19]
	s_cbranch_vccz .LBB8_116
.LBB8_118:                              ;   in Loop: Header=BB8_8 Depth=1
	s_cmp_eq_u32 s38, 1
	s_cselect_b64 s[0:1], -1, 0
	s_cmp_eq_u32 s39, 1
	s_cselect_b64 s[18:19], -1, 0
	s_and_b64 s[34:35], s[0:1], s[18:19]
	s_mov_b64 s[18:19], -1
	s_and_b64 vcc, exec, s[34:35]
	s_cbranch_vccz .LBB8_130
; %bb.119:                              ;   in Loop: Header=BB8_8 Depth=1
	ds_read_b32 v2, v23 offset:4096
	s_waitcnt lgkmcnt(0)
	s_barrier
	v_readfirstlane_b32 s0, v2
	s_and_saveexec_b64 s[18:19], s[4:5]
	s_cbranch_execz .LBB8_121
; %bb.120:                              ;   in Loop: Header=BB8_8 Depth=1
	ds_write_b8 v0, v23 offset:3072
.LBB8_121:                              ;   in Loop: Header=BB8_8 Depth=1
	s_or_b64 exec, exec, s[18:19]
	s_lshl_b32 s1, 1, s47
	s_and_b32 s8, s8, s48
	s_or_b32 s8, s8, s1
	s_or_b32 s81, s81, s55
	s_cmp_gt_i32 s0, 0
	s_waitcnt lgkmcnt(0)
	s_barrier
	s_cbranch_scc1 .LBB8_131
; %bb.122:                              ;   in Loop: Header=BB8_8 Depth=1
	s_mov_b64 s[18:19], 0
                                        ; implicit-def: $vgpr25
	s_mov_b64 s[24:25], exec
	v_readlane_b32 s26, v42, 33
	v_readlane_b32 s27, v42, 34
	s_and_b64 s[26:27], s[24:25], s[26:27]
	s_mov_b64 exec, s[26:27]
	s_cbranch_execz .LBB8_133
; %bb.123:                              ;   in Loop: Header=BB8_8 Depth=1
	s_mov_b64 s[26:27], 0
	v_mov_b32_e32 v2, v9
	v_mov_b32_e32 v3, v0
                                        ; implicit-def: $sgpr28_sgpr29
	s_branch .LBB8_125
.LBB8_124:                              ;   in Loop: Header=BB8_125 Depth=2
	s_or_b64 exec, exec, s[18:19]
	s_waitcnt lgkmcnt(0)
	s_barrier
	s_waitcnt vmcnt(0)
	ds_read_u16 v4, v23 offset:3072
	v_add_u32_e32 v3, s62, v3
	v_cmp_le_i32_e32 vcc, s9, v3
	v_add_u32_e32 v2, s80, v2
	s_waitcnt lgkmcnt(0)
	v_cmp_ne_u16_sdwa s[18:19], v4, v23 src0_sel:BYTE_0 src1_sel:DWORD
	s_or_b64 s[30:31], vcc, s[18:19]
	s_and_b64 s[30:31], exec, s[30:31]
	s_or_b64 s[26:27], s[30:31], s[26:27]
	s_andn2_b64 s[28:29], s[28:29], exec
	s_and_b64 s[18:19], s[18:19], exec
	s_or_b64 s[28:29], s[28:29], s[18:19]
	s_barrier
	s_andn2_b64 exec, exec, s[26:27]
	s_cbranch_execz .LBB8_132
.LBB8_125:                              ;   Parent Loop BB8_8 Depth=1
                                        ; =>  This Inner Loop Header: Depth=2
	v_cmp_gt_i32_e32 vcc, s60, v3
	v_mov_b32_e32 v4, 0
	s_and_saveexec_b64 s[30:31], vcc
	s_cbranch_execz .LBB8_127
; %bb.126:                              ;   in Loop: Header=BB8_125 Depth=2
	v_ashrrev_i32_e32 v5, 31, v2
	v_mov_b32_e32 v25, s69
	v_add_co_u32_e64 v4, s[18:19], s68, v2
	v_addc_co_u32_e64 v5, s[18:19], v25, v5, s[18:19]
	global_load_ubyte v4, v[4:5], off
.LBB8_127:                              ;   in Loop: Header=BB8_125 Depth=2
	s_or_b64 exec, exec, s[30:31]
	s_and_saveexec_b64 s[18:19], vcc
	s_cbranch_execz .LBB8_124
; %bb.128:                              ;   in Loop: Header=BB8_125 Depth=2
	s_waitcnt vmcnt(0)
	v_add_u32_sdwa v5, sext(v4), s79 dst_sel:DWORD dst_unused:UNUSED_PAD src0_sel:BYTE_0 src1_sel:DWORD
	v_and_b32_e32 v5, s81, v5
	v_cmp_eq_u32_e32 vcc, s8, v5
	s_and_b64 exec, exec, vcc
	s_cbranch_execz .LBB8_124
; %bb.129:                              ;   in Loop: Header=BB8_125 Depth=2
	v_lshlrev_b16_e32 v4, 8, v4
	v_or_b32_e32 v4, 1, v4
	ds_write_b16 v23, v4 offset:3072
	s_branch .LBB8_124
.LBB8_130:                              ;   in Loop: Header=BB8_8 Depth=1
                                        ; implicit-def: $sgpr26_sgpr27
                                        ; implicit-def: $sgpr28_sgpr29
                                        ; implicit-def: $sgpr24_sgpr25
	s_branch .LBB8_144
.LBB8_131:                              ;   in Loop: Header=BB8_8 Depth=1
	s_mov_b64 s[26:27], -1
	s_mov_b64 s[18:19], 0
                                        ; implicit-def: $sgpr24_sgpr25
                                        ; implicit-def: $vgpr25
	s_mov_b64 s[28:29], s[26:27]
	s_cbranch_execnz .LBB8_134
	s_branch .LBB8_144
.LBB8_132:                              ;   in Loop: Header=BB8_8 Depth=1
	s_or_b64 exec, exec, s[26:27]
	v_lshrrev_b16_e32 v25, 8, v4
	s_and_b64 s[18:19], s[28:29], exec
.LBB8_133:                              ;   in Loop: Header=BB8_8 Depth=1
	s_or_b64 exec, exec, s[24:25]
	s_mov_b64 s[24:25], -1
	s_mov_b64 s[26:27], 0
	s_mov_b64 s[28:29], s[26:27]
	s_branch .LBB8_144
.LBB8_134:                              ;   in Loop: Header=BB8_8 Depth=1
	v_readlane_b32 s1, v42, 9
	s_add_i32 s1, s0, s1
	s_abs_i32 s19, s1
	v_readlane_b32 s24, v42, 32
	s_mul_hi_u32 s24, s19, s24
	s_mul_i32 s24, s24, s62
	s_sub_i32 s19, s19, s24
	s_ashr_i32 s18, s1, 31
	s_sub_i32 s24, s19, s62
	s_cmp_ge_u32 s19, s62
	s_cselect_b32 s19, s24, s19
	s_sub_i32 s24, s19, s62
	s_cmp_ge_u32 s19, s62
	s_cselect_b32 s19, s24, s19
	s_xor_b32 s19, s19, s18
	s_sub_i32 s18, s18, s19
	s_add_i32 s1, s1, s18
	v_cmp_gt_i32_e32 vcc, s1, v0
	s_mov_b64 s[18:19], 0
                                        ; implicit-def: $vgpr25
	s_and_saveexec_b64 s[24:25], vcc
	s_cbranch_execz .LBB8_143
; %bb.135:                              ;   in Loop: Header=BB8_8 Depth=1
	v_mov_b32_e32 v2, v0
                                        ; implicit-def: $sgpr26_sgpr27
	s_branch .LBB8_137
.LBB8_136:                              ;   in Loop: Header=BB8_137 Depth=2
	s_or_b64 exec, exec, s[28:29]
	s_waitcnt lgkmcnt(0)
	s_barrier
	ds_read_u16 v3, v23 offset:3072
	v_add_u32_e32 v2, s62, v2
	v_cmp_le_i32_e32 vcc, s1, v2
	s_waitcnt lgkmcnt(0)
	s_barrier
	v_cmp_ne_u16_sdwa s[28:29], v3, v23 src0_sel:BYTE_0 src1_sel:DWORD
	s_or_b64 s[30:31], vcc, s[28:29]
	s_and_b64 s[30:31], exec, s[30:31]
	s_or_b64 s[18:19], s[30:31], s[18:19]
	s_andn2_b64 s[26:27], s[26:27], exec
	s_and_b64 s[28:29], s[28:29], exec
	s_or_b64 s[26:27], s[26:27], s[28:29]
	s_andn2_b64 exec, exec, s[18:19]
	s_cbranch_execz .LBB8_142
.LBB8_137:                              ;   Parent Loop BB8_8 Depth=1
                                        ; =>  This Inner Loop Header: Depth=2
	v_cmp_gt_i32_e32 vcc, s0, v2
	v_mov_b32_e32 v3, 0
	s_and_saveexec_b64 s[28:29], vcc
	s_cbranch_execz .LBB8_139
; %bb.138:                              ;   in Loop: Header=BB8_137 Depth=2
	ds_read_u8 v3, v2
.LBB8_139:                              ;   in Loop: Header=BB8_137 Depth=2
	s_or_b64 exec, exec, s[28:29]
	s_and_saveexec_b64 s[28:29], vcc
	s_cbranch_execz .LBB8_136
; %bb.140:                              ;   in Loop: Header=BB8_137 Depth=2
	s_waitcnt lgkmcnt(0)
	v_add_u32_sdwa v4, sext(v3), s79 dst_sel:DWORD dst_unused:UNUSED_PAD src0_sel:BYTE_0 src1_sel:DWORD
	v_and_b32_e32 v4, s81, v4
	v_cmp_eq_u32_e32 vcc, s8, v4
	s_and_b64 exec, exec, vcc
	s_cbranch_execz .LBB8_136
; %bb.141:                              ;   in Loop: Header=BB8_137 Depth=2
	v_lshlrev_b16_e32 v3, 8, v3
	v_or_b32_e32 v3, 1, v3
	ds_write_b16 v23, v3 offset:3072
	s_branch .LBB8_136
.LBB8_142:                              ;   in Loop: Header=BB8_8 Depth=1
	s_or_b64 exec, exec, s[18:19]
	v_lshrrev_b16_e32 v25, 8, v3
	s_and_b64 s[18:19], s[26:27], exec
.LBB8_143:                              ;   in Loop: Header=BB8_8 Depth=1
	s_or_b64 exec, exec, s[24:25]
	s_mov_b64 s[28:29], -1
	s_mov_b64 s[26:27], 0
	s_mov_b64 s[24:25], 0
.LBB8_144:                              ;   in Loop: Header=BB8_8 Depth=1
	s_mov_b64 s[36:37], 0
                                        ; implicit-def: $sgpr57
	s_and_saveexec_b64 s[30:31], s[18:19]
	s_cbranch_execz .LBB8_240
; %bb.145:                              ;   in Loop: Header=BB8_8 Depth=1
	s_xor_b64 s[0:1], s[34:35], -1
	s_mov_b64 s[18:19], 0
	s_andn2_b64 vcc, exec, s[0:1]
	s_mov_b32 s49, 1
	s_cbranch_vccnz .LBB8_156
; %bb.146:                              ;   in Loop: Header=BB8_8 Depth=1
	s_cmp_gt_i32 s39, s38
	s_mov_b64 s[18:19], -1
                                        ; implicit-def: $sgpr57
                                        ; implicit-def: $sgpr0
                                        ; implicit-def: $sgpr1
	s_cbranch_scc1 .LBB8_152
; %bb.147:                              ;   in Loop: Header=BB8_8 Depth=1
	ds_read_b32 v2, v23 offset:4096
	s_waitcnt lgkmcnt(0)
	v_cmp_ne_u32_e32 vcc, 0, v2
	s_cbranch_vccnz .LBB8_151
; %bb.148:                              ;   in Loop: Header=BB8_8 Depth=1
	s_mov_b64 s[18:19], exec
	v_readlane_b32 s0, v42, 4
	v_readlane_b32 s1, v42, 5
	s_and_b64 s[0:1], s[18:19], s[0:1]
	s_mov_b64 exec, s[0:1]
	s_cbranch_execz .LBB8_150
; %bb.149:                              ;   in Loop: Header=BB8_8 Depth=1
	v_mov_b32_e32 v2, s38
	ds_write_b32 v23, v2 offset:4100
.LBB8_150:                              ;   in Loop: Header=BB8_8 Depth=1
	s_or_b64 exec, exec, s[18:19]
	s_waitcnt lgkmcnt(0)
	s_barrier
.LBB8_151:                              ;   in Loop: Header=BB8_8 Depth=1
	s_lshl_b32 s0, 1, s47
	s_and_b32 s1, s8, s48
	s_or_b32 s0, s1, s0
	s_or_b32 s1, s81, s55
	s_mov_b64 s[18:19], 0
	s_mov_b32 s57, 8
.LBB8_152:                              ;   in Loop: Header=BB8_8 Depth=1
	s_andn2_b64 vcc, exec, s[18:19]
	s_cbranch_vccnz .LBB8_154
; %bb.153:                              ;   in Loop: Header=BB8_8 Depth=1
	s_sub_i32 s39, s39, s38
	s_mov_b64 s[18:19], -1
	s_mov_b32 s57, 0
	s_mov_b32 s0, s8
	;; [unrolled: 1-line block ×3, first 2 shown]
.LBB8_154:                              ;   in Loop: Header=BB8_8 Depth=1
	s_mov_b32 s81, s1
	s_mov_b32 s8, s0
	;; [unrolled: 1-line block ×3, first 2 shown]
	s_andn2_b64 vcc, exec, s[18:19]
	s_mov_b64 s[44:45], -1
	s_cbranch_vccz .LBB8_157
.LBB8_155:                              ;   in Loop: Header=BB8_8 Depth=1
                                        ; implicit-def: $sgpr36_sgpr37
                                        ; implicit-def: $sgpr38_sgpr39
                                        ; implicit-def: $sgpr34_sgpr35
	s_branch .LBB8_239
.LBB8_156:                              ;   in Loop: Header=BB8_8 Depth=1
	s_mov_b32 s57, 1
	s_andn2_b64 vcc, exec, s[18:19]
	s_mov_b64 s[44:45], -1
	s_cbranch_vccnz .LBB8_155
.LBB8_157:                              ;   in Loop: Header=BB8_8 Depth=1
	s_cmp_eq_u32 s46, 1
	s_cselect_b64 s[0:1], -1, 0
	s_cmp_eq_u32 s49, 1
	s_cselect_b64 s[18:19], -1, 0
	s_and_b64 s[42:43], s[0:1], s[18:19]
	s_mov_b64 s[18:19], -1
	s_and_b64 vcc, exec, s[42:43]
	s_cbranch_vccz .LBB8_169
; %bb.158:                              ;   in Loop: Header=BB8_8 Depth=1
	ds_read_b32 v2, v23 offset:4096
	s_waitcnt lgkmcnt(0)
	s_barrier
	v_readfirstlane_b32 s0, v2
	s_and_saveexec_b64 s[18:19], s[4:5]
	s_cbranch_execz .LBB8_160
; %bb.159:                              ;   in Loop: Header=BB8_8 Depth=1
	ds_write_b8 v0, v23 offset:3072
.LBB8_160:                              ;   in Loop: Header=BB8_8 Depth=1
	s_or_b64 exec, exec, s[18:19]
	s_lshl_b32 s1, 2, s47
	s_and_b32 s8, s8, s48
	s_or_b32 s8, s8, s1
	s_or_b32 s81, s81, s55
	s_cmp_gt_i32 s0, 0
	s_waitcnt lgkmcnt(0)
	s_barrier
	s_cbranch_scc1 .LBB8_170
; %bb.161:                              ;   in Loop: Header=BB8_8 Depth=1
	s_mov_b64 s[18:19], 0
                                        ; implicit-def: $vgpr25
	s_mov_b64 s[34:35], exec
	v_readlane_b32 s36, v42, 33
	v_readlane_b32 s37, v42, 34
	s_and_b64 s[36:37], s[34:35], s[36:37]
	s_mov_b64 exec, s[36:37]
	s_cbranch_execz .LBB8_172
; %bb.162:                              ;   in Loop: Header=BB8_8 Depth=1
	s_mov_b64 s[36:37], 0
	v_mov_b32_e32 v2, v9
	v_mov_b32_e32 v3, v0
                                        ; implicit-def: $sgpr38_sgpr39
	s_branch .LBB8_164
.LBB8_163:                              ;   in Loop: Header=BB8_164 Depth=2
	s_or_b64 exec, exec, s[18:19]
	s_waitcnt lgkmcnt(0)
	s_barrier
	s_waitcnt vmcnt(0)
	ds_read_u16 v4, v23 offset:3072
	v_add_u32_e32 v3, s62, v3
	v_cmp_le_i32_e32 vcc, s9, v3
	v_add_u32_e32 v2, s80, v2
	s_waitcnt lgkmcnt(0)
	v_cmp_ne_u16_sdwa s[18:19], v4, v23 src0_sel:BYTE_0 src1_sel:DWORD
	s_or_b64 s[40:41], vcc, s[18:19]
	s_and_b64 s[40:41], exec, s[40:41]
	s_or_b64 s[36:37], s[40:41], s[36:37]
	s_andn2_b64 s[38:39], s[38:39], exec
	s_and_b64 s[18:19], s[18:19], exec
	s_or_b64 s[38:39], s[38:39], s[18:19]
	s_barrier
	s_andn2_b64 exec, exec, s[36:37]
	s_cbranch_execz .LBB8_171
.LBB8_164:                              ;   Parent Loop BB8_8 Depth=1
                                        ; =>  This Inner Loop Header: Depth=2
	v_cmp_gt_i32_e32 vcc, s60, v3
	v_mov_b32_e32 v4, 0
	s_and_saveexec_b64 s[40:41], vcc
	s_cbranch_execz .LBB8_166
; %bb.165:                              ;   in Loop: Header=BB8_164 Depth=2
	v_ashrrev_i32_e32 v5, 31, v2
	v_mov_b32_e32 v25, s69
	v_add_co_u32_e64 v4, s[18:19], s68, v2
	v_addc_co_u32_e64 v5, s[18:19], v25, v5, s[18:19]
	global_load_ubyte v4, v[4:5], off
.LBB8_166:                              ;   in Loop: Header=BB8_164 Depth=2
	s_or_b64 exec, exec, s[40:41]
	s_and_saveexec_b64 s[18:19], vcc
	s_cbranch_execz .LBB8_163
; %bb.167:                              ;   in Loop: Header=BB8_164 Depth=2
	s_waitcnt vmcnt(0)
	v_add_u32_sdwa v5, sext(v4), s79 dst_sel:DWORD dst_unused:UNUSED_PAD src0_sel:BYTE_0 src1_sel:DWORD
	v_and_b32_e32 v5, s81, v5
	v_cmp_eq_u32_e32 vcc, s8, v5
	s_and_b64 exec, exec, vcc
	s_cbranch_execz .LBB8_163
; %bb.168:                              ;   in Loop: Header=BB8_164 Depth=2
	v_lshlrev_b16_e32 v4, 8, v4
	v_or_b32_e32 v4, 1, v4
	ds_write_b16 v23, v4 offset:3072
	s_branch .LBB8_163
.LBB8_169:                              ;   in Loop: Header=BB8_8 Depth=1
                                        ; implicit-def: $sgpr34_sgpr35
                                        ; implicit-def: $sgpr38_sgpr39
                                        ; implicit-def: $sgpr36_sgpr37
	s_branch .LBB8_183
.LBB8_170:                              ;   in Loop: Header=BB8_8 Depth=1
	s_mov_b64 s[34:35], -1
	s_mov_b64 s[18:19], 0
                                        ; implicit-def: $sgpr36_sgpr37
                                        ; implicit-def: $vgpr25
	s_mov_b64 s[38:39], s[34:35]
	s_cbranch_execnz .LBB8_173
	s_branch .LBB8_183
.LBB8_171:                              ;   in Loop: Header=BB8_8 Depth=1
	s_or_b64 exec, exec, s[36:37]
	v_lshrrev_b16_e32 v25, 8, v4
	s_and_b64 s[18:19], s[38:39], exec
.LBB8_172:                              ;   in Loop: Header=BB8_8 Depth=1
	s_or_b64 exec, exec, s[34:35]
	s_mov_b64 s[36:37], -1
	s_mov_b64 s[34:35], 0
	s_mov_b64 s[38:39], s[34:35]
	s_branch .LBB8_183
.LBB8_173:                              ;   in Loop: Header=BB8_8 Depth=1
	v_readlane_b32 s1, v42, 9
	s_add_i32 s1, s0, s1
	s_abs_i32 s19, s1
	v_readlane_b32 s34, v42, 32
	s_mul_hi_u32 s34, s19, s34
	s_mul_i32 s34, s34, s62
	s_sub_i32 s19, s19, s34
	s_ashr_i32 s18, s1, 31
	s_sub_i32 s34, s19, s62
	s_cmp_ge_u32 s19, s62
	s_cselect_b32 s19, s34, s19
	s_sub_i32 s34, s19, s62
	s_cmp_ge_u32 s19, s62
	s_cselect_b32 s19, s34, s19
	s_xor_b32 s19, s19, s18
	s_sub_i32 s18, s18, s19
	s_add_i32 s1, s1, s18
	v_cmp_gt_i32_e32 vcc, s1, v0
	s_mov_b64 s[18:19], 0
                                        ; implicit-def: $vgpr25
	s_and_saveexec_b64 s[34:35], vcc
	s_cbranch_execz .LBB8_182
; %bb.174:                              ;   in Loop: Header=BB8_8 Depth=1
	v_mov_b32_e32 v2, v0
                                        ; implicit-def: $sgpr36_sgpr37
	s_branch .LBB8_176
.LBB8_175:                              ;   in Loop: Header=BB8_176 Depth=2
	s_or_b64 exec, exec, s[38:39]
	s_waitcnt lgkmcnt(0)
	s_barrier
	ds_read_u16 v3, v23 offset:3072
	v_add_u32_e32 v2, s62, v2
	v_cmp_le_i32_e32 vcc, s1, v2
	s_waitcnt lgkmcnt(0)
	s_barrier
	v_cmp_ne_u16_sdwa s[38:39], v3, v23 src0_sel:BYTE_0 src1_sel:DWORD
	s_or_b64 s[40:41], vcc, s[38:39]
	s_and_b64 s[40:41], exec, s[40:41]
	s_or_b64 s[18:19], s[40:41], s[18:19]
	s_andn2_b64 s[36:37], s[36:37], exec
	s_and_b64 s[38:39], s[38:39], exec
	s_or_b64 s[36:37], s[36:37], s[38:39]
	s_andn2_b64 exec, exec, s[18:19]
	s_cbranch_execz .LBB8_181
.LBB8_176:                              ;   Parent Loop BB8_8 Depth=1
                                        ; =>  This Inner Loop Header: Depth=2
	v_cmp_gt_i32_e32 vcc, s0, v2
	v_mov_b32_e32 v3, 0
	s_and_saveexec_b64 s[38:39], vcc
	s_cbranch_execz .LBB8_178
; %bb.177:                              ;   in Loop: Header=BB8_176 Depth=2
	ds_read_u8 v3, v2
.LBB8_178:                              ;   in Loop: Header=BB8_176 Depth=2
	s_or_b64 exec, exec, s[38:39]
	s_and_saveexec_b64 s[38:39], vcc
	s_cbranch_execz .LBB8_175
; %bb.179:                              ;   in Loop: Header=BB8_176 Depth=2
	s_waitcnt lgkmcnt(0)
	v_add_u32_sdwa v4, sext(v3), s79 dst_sel:DWORD dst_unused:UNUSED_PAD src0_sel:BYTE_0 src1_sel:DWORD
	v_and_b32_e32 v4, s81, v4
	v_cmp_eq_u32_e32 vcc, s8, v4
	s_and_b64 exec, exec, vcc
	s_cbranch_execz .LBB8_175
; %bb.180:                              ;   in Loop: Header=BB8_176 Depth=2
	v_lshlrev_b16_e32 v3, 8, v3
	v_or_b32_e32 v3, 1, v3
	ds_write_b16 v23, v3 offset:3072
	s_branch .LBB8_175
.LBB8_181:                              ;   in Loop: Header=BB8_8 Depth=1
	s_or_b64 exec, exec, s[18:19]
	v_lshrrev_b16_e32 v25, 8, v3
	s_and_b64 s[18:19], s[36:37], exec
.LBB8_182:                              ;   in Loop: Header=BB8_8 Depth=1
	s_or_b64 exec, exec, s[34:35]
	s_mov_b64 s[38:39], -1
	s_mov_b64 s[34:35], 0
	s_mov_b64 s[36:37], 0
.LBB8_183:                              ;   in Loop: Header=BB8_8 Depth=1
	s_mov_b64 s[44:45], 0
                                        ; implicit-def: $sgpr57
	s_and_saveexec_b64 s[40:41], s[18:19]
	s_cbranch_execz .LBB8_238
; %bb.184:                              ;   in Loop: Header=BB8_8 Depth=1
	s_xor_b64 s[0:1], s[42:43], -1
	s_mov_b64 s[18:19], 0
	s_andn2_b64 vcc, exec, s[0:1]
	s_mov_b32 s56, 1
	s_cbranch_vccnz .LBB8_195
; %bb.185:                              ;   in Loop: Header=BB8_8 Depth=1
	s_cmp_gt_i32 s49, s46
	s_mov_b64 s[18:19], -1
                                        ; implicit-def: $sgpr57
                                        ; implicit-def: $sgpr0
                                        ; implicit-def: $sgpr1
	s_cbranch_scc1 .LBB8_191
; %bb.186:                              ;   in Loop: Header=BB8_8 Depth=1
	ds_read_b32 v2, v23 offset:4096
	s_waitcnt lgkmcnt(0)
	v_cmp_ne_u32_e32 vcc, 0, v2
	s_cbranch_vccnz .LBB8_190
; %bb.187:                              ;   in Loop: Header=BB8_8 Depth=1
	s_mov_b64 s[18:19], exec
	v_readlane_b32 s0, v42, 4
	v_readlane_b32 s1, v42, 5
	s_and_b64 s[0:1], s[18:19], s[0:1]
	s_mov_b64 exec, s[0:1]
	s_cbranch_execz .LBB8_189
; %bb.188:                              ;   in Loop: Header=BB8_8 Depth=1
	v_mov_b32_e32 v2, s46
	ds_write_b32 v23, v2 offset:4100
.LBB8_189:                              ;   in Loop: Header=BB8_8 Depth=1
	s_or_b64 exec, exec, s[18:19]
	s_waitcnt lgkmcnt(0)
	s_barrier
.LBB8_190:                              ;   in Loop: Header=BB8_8 Depth=1
	s_lshl_b32 s0, 2, s47
	s_and_b32 s1, s8, s48
	s_or_b32 s0, s1, s0
	s_or_b32 s1, s81, s55
	s_mov_b64 s[18:19], 0
	s_mov_b32 s57, 8
.LBB8_191:                              ;   in Loop: Header=BB8_8 Depth=1
	s_andn2_b64 vcc, exec, s[18:19]
	s_cbranch_vccnz .LBB8_193
; %bb.192:                              ;   in Loop: Header=BB8_8 Depth=1
	s_sub_i32 s49, s49, s46
	s_mov_b64 s[18:19], -1
	s_mov_b32 s57, 0
	s_mov_b32 s0, s8
	;; [unrolled: 1-line block ×3, first 2 shown]
.LBB8_193:                              ;   in Loop: Header=BB8_8 Depth=1
	s_mov_b32 s81, s1
	s_mov_b32 s8, s0
	;; [unrolled: 1-line block ×3, first 2 shown]
	s_andn2_b64 vcc, exec, s[18:19]
	s_mov_b64 s[52:53], -1
	s_cbranch_vccz .LBB8_196
.LBB8_194:                              ;   in Loop: Header=BB8_8 Depth=1
                                        ; implicit-def: $sgpr18_sgpr19
                                        ; implicit-def: $sgpr46_sgpr47
                                        ; implicit-def: $sgpr44_sgpr45
	s_branch .LBB8_237
.LBB8_195:                              ;   in Loop: Header=BB8_8 Depth=1
	s_mov_b32 s57, 1
	s_andn2_b64 vcc, exec, s[18:19]
	s_mov_b64 s[52:53], -1
	s_cbranch_vccnz .LBB8_194
.LBB8_196:                              ;   in Loop: Header=BB8_8 Depth=1
	s_cmp_eq_u32 s54, 1
	s_cselect_b64 s[0:1], -1, 0
	s_cmp_eq_u32 s56, 1
	s_cselect_b64 s[18:19], -1, 0
	s_and_b64 s[42:43], s[0:1], s[18:19]
	s_mov_b64 s[48:49], -1
	s_and_b64 vcc, exec, s[42:43]
	s_cbranch_vccz .LBB8_208
; %bb.197:                              ;   in Loop: Header=BB8_8 Depth=1
	ds_read_b32 v2, v23 offset:4096
	s_waitcnt lgkmcnt(0)
	s_barrier
	v_readfirstlane_b32 s0, v2
	s_and_saveexec_b64 s[18:19], s[4:5]
	s_cbranch_execz .LBB8_199
; %bb.198:                              ;   in Loop: Header=BB8_8 Depth=1
	ds_write_b8 v0, v23 offset:3072
.LBB8_199:                              ;   in Loop: Header=BB8_8 Depth=1
	s_or_b64 exec, exec, s[18:19]
	s_or_b32 s8, s8, s55
	s_or_b32 s81, s81, s55
	s_cmp_gt_i32 s0, 0
	s_waitcnt lgkmcnt(0)
	s_barrier
	s_cbranch_scc1 .LBB8_209
; %bb.200:                              ;   in Loop: Header=BB8_8 Depth=1
	s_mov_b64 s[48:49], 0
                                        ; implicit-def: $vgpr25
	s_mov_b64 s[44:45], exec
	v_readlane_b32 s18, v42, 33
	v_readlane_b32 s19, v42, 34
	s_and_b64 s[18:19], s[44:45], s[18:19]
	s_mov_b64 exec, s[18:19]
	s_cbranch_execz .LBB8_211
; %bb.201:                              ;   in Loop: Header=BB8_8 Depth=1
	s_mov_b64 s[46:47], 0
	v_mov_b32_e32 v2, v9
	v_mov_b32_e32 v3, v0
                                        ; implicit-def: $sgpr48_sgpr49
	s_branch .LBB8_203
.LBB8_202:                              ;   in Loop: Header=BB8_203 Depth=2
	s_or_b64 exec, exec, s[18:19]
	s_waitcnt lgkmcnt(0)
	s_barrier
	s_waitcnt vmcnt(0)
	ds_read_u16 v4, v23 offset:3072
	v_add_u32_e32 v3, s62, v3
	v_cmp_le_i32_e32 vcc, s9, v3
	v_add_u32_e32 v2, s80, v2
	s_waitcnt lgkmcnt(0)
	v_cmp_ne_u16_sdwa s[18:19], v4, v23 src0_sel:BYTE_0 src1_sel:DWORD
	s_or_b64 s[50:51], vcc, s[18:19]
	s_and_b64 s[50:51], exec, s[50:51]
	s_or_b64 s[46:47], s[50:51], s[46:47]
	s_andn2_b64 s[48:49], s[48:49], exec
	s_and_b64 s[18:19], s[18:19], exec
	s_or_b64 s[48:49], s[48:49], s[18:19]
	s_barrier
	s_andn2_b64 exec, exec, s[46:47]
	s_cbranch_execz .LBB8_210
.LBB8_203:                              ;   Parent Loop BB8_8 Depth=1
                                        ; =>  This Inner Loop Header: Depth=2
	v_cmp_gt_i32_e32 vcc, s60, v3
	v_mov_b32_e32 v4, 0
	s_and_saveexec_b64 s[50:51], vcc
	s_cbranch_execz .LBB8_205
; %bb.204:                              ;   in Loop: Header=BB8_203 Depth=2
	v_ashrrev_i32_e32 v5, 31, v2
	v_mov_b32_e32 v25, s69
	v_add_co_u32_e64 v4, s[18:19], s68, v2
	v_addc_co_u32_e64 v5, s[18:19], v25, v5, s[18:19]
	global_load_ubyte v4, v[4:5], off
.LBB8_205:                              ;   in Loop: Header=BB8_203 Depth=2
	s_or_b64 exec, exec, s[50:51]
	s_and_saveexec_b64 s[18:19], vcc
	s_cbranch_execz .LBB8_202
; %bb.206:                              ;   in Loop: Header=BB8_203 Depth=2
	s_waitcnt vmcnt(0)
	v_add_u32_sdwa v5, sext(v4), s79 dst_sel:DWORD dst_unused:UNUSED_PAD src0_sel:BYTE_0 src1_sel:DWORD
	v_and_b32_e32 v5, s81, v5
	v_cmp_eq_u32_e32 vcc, s8, v5
	s_and_b64 exec, exec, vcc
	s_cbranch_execz .LBB8_202
; %bb.207:                              ;   in Loop: Header=BB8_203 Depth=2
	v_lshlrev_b16_e32 v4, 8, v4
	v_or_b32_e32 v4, 1, v4
	ds_write_b16 v23, v4 offset:3072
	s_branch .LBB8_202
.LBB8_208:                              ;   in Loop: Header=BB8_8 Depth=1
                                        ; implicit-def: $sgpr18_sgpr19
                                        ; implicit-def: $sgpr46_sgpr47
                                        ; implicit-def: $sgpr44_sgpr45
	s_branch .LBB8_222
.LBB8_209:                              ;   in Loop: Header=BB8_8 Depth=1
	s_mov_b64 s[18:19], -1
	s_mov_b64 s[48:49], 0
                                        ; implicit-def: $sgpr44_sgpr45
                                        ; implicit-def: $vgpr25
	s_mov_b64 s[46:47], s[18:19]
	s_cbranch_execnz .LBB8_212
	s_branch .LBB8_222
.LBB8_210:                              ;   in Loop: Header=BB8_8 Depth=1
	s_or_b64 exec, exec, s[46:47]
	v_lshrrev_b16_e32 v25, 8, v4
	s_and_b64 s[48:49], s[48:49], exec
.LBB8_211:                              ;   in Loop: Header=BB8_8 Depth=1
	s_or_b64 exec, exec, s[44:45]
	s_mov_b64 s[44:45], -1
	s_mov_b64 s[18:19], 0
	s_mov_b64 s[46:47], s[18:19]
	s_branch .LBB8_222
.LBB8_212:                              ;   in Loop: Header=BB8_8 Depth=1
	v_readlane_b32 s1, v42, 9
	s_add_i32 s1, s0, s1
	s_abs_i32 s19, s1
	v_readlane_b32 s44, v42, 32
	s_mul_hi_u32 s44, s19, s44
	s_mul_i32 s44, s44, s62
	s_sub_i32 s19, s19, s44
	s_ashr_i32 s18, s1, 31
	s_sub_i32 s44, s19, s62
	s_cmp_ge_u32 s19, s62
	s_cselect_b32 s19, s44, s19
	s_sub_i32 s44, s19, s62
	s_cmp_ge_u32 s19, s62
	s_cselect_b32 s19, s44, s19
	s_xor_b32 s19, s19, s18
	s_sub_i32 s18, s18, s19
	s_add_i32 s1, s1, s18
	v_cmp_gt_i32_e32 vcc, s1, v0
	s_mov_b64 s[48:49], 0
                                        ; implicit-def: $vgpr25
	s_and_saveexec_b64 s[18:19], vcc
	s_cbranch_execz .LBB8_221
; %bb.213:                              ;   in Loop: Header=BB8_8 Depth=1
	s_mov_b64 s[44:45], 0
	v_mov_b32_e32 v2, v0
                                        ; implicit-def: $sgpr46_sgpr47
	s_branch .LBB8_215
.LBB8_214:                              ;   in Loop: Header=BB8_215 Depth=2
	s_or_b64 exec, exec, s[48:49]
	s_waitcnt lgkmcnt(0)
	s_barrier
	ds_read_u16 v3, v23 offset:3072
	v_add_u32_e32 v2, s62, v2
	v_cmp_le_i32_e32 vcc, s1, v2
	s_waitcnt lgkmcnt(0)
	s_barrier
	v_cmp_ne_u16_sdwa s[48:49], v3, v23 src0_sel:BYTE_0 src1_sel:DWORD
	s_or_b64 s[50:51], vcc, s[48:49]
	s_and_b64 s[50:51], exec, s[50:51]
	s_or_b64 s[44:45], s[50:51], s[44:45]
	s_andn2_b64 s[46:47], s[46:47], exec
	s_and_b64 s[48:49], s[48:49], exec
	s_or_b64 s[46:47], s[46:47], s[48:49]
	s_andn2_b64 exec, exec, s[44:45]
	s_cbranch_execz .LBB8_220
.LBB8_215:                              ;   Parent Loop BB8_8 Depth=1
                                        ; =>  This Inner Loop Header: Depth=2
	v_cmp_gt_i32_e32 vcc, s0, v2
	v_mov_b32_e32 v3, 0
	s_and_saveexec_b64 s[48:49], vcc
	s_cbranch_execz .LBB8_217
; %bb.216:                              ;   in Loop: Header=BB8_215 Depth=2
	ds_read_u8 v3, v2
.LBB8_217:                              ;   in Loop: Header=BB8_215 Depth=2
	s_or_b64 exec, exec, s[48:49]
	s_and_saveexec_b64 s[48:49], vcc
	s_cbranch_execz .LBB8_214
; %bb.218:                              ;   in Loop: Header=BB8_215 Depth=2
	s_waitcnt lgkmcnt(0)
	v_add_u32_sdwa v4, sext(v3), s79 dst_sel:DWORD dst_unused:UNUSED_PAD src0_sel:BYTE_0 src1_sel:DWORD
	v_and_b32_e32 v4, s81, v4
	v_cmp_eq_u32_e32 vcc, s8, v4
	s_and_b64 exec, exec, vcc
	s_cbranch_execz .LBB8_214
; %bb.219:                              ;   in Loop: Header=BB8_215 Depth=2
	v_lshlrev_b16_e32 v3, 8, v3
	v_or_b32_e32 v3, 1, v3
	ds_write_b16 v23, v3 offset:3072
	s_branch .LBB8_214
.LBB8_220:                              ;   in Loop: Header=BB8_8 Depth=1
	s_or_b64 exec, exec, s[44:45]
	v_lshrrev_b16_e32 v25, 8, v3
	s_and_b64 s[48:49], s[46:47], exec
.LBB8_221:                              ;   in Loop: Header=BB8_8 Depth=1
	s_or_b64 exec, exec, s[18:19]
	s_mov_b64 s[46:47], -1
	s_mov_b64 s[18:19], 0
	s_mov_b64 s[44:45], 0
.LBB8_222:                              ;   in Loop: Header=BB8_8 Depth=1
	s_mov_b64 s[52:53], 0
                                        ; implicit-def: $sgpr57
	s_and_saveexec_b64 s[50:51], s[48:49]
	s_cbranch_execz .LBB8_236
; %bb.223:                              ;   in Loop: Header=BB8_8 Depth=1
	s_xor_b64 s[0:1], s[42:43], -1
	s_andn2_b64 vcc, exec, s[0:1]
	s_mov_b32 s57, 1
	s_cbranch_vccnz .LBB8_230
; %bb.224:                              ;   in Loop: Header=BB8_8 Depth=1
	s_cmp_gt_i32 s56, s54
	s_cbranch_scc1 .LBB8_231
; %bb.225:                              ;   in Loop: Header=BB8_8 Depth=1
	ds_read_b32 v2, v23 offset:4096
	s_waitcnt lgkmcnt(0)
	v_cmp_ne_u32_e32 vcc, 0, v2
	s_cbranch_vccnz .LBB8_229
; %bb.226:                              ;   in Loop: Header=BB8_8 Depth=1
	s_mov_b64 s[42:43], exec
	v_readlane_b32 s0, v42, 4
	v_readlane_b32 s1, v42, 5
	s_and_b64 s[0:1], s[42:43], s[0:1]
	s_mov_b64 exec, s[0:1]
	s_cbranch_execz .LBB8_228
; %bb.227:                              ;   in Loop: Header=BB8_8 Depth=1
	v_mov_b32_e32 v2, s54
	ds_write_b32 v23, v2 offset:4100
.LBB8_228:                              ;   in Loop: Header=BB8_8 Depth=1
	s_or_b64 exec, exec, s[42:43]
	s_waitcnt lgkmcnt(0)
	s_barrier
.LBB8_229:                              ;   in Loop: Header=BB8_8 Depth=1
	s_or_b32 s0, s8, s55
	s_or_b32 s1, s81, s55
	s_mov_b64 s[42:43], 0
	s_mov_b32 s57, 8
	s_branch .LBB8_232
.LBB8_230:                              ;   in Loop: Header=BB8_8 Depth=1
	s_mov_b32 s56, 1
	s_branch .LBB8_235
.LBB8_231:                              ;   in Loop: Header=BB8_8 Depth=1
	s_mov_b64 s[42:43], -1
                                        ; implicit-def: $sgpr57
                                        ; implicit-def: $sgpr0
                                        ; implicit-def: $sgpr1
.LBB8_232:                              ;   in Loop: Header=BB8_8 Depth=1
	s_andn2_b64 vcc, exec, s[42:43]
	s_cbranch_vccnz .LBB8_234
; %bb.233:                              ;   in Loop: Header=BB8_8 Depth=1
	s_sub_i32 s56, s56, s54
	s_mov_b32 s57, 8
	s_mov_b32 s0, s8
	;; [unrolled: 1-line block ×3, first 2 shown]
.LBB8_234:                              ;   in Loop: Header=BB8_8 Depth=1
	s_mov_b32 s8, s0
	s_mov_b32 s81, s1
.LBB8_235:                              ;   in Loop: Header=BB8_8 Depth=1
	s_mov_b64 s[52:53], exec
.LBB8_236:                              ;   in Loop: Header=BB8_8 Depth=1
	s_or_b64 exec, exec, s[50:51]
.LBB8_237:                              ;   in Loop: Header=BB8_8 Depth=1
	s_andn2_b64 s[0:1], s[34:35], exec
	s_and_b64 s[18:19], s[18:19], exec
	s_or_b64 s[34:35], s[0:1], s[18:19]
	s_andn2_b64 s[0:1], s[38:39], exec
	s_and_b64 s[18:19], s[46:47], exec
	s_or_b64 s[38:39], s[0:1], s[18:19]
	s_andn2_b64 s[0:1], s[36:37], exec
	s_and_b64 s[18:19], s[44:45], exec
	s_or_b64 s[36:37], s[0:1], s[18:19]
	s_and_b64 s[44:45], s[52:53], exec
	s_mov_b32 s49, s56
.LBB8_238:                              ;   in Loop: Header=BB8_8 Depth=1
	s_or_b64 exec, exec, s[40:41]
.LBB8_239:                              ;   in Loop: Header=BB8_8 Depth=1
	s_andn2_b64 s[0:1], s[26:27], exec
	s_and_b64 s[18:19], s[34:35], exec
	s_or_b64 s[26:27], s[0:1], s[18:19]
	s_andn2_b64 s[0:1], s[28:29], exec
	s_and_b64 s[18:19], s[38:39], exec
	s_or_b64 s[28:29], s[0:1], s[18:19]
	;; [unrolled: 3-line block ×3, first 2 shown]
	s_and_b64 s[36:37], s[44:45], exec
	s_mov_b32 s39, s49
.LBB8_240:                              ;   in Loop: Header=BB8_8 Depth=1
	s_or_b64 exec, exec, s[30:31]
	s_and_saveexec_b64 s[0:1], s[36:37]
	s_xor_b64 s[18:19], exec, s[0:1]
	s_cbranch_execz .LBB8_6
.LBB8_241:                              ;   in Loop: Header=BB8_8 Depth=1
	s_and_b32 s0, s57, -9
	s_cmp_eq_u32 s0, 0
	s_cbranch_scc1 .LBB8_4
; %bb.242:                              ;   in Loop: Header=BB8_8 Depth=1
	s_mov_b64 s[22:23], -1
                                        ; implicit-def: $sgpr81
                                        ; implicit-def: $sgpr39
                                        ; implicit-def: $sgpr16
                                        ; implicit-def: $sgpr17
	s_mov_b64 s[30:31], -1
	s_branch .LBB8_5
.LBB8_243:
	s_or_b64 exec, exec, s[88:89]
	s_xor_b64 s[8:9], s[94:95], -1
	s_xor_b64 s[0:1], s[90:91], -1
	;; [unrolled: 1-line block ×3, first 2 shown]
	s_mov_b64 s[4:5], 0
	s_and_saveexec_b64 s[2:3], s[0:1]
	s_xor_b64 s[2:3], exec, s[2:3]
	s_cbranch_execnz .LBB8_248
; %bb.244:
	s_andn2_saveexec_b64 s[0:1], s[2:3]
	s_cbranch_execnz .LBB8_268
.LBB8_245:
	s_or_b64 exec, exec, s[0:1]
	s_and_saveexec_b64 s[0:1], s[4:5]
.LBB8_246:
	; divergent unreachable
.LBB8_247:
	s_endpgm
.LBB8_248:
	s_and_saveexec_b64 s[0:1], s[8:9]
	s_xor_b64 s[4:5], exec, s[0:1]
	s_cbranch_execz .LBB8_266
; %bb.249:
	s_and_saveexec_b64 s[0:1], s[6:7]
	s_xor_b64 s[6:7], exec, s[0:1]
; %bb.250:
	v_xor_b32_e32 v25, 0xffffff80, v2
; %bb.251:
	s_or_b64 exec, exec, s[6:7]
	s_mov_b64 s[6:7], exec
	v_readlane_b32 s0, v42, 4
	v_readlane_b32 s1, v42, 5
	s_and_b64 s[0:1], s[6:7], s[0:1]
	s_mov_b64 exec, s[0:1]
	s_cbranch_execz .LBB8_253
; %bb.252:
	v_mov_b32_e32 v1, 0
	v_mov_b32_e32 v2, s60
	ds_write_b32 v1, v2 offset:4108
.LBB8_253:
	s_or_b64 exec, exec, s[6:7]
	v_mov_b32_e32 v1, 0
	s_waitcnt lgkmcnt(0)
	s_barrier
	ds_read_b32 v1, v1 offset:4108
	s_waitcnt lgkmcnt(0)
	v_min_i32_e32 v2, s60, v1
	v_cmp_lt_i32_e32 vcc, v0, v2
	s_and_saveexec_b64 s[6:7], vcc
	s_cbranch_execz .LBB8_263
; %bb.254:
	s_mov_b64 s[8:9], 0
	v_mov_b32_e32 v3, s69
                                        ; implicit-def: $sgpr10_sgpr11
                                        ; implicit-def: $sgpr14_sgpr15
                                        ; implicit-def: $sgpr12_sgpr13
	s_branch .LBB8_256
.LBB8_255:                              ;   in Loop: Header=BB8_256 Depth=1
	s_or_b64 exec, exec, s[16:17]
	s_and_b64 s[0:1], exec, s[14:15]
	s_or_b64 s[8:9], s[0:1], s[8:9]
	s_andn2_b64 s[0:1], s[10:11], exec
	s_and_b64 s[10:11], s[12:13], exec
	s_or_b64 s[10:11], s[0:1], s[10:11]
	s_andn2_b64 exec, exec, s[8:9]
	s_cbranch_execz .LBB8_258
.LBB8_256:                              ; =>This Inner Loop Header: Depth=1
	v_ashrrev_i32_e32 v1, 31, v9
	v_add_co_u32_e32 v4, vcc, s68, v9
	v_addc_co_u32_e32 v5, vcc, v3, v1, vcc
	global_load_ubyte v4, v[4:5], off
	v_mov_b32_e32 v1, v0
	s_or_b64 s[12:13], s[12:13], exec
	s_or_b64 s[14:15], s[14:15], exec
                                        ; implicit-def: $vgpr0
	s_waitcnt vmcnt(0)
	v_cmp_ne_u16_sdwa s[0:1], v4, v25 src0_sel:DWORD src1_sel:BYTE_0
	s_and_saveexec_b64 s[16:17], s[0:1]
	s_cbranch_execz .LBB8_255
; %bb.257:                              ;   in Loop: Header=BB8_256 Depth=1
	v_add_u32_e32 v0, s62, v1
	v_cmp_ge_i32_e32 vcc, v0, v2
	s_andn2_b64 s[0:1], s[14:15], exec
	s_and_b64 s[14:15], vcc, exec
	v_add_u32_e32 v9, s80, v9
	s_andn2_b64 s[12:13], s[12:13], exec
	s_or_b64 s[14:15], s[0:1], s[14:15]
	s_branch .LBB8_255
.LBB8_258:
	s_or_b64 exec, exec, s[8:9]
	s_and_saveexec_b64 s[0:1], s[10:11]
	s_xor_b64 s[0:1], exec, s[0:1]
	s_cbranch_execz .LBB8_263
; %bb.259:
	s_mov_b64 s[8:9], exec
	s_brev_b32 s0, -2
.LBB8_260:                              ; =>This Inner Loop Header: Depth=1
	s_ff1_i32_b64 s1, s[8:9]
	v_readlane_b32 s12, v1, s1
	s_lshl_b64 s[10:11], 1, s1
	s_min_i32 s0, s0, s12
	s_andn2_b64 s[8:9], s[8:9], s[10:11]
	s_cmp_lg_u64 s[8:9], 0
	s_cbranch_scc1 .LBB8_260
; %bb.261:
	v_mbcnt_lo_u32_b32 v0, exec_lo, 0
	v_mbcnt_hi_u32_b32 v0, exec_hi, v0
	v_cmp_eq_u32_e32 vcc, 0, v0
	s_and_saveexec_b64 s[8:9], vcc
	s_xor_b64 s[8:9], exec, s[8:9]
	s_cbranch_execz .LBB8_263
; %bb.262:
	v_mov_b32_e32 v0, 0
	v_mov_b32_e32 v1, s0
	ds_min_i32 v0, v1 offset:4108
.LBB8_263:
	s_or_b64 exec, exec, s[6:7]
	s_waitcnt lgkmcnt(0)
	s_barrier
	s_mov_b64 s[6:7], exec
	v_readlane_b32 s0, v42, 4
	v_readlane_b32 s1, v42, 5
	s_and_b64 s[0:1], s[6:7], s[0:1]
	s_mov_b64 exec, s[0:1]
	s_cbranch_execz .LBB8_265
; %bb.264:
	v_readlane_b32 s0, v42, 8
	v_readlane_b32 s1, v42, 7
	s_mul_i32 s1, s1, s0
	v_mov_b32_e32 v2, 0
	v_readlane_b32 s8, v42, 6
	s_ashr_i32 s9, s1, 31
	v_readlane_b32 s10, v42, 2
	ds_read_b32 v0, v2 offset:4108
	s_mul_i32 s0, s8, s0
	v_readlane_b32 s11, v42, 3
	s_add_u32 s8, s10, s1
	s_addc_u32 s9, s11, s9
	s_ashr_i32 s1, s0, 31
	s_lshl_b64 s[0:1], s[0:1], 3
	v_readlane_b32 s10, v42, 0
	v_readlane_b32 s11, v42, 1
	s_add_u32 s0, s10, s0
	s_addc_u32 s1, s11, s1
	s_waitcnt lgkmcnt(0)
	v_ashrrev_i32_e32 v1, 31, v0
	global_store_dwordx2 v2, v[0:1], s[0:1]
	global_store_byte v2, v25, s[8:9]
.LBB8_265:
	s_or_b64 exec, exec, s[6:7]
.LBB8_266:
	s_or_saveexec_b64 s[0:1], s[4:5]
	s_mov_b64 s[4:5], 0
	s_xor_b64 exec, exec, s[0:1]
	s_cbranch_execnz .LBB8_269
.LBB8_267:
	s_or_b64 exec, exec, s[0:1]
	s_and_b64 s[4:5], s[4:5], exec
	s_andn2_saveexec_b64 s[0:1], s[2:3]
	s_cbranch_execz .LBB8_245
.LBB8_268:
	s_or_b64 s[4:5], s[4:5], exec
	s_trap 2
	s_or_b64 exec, exec, s[0:1]
	s_and_saveexec_b64 s[0:1], s[4:5]
	s_cbranch_execnz .LBB8_246
	s_branch .LBB8_247
.LBB8_269:
	s_mov_b64 s[4:5], exec
	s_trap 2
	s_branch .LBB8_267
	.section	.rodata,"a",@progbits
	.p2align	6, 0x0
	.amdhsa_kernel _ZN2at6native12_GLOBAL__N_114gatherKthValueIaiLi1EEEvNS_4cuda6detail10TensorInfoIKT_T0_EES8_S8_S8_S8_NS5_IS6_S8_EENS5_IlS8_EE
		.amdhsa_group_segment_fixed_size 4112
		.amdhsa_private_segment_fixed_size 0
		.amdhsa_kernarg_size 920
		.amdhsa_user_sgpr_count 6
		.amdhsa_user_sgpr_private_segment_buffer 1
		.amdhsa_user_sgpr_dispatch_ptr 0
		.amdhsa_user_sgpr_queue_ptr 0
		.amdhsa_user_sgpr_kernarg_segment_ptr 1
		.amdhsa_user_sgpr_dispatch_id 0
		.amdhsa_user_sgpr_flat_scratch_init 0
		.amdhsa_user_sgpr_kernarg_preload_length 0
		.amdhsa_user_sgpr_kernarg_preload_offset 0
		.amdhsa_user_sgpr_private_segment_size 0
		.amdhsa_uses_dynamic_stack 0
		.amdhsa_system_sgpr_private_segment_wavefront_offset 0
		.amdhsa_system_sgpr_workgroup_id_x 1
		.amdhsa_system_sgpr_workgroup_id_y 1
		.amdhsa_system_sgpr_workgroup_id_z 1
		.amdhsa_system_sgpr_workgroup_info 0
		.amdhsa_system_vgpr_workitem_id 0
		.amdhsa_next_free_vgpr 43
		.amdhsa_next_free_sgpr 96
		.amdhsa_accum_offset 44
		.amdhsa_reserve_vcc 1
		.amdhsa_reserve_flat_scratch 0
		.amdhsa_float_round_mode_32 0
		.amdhsa_float_round_mode_16_64 0
		.amdhsa_float_denorm_mode_32 3
		.amdhsa_float_denorm_mode_16_64 3
		.amdhsa_dx10_clamp 1
		.amdhsa_ieee_mode 1
		.amdhsa_fp16_overflow 0
		.amdhsa_tg_split 0
		.amdhsa_exception_fp_ieee_invalid_op 0
		.amdhsa_exception_fp_denorm_src 0
		.amdhsa_exception_fp_ieee_div_zero 0
		.amdhsa_exception_fp_ieee_overflow 0
		.amdhsa_exception_fp_ieee_underflow 0
		.amdhsa_exception_fp_ieee_inexact 0
		.amdhsa_exception_int_div_zero 0
	.end_amdhsa_kernel
	.section	.text._ZN2at6native12_GLOBAL__N_114gatherKthValueIaiLi1EEEvNS_4cuda6detail10TensorInfoIKT_T0_EES8_S8_S8_S8_NS5_IS6_S8_EENS5_IlS8_EE,"axG",@progbits,_ZN2at6native12_GLOBAL__N_114gatherKthValueIaiLi1EEEvNS_4cuda6detail10TensorInfoIKT_T0_EES8_S8_S8_S8_NS5_IS6_S8_EENS5_IlS8_EE,comdat
.Lfunc_end8:
	.size	_ZN2at6native12_GLOBAL__N_114gatherKthValueIaiLi1EEEvNS_4cuda6detail10TensorInfoIKT_T0_EES8_S8_S8_S8_NS5_IS6_S8_EENS5_IlS8_EE, .Lfunc_end8-_ZN2at6native12_GLOBAL__N_114gatherKthValueIaiLi1EEEvNS_4cuda6detail10TensorInfoIKT_T0_EES8_S8_S8_S8_NS5_IS6_S8_EENS5_IlS8_EE
                                        ; -- End function
	.section	.AMDGPU.csdata,"",@progbits
; Kernel info:
; codeLenInByte = 9556
; NumSgprs: 100
; NumVgprs: 43
; NumAgprs: 0
; TotalNumVgprs: 43
; ScratchSize: 0
; MemoryBound: 0
; FloatMode: 240
; IeeeMode: 1
; LDSByteSize: 4112 bytes/workgroup (compile time only)
; SGPRBlocks: 12
; VGPRBlocks: 5
; NumSGPRsForWavesPerEU: 100
; NumVGPRsForWavesPerEU: 43
; AccumOffset: 44
; Occupancy: 8
; WaveLimiterHint : 1
; COMPUTE_PGM_RSRC2:SCRATCH_EN: 0
; COMPUTE_PGM_RSRC2:USER_SGPR: 6
; COMPUTE_PGM_RSRC2:TRAP_HANDLER: 0
; COMPUTE_PGM_RSRC2:TGID_X_EN: 1
; COMPUTE_PGM_RSRC2:TGID_Y_EN: 1
; COMPUTE_PGM_RSRC2:TGID_Z_EN: 1
; COMPUTE_PGM_RSRC2:TIDIG_COMP_CNT: 0
; COMPUTE_PGM_RSRC3_GFX90A:ACCUM_OFFSET: 10
; COMPUTE_PGM_RSRC3_GFX90A:TG_SPLIT: 0
	.section	.text._ZN2at6native12_GLOBAL__N_114gatherKthValueIaiLi2EEEvNS_4cuda6detail10TensorInfoIKT_T0_EES8_S8_S8_S8_NS5_IS6_S8_EENS5_IlS8_EE,"axG",@progbits,_ZN2at6native12_GLOBAL__N_114gatherKthValueIaiLi2EEEvNS_4cuda6detail10TensorInfoIKT_T0_EES8_S8_S8_S8_NS5_IS6_S8_EENS5_IlS8_EE,comdat
	.globl	_ZN2at6native12_GLOBAL__N_114gatherKthValueIaiLi2EEEvNS_4cuda6detail10TensorInfoIKT_T0_EES8_S8_S8_S8_NS5_IS6_S8_EENS5_IlS8_EE ; -- Begin function _ZN2at6native12_GLOBAL__N_114gatherKthValueIaiLi2EEEvNS_4cuda6detail10TensorInfoIKT_T0_EES8_S8_S8_S8_NS5_IS6_S8_EENS5_IlS8_EE
	.p2align	8
	.type	_ZN2at6native12_GLOBAL__N_114gatherKthValueIaiLi2EEEvNS_4cuda6detail10TensorInfoIKT_T0_EES8_S8_S8_S8_NS5_IS6_S8_EENS5_IlS8_EE,@function
_ZN2at6native12_GLOBAL__N_114gatherKthValueIaiLi2EEEvNS_4cuda6detail10TensorInfoIKT_T0_EES8_S8_S8_S8_NS5_IS6_S8_EENS5_IlS8_EE: ; @_ZN2at6native12_GLOBAL__N_114gatherKthValueIaiLi2EEEvNS_4cuda6detail10TensorInfoIKT_T0_EES8_S8_S8_S8_NS5_IS6_S8_EENS5_IlS8_EE
; %bb.0:
	s_load_dwordx2 s[12:13], s[4:5], 0x298
	s_load_dwordx4 s[60:63], s[4:5], 0xd8
	s_add_u32 s10, s4, 0x298
	s_addc_u32 s11, s5, 0
	s_waitcnt lgkmcnt(0)
	s_mul_i32 s0, s13, s8
	s_add_i32 s0, s0, s7
	s_mul_i32 s0, s0, s12
	s_add_i32 s16, s0, s6
	s_cmp_ge_i32 s16, s62
	s_cbranch_scc1 .LBB9_247
; %bb.1:
	s_load_dword s0, s[4:5], 0xc
	s_load_dwordx2 s[2:3], s[4:5], 0xe8
                                        ; implicit-def: $vgpr42 : SGPR spill to VGPR lane
                                        ; kill: killed $sgpr4 killed $sgpr5
	s_abs_i32 s19, s16
	s_ashr_i32 s18, s16, 31
	s_mov_b32 s74, 0
	s_waitcnt lgkmcnt(0)
	s_abs_i32 s1, s0
	v_writelane_b32 v42, s2, 0
	v_writelane_b32 v42, s3, 1
	s_load_dwordx2 s[8:9], s[4:5], 0x6c
	s_load_dwordx2 s[2:3], s[4:5], 0x0
	s_load_dwordx2 s[14:15], s[4:5], 0x22c
	v_cvt_f32_u32_e32 v1, s1
	s_ashr_i32 s7, s0, 31
	s_load_dword s20, s[4:5], 0xf4
	s_waitcnt lgkmcnt(0)
	v_writelane_b32 v42, s14, 2
	v_writelane_b32 v42, s15, 3
	s_load_dword s17, s[4:5], 0x1cc
	s_load_dwordx2 s[14:15], s[4:5], 0x1c0
	v_rcp_iflag_f32_e32 v1, v1
	s_waitcnt lgkmcnt(0)
	v_writelane_b32 v42, s14, 4
	v_writelane_b32 v42, s15, 5
	s_load_dwordx2 s[14:15], s[4:5], 0x154
	v_mul_f32_e32 v1, 0x4f7ffffe, v1
	v_cvt_u32_f32_e32 v1, v1
	s_sub_i32 s4, 0, s1
	s_waitcnt lgkmcnt(0)
	v_writelane_b32 v42, s14, 6
	v_writelane_b32 v42, s15, 7
	s_abs_i32 s15, s20
	v_cvt_f32_u32_e32 v2, s15
	v_readfirstlane_b32 s5, v1
	s_abs_i32 s14, s17
	s_mul_i32 s4, s4, s5
	v_rcp_iflag_f32_e32 v1, v2
	v_cvt_f32_u32_e32 v2, s14
	s_mul_hi_u32 s4, s5, s4
	s_add_i32 s5, s5, s4
	v_mul_f32_e32 v1, 0x4f7ffffe, v1
	v_cvt_u32_f32_e32 v1, v1
	v_rcp_iflag_f32_e32 v2, v2
	s_mul_hi_u32 s13, s19, s5
	s_sub_i32 s4, 0, s15
	v_readfirstlane_b32 s5, v1
	v_mul_f32_e32 v1, 0x4f7ffffe, v2
	s_mul_i32 s4, s4, s5
	v_cvt_u32_f32_e32 v1, v1
	s_mul_hi_u32 s4, s5, s4
	s_add_i32 s5, s5, s4
	v_writelane_b32 v42, s15, 8
	s_mul_hi_u32 s4, s19, s5
	v_writelane_b32 v42, s4, 9
	s_sub_i32 s4, 0, s14
	v_readfirstlane_b32 s5, v1
	s_mul_i32 s4, s4, s5
	s_mul_hi_u32 s4, s5, s4
	s_add_i32 s5, s5, s4
	v_writelane_b32 v42, s14, 10
	s_mul_hi_u32 s4, s19, s5
	v_writelane_b32 v42, s4, 11
	v_cmp_eq_u32_e64 s[14:15], 0, v0
	s_mov_b64 s[4:5], exec
	v_writelane_b32 v42, s14, 12
	v_writelane_b32 v42, s15, 13
	s_and_b64 s[14:15], s[4:5], s[14:15]
	s_mov_b64 exec, s[14:15]
	s_cbranch_execz .LBB9_3
; %bb.2:
	v_mov_b32_e32 v2, 0
	v_mov_b32_e32 v3, s60
	;; [unrolled: 1-line block ×3, first 2 shown]
	ds_write_b96 v2, v[2:4] offset:4096
.LBB9_3:
	s_or_b64 exec, exec, s[4:5]
	v_writelane_b32 v42, s20, 14
	s_ashr_i32 s4, s20, 31
	v_writelane_b32 v42, s4, 15
	s_mul_i32 s5, s13, s1
	v_writelane_b32 v42, s17, 16
	s_ashr_i32 s4, s17, 31
	s_sub_i32 s5, s19, s5
	v_writelane_b32 v42, s4, 17
	s_xor_b32 s4, s18, s7
	s_add_i32 s7, s13, 1
	s_sub_i32 s14, s5, s1
	s_cmp_ge_u32 s5, s1
	s_cselect_b32 s7, s7, s13
	s_cselect_b32 s5, s14, s5
	s_add_i32 s13, s7, 1
	s_cmp_ge_u32 s5, s1
	s_cselect_b32 s1, s13, s7
	s_xor_b32 s1, s1, s4
	s_sub_i32 s1, s1, s4
	s_mul_i32 s0, s1, s0
	s_sub_i32 s0, s16, s0
	s_waitcnt lgkmcnt(0)
	s_barrier
	s_load_dword s4, s[10:11], 0xc
	s_mul_i32 s0, s0, s9
	s_mul_i32 s1, s1, s8
	s_add_i32 s1, s1, s0
	s_ashr_i32 s0, s1, 31
	s_add_u32 s72, s2, s1
	v_mbcnt_lo_u32_b32 v1, -1, 0
	s_addc_u32 s73, s3, s0
	s_waitcnt lgkmcnt(0)
	s_and_b32 s62, s4, 0xffff
	v_mbcnt_hi_u32_b32 v12, -1, v1
	v_writelane_b32 v42, s18, 18
	v_cmp_gt_u32_e32 vcc, 64, v0
	v_cmp_gt_i32_e64 s[2:3], 4, v12
	s_add_i32 s0, s62, -1
	v_writelane_b32 v42, s19, 19
	s_lshl_b32 s33, s62, 2
	s_bfe_u32 s7, s4, 0xa0006
	s_and_b64 s[76:77], vcc, s[2:3]
	s_add_i32 s9, s0, s60
	v_writelane_b32 v42, s16, 20
	s_cmpk_gt_i32 s60, 0xc00
	v_writelane_b32 v42, s0, 21
	s_cselect_b64 s[0:1], -1, 0
	v_writelane_b32 v42, s0, 22
	s_cmp_gt_u32 s62, 63
	v_writelane_b32 v42, s1, 23
	s_cselect_b64 s[0:1], -1, 0
	v_writelane_b32 v42, s0, 24
	s_cmp_lt_u32 s6, s12
	v_writelane_b32 v42, s1, 25
	s_cselect_b32 s0, 12, 18
	s_add_u32 s0, s10, s0
	s_addc_u32 s1, s11, 0
	v_writelane_b32 v42, s0, 26
	v_writelane_b32 v42, s1, 27
	s_add_i32 s0, s7, -2
	s_lshr_b32 s1, s0, 1
	s_add_i32 s1, s1, 1
	s_cmpk_gt_u32 s62, 0x7f
	s_cselect_b64 s[2:3], -1, 0
	v_writelane_b32 v42, s2, 28
	v_writelane_b32 v42, s3, 29
	v_cmp_gt_u32_e64 s[10:11], s60, v0
	v_lshlrev_b64 v[2:3], v12, -1
	v_writelane_b32 v42, s10, 30
	v_not_b32_e32 v8, v2
	v_cvt_f32_u32_e32 v2, s33
	v_writelane_b32 v42, s11, 31
	v_cmp_gt_i32_e64 s[10:11], s60, v0
	s_and_b32 s6, s7, 0x3fe
	s_and_b32 s8, s1, 7
	v_writelane_b32 v42, s10, 32
	s_cmp_gt_u32 s0, 13
	v_writelane_b32 v42, s11, 33
	s_cselect_b64 s[10:11], -1, 0
	v_writelane_b32 v42, s10, 34
	v_rcp_iflag_f32_e32 v2, v2
	v_writelane_b32 v42, s11, 35
	s_and_b32 s0, s1, -8
	v_writelane_b32 v42, s0, 36
	s_cmp_lg_u32 s8, 0
	v_writelane_b32 v42, s8, 37
	s_cselect_b64 s[0:1], -1, 0
	v_writelane_b32 v42, s0, 38
	v_mul_f32_e32 v2, 0x4f7ffffe, v2
	v_writelane_b32 v42, s1, 39
	v_cvt_u32_f32_e32 v2, v2
	v_writelane_b32 v42, s7, 40
	s_cmp_lg_u32 s6, s7
	v_writelane_b32 v42, s6, 41
	s_cselect_b64 s[0:1], -1, 0
	v_writelane_b32 v42, s0, 42
	v_writelane_b32 v42, s1, 43
	v_readfirstlane_b32 s1, v2
	v_cvt_f32_u32_e32 v2, s62
	s_sub_i32 s0, 0, s33
	s_mul_i32 s0, s0, s1
	s_mul_hi_u32 s0, s1, s0
	s_add_i32 s6, s1, s0
	v_rcp_iflag_f32_e32 v2, v2
	s_mul_hi_u32 s0, s60, s6
	s_mul_i32 s0, s0, s33
	s_sub_i32 s0, s60, s0
	s_sub_i32 s1, s0, s33
	v_mul_f32_e32 v2, 0x4f7ffffe, v2
	s_cmp_ge_u32 s0, s33
	v_cvt_u32_f32_e32 v2, v2
	s_cselect_b32 s0, s1, s0
	s_sub_i32 s1, s0, s33
	s_cmp_ge_u32 s0, s33
	s_cselect_b32 s0, s1, s0
	s_sub_i32 s16, 0, s62
	v_readfirstlane_b32 s17, v2
	s_mul_i32 s16, s16, s17
	s_mul_hi_u32 s16, s17, s16
	s_abs_i32 s8, s9
	s_add_i32 s16, s17, s16
	v_writelane_b32 v42, s16, 44
	s_mul_hi_u32 s16, s8, s16
	s_mul_i32 s16, s16, s62
	s_sub_i32 s8, s8, s16
	s_sub_i32 s7, s60, s0
	s_ashr_i32 s1, s9, 31
	s_sub_i32 s16, s8, s62
	s_cmp_ge_u32 s8, s62
	s_cselect_b32 s8, s16, s8
	s_sub_i32 s16, s8, s62
	s_cmp_ge_u32 s8, s62
	v_lshlrev_b32_e32 v13, 2, v0
	s_cselect_b32 s8, s16, s8
	v_mul_lo_u32 v9, v0, s63
	s_xor_b32 s8, s8, s1
	v_mul_lo_u32 v2, s63, v13
	v_mov_b32_e32 v1, s73
	v_add_co_u32_e32 v6, vcc, s72, v9
	s_sub_i32 s1, s1, s8
	v_add_u32_e32 v17, s63, v2
	v_or_b32_e32 v2, 2, v13
	v_addc_co_u32_e32 v7, vcc, 0, v1, vcc
	v_lshrrev_b32_e32 v1, 4, v0
	v_add_u32_e32 v16, s7, v0
	s_add_i32 s9, s9, s1
	v_mul_lo_u32 v18, s63, v2
	v_or_b32_e32 v2, 3, v13
	s_add_i32 s1, s62, s60
	v_and_b32_e32 v14, 60, v1
	v_not_b32_e32 v1, v3
	v_mul_lo_u32 v3, v16, s63
	v_cmp_gt_i32_e64 s[16:17], s9, v0
	v_mul_lo_u32 v19, s63, v2
	v_add_u32_e32 v2, s1, v0
	v_lshlrev_b32_e32 v4, 2, v12
	v_ashrrev_i32_e32 v5, 31, v3
	v_mov_b32_e32 v11, s73
	v_add_co_u32_e32 v10, vcc, s72, v3
	v_writelane_b32 v42, s16, 45
	s_mul_i32 s84, s63, s62
	v_subrev_u32_e32 v2, s0, v2
	v_cmp_eq_u32_e64 s[2:3], 0, v12
	v_cmp_gt_u32_e64 s[4:5], 2, v0
	v_and_b32_e32 v15, 0x100, v4
	v_cmp_gt_i32_e64 s[10:11], s7, v13
	v_cmp_gt_u32_e64 s[12:13], s60, v16
	v_addc_co_u32_e32 v11, vcc, v11, v5, vcc
	v_cmp_gt_i32_e64 s[14:15], s60, v16
	v_writelane_b32 v42, s17, 46
	s_lshl_b32 s82, s84, 2
	v_lshlrev_b32_e32 v20, 2, v9
	v_mul_lo_u32 v21, s63, v2
	v_or_b32_e32 v22, 0xc00, v4
	s_mov_b32 s16, 6
	s_mov_b64 s[92:93], 0
	v_mov_b32_e32 v23, 0
	s_movk_i32 s83, 0x80
	v_mov_b32_e32 v24, 0xc00
	v_mov_b32_e32 v25, 0
	s_mov_b32 s17, 0
	s_mov_b32 s8, 0
	;; [unrolled: 1-line block ×3, first 2 shown]
                                        ; implicit-def: $sgpr94_sgpr95
                                        ; implicit-def: $sgpr66_sgpr67
                                        ; implicit-def: $sgpr64_sgpr65
                                        ; implicit-def: $sgpr68_sgpr69
                                        ; implicit-def: $sgpr70_sgpr71
                                        ; implicit-def: $sgpr86_sgpr87
	s_branch .LBB9_8
.LBB9_4:                                ;   in Loop: Header=BB9_8 Depth=1
	s_xor_b32 s17, s17, 1
	s_add_i32 s0, s16, -2
	s_cmp_eq_u32 s16, 0
	s_mov_b64 s[22:23], 0
	s_cselect_b64 s[30:31], -1, 0
	s_mov_b32 s16, s0
.LBB9_5:                                ;   in Loop: Header=BB9_8 Depth=1
	s_andn2_b64 s[0:1], s[26:27], exec
	s_and_b64 s[22:23], s[22:23], exec
	s_or_b64 s[26:27], s[0:1], s[22:23]
	s_andn2_b64 s[28:29], s[28:29], exec
	s_andn2_b64 s[24:25], s[24:25], exec
	s_orn2_b64 s[22:23], s[30:31], exec
	s_mov_b32 s61, s39
.LBB9_6:                                ;   in Loop: Header=BB9_8 Depth=1
	s_or_b64 exec, exec, s[18:19]
	s_andn2_b64 s[0:1], s[86:87], exec
	s_and_b64 s[18:19], s[26:27], exec
	s_or_b64 s[86:87], s[0:1], s[18:19]
	s_andn2_b64 s[0:1], s[70:71], exec
	s_and_b64 s[18:19], s[28:29], exec
	s_or_b64 s[70:71], s[0:1], s[18:19]
	;; [unrolled: 3-line block ×3, first 2 shown]
	s_orn2_b64 s[22:23], s[22:23], exec
.LBB9_7:                                ;   in Loop: Header=BB9_8 Depth=1
	s_or_b64 exec, exec, s[20:21]
	s_and_b64 s[0:1], exec, s[22:23]
	s_or_b64 s[92:93], s[0:1], s[92:93]
	s_andn2_b64 s[0:1], s[64:65], exec
	s_and_b64 s[18:19], s[86:87], exec
	s_or_b64 s[64:65], s[0:1], s[18:19]
	s_andn2_b64 s[0:1], s[66:67], exec
	s_and_b64 s[18:19], s[70:71], exec
	;; [unrolled: 3-line block ×3, first 2 shown]
	v_mov_b32_e32 v2, s8
	s_or_b64 s[94:95], s[0:1], s[18:19]
	s_andn2_b64 exec, exec, s[92:93]
	s_cbranch_execz .LBB9_243
.LBB9_8:                                ; =>This Loop Header: Depth=1
                                        ;     Child Loop BB9_13 Depth 2
                                        ;     Child Loop BB9_32 Depth 2
	;; [unrolled: 1-line block ×17, first 2 shown]
	ds_read_b64 v[2:3], v23 offset:4096
	s_waitcnt lgkmcnt(0)
	v_readfirstlane_b32 s75, v2
	s_cmp_gt_i32 s75, 0
	s_cbranch_scc1 .LBB9_39
; %bb.9:                                ;   in Loop: Header=BB9_8 Depth=1
	v_readlane_b32 s0, v42, 22
	v_readlane_b32 s1, v42, 23
	s_and_b64 vcc, exec, s[0:1]
	s_cbranch_vccz .LBB9_21
; %bb.10:                               ;   in Loop: Header=BB9_8 Depth=1
	s_movk_i32 s0, 0xc01
	v_cmp_gt_i32_e32 vcc, s0, v3
	s_mov_b64 s[20:21], 0
	s_mov_b64 s[18:19], 0
	s_cbranch_vccz .LBB9_26
; %bb.11:                               ;   in Loop: Header=BB9_8 Depth=1
	v_readlane_b32 s0, v42, 26
	v_readlane_b32 s1, v42, 27
	s_nop 4
	global_load_ushort v2, v23, s[0:1]
	global_load_ubyte v5, v[6:7], off
	s_mov_b64 s[22:23], 0
	v_mov_b32_e32 v26, v0
	s_waitcnt vmcnt(1)
	v_add_u32_e32 v4, v0, v2
	v_mul_lo_u32 v3, s63, v2
	v_mul_lo_u32 v4, s63, v4
	s_branch .LBB9_13
.LBB9_12:                               ;   in Loop: Header=BB9_13 Depth=2
	s_or_b64 exec, exec, s[18:19]
	v_cmp_le_i32_e32 vcc, s60, v26
	v_add_u32_e32 v4, v4, v3
	s_or_b64 s[22:23], vcc, s[22:23]
	v_mov_b32_e32 v5, v27
	s_andn2_b64 exec, exec, s[22:23]
	s_cbranch_execz .LBB9_22
.LBB9_13:                               ;   Parent Loop BB9_8 Depth=1
                                        ; =>  This Inner Loop Header: Depth=2
	v_add_u32_e32 v26, v26, v2
	v_cmp_gt_u32_e32 vcc, s60, v26
	s_waitcnt lgkmcnt(0)
	v_mov_b32_e32 v28, 0
	v_mov_b32_e32 v27, 0
	s_and_saveexec_b64 s[18:19], vcc
	s_cbranch_execz .LBB9_15
; %bb.14:                               ;   in Loop: Header=BB9_13 Depth=2
	global_load_ubyte v27, v4, s[72:73]
.LBB9_15:                               ;   in Loop: Header=BB9_13 Depth=2
	s_or_b64 exec, exec, s[18:19]
	s_waitcnt vmcnt(0)
	v_add_u32_sdwa v29, sext(v5), s83 dst_sel:DWORD dst_unused:UNUSED_PAD src0_sel:BYTE_0 src1_sel:DWORD
	v_and_b32_e32 v29, s85, v29
	v_cmp_eq_u32_e32 vcc, s8, v29
	s_cmp_lg_u64 vcc, 0
	s_cselect_b64 s[0:1], -1, 0
	s_and_b64 s[0:1], s[2:3], s[0:1]
	s_and_saveexec_b64 s[24:25], s[0:1]
	s_cbranch_execz .LBB9_19
; %bb.16:                               ;   in Loop: Header=BB9_13 Depth=2
	s_mov_b64 s[28:29], exec
	v_mbcnt_lo_u32_b32 v28, s28, 0
	v_mbcnt_hi_u32_b32 v28, s29, v28
	s_bcnt1_i32_b64 s0, vcc
	v_cmp_eq_u32_e64 s[18:19], 0, v28
                                        ; implicit-def: $vgpr29
	s_and_saveexec_b64 s[26:27], s[18:19]
	s_cbranch_execz .LBB9_18
; %bb.17:                               ;   in Loop: Header=BB9_13 Depth=2
	s_bcnt1_i32_b64 s1, s[28:29]
	s_mul_i32 s1, s0, s1
	v_mov_b32_e32 v29, s1
	ds_add_rtn_u32 v29, v23, v29 offset:4104
.LBB9_18:                               ;   in Loop: Header=BB9_13 Depth=2
	s_or_b64 exec, exec, s[26:27]
	s_waitcnt lgkmcnt(0)
	v_readfirstlane_b32 s1, v29
	v_mov_b32_e32 v29, s1
	v_mad_u32_u24 v28, s0, v28, v29
.LBB9_19:                               ;   in Loop: Header=BB9_13 Depth=2
	s_or_b64 exec, exec, s[24:25]
	ds_bpermute_b32 v28, v15, v28
	s_and_saveexec_b64 s[18:19], vcc
	s_cbranch_execz .LBB9_12
; %bb.20:                               ;   in Loop: Header=BB9_13 Depth=2
	v_and_b32_e32 v30, vcc_lo, v8
	v_and_b32_e32 v29, vcc_hi, v1
	v_bcnt_u32_b32 v30, v30, 0
	v_bcnt_u32_b32 v29, v29, v30
	s_waitcnt lgkmcnt(0)
	v_add_u32_e32 v28, v28, v29
	ds_write_b8 v28, v5
	s_branch .LBB9_12
.LBB9_21:                               ;   in Loop: Header=BB9_8 Depth=1
	s_mov_b64 s[20:21], -1
	s_mov_b64 s[18:19], 0
	s_branch .LBB9_25
.LBB9_22:                               ;   in Loop: Header=BB9_8 Depth=1
	s_or_b64 exec, exec, s[22:23]
	s_waitcnt lgkmcnt(0)
	s_barrier
	s_mov_b64 s[18:19], exec
	v_readlane_b32 s0, v42, 12
	v_readlane_b32 s1, v42, 13
	s_and_b64 s[0:1], s[18:19], s[0:1]
	s_mov_b64 exec, s[0:1]
	s_cbranch_execz .LBB9_24
; %bb.23:                               ;   in Loop: Header=BB9_8 Depth=1
	ds_read_b32 v2, v23 offset:4104
	s_waitcnt lgkmcnt(0)
	ds_write_b32 v23, v2 offset:4096
.LBB9_24:                               ;   in Loop: Header=BB9_8 Depth=1
	s_or_b64 exec, exec, s[18:19]
	s_waitcnt lgkmcnt(0)
	s_barrier
	s_mov_b64 s[18:19], -1
.LBB9_25:                               ;   in Loop: Header=BB9_8 Depth=1
                                        ; implicit-def: $sgpr75
.LBB9_26:                               ;   in Loop: Header=BB9_8 Depth=1
	s_and_b64 vcc, exec, s[20:21]
	s_cbranch_vccz .LBB9_37
; %bb.27:                               ;   in Loop: Header=BB9_8 Depth=1
	v_mov_b32_e32 v2, 0
	s_mov_b64 s[18:19], exec
	v_readlane_b32 s0, v42, 30
	v_readlane_b32 s1, v42, 31
	s_and_b64 s[0:1], s[18:19], s[0:1]
	s_mov_b64 exec, s[0:1]
	s_cbranch_execz .LBB9_29
; %bb.28:                               ;   in Loop: Header=BB9_8 Depth=1
	global_load_ubyte v2, v[6:7], off
.LBB9_29:                               ;   in Loop: Header=BB9_8 Depth=1
	s_or_b64 exec, exec, s[18:19]
	s_mov_b64 s[18:19], exec
	v_readlane_b32 s0, v42, 32
	v_readlane_b32 s1, v42, 33
	s_and_b64 s[0:1], s[18:19], s[0:1]
	s_mov_b64 exec, s[0:1]
	s_cbranch_execz .LBB9_34
; %bb.30:                               ;   in Loop: Header=BB9_8 Depth=1
	v_readlane_b32 s0, v42, 26
	v_readlane_b32 s1, v42, 27
	s_mov_b64 s[20:21], 0
	v_mov_b32_e32 v26, v0
	s_nop 2
	global_load_ushort v3, v23, s[0:1]
	s_waitcnt vmcnt(0)
	v_add_u32_e32 v5, v0, v3
	v_mul_lo_u32 v4, s63, v3
	v_mul_lo_u32 v5, s63, v5
	s_branch .LBB9_32
.LBB9_31:                               ;   in Loop: Header=BB9_32 Depth=2
	s_or_b64 exec, exec, s[22:23]
	v_cmp_le_i32_e32 vcc, s60, v27
	ds_write_b8 v26, v2
	v_add_u32_e32 v5, v5, v4
	s_or_b64 s[20:21], vcc, s[20:21]
	s_waitcnt vmcnt(0)
	v_mov_b32_e32 v2, v28
	v_mov_b32_e32 v26, v27
	s_andn2_b64 exec, exec, s[20:21]
	s_cbranch_execz .LBB9_34
.LBB9_32:                               ;   Parent Loop BB9_8 Depth=1
                                        ; =>  This Inner Loop Header: Depth=2
	v_add_u32_e32 v27, v26, v3
	v_cmp_gt_u32_e32 vcc, s60, v27
	v_mov_b32_e32 v28, 0
	s_and_saveexec_b64 s[22:23], vcc
	s_cbranch_execz .LBB9_31
; %bb.33:                               ;   in Loop: Header=BB9_32 Depth=2
	global_load_ubyte v28, v5, s[72:73]
	s_branch .LBB9_31
.LBB9_34:                               ;   in Loop: Header=BB9_8 Depth=1
	s_or_b64 exec, exec, s[18:19]
	s_waitcnt lgkmcnt(0)
	s_barrier
	s_mov_b64 s[18:19], exec
	v_readlane_b32 s0, v42, 12
	v_readlane_b32 s1, v42, 13
	s_and_b64 s[0:1], s[18:19], s[0:1]
	s_mov_b64 exec, s[0:1]
	s_cbranch_execz .LBB9_36
; %bb.35:                               ;   in Loop: Header=BB9_8 Depth=1
	s_waitcnt vmcnt(0)
	v_mov_b32_e32 v2, s60
	ds_write_b32 v23, v2 offset:4096
.LBB9_36:                               ;   in Loop: Header=BB9_8 Depth=1
	s_or_b64 exec, exec, s[18:19]
	s_mov_b64 s[18:19], -1
	s_waitcnt lgkmcnt(0)
	s_barrier
                                        ; implicit-def: $sgpr75
.LBB9_37:                               ;   in Loop: Header=BB9_8 Depth=1
	s_and_b64 vcc, exec, s[18:19]
	s_cbranch_vccz .LBB9_39
; %bb.38:                               ;   in Loop: Header=BB9_8 Depth=1
	s_waitcnt vmcnt(0)
	ds_read_b32 v2, v23 offset:4096
	s_waitcnt lgkmcnt(0)
	v_readfirstlane_b32 s75, v2
.LBB9_39:                               ;   in Loop: Header=BB9_8 Depth=1
	s_cmp_lt_i32 s75, 1
	s_cbranch_scc0 .LBB9_43
; %bb.40:                               ;   in Loop: Header=BB9_8 Depth=1
	s_waitcnt vmcnt(0)
	v_mov_b32_e32 v2, 0
	s_mov_b32 s0, 0
	v_mov_b32_e32 v3, 0
	v_mov_b32_e32 v4, v2
	;; [unrolled: 1-line block ×3, first 2 shown]
	s_and_saveexec_b64 s[88:89], s[10:11]
	s_cbranch_execnz .LBB9_44
; %bb.41:                               ;   in Loop: Header=BB9_8 Depth=1
	s_or_b64 exec, exec, s[88:89]
	v_mov_b32_e32 v28, 0
	s_and_saveexec_b64 s[18:19], s[12:13]
	s_cbranch_execnz .LBB9_47
.LBB9_42:                               ;   in Loop: Header=BB9_8 Depth=1
	s_or_b64 exec, exec, s[18:19]
	s_and_saveexec_b64 s[20:21], s[14:15]
	s_cbranch_execnz .LBB9_48
	s_branch .LBB9_53
.LBB9_43:                               ;   in Loop: Header=BB9_8 Depth=1
                                        ; implicit-def: $vgpr5
	s_cbranch_execnz .LBB9_54
	s_branch .LBB9_63
.LBB9_44:                               ;   in Loop: Header=BB9_8 Depth=1
	s_and_b32 s1, s16, 0xfe
	s_mov_b64 s[90:91], 0
	s_mov_b32 s78, 0
	s_mov_b32 s79, 0
	;; [unrolled: 1-line block ×4, first 2 shown]
	v_mov_b32_e32 v26, v13
.LBB9_45:                               ;   Parent Loop BB9_8 Depth=1
                                        ; =>  This Inner Loop Header: Depth=2
	v_add_u32_e32 v3, s0, v20
	v_add_u32_e32 v2, s0, v17
	v_mov_b32_e32 v27, s73
	v_add_u32_e32 v4, s0, v18
	v_add_u32_e32 v5, s0, v19
	v_ashrrev_i32_e32 v29, 31, v3
	v_ashrrev_i32_e32 v32, 31, v2
	v_add_co_u32_e64 v2, s[18:19], s72, v2
	v_add_co_u32_e64 v30, s[24:25], s72, v3
	v_ashrrev_i32_e32 v33, 31, v4
	v_add_co_u32_e64 v4, s[20:21], s72, v4
	v_ashrrev_i32_e32 v34, 31, v5
	v_add_co_u32_e64 v28, s[22:23], s72, v5
	v_addc_co_u32_e64 v31, s[24:25], v27, v29, s[24:25]
	v_addc_co_u32_e64 v3, s[18:19], v27, v32, s[18:19]
	;; [unrolled: 1-line block ×4, first 2 shown]
	global_load_sbyte v27, v[30:31], off
	s_nop 0
	global_load_sbyte v2, v[2:3], off
	s_nop 0
	;; [unrolled: 2-line block ×3, first 2 shown]
	global_load_sbyte v4, v[28:29], off
	v_add_u32_e32 v26, s33, v26
	s_add_i32 s0, s0, s82
	v_cmp_le_i32_e32 vcc, s7, v26
	s_waitcnt vmcnt(3)
	v_add_u32_e32 v5, 0x80, v27
	s_waitcnt vmcnt(2)
	v_add_u32_e32 v2, 0x80, v2
	v_and_b32_e32 v27, s85, v5
	v_bfe_u32 v5, v5, s1, 2
	s_waitcnt vmcnt(1)
	v_add_u32_e32 v3, 0x80, v3
	v_and_b32_e32 v28, s85, v2
	v_bfe_u32 v2, v2, s1, 2
	v_cmp_eq_u32_e64 s[18:19], s8, v27
	v_cmp_eq_u32_e64 s[26:27], 0, v5
	s_waitcnt vmcnt(0)
	v_add_u32_e32 v4, 0x80, v4
	v_and_b32_e32 v29, s85, v3
	v_bfe_u32 v3, v3, s1, 2
	v_cmp_eq_u32_e64 s[20:21], s8, v28
	v_cmp_eq_u32_e64 s[28:29], 0, v2
	s_and_b64 s[26:27], s[18:19], s[26:27]
	v_and_b32_e32 v30, s85, v4
	v_bfe_u32 v4, v4, s1, 2
	v_cmp_eq_u32_e64 s[22:23], s8, v29
	v_cmp_eq_u32_e64 s[30:31], 0, v3
	;; [unrolled: 1-line block ×5, first 2 shown]
	v_cndmask_b32_e64 v2, 0, 1, s[26:27]
	s_and_b64 s[26:27], s[20:21], s[28:29]
	v_cmp_eq_u32_e64 s[24:25], s8, v30
	v_cmp_eq_u32_e64 s[34:35], 0, v4
	;; [unrolled: 1-line block ×5, first 2 shown]
	v_cndmask_b32_e64 v3, 0, 1, s[26:27]
	s_and_b64 s[26:27], s[22:23], s[30:31]
	v_cmp_eq_u32_e64 s[36:37], 1, v5
	v_cmp_eq_u32_e64 s[42:43], 1, v4
	;; [unrolled: 1-line block ×4, first 2 shown]
	v_cndmask_b32_e64 v4, 0, 1, s[26:27]
	s_and_b64 s[26:27], s[24:25], s[34:35]
	v_cmp_eq_u32_e64 s[44:45], 2, v5
	v_cmp_eq_u32_e64 s[52:53], 3, v5
	v_cndmask_b32_e64 v5, 0, 1, s[26:27]
	s_and_b64 s[26:27], s[18:19], s[36:37]
	v_cndmask_b32_e64 v27, 0, 1, s[26:27]
	s_and_b64 s[26:27], s[20:21], s[38:39]
	;; [unrolled: 2-line block ×5, first 2 shown]
	s_and_b64 s[18:19], s[18:19], s[52:53]
	v_cndmask_b32_e64 v31, 0, 1, s[26:27]
	s_and_b64 s[26:27], s[20:21], s[46:47]
	v_cndmask_b32_e64 v35, 0, 1, s[18:19]
	;; [unrolled: 2-line block ×7, first 2 shown]
	v_cndmask_b32_e64 v38, 0, 1, s[18:19]
	v_cmp_ne_u32_e64 s[18:19], 0, v2
	v_cmp_ne_u32_e64 s[20:21], 0, v3
	;; [unrolled: 1-line block ×11, first 2 shown]
	s_bcnt1_i32_b64 s18, s[18:19]
	s_bcnt1_i32_b64 s19, s[20:21]
	s_bcnt1_i32_b64 s20, s[22:23]
	s_bcnt1_i32_b64 s21, s[24:25]
	s_bcnt1_i32_b64 s22, s[26:27]
	s_bcnt1_i32_b64 s24, s[30:31]
	s_bcnt1_i32_b64 s26, s[36:37]
	s_bcnt1_i32_b64 s30, s[44:45]
	v_cmp_ne_u32_e64 s[34:35], 0, v30
	v_cmp_ne_u32_e64 s[40:41], 0, v33
	;; [unrolled: 1-line block ×3, first 2 shown]
	s_bcnt1_i32_b64 s23, s[28:29]
	s_bcnt1_i32_b64 s27, s[38:39]
	;; [unrolled: 1-line block ×3, first 2 shown]
	s_add_i32 s18, s81, s18
	s_add_i32 s22, s80, s22
	;; [unrolled: 1-line block ×4, first 2 shown]
	v_cmp_ne_u32_e64 s[42:43], 0, v34
	v_cmp_ne_u32_e64 s[50:51], 0, v38
	s_bcnt1_i32_b64 s25, s[34:35]
	s_bcnt1_i32_b64 s28, s[40:41]
	;; [unrolled: 1-line block ×3, first 2 shown]
	s_add_i32 s18, s18, s19
	s_add_i32 s19, s22, s23
	;; [unrolled: 1-line block ×4, first 2 shown]
	s_bcnt1_i32_b64 s29, s[42:43]
	s_bcnt1_i32_b64 s35, s[50:51]
	s_add_i32 s18, s18, s20
	s_add_i32 s19, s19, s24
	;; [unrolled: 1-line block ×8, first 2 shown]
	s_or_b64 s[90:91], vcc, s[90:91]
	v_mov_b32_e32 v2, s81
	v_mov_b32_e32 v3, s80
	;; [unrolled: 1-line block ×4, first 2 shown]
	s_andn2_b64 exec, exec, s[90:91]
	s_cbranch_execnz .LBB9_45
; %bb.46:                               ;   in Loop: Header=BB9_8 Depth=1
	s_or_b64 exec, exec, s[90:91]
	s_or_b64 exec, exec, s[88:89]
	v_mov_b32_e32 v28, 0
	s_and_saveexec_b64 s[18:19], s[12:13]
	s_cbranch_execz .LBB9_42
.LBB9_47:                               ;   in Loop: Header=BB9_8 Depth=1
	global_load_ubyte v28, v[10:11], off
	s_or_b64 exec, exec, s[18:19]
	s_and_saveexec_b64 s[20:21], s[14:15]
	s_cbranch_execz .LBB9_53
.LBB9_48:                               ;   in Loop: Header=BB9_8 Depth=1
	s_and_b32 s0, s16, 0xfe
	s_mov_b64 s[22:23], 0
	v_mov_b32_e32 v26, v21
	v_mov_b32_e32 v27, v16
	s_branch .LBB9_50
.LBB9_49:                               ;   in Loop: Header=BB9_50 Depth=2
	s_or_b64 exec, exec, s[18:19]
	s_waitcnt vmcnt(0)
	v_add_u32_sdwa v28, sext(v28), s83 dst_sel:DWORD dst_unused:UNUSED_PAD src0_sel:BYTE_0 src1_sel:DWORD
	v_and_b32_e32 v30, s85, v28
	v_bfe_u32 v28, v28, s0, 2
	v_cmp_eq_u32_e32 vcc, s8, v30
	v_cmp_eq_u32_e64 s[18:19], 0, v28
	s_and_b64 s[18:19], vcc, s[18:19]
	v_cndmask_b32_e64 v30, 0, 1, s[18:19]
	v_cmp_ne_u32_e64 s[18:19], 0, v30
	s_bcnt1_i32_b64 s1, s[18:19]
	v_cmp_eq_u32_e64 s[18:19], 1, v28
	s_and_b64 s[18:19], vcc, s[18:19]
	v_cndmask_b32_e64 v30, 0, 1, s[18:19]
	v_cmp_ne_u32_e64 s[18:19], 0, v30
	v_add_u32_e32 v2, s1, v2
	s_bcnt1_i32_b64 s1, s[18:19]
	v_cmp_eq_u32_e64 s[18:19], 2, v28
	s_and_b64 s[18:19], vcc, s[18:19]
	v_cndmask_b32_e64 v30, 0, 1, s[18:19]
	v_cmp_ne_u32_e64 s[18:19], 0, v30
	v_add_u32_e32 v3, s1, v3
	s_bcnt1_i32_b64 s1, s[18:19]
	v_cmp_eq_u32_e64 s[18:19], 3, v28
	s_and_b64 s[18:19], vcc, s[18:19]
	v_cndmask_b32_e64 v28, 0, 1, s[18:19]
	v_cmp_ne_u32_e32 vcc, 0, v28
	v_add_u32_e32 v4, s1, v4
	s_bcnt1_i32_b64 s1, vcc
	v_cmp_le_i32_e32 vcc, s60, v27
	v_add_u32_e32 v5, s1, v5
	v_add_u32_e32 v26, s84, v26
	s_or_b64 s[22:23], vcc, s[22:23]
	v_mov_b32_e32 v28, v29
	s_andn2_b64 exec, exec, s[22:23]
	s_cbranch_execz .LBB9_52
.LBB9_50:                               ;   Parent Loop BB9_8 Depth=1
                                        ; =>  This Inner Loop Header: Depth=2
	v_add_u32_e32 v27, s62, v27
	v_cmp_gt_u32_e32 vcc, s60, v27
	v_mov_b32_e32 v29, 0
	s_and_saveexec_b64 s[18:19], vcc
	s_cbranch_execz .LBB9_49
; %bb.51:                               ;   in Loop: Header=BB9_50 Depth=2
	v_ashrrev_i32_e32 v29, 31, v26
	v_mov_b32_e32 v31, s73
	v_add_co_u32_e32 v30, vcc, s72, v26
	v_addc_co_u32_e32 v31, vcc, v31, v29, vcc
	global_load_ubyte v29, v[30:31], off
	s_branch .LBB9_49
.LBB9_52:                               ;   in Loop: Header=BB9_8 Depth=1
	s_or_b64 exec, exec, s[22:23]
.LBB9_53:                               ;   in Loop: Header=BB9_8 Depth=1
	s_or_b64 exec, exec, s[20:21]
	s_branch .LBB9_63
.LBB9_54:                               ;   in Loop: Header=BB9_8 Depth=1
	s_mul_hi_u32 s0, s75, s6
	s_mul_i32 s0, s0, s33
	s_sub_i32 s0, s75, s0
	s_sub_i32 s1, s0, s33
	s_cmp_ge_u32 s0, s33
	s_cselect_b32 s0, s1, s0
	s_sub_i32 s1, s0, s33
	s_cmp_ge_u32 s0, s33
	s_cselect_b32 s0, s1, s0
	s_sub_i32 s0, s75, s0
	v_cmp_gt_u32_e32 vcc, s0, v13
	s_mov_b32 s78, 0
	s_waitcnt vmcnt(0)
	v_mov_b32_e32 v2, 0
	v_mov_b32_e32 v3, 0
	;; [unrolled: 1-line block ×4, first 2 shown]
	s_and_saveexec_b64 s[88:89], vcc
	s_cbranch_execz .LBB9_58
; %bb.55:                               ;   in Loop: Header=BB9_8 Depth=1
	s_and_b32 s1, s16, 0xfe
	s_mov_b64 s[90:91], 0
	s_mov_b32 s79, 0
	s_mov_b32 s80, 0
	s_mov_b32 s81, 0
	v_mov_b32_e32 v26, v13
.LBB9_56:                               ;   Parent Loop BB9_8 Depth=1
                                        ; =>  This Inner Loop Header: Depth=2
	ds_read_b32 v2, v26
	v_add_u32_e32 v26, s33, v26
	v_cmp_le_i32_e32 vcc, s0, v26
	s_waitcnt lgkmcnt(0)
	v_add_u32_sdwa v3, sext(v2), s83 dst_sel:DWORD dst_unused:UNUSED_PAD src0_sel:BYTE_0 src1_sel:DWORD
	v_add_u32_sdwa v4, sext(v2), s83 dst_sel:DWORD dst_unused:UNUSED_PAD src0_sel:BYTE_1 src1_sel:DWORD
	v_and_b32_e32 v27, s85, v3
	v_bfe_u32 v3, v3, s1, 2
	v_add_u32_sdwa v5, sext(v2), s83 dst_sel:DWORD dst_unused:UNUSED_PAD src0_sel:BYTE_2 src1_sel:DWORD
	v_add_u32_sdwa v2, sext(v2), s83 dst_sel:DWORD dst_unused:UNUSED_PAD src0_sel:BYTE_3 src1_sel:DWORD
	v_and_b32_e32 v28, s85, v4
	v_bfe_u32 v4, v4, s1, 2
	v_cmp_eq_u32_e64 s[18:19], s8, v27
	v_cmp_eq_u32_e64 s[26:27], 0, v3
	v_and_b32_e32 v29, s85, v5
	v_and_b32_e32 v30, s85, v2
	v_bfe_u32 v5, v5, s1, 2
	v_bfe_u32 v2, v2, s1, 2
	v_cmp_eq_u32_e64 s[20:21], s8, v28
	v_cmp_eq_u32_e64 s[28:29], 0, v4
	s_and_b64 s[26:27], s[18:19], s[26:27]
	v_cmp_eq_u32_e64 s[22:23], s8, v29
	v_cmp_eq_u32_e64 s[30:31], 0, v5
	;; [unrolled: 1-line block ×6, first 2 shown]
	v_cndmask_b32_e64 v2, 0, 1, s[26:27]
	s_and_b64 s[26:27], s[20:21], s[28:29]
	v_cmp_eq_u32_e64 s[24:25], s8, v30
	v_cmp_eq_u32_e64 s[36:37], 1, v3
	;; [unrolled: 1-line block ×4, first 2 shown]
	v_cndmask_b32_e64 v3, 0, 1, s[26:27]
	s_and_b64 s[26:27], s[22:23], s[30:31]
	v_cmp_eq_u32_e64 s[38:39], 1, v4
	v_cmp_eq_u32_e64 s[46:47], 2, v4
	;; [unrolled: 1-line block ×3, first 2 shown]
	v_cndmask_b32_e64 v4, 0, 1, s[26:27]
	s_and_b64 s[26:27], s[24:25], s[34:35]
	v_cmp_eq_u32_e64 s[40:41], 1, v5
	v_cmp_eq_u32_e64 s[48:49], 2, v5
	;; [unrolled: 1-line block ×3, first 2 shown]
	v_cndmask_b32_e64 v5, 0, 1, s[26:27]
	s_and_b64 s[26:27], s[18:19], s[36:37]
	v_cndmask_b32_e64 v27, 0, 1, s[26:27]
	s_and_b64 s[26:27], s[20:21], s[38:39]
	;; [unrolled: 2-line block ×5, first 2 shown]
	s_and_b64 s[18:19], s[18:19], s[52:53]
	v_cndmask_b32_e64 v31, 0, 1, s[26:27]
	s_and_b64 s[26:27], s[20:21], s[46:47]
	v_cndmask_b32_e64 v35, 0, 1, s[18:19]
	;; [unrolled: 2-line block ×7, first 2 shown]
	v_cndmask_b32_e64 v38, 0, 1, s[18:19]
	v_cmp_ne_u32_e64 s[18:19], 0, v2
	v_cmp_ne_u32_e64 s[20:21], 0, v3
	;; [unrolled: 1-line block ×11, first 2 shown]
	s_bcnt1_i32_b64 s18, s[18:19]
	s_bcnt1_i32_b64 s19, s[20:21]
	;; [unrolled: 1-line block ×8, first 2 shown]
	v_cmp_ne_u32_e64 s[34:35], 0, v30
	v_cmp_ne_u32_e64 s[40:41], 0, v33
	;; [unrolled: 1-line block ×3, first 2 shown]
	s_bcnt1_i32_b64 s23, s[28:29]
	s_bcnt1_i32_b64 s27, s[38:39]
	;; [unrolled: 1-line block ×3, first 2 shown]
	s_add_i32 s18, s81, s18
	s_add_i32 s22, s80, s22
	s_add_i32 s26, s79, s26
	s_add_i32 s30, s78, s30
	v_cmp_ne_u32_e64 s[42:43], 0, v34
	v_cmp_ne_u32_e64 s[50:51], 0, v38
	s_bcnt1_i32_b64 s25, s[34:35]
	s_bcnt1_i32_b64 s28, s[40:41]
	;; [unrolled: 1-line block ×3, first 2 shown]
	s_add_i32 s18, s18, s19
	s_add_i32 s19, s22, s23
	;; [unrolled: 1-line block ×4, first 2 shown]
	s_bcnt1_i32_b64 s29, s[42:43]
	s_bcnt1_i32_b64 s35, s[50:51]
	s_add_i32 s18, s18, s20
	s_add_i32 s19, s19, s24
	s_add_i32 s20, s22, s28
	s_add_i32 s22, s23, s34
	s_add_i32 s81, s18, s21
	s_add_i32 s80, s19, s25
	s_add_i32 s79, s20, s29
	s_add_i32 s78, s22, s35
	s_or_b64 s[90:91], vcc, s[90:91]
	v_mov_b32_e32 v2, s81
	v_mov_b32_e32 v3, s80
	;; [unrolled: 1-line block ×4, first 2 shown]
	s_andn2_b64 exec, exec, s[90:91]
	s_cbranch_execnz .LBB9_56
; %bb.57:                               ;   in Loop: Header=BB9_8 Depth=1
	s_or_b64 exec, exec, s[90:91]
.LBB9_58:                               ;   in Loop: Header=BB9_8 Depth=1
	s_or_b64 exec, exec, s[88:89]
	v_add_u32_e32 v26, s0, v0
	v_cmp_gt_i32_e32 vcc, s75, v26
	s_and_saveexec_b64 s[28:29], vcc
	s_cbranch_execz .LBB9_62
; %bb.59:                               ;   in Loop: Header=BB9_8 Depth=1
	s_and_b32 s0, s16, 0xfe
	s_mov_b64 s[30:31], 0
.LBB9_60:                               ;   Parent Loop BB9_8 Depth=1
                                        ; =>  This Inner Loop Header: Depth=2
	ds_read_i8 v27, v26
	v_add_u32_e32 v26, s62, v26
	v_cmp_le_i32_e32 vcc, s75, v26
	s_waitcnt lgkmcnt(0)
	v_add_u32_e32 v27, 0x80, v27
	v_and_b32_e32 v28, s85, v27
	v_bfe_u32 v27, v27, s0, 2
	v_cmp_eq_u32_e64 s[18:19], s8, v28
	v_cmp_eq_u32_e64 s[20:21], 0, v27
	;; [unrolled: 1-line block ×3, first 2 shown]
	s_and_b64 s[20:21], s[18:19], s[20:21]
	v_cmp_eq_u32_e64 s[24:25], 2, v27
	v_cmp_eq_u32_e64 s[26:27], 3, v27
	v_cndmask_b32_e64 v27, 0, 1, s[20:21]
	s_and_b64 s[20:21], s[18:19], s[22:23]
	v_cndmask_b32_e64 v28, 0, 1, s[20:21]
	s_and_b64 s[20:21], s[18:19], s[24:25]
	s_and_b64 s[18:19], s[18:19], s[26:27]
	v_cndmask_b32_e64 v29, 0, 1, s[20:21]
	v_cndmask_b32_e64 v30, 0, 1, s[18:19]
	v_cmp_ne_u32_e64 s[18:19], 0, v27
	v_cmp_ne_u32_e64 s[20:21], 0, v28
	;; [unrolled: 1-line block ×4, first 2 shown]
	s_bcnt1_i32_b64 s1, s[18:19]
	s_bcnt1_i32_b64 s18, s[20:21]
	;; [unrolled: 1-line block ×4, first 2 shown]
	v_add_u32_e32 v2, s1, v2
	v_add_u32_e32 v3, s18, v3
	;; [unrolled: 1-line block ×3, first 2 shown]
	s_or_b64 s[30:31], vcc, s[30:31]
	v_add_u32_e32 v5, s20, v5
	s_andn2_b64 exec, exec, s[30:31]
	s_cbranch_execnz .LBB9_60
; %bb.61:                               ;   in Loop: Header=BB9_8 Depth=1
	s_or_b64 exec, exec, s[30:31]
.LBB9_62:                               ;   in Loop: Header=BB9_8 Depth=1
	s_or_b64 exec, exec, s[28:29]
.LBB9_63:                               ;   in Loop: Header=BB9_8 Depth=1
	s_lshl_b32 s0, s17, 6
	s_and_saveexec_b64 s[18:19], s[2:3]
	s_cbranch_execz .LBB9_65
; %bb.64:                               ;   in Loop: Header=BB9_8 Depth=1
	v_or_b32_e32 v26, s0, v14
	v_lshlrev_b32_e32 v26, 2, v26
	s_waitcnt vmcnt(0)
	ds_write_b128 v26, v[2:5] offset:3072
.LBB9_65:                               ;   in Loop: Header=BB9_8 Depth=1
	s_or_b64 exec, exec, s[18:19]
	s_waitcnt lgkmcnt(0)
	s_barrier
	s_and_saveexec_b64 s[18:19], s[76:77]
	s_cbranch_execz .LBB9_79
; %bb.66:                               ;   in Loop: Header=BB9_8 Depth=1
	v_readlane_b32 s20, v42, 24
	v_readlane_b32 s21, v42, 25
	v_add_u32_e32 v4, s0, v12
	s_andn2_b64 vcc, exec, s[20:21]
	s_waitcnt vmcnt(0)
	v_mov_b32_e32 v2, 0
	s_cbranch_vccnz .LBB9_78
; %bb.67:                               ;   in Loop: Header=BB9_8 Depth=1
	v_readlane_b32 s20, v42, 28
	v_readlane_b32 s21, v42, 29
	s_mov_b32 s1, 0
	s_and_b64 vcc, exec, s[20:21]
	v_mov_b32_e32 v2, 0
	s_cbranch_vccz .LBB9_71
; %bb.68:                               ;   in Loop: Header=BB9_8 Depth=1
	v_readlane_b32 s20, v42, 34
	v_readlane_b32 s21, v42, 35
	v_lshl_add_u32 v5, v4, 2, v24
	s_andn2_b64 vcc, exec, s[20:21]
	s_cbranch_vccnz .LBB9_72
; %bb.69:                               ;   in Loop: Header=BB9_8 Depth=1
	s_mov_b32 s21, 1
	s_mov_b32 s20, 0
	v_mov_b32_e32 v2, 0
	v_readlane_b32 s1, v42, 36
	v_mov_b32_e32 v3, 0
.LBB9_70:                               ;   Parent Loop BB9_8 Depth=1
                                        ; =>  This Inner Loop Header: Depth=2
	v_lshl_add_u32 v38, s20, 4, v5
	v_lshl_add_u32 v40, s21, 4, v5
	ds_read2_b32 v[26:27], v38 offset1:8
	ds_read2_b32 v[28:29], v40 offset1:8
	ds_read2_b32 v[30:31], v38 offset0:16 offset1:24
	ds_read2_b32 v[32:33], v40 offset0:16 offset1:24
	;; [unrolled: 1-line block ×6, first 2 shown]
	s_waitcnt lgkmcnt(7)
	v_add3_u32 v2, v26, v2, v27
	s_waitcnt lgkmcnt(6)
	v_add3_u32 v3, v28, v3, v29
	;; [unrolled: 2-line block ×3, first 2 shown]
	v_add3_u32 v2, v30, v2, v31
	s_add_i32 s21, s21, 16
	s_add_i32 s20, s20, 16
	s_add_i32 s1, s1, -8
	s_waitcnt lgkmcnt(3)
	v_add3_u32 v2, v34, v2, v35
	s_waitcnt lgkmcnt(2)
	v_add3_u32 v3, v36, v3, v37
	s_cmp_lg_u32 s1, 0
	s_waitcnt lgkmcnt(0)
	v_add3_u32 v3, v40, v3, v41
	v_add3_u32 v2, v38, v2, v39
	s_cbranch_scc1 .LBB9_70
	s_branch .LBB9_73
.LBB9_71:                               ;   in Loop: Header=BB9_8 Depth=1
	s_cbranch_execnz .LBB9_76
	s_branch .LBB9_78
.LBB9_72:                               ;   in Loop: Header=BB9_8 Depth=1
	s_mov_b32 s75, s74
	v_pk_mov_b32 v[2:3], s[74:75], s[74:75] op_sel:[0,1]
	s_mov_b32 s75, 1
	s_mov_b64 s[20:21], s[74:75]
.LBB9_73:                               ;   in Loop: Header=BB9_8 Depth=1
	v_readlane_b32 s22, v42, 38
	v_readlane_b32 s23, v42, 39
	s_andn2_b64 vcc, exec, s[22:23]
	v_readlane_b32 s1, v42, 37
	s_cbranch_vccnz .LBB9_75
.LBB9_74:                               ;   Parent Loop BB9_8 Depth=1
                                        ; =>  This Inner Loop Header: Depth=2
	v_lshl_add_u32 v26, s20, 4, v5
	v_lshl_add_u32 v27, s21, 4, v5
	ds_read_b32 v27, v27
	ds_read_b32 v26, v26
	s_add_i32 s21, s21, 2
	s_add_i32 s20, s20, 2
	s_add_i32 s1, s1, -1
	s_cmp_lg_u32 s1, 0
	s_waitcnt lgkmcnt(1)
	v_add_u32_e32 v3, v27, v3
	s_waitcnt lgkmcnt(0)
	v_add_u32_e32 v2, v26, v2
	s_cbranch_scc1 .LBB9_74
.LBB9_75:                               ;   in Loop: Header=BB9_8 Depth=1
	v_readlane_b32 s20, v42, 42
	v_add_u32_e32 v2, v2, v3
	v_readlane_b32 s1, v42, 41
	v_readlane_b32 s21, v42, 43
	s_and_b64 vcc, exec, s[20:21]
	s_cbranch_vccz .LBB9_78
.LBB9_76:                               ;   in Loop: Header=BB9_8 Depth=1
	s_lshl_b32 s20, s17, 8
	s_lshl_b32 s21, s1, 4
	s_add_i32 s20, s20, s21
	v_add_u32_e32 v3, s20, v22
	v_readlane_b32 s20, v42, 40
	s_sub_i32 s1, s20, s1
.LBB9_77:                               ;   Parent Loop BB9_8 Depth=1
                                        ; =>  This Inner Loop Header: Depth=2
	ds_read_b32 v5, v3
	s_add_i32 s1, s1, -1
	v_add_u32_e32 v3, 16, v3
	s_cmp_eq_u32 s1, 0
	s_waitcnt lgkmcnt(0)
	v_add_u32_e32 v2, v5, v2
	s_cbranch_scc0 .LBB9_77
.LBB9_78:                               ;   in Loop: Header=BB9_8 Depth=1
	v_lshlrev_b32_e32 v3, 2, v4
	ds_write_b32 v3, v2 offset:3072
.LBB9_79:                               ;   in Loop: Header=BB9_8 Depth=1
	s_or_b64 exec, exec, s[18:19]
	s_lshl_b32 s0, s0, 2
	s_waitcnt vmcnt(0)
	v_mov_b32_e32 v2, s0
	s_waitcnt lgkmcnt(0)
	s_barrier
	ds_read_b128 v[2:5], v2 offset:3072
	s_and_b32 s47, s16, 0xfe
	s_lshl_b32 s55, 3, s47
	s_not_b32 s48, s55
	s_mov_b64 s[22:23], -1
	s_waitcnt lgkmcnt(0)
	v_readfirstlane_b32 s34, v2
	s_cmp_eq_u32 s34, 1
	s_cselect_b64 s[0:1], -1, 0
	s_cmp_eq_u32 s61, 1
	s_cselect_b64 s[18:19], -1, 0
	s_and_b64 s[24:25], s[0:1], s[18:19]
	v_readfirstlane_b32 s38, v3
	v_readfirstlane_b32 s46, v4
	;; [unrolled: 1-line block ×3, first 2 shown]
	s_and_b64 vcc, exec, s[24:25]
	s_cbranch_vccz .LBB9_91
; %bb.80:                               ;   in Loop: Header=BB9_8 Depth=1
	ds_read_b32 v2, v23 offset:4096
	s_waitcnt lgkmcnt(0)
	s_barrier
	v_readfirstlane_b32 s0, v2
	s_and_saveexec_b64 s[18:19], s[4:5]
	s_cbranch_execz .LBB9_82
; %bb.81:                               ;   in Loop: Header=BB9_8 Depth=1
	ds_write_b8 v0, v23 offset:3072
.LBB9_82:                               ;   in Loop: Header=BB9_8 Depth=1
	s_or_b64 exec, exec, s[18:19]
	s_and_b32 s8, s8, s48
	s_or_b32 s85, s85, s55
	s_cmp_lt_i32 s0, 1
	s_waitcnt lgkmcnt(0)
	s_barrier
	s_cbranch_scc0 .LBB9_92
; %bb.83:                               ;   in Loop: Header=BB9_8 Depth=1
	s_mov_b64 s[18:19], 0
                                        ; implicit-def: $vgpr25
	s_mov_b64 s[20:21], exec
	v_readlane_b32 s26, v42, 45
	v_readlane_b32 s27, v42, 46
	s_and_b64 s[26:27], s[20:21], s[26:27]
	s_mov_b64 exec, s[26:27]
	s_cbranch_execz .LBB9_94
; %bb.84:                               ;   in Loop: Header=BB9_8 Depth=1
	s_mov_b64 s[26:27], 0
	v_mov_b32_e32 v2, v9
	v_mov_b32_e32 v3, v0
                                        ; implicit-def: $sgpr28_sgpr29
	s_branch .LBB9_86
.LBB9_85:                               ;   in Loop: Header=BB9_86 Depth=2
	s_or_b64 exec, exec, s[18:19]
	s_waitcnt lgkmcnt(0)
	s_barrier
	s_waitcnt vmcnt(0)
	ds_read_u16 v4, v23 offset:3072
	v_add_u32_e32 v3, s62, v3
	v_cmp_le_i32_e32 vcc, s9, v3
	v_add_u32_e32 v2, s84, v2
	s_waitcnt lgkmcnt(0)
	v_cmp_ne_u16_sdwa s[18:19], v4, v23 src0_sel:BYTE_0 src1_sel:DWORD
	s_or_b64 s[30:31], vcc, s[18:19]
	s_and_b64 s[30:31], exec, s[30:31]
	s_or_b64 s[26:27], s[30:31], s[26:27]
	s_andn2_b64 s[28:29], s[28:29], exec
	s_and_b64 s[18:19], s[18:19], exec
	s_or_b64 s[28:29], s[28:29], s[18:19]
	s_barrier
	s_andn2_b64 exec, exec, s[26:27]
	s_cbranch_execz .LBB9_93
.LBB9_86:                               ;   Parent Loop BB9_8 Depth=1
                                        ; =>  This Inner Loop Header: Depth=2
	v_cmp_gt_i32_e32 vcc, s60, v3
	v_mov_b32_e32 v4, 0
	s_and_saveexec_b64 s[30:31], vcc
	s_cbranch_execz .LBB9_88
; %bb.87:                               ;   in Loop: Header=BB9_86 Depth=2
	v_ashrrev_i32_e32 v5, 31, v2
	v_mov_b32_e32 v25, s73
	v_add_co_u32_e64 v4, s[18:19], s72, v2
	v_addc_co_u32_e64 v5, s[18:19], v25, v5, s[18:19]
	global_load_ubyte v4, v[4:5], off
.LBB9_88:                               ;   in Loop: Header=BB9_86 Depth=2
	s_or_b64 exec, exec, s[30:31]
	s_and_saveexec_b64 s[18:19], vcc
	s_cbranch_execz .LBB9_85
; %bb.89:                               ;   in Loop: Header=BB9_86 Depth=2
	s_waitcnt vmcnt(0)
	v_add_u32_sdwa v5, sext(v4), s83 dst_sel:DWORD dst_unused:UNUSED_PAD src0_sel:BYTE_0 src1_sel:DWORD
	v_and_b32_e32 v5, s85, v5
	v_cmp_eq_u32_e32 vcc, s8, v5
	s_and_b64 exec, exec, vcc
	s_cbranch_execz .LBB9_85
; %bb.90:                               ;   in Loop: Header=BB9_86 Depth=2
	v_lshlrev_b16_e32 v4, 8, v4
	v_or_b32_e32 v4, 1, v4
	ds_write_b16 v23, v4 offset:3072
	s_branch .LBB9_85
.LBB9_91:                               ;   in Loop: Header=BB9_8 Depth=1
	s_mov_b64 s[18:19], -1
                                        ; implicit-def: $sgpr20_sgpr21
                                        ; implicit-def: $sgpr28_sgpr29
                                        ; implicit-def: $sgpr26_sgpr27
	s_branch .LBB9_105
.LBB9_92:                               ;   in Loop: Header=BB9_8 Depth=1
	s_mov_b64 s[20:21], -1
	s_mov_b64 s[18:19], 0
                                        ; implicit-def: $sgpr26_sgpr27
                                        ; implicit-def: $vgpr25
	s_mov_b64 s[28:29], s[20:21]
	s_cbranch_execnz .LBB9_95
	s_branch .LBB9_105
.LBB9_93:                               ;   in Loop: Header=BB9_8 Depth=1
	s_or_b64 exec, exec, s[26:27]
	v_lshrrev_b16_e32 v25, 8, v4
	s_and_b64 s[18:19], s[28:29], exec
.LBB9_94:                               ;   in Loop: Header=BB9_8 Depth=1
	s_or_b64 exec, exec, s[20:21]
	s_mov_b64 s[26:27], -1
	s_mov_b64 s[20:21], 0
	s_mov_b64 s[28:29], s[20:21]
	s_branch .LBB9_105
.LBB9_95:                               ;   in Loop: Header=BB9_8 Depth=1
	v_readlane_b32 s1, v42, 21
	s_add_i32 s1, s0, s1
	s_abs_i32 s19, s1
	v_readlane_b32 s20, v42, 44
	s_mul_hi_u32 s20, s19, s20
	s_mul_i32 s20, s20, s62
	s_sub_i32 s19, s19, s20
	s_ashr_i32 s18, s1, 31
	s_sub_i32 s20, s19, s62
	s_cmp_ge_u32 s19, s62
	s_cselect_b32 s19, s20, s19
	s_sub_i32 s20, s19, s62
	s_cmp_ge_u32 s19, s62
	s_cselect_b32 s19, s20, s19
	s_xor_b32 s19, s19, s18
	s_sub_i32 s18, s18, s19
	s_add_i32 s1, s1, s18
	v_cmp_gt_i32_e32 vcc, s1, v0
	s_mov_b64 s[18:19], 0
                                        ; implicit-def: $vgpr25
	s_and_saveexec_b64 s[20:21], vcc
	s_cbranch_execz .LBB9_104
; %bb.96:                               ;   in Loop: Header=BB9_8 Depth=1
	v_mov_b32_e32 v2, v0
                                        ; implicit-def: $sgpr26_sgpr27
	s_branch .LBB9_98
.LBB9_97:                               ;   in Loop: Header=BB9_98 Depth=2
	s_or_b64 exec, exec, s[28:29]
	s_waitcnt lgkmcnt(0)
	s_barrier
	ds_read_u16 v3, v23 offset:3072
	v_add_u32_e32 v2, s62, v2
	v_cmp_le_i32_e32 vcc, s1, v2
	s_waitcnt lgkmcnt(0)
	s_barrier
	v_cmp_ne_u16_sdwa s[28:29], v3, v23 src0_sel:BYTE_0 src1_sel:DWORD
	s_or_b64 s[30:31], vcc, s[28:29]
	s_and_b64 s[30:31], exec, s[30:31]
	s_or_b64 s[18:19], s[30:31], s[18:19]
	s_andn2_b64 s[26:27], s[26:27], exec
	s_and_b64 s[28:29], s[28:29], exec
	s_or_b64 s[26:27], s[26:27], s[28:29]
	s_andn2_b64 exec, exec, s[18:19]
	s_cbranch_execz .LBB9_103
.LBB9_98:                               ;   Parent Loop BB9_8 Depth=1
                                        ; =>  This Inner Loop Header: Depth=2
	v_cmp_gt_i32_e32 vcc, s0, v2
	v_mov_b32_e32 v3, 0
	s_and_saveexec_b64 s[28:29], vcc
	s_cbranch_execz .LBB9_100
; %bb.99:                               ;   in Loop: Header=BB9_98 Depth=2
	ds_read_u8 v3, v2
.LBB9_100:                              ;   in Loop: Header=BB9_98 Depth=2
	s_or_b64 exec, exec, s[28:29]
	s_and_saveexec_b64 s[28:29], vcc
	s_cbranch_execz .LBB9_97
; %bb.101:                              ;   in Loop: Header=BB9_98 Depth=2
	s_waitcnt lgkmcnt(0)
	v_add_u32_sdwa v4, sext(v3), s83 dst_sel:DWORD dst_unused:UNUSED_PAD src0_sel:BYTE_0 src1_sel:DWORD
	v_and_b32_e32 v4, s85, v4
	v_cmp_eq_u32_e32 vcc, s8, v4
	s_and_b64 exec, exec, vcc
	s_cbranch_execz .LBB9_97
; %bb.102:                              ;   in Loop: Header=BB9_98 Depth=2
	v_lshlrev_b16_e32 v3, 8, v3
	v_or_b32_e32 v3, 1, v3
	ds_write_b16 v23, v3 offset:3072
	s_branch .LBB9_97
.LBB9_103:                              ;   in Loop: Header=BB9_8 Depth=1
	s_or_b64 exec, exec, s[18:19]
	v_lshrrev_b16_e32 v25, 8, v3
	s_and_b64 s[18:19], s[26:27], exec
.LBB9_104:                              ;   in Loop: Header=BB9_8 Depth=1
	s_or_b64 exec, exec, s[20:21]
	s_mov_b64 s[28:29], -1
	s_mov_b64 s[20:21], 0
	s_mov_b64 s[26:27], 0
.LBB9_105:                              ;   in Loop: Header=BB9_8 Depth=1
	s_andn2_b64 s[0:1], s[86:87], exec
	s_and_b64 s[20:21], s[20:21], exec
	s_or_b64 s[86:87], s[0:1], s[20:21]
	s_andn2_b64 s[0:1], s[70:71], exec
	s_and_b64 s[20:21], s[28:29], exec
	s_or_b64 s[70:71], s[0:1], s[20:21]
	;; [unrolled: 3-line block ×3, first 2 shown]
	s_and_saveexec_b64 s[20:21], s[18:19]
	s_cbranch_execz .LBB9_7
; %bb.106:                              ;   in Loop: Header=BB9_8 Depth=1
	s_xor_b64 s[0:1], s[24:25], -1
	s_mov_b64 s[18:19], 0
	s_andn2_b64 vcc, exec, s[0:1]
	s_mov_b32 s39, 1
	s_cbranch_vccnz .LBB9_117
; %bb.107:                              ;   in Loop: Header=BB9_8 Depth=1
	s_cmp_gt_i32 s61, s34
	s_mov_b64 s[18:19], -1
                                        ; implicit-def: $sgpr57
                                        ; implicit-def: $sgpr0
                                        ; implicit-def: $sgpr1
	s_cbranch_scc1 .LBB9_113
; %bb.108:                              ;   in Loop: Header=BB9_8 Depth=1
	ds_read_b32 v2, v23 offset:4096
	s_waitcnt lgkmcnt(0)
	v_cmp_ne_u32_e32 vcc, 0, v2
	s_cbranch_vccnz .LBB9_112
; %bb.109:                              ;   in Loop: Header=BB9_8 Depth=1
	s_mov_b64 s[18:19], exec
	v_readlane_b32 s0, v42, 12
	v_readlane_b32 s1, v42, 13
	s_and_b64 s[0:1], s[18:19], s[0:1]
	s_mov_b64 exec, s[0:1]
	s_cbranch_execz .LBB9_111
; %bb.110:                              ;   in Loop: Header=BB9_8 Depth=1
	v_mov_b32_e32 v2, s34
	ds_write_b32 v23, v2 offset:4100
.LBB9_111:                              ;   in Loop: Header=BB9_8 Depth=1
	s_or_b64 exec, exec, s[18:19]
	s_waitcnt lgkmcnt(0)
	s_barrier
.LBB9_112:                              ;   in Loop: Header=BB9_8 Depth=1
	s_and_b32 s0, s8, s48
	s_or_b32 s1, s85, s55
	s_mov_b64 s[18:19], 0
	s_mov_b32 s57, 8
.LBB9_113:                              ;   in Loop: Header=BB9_8 Depth=1
	s_andn2_b64 vcc, exec, s[18:19]
	s_cbranch_vccnz .LBB9_115
; %bb.114:                              ;   in Loop: Header=BB9_8 Depth=1
	s_sub_i32 s61, s61, s34
	s_mov_b64 s[18:19], -1
	s_mov_b32 s57, 0
	s_mov_b32 s0, s8
	;; [unrolled: 1-line block ×3, first 2 shown]
.LBB9_115:                              ;   in Loop: Header=BB9_8 Depth=1
	s_mov_b32 s85, s1
	s_mov_b32 s8, s0
	;; [unrolled: 1-line block ×3, first 2 shown]
	s_mov_b64 s[22:23], -1
	s_and_b64 vcc, exec, s[18:19]
	s_cbranch_vccnz .LBB9_118
.LBB9_116:                              ;   in Loop: Header=BB9_8 Depth=1
	s_mov_b64 s[36:37], -1
                                        ; implicit-def: $sgpr24_sgpr25
                                        ; implicit-def: $sgpr28_sgpr29
                                        ; implicit-def: $sgpr26_sgpr27
	s_and_saveexec_b64 s[0:1], s[36:37]
	s_xor_b64 s[18:19], exec, s[0:1]
	s_cbranch_execz .LBB9_6
	s_branch .LBB9_241
.LBB9_117:                              ;   in Loop: Header=BB9_8 Depth=1
	s_mov_b32 s57, 1
	s_mov_b64 s[22:23], -1
	s_and_b64 vcc, exec, s[18:19]
	s_cbranch_vccz .LBB9_116
.LBB9_118:                              ;   in Loop: Header=BB9_8 Depth=1
	s_cmp_eq_u32 s38, 1
	s_cselect_b64 s[0:1], -1, 0
	s_cmp_eq_u32 s39, 1
	s_cselect_b64 s[18:19], -1, 0
	s_and_b64 s[34:35], s[0:1], s[18:19]
	s_mov_b64 s[18:19], -1
	s_and_b64 vcc, exec, s[34:35]
	s_cbranch_vccz .LBB9_130
; %bb.119:                              ;   in Loop: Header=BB9_8 Depth=1
	ds_read_b32 v2, v23 offset:4096
	s_waitcnt lgkmcnt(0)
	s_barrier
	v_readfirstlane_b32 s0, v2
	s_and_saveexec_b64 s[18:19], s[4:5]
	s_cbranch_execz .LBB9_121
; %bb.120:                              ;   in Loop: Header=BB9_8 Depth=1
	ds_write_b8 v0, v23 offset:3072
.LBB9_121:                              ;   in Loop: Header=BB9_8 Depth=1
	s_or_b64 exec, exec, s[18:19]
	s_lshl_b32 s1, 1, s47
	s_and_b32 s8, s8, s48
	s_or_b32 s8, s8, s1
	s_or_b32 s85, s85, s55
	s_cmp_gt_i32 s0, 0
	s_waitcnt lgkmcnt(0)
	s_barrier
	s_cbranch_scc1 .LBB9_131
; %bb.122:                              ;   in Loop: Header=BB9_8 Depth=1
	s_mov_b64 s[18:19], 0
                                        ; implicit-def: $vgpr25
	s_mov_b64 s[24:25], exec
	v_readlane_b32 s26, v42, 45
	v_readlane_b32 s27, v42, 46
	s_and_b64 s[26:27], s[24:25], s[26:27]
	s_mov_b64 exec, s[26:27]
	s_cbranch_execz .LBB9_133
; %bb.123:                              ;   in Loop: Header=BB9_8 Depth=1
	s_mov_b64 s[26:27], 0
	v_mov_b32_e32 v2, v9
	v_mov_b32_e32 v3, v0
                                        ; implicit-def: $sgpr28_sgpr29
	s_branch .LBB9_125
.LBB9_124:                              ;   in Loop: Header=BB9_125 Depth=2
	s_or_b64 exec, exec, s[18:19]
	s_waitcnt lgkmcnt(0)
	s_barrier
	s_waitcnt vmcnt(0)
	ds_read_u16 v4, v23 offset:3072
	v_add_u32_e32 v3, s62, v3
	v_cmp_le_i32_e32 vcc, s9, v3
	v_add_u32_e32 v2, s84, v2
	s_waitcnt lgkmcnt(0)
	v_cmp_ne_u16_sdwa s[18:19], v4, v23 src0_sel:BYTE_0 src1_sel:DWORD
	s_or_b64 s[30:31], vcc, s[18:19]
	s_and_b64 s[30:31], exec, s[30:31]
	s_or_b64 s[26:27], s[30:31], s[26:27]
	s_andn2_b64 s[28:29], s[28:29], exec
	s_and_b64 s[18:19], s[18:19], exec
	s_or_b64 s[28:29], s[28:29], s[18:19]
	s_barrier
	s_andn2_b64 exec, exec, s[26:27]
	s_cbranch_execz .LBB9_132
.LBB9_125:                              ;   Parent Loop BB9_8 Depth=1
                                        ; =>  This Inner Loop Header: Depth=2
	v_cmp_gt_i32_e32 vcc, s60, v3
	v_mov_b32_e32 v4, 0
	s_and_saveexec_b64 s[30:31], vcc
	s_cbranch_execz .LBB9_127
; %bb.126:                              ;   in Loop: Header=BB9_125 Depth=2
	v_ashrrev_i32_e32 v5, 31, v2
	v_mov_b32_e32 v25, s73
	v_add_co_u32_e64 v4, s[18:19], s72, v2
	v_addc_co_u32_e64 v5, s[18:19], v25, v5, s[18:19]
	global_load_ubyte v4, v[4:5], off
.LBB9_127:                              ;   in Loop: Header=BB9_125 Depth=2
	s_or_b64 exec, exec, s[30:31]
	s_and_saveexec_b64 s[18:19], vcc
	s_cbranch_execz .LBB9_124
; %bb.128:                              ;   in Loop: Header=BB9_125 Depth=2
	s_waitcnt vmcnt(0)
	v_add_u32_sdwa v5, sext(v4), s83 dst_sel:DWORD dst_unused:UNUSED_PAD src0_sel:BYTE_0 src1_sel:DWORD
	v_and_b32_e32 v5, s85, v5
	v_cmp_eq_u32_e32 vcc, s8, v5
	s_and_b64 exec, exec, vcc
	s_cbranch_execz .LBB9_124
; %bb.129:                              ;   in Loop: Header=BB9_125 Depth=2
	v_lshlrev_b16_e32 v4, 8, v4
	v_or_b32_e32 v4, 1, v4
	ds_write_b16 v23, v4 offset:3072
	s_branch .LBB9_124
.LBB9_130:                              ;   in Loop: Header=BB9_8 Depth=1
                                        ; implicit-def: $sgpr26_sgpr27
                                        ; implicit-def: $sgpr28_sgpr29
                                        ; implicit-def: $sgpr24_sgpr25
	s_branch .LBB9_144
.LBB9_131:                              ;   in Loop: Header=BB9_8 Depth=1
	s_mov_b64 s[26:27], -1
	s_mov_b64 s[18:19], 0
                                        ; implicit-def: $sgpr24_sgpr25
                                        ; implicit-def: $vgpr25
	s_mov_b64 s[28:29], s[26:27]
	s_cbranch_execnz .LBB9_134
	s_branch .LBB9_144
.LBB9_132:                              ;   in Loop: Header=BB9_8 Depth=1
	s_or_b64 exec, exec, s[26:27]
	v_lshrrev_b16_e32 v25, 8, v4
	s_and_b64 s[18:19], s[28:29], exec
.LBB9_133:                              ;   in Loop: Header=BB9_8 Depth=1
	s_or_b64 exec, exec, s[24:25]
	s_mov_b64 s[24:25], -1
	s_mov_b64 s[26:27], 0
	s_mov_b64 s[28:29], s[26:27]
	s_branch .LBB9_144
.LBB9_134:                              ;   in Loop: Header=BB9_8 Depth=1
	v_readlane_b32 s1, v42, 21
	s_add_i32 s1, s0, s1
	s_abs_i32 s19, s1
	v_readlane_b32 s24, v42, 44
	s_mul_hi_u32 s24, s19, s24
	s_mul_i32 s24, s24, s62
	s_sub_i32 s19, s19, s24
	s_ashr_i32 s18, s1, 31
	s_sub_i32 s24, s19, s62
	s_cmp_ge_u32 s19, s62
	s_cselect_b32 s19, s24, s19
	s_sub_i32 s24, s19, s62
	s_cmp_ge_u32 s19, s62
	s_cselect_b32 s19, s24, s19
	s_xor_b32 s19, s19, s18
	s_sub_i32 s18, s18, s19
	s_add_i32 s1, s1, s18
	v_cmp_gt_i32_e32 vcc, s1, v0
	s_mov_b64 s[18:19], 0
                                        ; implicit-def: $vgpr25
	s_and_saveexec_b64 s[24:25], vcc
	s_cbranch_execz .LBB9_143
; %bb.135:                              ;   in Loop: Header=BB9_8 Depth=1
	v_mov_b32_e32 v2, v0
                                        ; implicit-def: $sgpr26_sgpr27
	s_branch .LBB9_137
.LBB9_136:                              ;   in Loop: Header=BB9_137 Depth=2
	s_or_b64 exec, exec, s[28:29]
	s_waitcnt lgkmcnt(0)
	s_barrier
	ds_read_u16 v3, v23 offset:3072
	v_add_u32_e32 v2, s62, v2
	v_cmp_le_i32_e32 vcc, s1, v2
	s_waitcnt lgkmcnt(0)
	s_barrier
	v_cmp_ne_u16_sdwa s[28:29], v3, v23 src0_sel:BYTE_0 src1_sel:DWORD
	s_or_b64 s[30:31], vcc, s[28:29]
	s_and_b64 s[30:31], exec, s[30:31]
	s_or_b64 s[18:19], s[30:31], s[18:19]
	s_andn2_b64 s[26:27], s[26:27], exec
	s_and_b64 s[28:29], s[28:29], exec
	s_or_b64 s[26:27], s[26:27], s[28:29]
	s_andn2_b64 exec, exec, s[18:19]
	s_cbranch_execz .LBB9_142
.LBB9_137:                              ;   Parent Loop BB9_8 Depth=1
                                        ; =>  This Inner Loop Header: Depth=2
	v_cmp_gt_i32_e32 vcc, s0, v2
	v_mov_b32_e32 v3, 0
	s_and_saveexec_b64 s[28:29], vcc
	s_cbranch_execz .LBB9_139
; %bb.138:                              ;   in Loop: Header=BB9_137 Depth=2
	ds_read_u8 v3, v2
.LBB9_139:                              ;   in Loop: Header=BB9_137 Depth=2
	s_or_b64 exec, exec, s[28:29]
	s_and_saveexec_b64 s[28:29], vcc
	s_cbranch_execz .LBB9_136
; %bb.140:                              ;   in Loop: Header=BB9_137 Depth=2
	s_waitcnt lgkmcnt(0)
	v_add_u32_sdwa v4, sext(v3), s83 dst_sel:DWORD dst_unused:UNUSED_PAD src0_sel:BYTE_0 src1_sel:DWORD
	v_and_b32_e32 v4, s85, v4
	v_cmp_eq_u32_e32 vcc, s8, v4
	s_and_b64 exec, exec, vcc
	s_cbranch_execz .LBB9_136
; %bb.141:                              ;   in Loop: Header=BB9_137 Depth=2
	v_lshlrev_b16_e32 v3, 8, v3
	v_or_b32_e32 v3, 1, v3
	ds_write_b16 v23, v3 offset:3072
	s_branch .LBB9_136
.LBB9_142:                              ;   in Loop: Header=BB9_8 Depth=1
	s_or_b64 exec, exec, s[18:19]
	v_lshrrev_b16_e32 v25, 8, v3
	s_and_b64 s[18:19], s[26:27], exec
.LBB9_143:                              ;   in Loop: Header=BB9_8 Depth=1
	s_or_b64 exec, exec, s[24:25]
	s_mov_b64 s[28:29], -1
	s_mov_b64 s[26:27], 0
	s_mov_b64 s[24:25], 0
.LBB9_144:                              ;   in Loop: Header=BB9_8 Depth=1
	s_mov_b64 s[36:37], 0
                                        ; implicit-def: $sgpr57
	s_and_saveexec_b64 s[30:31], s[18:19]
	s_cbranch_execz .LBB9_240
; %bb.145:                              ;   in Loop: Header=BB9_8 Depth=1
	s_xor_b64 s[0:1], s[34:35], -1
	s_mov_b64 s[18:19], 0
	s_andn2_b64 vcc, exec, s[0:1]
	s_mov_b32 s49, 1
	s_cbranch_vccnz .LBB9_156
; %bb.146:                              ;   in Loop: Header=BB9_8 Depth=1
	s_cmp_gt_i32 s39, s38
	s_mov_b64 s[18:19], -1
                                        ; implicit-def: $sgpr57
                                        ; implicit-def: $sgpr0
                                        ; implicit-def: $sgpr1
	s_cbranch_scc1 .LBB9_152
; %bb.147:                              ;   in Loop: Header=BB9_8 Depth=1
	ds_read_b32 v2, v23 offset:4096
	s_waitcnt lgkmcnt(0)
	v_cmp_ne_u32_e32 vcc, 0, v2
	s_cbranch_vccnz .LBB9_151
; %bb.148:                              ;   in Loop: Header=BB9_8 Depth=1
	s_mov_b64 s[18:19], exec
	v_readlane_b32 s0, v42, 12
	v_readlane_b32 s1, v42, 13
	s_and_b64 s[0:1], s[18:19], s[0:1]
	s_mov_b64 exec, s[0:1]
	s_cbranch_execz .LBB9_150
; %bb.149:                              ;   in Loop: Header=BB9_8 Depth=1
	v_mov_b32_e32 v2, s38
	ds_write_b32 v23, v2 offset:4100
.LBB9_150:                              ;   in Loop: Header=BB9_8 Depth=1
	s_or_b64 exec, exec, s[18:19]
	s_waitcnt lgkmcnt(0)
	s_barrier
.LBB9_151:                              ;   in Loop: Header=BB9_8 Depth=1
	s_lshl_b32 s0, 1, s47
	s_and_b32 s1, s8, s48
	s_or_b32 s0, s1, s0
	s_or_b32 s1, s85, s55
	s_mov_b64 s[18:19], 0
	s_mov_b32 s57, 8
.LBB9_152:                              ;   in Loop: Header=BB9_8 Depth=1
	s_andn2_b64 vcc, exec, s[18:19]
	s_cbranch_vccnz .LBB9_154
; %bb.153:                              ;   in Loop: Header=BB9_8 Depth=1
	s_sub_i32 s39, s39, s38
	s_mov_b64 s[18:19], -1
	s_mov_b32 s57, 0
	s_mov_b32 s0, s8
	;; [unrolled: 1-line block ×3, first 2 shown]
.LBB9_154:                              ;   in Loop: Header=BB9_8 Depth=1
	s_mov_b32 s85, s1
	s_mov_b32 s8, s0
	;; [unrolled: 1-line block ×3, first 2 shown]
	s_andn2_b64 vcc, exec, s[18:19]
	s_mov_b64 s[44:45], -1
	s_cbranch_vccz .LBB9_157
.LBB9_155:                              ;   in Loop: Header=BB9_8 Depth=1
                                        ; implicit-def: $sgpr36_sgpr37
                                        ; implicit-def: $sgpr38_sgpr39
                                        ; implicit-def: $sgpr34_sgpr35
	s_branch .LBB9_239
.LBB9_156:                              ;   in Loop: Header=BB9_8 Depth=1
	s_mov_b32 s57, 1
	s_andn2_b64 vcc, exec, s[18:19]
	s_mov_b64 s[44:45], -1
	s_cbranch_vccnz .LBB9_155
.LBB9_157:                              ;   in Loop: Header=BB9_8 Depth=1
	s_cmp_eq_u32 s46, 1
	s_cselect_b64 s[0:1], -1, 0
	s_cmp_eq_u32 s49, 1
	s_cselect_b64 s[18:19], -1, 0
	s_and_b64 s[42:43], s[0:1], s[18:19]
	s_mov_b64 s[18:19], -1
	s_and_b64 vcc, exec, s[42:43]
	s_cbranch_vccz .LBB9_169
; %bb.158:                              ;   in Loop: Header=BB9_8 Depth=1
	ds_read_b32 v2, v23 offset:4096
	s_waitcnt lgkmcnt(0)
	s_barrier
	v_readfirstlane_b32 s0, v2
	s_and_saveexec_b64 s[18:19], s[4:5]
	s_cbranch_execz .LBB9_160
; %bb.159:                              ;   in Loop: Header=BB9_8 Depth=1
	ds_write_b8 v0, v23 offset:3072
.LBB9_160:                              ;   in Loop: Header=BB9_8 Depth=1
	s_or_b64 exec, exec, s[18:19]
	s_lshl_b32 s1, 2, s47
	s_and_b32 s8, s8, s48
	s_or_b32 s8, s8, s1
	s_or_b32 s85, s85, s55
	s_cmp_gt_i32 s0, 0
	s_waitcnt lgkmcnt(0)
	s_barrier
	s_cbranch_scc1 .LBB9_170
; %bb.161:                              ;   in Loop: Header=BB9_8 Depth=1
	s_mov_b64 s[18:19], 0
                                        ; implicit-def: $vgpr25
	s_mov_b64 s[34:35], exec
	v_readlane_b32 s36, v42, 45
	v_readlane_b32 s37, v42, 46
	s_and_b64 s[36:37], s[34:35], s[36:37]
	s_mov_b64 exec, s[36:37]
	s_cbranch_execz .LBB9_172
; %bb.162:                              ;   in Loop: Header=BB9_8 Depth=1
	s_mov_b64 s[36:37], 0
	v_mov_b32_e32 v2, v9
	v_mov_b32_e32 v3, v0
                                        ; implicit-def: $sgpr38_sgpr39
	s_branch .LBB9_164
.LBB9_163:                              ;   in Loop: Header=BB9_164 Depth=2
	s_or_b64 exec, exec, s[18:19]
	s_waitcnt lgkmcnt(0)
	s_barrier
	s_waitcnt vmcnt(0)
	ds_read_u16 v4, v23 offset:3072
	v_add_u32_e32 v3, s62, v3
	v_cmp_le_i32_e32 vcc, s9, v3
	v_add_u32_e32 v2, s84, v2
	s_waitcnt lgkmcnt(0)
	v_cmp_ne_u16_sdwa s[18:19], v4, v23 src0_sel:BYTE_0 src1_sel:DWORD
	s_or_b64 s[40:41], vcc, s[18:19]
	s_and_b64 s[40:41], exec, s[40:41]
	s_or_b64 s[36:37], s[40:41], s[36:37]
	s_andn2_b64 s[38:39], s[38:39], exec
	s_and_b64 s[18:19], s[18:19], exec
	s_or_b64 s[38:39], s[38:39], s[18:19]
	s_barrier
	s_andn2_b64 exec, exec, s[36:37]
	s_cbranch_execz .LBB9_171
.LBB9_164:                              ;   Parent Loop BB9_8 Depth=1
                                        ; =>  This Inner Loop Header: Depth=2
	v_cmp_gt_i32_e32 vcc, s60, v3
	v_mov_b32_e32 v4, 0
	s_and_saveexec_b64 s[40:41], vcc
	s_cbranch_execz .LBB9_166
; %bb.165:                              ;   in Loop: Header=BB9_164 Depth=2
	v_ashrrev_i32_e32 v5, 31, v2
	v_mov_b32_e32 v25, s73
	v_add_co_u32_e64 v4, s[18:19], s72, v2
	v_addc_co_u32_e64 v5, s[18:19], v25, v5, s[18:19]
	global_load_ubyte v4, v[4:5], off
.LBB9_166:                              ;   in Loop: Header=BB9_164 Depth=2
	s_or_b64 exec, exec, s[40:41]
	s_and_saveexec_b64 s[18:19], vcc
	s_cbranch_execz .LBB9_163
; %bb.167:                              ;   in Loop: Header=BB9_164 Depth=2
	s_waitcnt vmcnt(0)
	v_add_u32_sdwa v5, sext(v4), s83 dst_sel:DWORD dst_unused:UNUSED_PAD src0_sel:BYTE_0 src1_sel:DWORD
	v_and_b32_e32 v5, s85, v5
	v_cmp_eq_u32_e32 vcc, s8, v5
	s_and_b64 exec, exec, vcc
	s_cbranch_execz .LBB9_163
; %bb.168:                              ;   in Loop: Header=BB9_164 Depth=2
	v_lshlrev_b16_e32 v4, 8, v4
	v_or_b32_e32 v4, 1, v4
	ds_write_b16 v23, v4 offset:3072
	s_branch .LBB9_163
.LBB9_169:                              ;   in Loop: Header=BB9_8 Depth=1
                                        ; implicit-def: $sgpr34_sgpr35
                                        ; implicit-def: $sgpr38_sgpr39
                                        ; implicit-def: $sgpr36_sgpr37
	s_branch .LBB9_183
.LBB9_170:                              ;   in Loop: Header=BB9_8 Depth=1
	s_mov_b64 s[34:35], -1
	s_mov_b64 s[18:19], 0
                                        ; implicit-def: $sgpr36_sgpr37
                                        ; implicit-def: $vgpr25
	s_mov_b64 s[38:39], s[34:35]
	s_cbranch_execnz .LBB9_173
	s_branch .LBB9_183
.LBB9_171:                              ;   in Loop: Header=BB9_8 Depth=1
	s_or_b64 exec, exec, s[36:37]
	v_lshrrev_b16_e32 v25, 8, v4
	s_and_b64 s[18:19], s[38:39], exec
.LBB9_172:                              ;   in Loop: Header=BB9_8 Depth=1
	s_or_b64 exec, exec, s[34:35]
	s_mov_b64 s[36:37], -1
	s_mov_b64 s[34:35], 0
	s_mov_b64 s[38:39], s[34:35]
	s_branch .LBB9_183
.LBB9_173:                              ;   in Loop: Header=BB9_8 Depth=1
	v_readlane_b32 s1, v42, 21
	s_add_i32 s1, s0, s1
	s_abs_i32 s19, s1
	v_readlane_b32 s34, v42, 44
	s_mul_hi_u32 s34, s19, s34
	s_mul_i32 s34, s34, s62
	s_sub_i32 s19, s19, s34
	s_ashr_i32 s18, s1, 31
	s_sub_i32 s34, s19, s62
	s_cmp_ge_u32 s19, s62
	s_cselect_b32 s19, s34, s19
	s_sub_i32 s34, s19, s62
	s_cmp_ge_u32 s19, s62
	s_cselect_b32 s19, s34, s19
	s_xor_b32 s19, s19, s18
	s_sub_i32 s18, s18, s19
	s_add_i32 s1, s1, s18
	v_cmp_gt_i32_e32 vcc, s1, v0
	s_mov_b64 s[18:19], 0
                                        ; implicit-def: $vgpr25
	s_and_saveexec_b64 s[34:35], vcc
	s_cbranch_execz .LBB9_182
; %bb.174:                              ;   in Loop: Header=BB9_8 Depth=1
	v_mov_b32_e32 v2, v0
                                        ; implicit-def: $sgpr36_sgpr37
	s_branch .LBB9_176
.LBB9_175:                              ;   in Loop: Header=BB9_176 Depth=2
	s_or_b64 exec, exec, s[38:39]
	s_waitcnt lgkmcnt(0)
	s_barrier
	ds_read_u16 v3, v23 offset:3072
	v_add_u32_e32 v2, s62, v2
	v_cmp_le_i32_e32 vcc, s1, v2
	s_waitcnt lgkmcnt(0)
	s_barrier
	v_cmp_ne_u16_sdwa s[38:39], v3, v23 src0_sel:BYTE_0 src1_sel:DWORD
	s_or_b64 s[40:41], vcc, s[38:39]
	s_and_b64 s[40:41], exec, s[40:41]
	s_or_b64 s[18:19], s[40:41], s[18:19]
	s_andn2_b64 s[36:37], s[36:37], exec
	s_and_b64 s[38:39], s[38:39], exec
	s_or_b64 s[36:37], s[36:37], s[38:39]
	s_andn2_b64 exec, exec, s[18:19]
	s_cbranch_execz .LBB9_181
.LBB9_176:                              ;   Parent Loop BB9_8 Depth=1
                                        ; =>  This Inner Loop Header: Depth=2
	v_cmp_gt_i32_e32 vcc, s0, v2
	v_mov_b32_e32 v3, 0
	s_and_saveexec_b64 s[38:39], vcc
	s_cbranch_execz .LBB9_178
; %bb.177:                              ;   in Loop: Header=BB9_176 Depth=2
	ds_read_u8 v3, v2
.LBB9_178:                              ;   in Loop: Header=BB9_176 Depth=2
	s_or_b64 exec, exec, s[38:39]
	s_and_saveexec_b64 s[38:39], vcc
	s_cbranch_execz .LBB9_175
; %bb.179:                              ;   in Loop: Header=BB9_176 Depth=2
	s_waitcnt lgkmcnt(0)
	v_add_u32_sdwa v4, sext(v3), s83 dst_sel:DWORD dst_unused:UNUSED_PAD src0_sel:BYTE_0 src1_sel:DWORD
	v_and_b32_e32 v4, s85, v4
	v_cmp_eq_u32_e32 vcc, s8, v4
	s_and_b64 exec, exec, vcc
	s_cbranch_execz .LBB9_175
; %bb.180:                              ;   in Loop: Header=BB9_176 Depth=2
	v_lshlrev_b16_e32 v3, 8, v3
	v_or_b32_e32 v3, 1, v3
	ds_write_b16 v23, v3 offset:3072
	s_branch .LBB9_175
.LBB9_181:                              ;   in Loop: Header=BB9_8 Depth=1
	s_or_b64 exec, exec, s[18:19]
	v_lshrrev_b16_e32 v25, 8, v3
	s_and_b64 s[18:19], s[36:37], exec
.LBB9_182:                              ;   in Loop: Header=BB9_8 Depth=1
	s_or_b64 exec, exec, s[34:35]
	s_mov_b64 s[38:39], -1
	s_mov_b64 s[34:35], 0
	s_mov_b64 s[36:37], 0
.LBB9_183:                              ;   in Loop: Header=BB9_8 Depth=1
	s_mov_b64 s[44:45], 0
                                        ; implicit-def: $sgpr57
	s_and_saveexec_b64 s[40:41], s[18:19]
	s_cbranch_execz .LBB9_238
; %bb.184:                              ;   in Loop: Header=BB9_8 Depth=1
	s_xor_b64 s[0:1], s[42:43], -1
	s_mov_b64 s[18:19], 0
	s_andn2_b64 vcc, exec, s[0:1]
	s_mov_b32 s56, 1
	s_cbranch_vccnz .LBB9_195
; %bb.185:                              ;   in Loop: Header=BB9_8 Depth=1
	s_cmp_gt_i32 s49, s46
	s_mov_b64 s[18:19], -1
                                        ; implicit-def: $sgpr57
                                        ; implicit-def: $sgpr0
                                        ; implicit-def: $sgpr1
	s_cbranch_scc1 .LBB9_191
; %bb.186:                              ;   in Loop: Header=BB9_8 Depth=1
	ds_read_b32 v2, v23 offset:4096
	s_waitcnt lgkmcnt(0)
	v_cmp_ne_u32_e32 vcc, 0, v2
	s_cbranch_vccnz .LBB9_190
; %bb.187:                              ;   in Loop: Header=BB9_8 Depth=1
	s_mov_b64 s[18:19], exec
	v_readlane_b32 s0, v42, 12
	v_readlane_b32 s1, v42, 13
	s_and_b64 s[0:1], s[18:19], s[0:1]
	s_mov_b64 exec, s[0:1]
	s_cbranch_execz .LBB9_189
; %bb.188:                              ;   in Loop: Header=BB9_8 Depth=1
	v_mov_b32_e32 v2, s46
	ds_write_b32 v23, v2 offset:4100
.LBB9_189:                              ;   in Loop: Header=BB9_8 Depth=1
	s_or_b64 exec, exec, s[18:19]
	s_waitcnt lgkmcnt(0)
	s_barrier
.LBB9_190:                              ;   in Loop: Header=BB9_8 Depth=1
	s_lshl_b32 s0, 2, s47
	s_and_b32 s1, s8, s48
	s_or_b32 s0, s1, s0
	s_or_b32 s1, s85, s55
	s_mov_b64 s[18:19], 0
	s_mov_b32 s57, 8
.LBB9_191:                              ;   in Loop: Header=BB9_8 Depth=1
	s_andn2_b64 vcc, exec, s[18:19]
	s_cbranch_vccnz .LBB9_193
; %bb.192:                              ;   in Loop: Header=BB9_8 Depth=1
	s_sub_i32 s49, s49, s46
	s_mov_b64 s[18:19], -1
	s_mov_b32 s57, 0
	s_mov_b32 s0, s8
	;; [unrolled: 1-line block ×3, first 2 shown]
.LBB9_193:                              ;   in Loop: Header=BB9_8 Depth=1
	s_mov_b32 s85, s1
	s_mov_b32 s8, s0
	;; [unrolled: 1-line block ×3, first 2 shown]
	s_andn2_b64 vcc, exec, s[18:19]
	s_mov_b64 s[52:53], -1
	s_cbranch_vccz .LBB9_196
.LBB9_194:                              ;   in Loop: Header=BB9_8 Depth=1
                                        ; implicit-def: $sgpr18_sgpr19
                                        ; implicit-def: $sgpr46_sgpr47
                                        ; implicit-def: $sgpr44_sgpr45
	s_branch .LBB9_237
.LBB9_195:                              ;   in Loop: Header=BB9_8 Depth=1
	s_mov_b32 s57, 1
	s_andn2_b64 vcc, exec, s[18:19]
	s_mov_b64 s[52:53], -1
	s_cbranch_vccnz .LBB9_194
.LBB9_196:                              ;   in Loop: Header=BB9_8 Depth=1
	s_cmp_eq_u32 s54, 1
	s_cselect_b64 s[0:1], -1, 0
	s_cmp_eq_u32 s56, 1
	s_cselect_b64 s[18:19], -1, 0
	s_and_b64 s[42:43], s[0:1], s[18:19]
	s_mov_b64 s[48:49], -1
	s_and_b64 vcc, exec, s[42:43]
	s_cbranch_vccz .LBB9_208
; %bb.197:                              ;   in Loop: Header=BB9_8 Depth=1
	ds_read_b32 v2, v23 offset:4096
	s_waitcnt lgkmcnt(0)
	s_barrier
	v_readfirstlane_b32 s0, v2
	s_and_saveexec_b64 s[18:19], s[4:5]
	s_cbranch_execz .LBB9_199
; %bb.198:                              ;   in Loop: Header=BB9_8 Depth=1
	ds_write_b8 v0, v23 offset:3072
.LBB9_199:                              ;   in Loop: Header=BB9_8 Depth=1
	s_or_b64 exec, exec, s[18:19]
	s_or_b32 s8, s8, s55
	s_or_b32 s85, s85, s55
	s_cmp_gt_i32 s0, 0
	s_waitcnt lgkmcnt(0)
	s_barrier
	s_cbranch_scc1 .LBB9_209
; %bb.200:                              ;   in Loop: Header=BB9_8 Depth=1
	s_mov_b64 s[48:49], 0
                                        ; implicit-def: $vgpr25
	s_mov_b64 s[44:45], exec
	v_readlane_b32 s18, v42, 45
	v_readlane_b32 s19, v42, 46
	s_and_b64 s[18:19], s[44:45], s[18:19]
	s_mov_b64 exec, s[18:19]
	s_cbranch_execz .LBB9_211
; %bb.201:                              ;   in Loop: Header=BB9_8 Depth=1
	s_mov_b64 s[46:47], 0
	v_mov_b32_e32 v2, v9
	v_mov_b32_e32 v3, v0
                                        ; implicit-def: $sgpr48_sgpr49
	s_branch .LBB9_203
.LBB9_202:                              ;   in Loop: Header=BB9_203 Depth=2
	s_or_b64 exec, exec, s[18:19]
	s_waitcnt lgkmcnt(0)
	s_barrier
	s_waitcnt vmcnt(0)
	ds_read_u16 v4, v23 offset:3072
	v_add_u32_e32 v3, s62, v3
	v_cmp_le_i32_e32 vcc, s9, v3
	v_add_u32_e32 v2, s84, v2
	s_waitcnt lgkmcnt(0)
	v_cmp_ne_u16_sdwa s[18:19], v4, v23 src0_sel:BYTE_0 src1_sel:DWORD
	s_or_b64 s[50:51], vcc, s[18:19]
	s_and_b64 s[50:51], exec, s[50:51]
	s_or_b64 s[46:47], s[50:51], s[46:47]
	s_andn2_b64 s[48:49], s[48:49], exec
	s_and_b64 s[18:19], s[18:19], exec
	s_or_b64 s[48:49], s[48:49], s[18:19]
	s_barrier
	s_andn2_b64 exec, exec, s[46:47]
	s_cbranch_execz .LBB9_210
.LBB9_203:                              ;   Parent Loop BB9_8 Depth=1
                                        ; =>  This Inner Loop Header: Depth=2
	v_cmp_gt_i32_e32 vcc, s60, v3
	v_mov_b32_e32 v4, 0
	s_and_saveexec_b64 s[50:51], vcc
	s_cbranch_execz .LBB9_205
; %bb.204:                              ;   in Loop: Header=BB9_203 Depth=2
	v_ashrrev_i32_e32 v5, 31, v2
	v_mov_b32_e32 v25, s73
	v_add_co_u32_e64 v4, s[18:19], s72, v2
	v_addc_co_u32_e64 v5, s[18:19], v25, v5, s[18:19]
	global_load_ubyte v4, v[4:5], off
.LBB9_205:                              ;   in Loop: Header=BB9_203 Depth=2
	s_or_b64 exec, exec, s[50:51]
	s_and_saveexec_b64 s[18:19], vcc
	s_cbranch_execz .LBB9_202
; %bb.206:                              ;   in Loop: Header=BB9_203 Depth=2
	s_waitcnt vmcnt(0)
	v_add_u32_sdwa v5, sext(v4), s83 dst_sel:DWORD dst_unused:UNUSED_PAD src0_sel:BYTE_0 src1_sel:DWORD
	v_and_b32_e32 v5, s85, v5
	v_cmp_eq_u32_e32 vcc, s8, v5
	s_and_b64 exec, exec, vcc
	s_cbranch_execz .LBB9_202
; %bb.207:                              ;   in Loop: Header=BB9_203 Depth=2
	v_lshlrev_b16_e32 v4, 8, v4
	v_or_b32_e32 v4, 1, v4
	ds_write_b16 v23, v4 offset:3072
	s_branch .LBB9_202
.LBB9_208:                              ;   in Loop: Header=BB9_8 Depth=1
                                        ; implicit-def: $sgpr18_sgpr19
                                        ; implicit-def: $sgpr46_sgpr47
                                        ; implicit-def: $sgpr44_sgpr45
	s_branch .LBB9_222
.LBB9_209:                              ;   in Loop: Header=BB9_8 Depth=1
	s_mov_b64 s[18:19], -1
	s_mov_b64 s[48:49], 0
                                        ; implicit-def: $sgpr44_sgpr45
                                        ; implicit-def: $vgpr25
	s_mov_b64 s[46:47], s[18:19]
	s_cbranch_execnz .LBB9_212
	s_branch .LBB9_222
.LBB9_210:                              ;   in Loop: Header=BB9_8 Depth=1
	s_or_b64 exec, exec, s[46:47]
	v_lshrrev_b16_e32 v25, 8, v4
	s_and_b64 s[48:49], s[48:49], exec
.LBB9_211:                              ;   in Loop: Header=BB9_8 Depth=1
	s_or_b64 exec, exec, s[44:45]
	s_mov_b64 s[44:45], -1
	s_mov_b64 s[18:19], 0
	s_mov_b64 s[46:47], s[18:19]
	s_branch .LBB9_222
.LBB9_212:                              ;   in Loop: Header=BB9_8 Depth=1
	v_readlane_b32 s1, v42, 21
	s_add_i32 s1, s0, s1
	s_abs_i32 s19, s1
	v_readlane_b32 s44, v42, 44
	s_mul_hi_u32 s44, s19, s44
	s_mul_i32 s44, s44, s62
	s_sub_i32 s19, s19, s44
	s_ashr_i32 s18, s1, 31
	s_sub_i32 s44, s19, s62
	s_cmp_ge_u32 s19, s62
	s_cselect_b32 s19, s44, s19
	s_sub_i32 s44, s19, s62
	s_cmp_ge_u32 s19, s62
	s_cselect_b32 s19, s44, s19
	s_xor_b32 s19, s19, s18
	s_sub_i32 s18, s18, s19
	s_add_i32 s1, s1, s18
	v_cmp_gt_i32_e32 vcc, s1, v0
	s_mov_b64 s[48:49], 0
                                        ; implicit-def: $vgpr25
	s_and_saveexec_b64 s[18:19], vcc
	s_cbranch_execz .LBB9_221
; %bb.213:                              ;   in Loop: Header=BB9_8 Depth=1
	s_mov_b64 s[44:45], 0
	v_mov_b32_e32 v2, v0
                                        ; implicit-def: $sgpr46_sgpr47
	s_branch .LBB9_215
.LBB9_214:                              ;   in Loop: Header=BB9_215 Depth=2
	s_or_b64 exec, exec, s[48:49]
	s_waitcnt lgkmcnt(0)
	s_barrier
	ds_read_u16 v3, v23 offset:3072
	v_add_u32_e32 v2, s62, v2
	v_cmp_le_i32_e32 vcc, s1, v2
	s_waitcnt lgkmcnt(0)
	s_barrier
	v_cmp_ne_u16_sdwa s[48:49], v3, v23 src0_sel:BYTE_0 src1_sel:DWORD
	s_or_b64 s[50:51], vcc, s[48:49]
	s_and_b64 s[50:51], exec, s[50:51]
	s_or_b64 s[44:45], s[50:51], s[44:45]
	s_andn2_b64 s[46:47], s[46:47], exec
	s_and_b64 s[48:49], s[48:49], exec
	s_or_b64 s[46:47], s[46:47], s[48:49]
	s_andn2_b64 exec, exec, s[44:45]
	s_cbranch_execz .LBB9_220
.LBB9_215:                              ;   Parent Loop BB9_8 Depth=1
                                        ; =>  This Inner Loop Header: Depth=2
	v_cmp_gt_i32_e32 vcc, s0, v2
	v_mov_b32_e32 v3, 0
	s_and_saveexec_b64 s[48:49], vcc
	s_cbranch_execz .LBB9_217
; %bb.216:                              ;   in Loop: Header=BB9_215 Depth=2
	ds_read_u8 v3, v2
.LBB9_217:                              ;   in Loop: Header=BB9_215 Depth=2
	s_or_b64 exec, exec, s[48:49]
	s_and_saveexec_b64 s[48:49], vcc
	s_cbranch_execz .LBB9_214
; %bb.218:                              ;   in Loop: Header=BB9_215 Depth=2
	s_waitcnt lgkmcnt(0)
	v_add_u32_sdwa v4, sext(v3), s83 dst_sel:DWORD dst_unused:UNUSED_PAD src0_sel:BYTE_0 src1_sel:DWORD
	v_and_b32_e32 v4, s85, v4
	v_cmp_eq_u32_e32 vcc, s8, v4
	s_and_b64 exec, exec, vcc
	s_cbranch_execz .LBB9_214
; %bb.219:                              ;   in Loop: Header=BB9_215 Depth=2
	v_lshlrev_b16_e32 v3, 8, v3
	v_or_b32_e32 v3, 1, v3
	ds_write_b16 v23, v3 offset:3072
	s_branch .LBB9_214
.LBB9_220:                              ;   in Loop: Header=BB9_8 Depth=1
	s_or_b64 exec, exec, s[44:45]
	v_lshrrev_b16_e32 v25, 8, v3
	s_and_b64 s[48:49], s[46:47], exec
.LBB9_221:                              ;   in Loop: Header=BB9_8 Depth=1
	s_or_b64 exec, exec, s[18:19]
	s_mov_b64 s[46:47], -1
	s_mov_b64 s[18:19], 0
	s_mov_b64 s[44:45], 0
.LBB9_222:                              ;   in Loop: Header=BB9_8 Depth=1
	s_mov_b64 s[52:53], 0
                                        ; implicit-def: $sgpr57
	s_and_saveexec_b64 s[50:51], s[48:49]
	s_cbranch_execz .LBB9_236
; %bb.223:                              ;   in Loop: Header=BB9_8 Depth=1
	s_xor_b64 s[0:1], s[42:43], -1
	s_andn2_b64 vcc, exec, s[0:1]
	s_mov_b32 s57, 1
	s_cbranch_vccnz .LBB9_230
; %bb.224:                              ;   in Loop: Header=BB9_8 Depth=1
	s_cmp_gt_i32 s56, s54
	s_cbranch_scc1 .LBB9_231
; %bb.225:                              ;   in Loop: Header=BB9_8 Depth=1
	ds_read_b32 v2, v23 offset:4096
	s_waitcnt lgkmcnt(0)
	v_cmp_ne_u32_e32 vcc, 0, v2
	s_cbranch_vccnz .LBB9_229
; %bb.226:                              ;   in Loop: Header=BB9_8 Depth=1
	s_mov_b64 s[42:43], exec
	v_readlane_b32 s0, v42, 12
	v_readlane_b32 s1, v42, 13
	s_and_b64 s[0:1], s[42:43], s[0:1]
	s_mov_b64 exec, s[0:1]
	s_cbranch_execz .LBB9_228
; %bb.227:                              ;   in Loop: Header=BB9_8 Depth=1
	v_mov_b32_e32 v2, s54
	ds_write_b32 v23, v2 offset:4100
.LBB9_228:                              ;   in Loop: Header=BB9_8 Depth=1
	s_or_b64 exec, exec, s[42:43]
	s_waitcnt lgkmcnt(0)
	s_barrier
.LBB9_229:                              ;   in Loop: Header=BB9_8 Depth=1
	s_or_b32 s0, s8, s55
	s_or_b32 s1, s85, s55
	s_mov_b64 s[42:43], 0
	s_mov_b32 s57, 8
	s_branch .LBB9_232
.LBB9_230:                              ;   in Loop: Header=BB9_8 Depth=1
	s_mov_b32 s56, 1
	s_branch .LBB9_235
.LBB9_231:                              ;   in Loop: Header=BB9_8 Depth=1
	s_mov_b64 s[42:43], -1
                                        ; implicit-def: $sgpr57
                                        ; implicit-def: $sgpr0
                                        ; implicit-def: $sgpr1
.LBB9_232:                              ;   in Loop: Header=BB9_8 Depth=1
	s_andn2_b64 vcc, exec, s[42:43]
	s_cbranch_vccnz .LBB9_234
; %bb.233:                              ;   in Loop: Header=BB9_8 Depth=1
	s_sub_i32 s56, s56, s54
	s_mov_b32 s57, 8
	s_mov_b32 s0, s8
	;; [unrolled: 1-line block ×3, first 2 shown]
.LBB9_234:                              ;   in Loop: Header=BB9_8 Depth=1
	s_mov_b32 s8, s0
	s_mov_b32 s85, s1
.LBB9_235:                              ;   in Loop: Header=BB9_8 Depth=1
	s_mov_b64 s[52:53], exec
.LBB9_236:                              ;   in Loop: Header=BB9_8 Depth=1
	s_or_b64 exec, exec, s[50:51]
.LBB9_237:                              ;   in Loop: Header=BB9_8 Depth=1
	s_andn2_b64 s[0:1], s[34:35], exec
	s_and_b64 s[18:19], s[18:19], exec
	s_or_b64 s[34:35], s[0:1], s[18:19]
	s_andn2_b64 s[0:1], s[38:39], exec
	s_and_b64 s[18:19], s[46:47], exec
	s_or_b64 s[38:39], s[0:1], s[18:19]
	;; [unrolled: 3-line block ×3, first 2 shown]
	s_and_b64 s[44:45], s[52:53], exec
	s_mov_b32 s49, s56
.LBB9_238:                              ;   in Loop: Header=BB9_8 Depth=1
	s_or_b64 exec, exec, s[40:41]
.LBB9_239:                              ;   in Loop: Header=BB9_8 Depth=1
	s_andn2_b64 s[0:1], s[26:27], exec
	s_and_b64 s[18:19], s[34:35], exec
	s_or_b64 s[26:27], s[0:1], s[18:19]
	s_andn2_b64 s[0:1], s[28:29], exec
	s_and_b64 s[18:19], s[38:39], exec
	s_or_b64 s[28:29], s[0:1], s[18:19]
	;; [unrolled: 3-line block ×3, first 2 shown]
	s_and_b64 s[36:37], s[44:45], exec
	s_mov_b32 s39, s49
.LBB9_240:                              ;   in Loop: Header=BB9_8 Depth=1
	s_or_b64 exec, exec, s[30:31]
	s_and_saveexec_b64 s[0:1], s[36:37]
	s_xor_b64 s[18:19], exec, s[0:1]
	s_cbranch_execz .LBB9_6
.LBB9_241:                              ;   in Loop: Header=BB9_8 Depth=1
	s_and_b32 s0, s57, -9
	s_cmp_eq_u32 s0, 0
	s_cbranch_scc1 .LBB9_4
; %bb.242:                              ;   in Loop: Header=BB9_8 Depth=1
	s_mov_b64 s[22:23], -1
                                        ; implicit-def: $sgpr85
                                        ; implicit-def: $sgpr39
                                        ; implicit-def: $sgpr16
                                        ; implicit-def: $sgpr17
	s_mov_b64 s[30:31], -1
	s_branch .LBB9_5
.LBB9_243:
	s_or_b64 exec, exec, s[92:93]
	s_xor_b64 s[8:9], s[66:67], -1
	s_xor_b64 s[0:1], s[94:95], -1
	;; [unrolled: 1-line block ×3, first 2 shown]
	s_mov_b64 s[4:5], 0
	s_and_saveexec_b64 s[2:3], s[0:1]
	s_xor_b64 s[2:3], exec, s[2:3]
	s_cbranch_execnz .LBB9_248
; %bb.244:
	s_andn2_saveexec_b64 s[0:1], s[2:3]
	s_cbranch_execnz .LBB9_268
.LBB9_245:
	s_or_b64 exec, exec, s[0:1]
	s_and_saveexec_b64 s[0:1], s[4:5]
.LBB9_246:
	; divergent unreachable
.LBB9_247:
	s_endpgm
.LBB9_248:
	s_and_saveexec_b64 s[0:1], s[8:9]
	s_xor_b64 s[4:5], exec, s[0:1]
	s_cbranch_execz .LBB9_266
; %bb.249:
	s_and_saveexec_b64 s[0:1], s[6:7]
	s_xor_b64 s[6:7], exec, s[0:1]
; %bb.250:
	v_xor_b32_e32 v25, 0xffffff80, v2
; %bb.251:
	s_or_b64 exec, exec, s[6:7]
	s_mov_b64 s[6:7], exec
	v_readlane_b32 s0, v42, 12
	v_readlane_b32 s1, v42, 13
	s_and_b64 s[0:1], s[6:7], s[0:1]
	v_readlane_b32 s18, v42, 20
	v_readlane_b32 s19, v42, 16
	;; [unrolled: 1-line block ×5, first 2 shown]
	s_mov_b64 exec, s[0:1]
	s_cbranch_execz .LBB9_253
; %bb.252:
	v_mov_b32_e32 v1, 0
	v_mov_b32_e32 v2, s60
	ds_write_b32 v1, v2 offset:4108
.LBB9_253:
	s_or_b64 exec, exec, s[6:7]
	v_mov_b32_e32 v1, 0
	s_waitcnt lgkmcnt(0)
	s_barrier
	ds_read_b32 v1, v1 offset:4108
	s_waitcnt lgkmcnt(0)
	v_min_i32_e32 v2, s60, v1
	v_cmp_lt_i32_e32 vcc, v0, v2
	s_and_saveexec_b64 s[6:7], vcc
	s_cbranch_execz .LBB9_263
; %bb.254:
	s_mov_b64 s[8:9], 0
	v_mov_b32_e32 v3, s73
                                        ; implicit-def: $sgpr10_sgpr11
                                        ; implicit-def: $sgpr14_sgpr15
                                        ; implicit-def: $sgpr12_sgpr13
	s_branch .LBB9_256
.LBB9_255:                              ;   in Loop: Header=BB9_256 Depth=1
	s_or_b64 exec, exec, s[16:17]
	s_and_b64 s[0:1], exec, s[14:15]
	s_or_b64 s[8:9], s[0:1], s[8:9]
	s_andn2_b64 s[0:1], s[10:11], exec
	s_and_b64 s[10:11], s[12:13], exec
	s_or_b64 s[10:11], s[0:1], s[10:11]
	s_andn2_b64 exec, exec, s[8:9]
	s_cbranch_execz .LBB9_258
.LBB9_256:                              ; =>This Inner Loop Header: Depth=1
	v_ashrrev_i32_e32 v1, 31, v9
	v_add_co_u32_e32 v4, vcc, s72, v9
	v_addc_co_u32_e32 v5, vcc, v3, v1, vcc
	global_load_ubyte v4, v[4:5], off
	v_mov_b32_e32 v1, v0
	s_or_b64 s[12:13], s[12:13], exec
	s_or_b64 s[14:15], s[14:15], exec
                                        ; implicit-def: $vgpr0
	s_waitcnt vmcnt(0)
	v_cmp_ne_u16_sdwa s[0:1], v4, v25 src0_sel:DWORD src1_sel:BYTE_0
	s_and_saveexec_b64 s[16:17], s[0:1]
	s_cbranch_execz .LBB9_255
; %bb.257:                              ;   in Loop: Header=BB9_256 Depth=1
	v_add_u32_e32 v0, s62, v1
	v_cmp_ge_i32_e32 vcc, v0, v2
	s_andn2_b64 s[0:1], s[14:15], exec
	s_and_b64 s[14:15], vcc, exec
	v_add_u32_e32 v9, s84, v9
	s_andn2_b64 s[12:13], s[12:13], exec
	s_or_b64 s[14:15], s[0:1], s[14:15]
	s_branch .LBB9_255
.LBB9_258:
	s_or_b64 exec, exec, s[8:9]
	s_and_saveexec_b64 s[0:1], s[10:11]
	s_xor_b64 s[0:1], exec, s[0:1]
	s_cbranch_execz .LBB9_263
; %bb.259:
	s_mov_b64 s[8:9], exec
	s_brev_b32 s0, -2
.LBB9_260:                              ; =>This Inner Loop Header: Depth=1
	s_ff1_i32_b64 s1, s[8:9]
	v_readlane_b32 s12, v1, s1
	s_lshl_b64 s[10:11], 1, s1
	s_min_i32 s0, s0, s12
	s_andn2_b64 s[8:9], s[8:9], s[10:11]
	s_cmp_lg_u64 s[8:9], 0
	s_cbranch_scc1 .LBB9_260
; %bb.261:
	v_mbcnt_lo_u32_b32 v0, exec_lo, 0
	v_mbcnt_hi_u32_b32 v0, exec_hi, v0
	v_cmp_eq_u32_e32 vcc, 0, v0
	s_and_saveexec_b64 s[8:9], vcc
	s_xor_b64 s[8:9], exec, s[8:9]
	s_cbranch_execz .LBB9_263
; %bb.262:
	v_mov_b32_e32 v0, 0
	v_mov_b32_e32 v1, s0
	ds_min_i32 v0, v1 offset:4108
.LBB9_263:
	s_or_b64 exec, exec, s[6:7]
	s_waitcnt lgkmcnt(0)
	s_barrier
	s_mov_b64 s[6:7], exec
	v_readlane_b32 s0, v42, 12
	v_readlane_b32 s1, v42, 13
	s_and_b64 s[0:1], s[6:7], s[0:1]
	s_mov_b64 exec, s[0:1]
	s_cbranch_execz .LBB9_265
; %bb.264:
	v_readlane_b32 s10, v42, 8
	v_readlane_b32 s11, v42, 9
	s_mul_i32 s1, s11, s10
	v_readlane_b32 s0, v42, 15
	s_sub_i32 s1, s21, s1
	s_xor_b32 s0, s20, s0
	s_add_i32 s8, s11, 1
	s_sub_i32 s9, s1, s10
	s_cmp_ge_u32 s1, s10
	s_cselect_b32 s8, s8, s11
	s_cselect_b32 s1, s9, s1
	s_add_i32 s9, s8, 1
	s_cmp_ge_u32 s1, s10
	s_cselect_b32 s1, s9, s8
	s_xor_b32 s1, s1, s0
	s_sub_i32 s0, s1, s0
	s_mul_i32 s1, s0, s22
	v_readlane_b32 s8, v42, 6
	s_sub_i32 s1, s18, s1
	v_readlane_b32 s9, v42, 7
	v_readlane_b32 s11, v42, 10
	;; [unrolled: 1-line block ×3, first 2 shown]
	s_mul_i32 s1, s1, s9
	s_mul_i32 s0, s0, s8
	;; [unrolled: 1-line block ×3, first 2 shown]
	s_add_i32 s1, s0, s1
	v_readlane_b32 s0, v42, 17
	s_sub_i32 s8, s21, s8
	s_xor_b32 s0, s20, s0
	s_add_i32 s9, s12, 1
	s_sub_i32 s10, s8, s11
	s_cmp_ge_u32 s8, s11
	s_cselect_b32 s9, s9, s12
	s_cselect_b32 s8, s10, s8
	s_add_i32 s10, s9, 1
	s_cmp_ge_u32 s8, s11
	s_cselect_b32 s8, s10, s9
	s_xor_b32 s8, s8, s0
	s_sub_i32 s0, s8, s0
	s_mul_i32 s8, s0, s19
	v_readlane_b32 s10, v42, 2
	s_sub_i32 s8, s18, s8
	v_readlane_b32 s11, v42, 3
	s_mul_i32 s8, s8, s11
	s_mul_i32 s0, s0, s10
	v_mov_b32_e32 v2, 0
	s_add_i32 s0, s0, s8
	s_ashr_i32 s9, s1, 31
	v_readlane_b32 s10, v42, 0
	ds_read_b32 v0, v2 offset:4108
	v_readlane_b32 s11, v42, 1
	s_add_u32 s8, s10, s1
	s_addc_u32 s9, s11, s9
	s_ashr_i32 s1, s0, 31
	s_lshl_b64 s[0:1], s[0:1], 3
	v_readlane_b32 s10, v42, 4
	v_readlane_b32 s11, v42, 5
	s_add_u32 s0, s10, s0
	s_addc_u32 s1, s11, s1
	s_waitcnt lgkmcnt(0)
	v_ashrrev_i32_e32 v1, 31, v0
	global_store_dwordx2 v2, v[0:1], s[0:1]
	global_store_byte v2, v25, s[8:9]
.LBB9_265:
	s_or_b64 exec, exec, s[6:7]
.LBB9_266:
	s_or_saveexec_b64 s[0:1], s[4:5]
	s_mov_b64 s[4:5], 0
	s_xor_b64 exec, exec, s[0:1]
	s_cbranch_execnz .LBB9_269
.LBB9_267:
	s_or_b64 exec, exec, s[0:1]
	s_and_b64 s[4:5], s[4:5], exec
	s_andn2_saveexec_b64 s[0:1], s[2:3]
	s_cbranch_execz .LBB9_245
.LBB9_268:
	s_or_b64 s[4:5], s[4:5], exec
	s_trap 2
	s_or_b64 exec, exec, s[0:1]
	s_and_saveexec_b64 s[0:1], s[4:5]
	s_cbranch_execnz .LBB9_246
	s_branch .LBB9_247
.LBB9_269:
	s_mov_b64 s[4:5], exec
	s_trap 2
	s_branch .LBB9_267
	.section	.rodata,"a",@progbits
	.p2align	6, 0x0
	.amdhsa_kernel _ZN2at6native12_GLOBAL__N_114gatherKthValueIaiLi2EEEvNS_4cuda6detail10TensorInfoIKT_T0_EES8_S8_S8_S8_NS5_IS6_S8_EENS5_IlS8_EE
		.amdhsa_group_segment_fixed_size 4112
		.amdhsa_private_segment_fixed_size 0
		.amdhsa_kernarg_size 920
		.amdhsa_user_sgpr_count 6
		.amdhsa_user_sgpr_private_segment_buffer 1
		.amdhsa_user_sgpr_dispatch_ptr 0
		.amdhsa_user_sgpr_queue_ptr 0
		.amdhsa_user_sgpr_kernarg_segment_ptr 1
		.amdhsa_user_sgpr_dispatch_id 0
		.amdhsa_user_sgpr_flat_scratch_init 0
		.amdhsa_user_sgpr_kernarg_preload_length 0
		.amdhsa_user_sgpr_kernarg_preload_offset 0
		.amdhsa_user_sgpr_private_segment_size 0
		.amdhsa_uses_dynamic_stack 0
		.amdhsa_system_sgpr_private_segment_wavefront_offset 0
		.amdhsa_system_sgpr_workgroup_id_x 1
		.amdhsa_system_sgpr_workgroup_id_y 1
		.amdhsa_system_sgpr_workgroup_id_z 1
		.amdhsa_system_sgpr_workgroup_info 0
		.amdhsa_system_vgpr_workitem_id 0
		.amdhsa_next_free_vgpr 43
		.amdhsa_next_free_sgpr 96
		.amdhsa_accum_offset 44
		.amdhsa_reserve_vcc 1
		.amdhsa_reserve_flat_scratch 0
		.amdhsa_float_round_mode_32 0
		.amdhsa_float_round_mode_16_64 0
		.amdhsa_float_denorm_mode_32 3
		.amdhsa_float_denorm_mode_16_64 3
		.amdhsa_dx10_clamp 1
		.amdhsa_ieee_mode 1
		.amdhsa_fp16_overflow 0
		.amdhsa_tg_split 0
		.amdhsa_exception_fp_ieee_invalid_op 0
		.amdhsa_exception_fp_denorm_src 0
		.amdhsa_exception_fp_ieee_div_zero 0
		.amdhsa_exception_fp_ieee_overflow 0
		.amdhsa_exception_fp_ieee_underflow 0
		.amdhsa_exception_fp_ieee_inexact 0
		.amdhsa_exception_int_div_zero 0
	.end_amdhsa_kernel
	.section	.text._ZN2at6native12_GLOBAL__N_114gatherKthValueIaiLi2EEEvNS_4cuda6detail10TensorInfoIKT_T0_EES8_S8_S8_S8_NS5_IS6_S8_EENS5_IlS8_EE,"axG",@progbits,_ZN2at6native12_GLOBAL__N_114gatherKthValueIaiLi2EEEvNS_4cuda6detail10TensorInfoIKT_T0_EES8_S8_S8_S8_NS5_IS6_S8_EENS5_IlS8_EE,comdat
.Lfunc_end9:
	.size	_ZN2at6native12_GLOBAL__N_114gatherKthValueIaiLi2EEEvNS_4cuda6detail10TensorInfoIKT_T0_EES8_S8_S8_S8_NS5_IS6_S8_EENS5_IlS8_EE, .Lfunc_end9-_ZN2at6native12_GLOBAL__N_114gatherKthValueIaiLi2EEEvNS_4cuda6detail10TensorInfoIKT_T0_EES8_S8_S8_S8_NS5_IS6_S8_EENS5_IlS8_EE
                                        ; -- End function
	.section	.AMDGPU.csdata,"",@progbits
; Kernel info:
; codeLenInByte = 10144
; NumSgprs: 100
; NumVgprs: 43
; NumAgprs: 0
; TotalNumVgprs: 43
; ScratchSize: 0
; MemoryBound: 0
; FloatMode: 240
; IeeeMode: 1
; LDSByteSize: 4112 bytes/workgroup (compile time only)
; SGPRBlocks: 12
; VGPRBlocks: 5
; NumSGPRsForWavesPerEU: 100
; NumVGPRsForWavesPerEU: 43
; AccumOffset: 44
; Occupancy: 8
; WaveLimiterHint : 1
; COMPUTE_PGM_RSRC2:SCRATCH_EN: 0
; COMPUTE_PGM_RSRC2:USER_SGPR: 6
; COMPUTE_PGM_RSRC2:TRAP_HANDLER: 0
; COMPUTE_PGM_RSRC2:TGID_X_EN: 1
; COMPUTE_PGM_RSRC2:TGID_Y_EN: 1
; COMPUTE_PGM_RSRC2:TGID_Z_EN: 1
; COMPUTE_PGM_RSRC2:TIDIG_COMP_CNT: 0
; COMPUTE_PGM_RSRC3_GFX90A:ACCUM_OFFSET: 10
; COMPUTE_PGM_RSRC3_GFX90A:TG_SPLIT: 0
	.section	.text._ZN2at6native12_GLOBAL__N_114gatherKthValueIaiLi3EEEvNS_4cuda6detail10TensorInfoIKT_T0_EES8_S8_S8_S8_NS5_IS6_S8_EENS5_IlS8_EE,"axG",@progbits,_ZN2at6native12_GLOBAL__N_114gatherKthValueIaiLi3EEEvNS_4cuda6detail10TensorInfoIKT_T0_EES8_S8_S8_S8_NS5_IS6_S8_EENS5_IlS8_EE,comdat
	.globl	_ZN2at6native12_GLOBAL__N_114gatherKthValueIaiLi3EEEvNS_4cuda6detail10TensorInfoIKT_T0_EES8_S8_S8_S8_NS5_IS6_S8_EENS5_IlS8_EE ; -- Begin function _ZN2at6native12_GLOBAL__N_114gatherKthValueIaiLi3EEEvNS_4cuda6detail10TensorInfoIKT_T0_EES8_S8_S8_S8_NS5_IS6_S8_EENS5_IlS8_EE
	.p2align	8
	.type	_ZN2at6native12_GLOBAL__N_114gatherKthValueIaiLi3EEEvNS_4cuda6detail10TensorInfoIKT_T0_EES8_S8_S8_S8_NS5_IS6_S8_EENS5_IlS8_EE,@function
_ZN2at6native12_GLOBAL__N_114gatherKthValueIaiLi3EEEvNS_4cuda6detail10TensorInfoIKT_T0_EES8_S8_S8_S8_NS5_IS6_S8_EENS5_IlS8_EE: ; @_ZN2at6native12_GLOBAL__N_114gatherKthValueIaiLi3EEEvNS_4cuda6detail10TensorInfoIKT_T0_EES8_S8_S8_S8_NS5_IS6_S8_EENS5_IlS8_EE
; %bb.0:
	s_load_dwordx2 s[14:15], s[4:5], 0x298
	s_load_dwordx4 s[68:71], s[4:5], 0xd8
	s_add_u32 s12, s4, 0x298
	s_addc_u32 s13, s5, 0
	s_waitcnt lgkmcnt(0)
	s_mul_i32 s0, s15, s8
	s_add_i32 s0, s0, s7
	s_mul_i32 s0, s0, s14
	s_add_i32 s23, s0, s6
	s_cmp_ge_i32 s23, s70
	s_cbranch_scc1 .LBB10_247
; %bb.1:
	s_load_dwordx2 s[2:3], s[4:5], 0xc
	s_load_dwordx2 s[24:25], s[4:5], 0xf4
	s_ashr_i32 s8, s23, 31
	s_abs_i32 s9, s23
	s_load_dwordx4 s[28:31], s[4:5], 0x154
	s_waitcnt lgkmcnt(0)
	s_ashr_i32 s0, s3, 31
	s_add_i32 s1, s3, s0
	s_xor_b32 s1, s1, s0
	v_cvt_f32_u32_e32 v1, s1
	s_xor_b32 s7, s8, s0
	s_sub_i32 s0, 0, s1
                                        ; implicit-def: $vgpr42 : SGPR spill to VGPR lane
                                        ; kill: killed $sgpr4 killed $sgpr5
	s_mov_b32 s82, 0
	v_rcp_iflag_f32_e32 v1, v1
	v_writelane_b32 v42, s28, 0
	v_writelane_b32 v42, s29, 1
	;; [unrolled: 1-line block ×3, first 2 shown]
	v_mul_f32_e32 v1, 0x4f7ffffe, v1
	v_cvt_u32_f32_e32 v1, v1
	v_writelane_b32 v42, s31, 3
	v_readfirstlane_b32 s10, v1
	s_mul_i32 s0, s0, s10
	s_mul_hi_u32 s0, s10, s0
	s_add_i32 s10, s10, s0
	s_mul_hi_u32 s0, s9, s10
	s_mul_i32 s10, s0, s1
	s_sub_i32 s10, s9, s10
	s_add_i32 s11, s0, 1
	s_sub_i32 s15, s10, s1
	s_cmp_ge_u32 s10, s1
	s_cselect_b32 s0, s11, s0
	s_cselect_b32 s10, s15, s10
	s_add_i32 s11, s0, 1
	s_cmp_ge_u32 s10, s1
	s_cselect_b32 s10, s11, s0
	s_abs_i32 s0, s2
	s_ashr_i32 s11, s25, 31
	v_cvt_f32_u32_e32 v1, s0
	s_add_i32 s15, s25, s11
	s_xor_b32 s19, s8, s11
	s_xor_b32 s11, s15, s11
	v_cvt_f32_u32_e32 v2, s11
	v_rcp_iflag_f32_e32 v1, v1
	s_xor_b32 s10, s10, s7
	s_sub_i32 s16, 0, s0
	v_rcp_iflag_f32_e32 v2, v2
	v_mul_f32_e32 v1, 0x4f7ffffe, v1
	v_cvt_u32_f32_e32 v1, v1
	s_sub_i32 s7, s10, s7
	v_mul_f32_e32 v2, 0x4f7ffffe, v2
	v_cvt_u32_f32_e32 v2, v2
	v_readfirstlane_b32 s10, v1
	s_mul_i32 s16, s16, s10
	s_mul_hi_u32 s16, s10, s16
	s_add_i32 s20, s10, s16
	s_sub_i32 s10, 0, s11
	v_readfirstlane_b32 s16, v2
	s_mul_i32 s10, s10, s16
	s_mul_hi_u32 s10, s16, s10
	s_add_i32 s16, s16, s10
	s_mul_hi_u32 s10, s9, s16
	s_mul_i32 s16, s10, s11
	s_sub_i32 s16, s9, s16
	s_ashr_i32 s1, s2, 31
	s_ashr_i32 s15, s7, 31
	s_abs_i32 s18, s7
	s_add_i32 s17, s10, 1
	s_sub_i32 s21, s16, s11
	s_cmp_ge_u32 s16, s11
	s_cselect_b32 s10, s17, s10
	s_cselect_b32 s16, s21, s16
	s_add_i32 s17, s10, 1
	s_cmp_ge_u32 s16, s11
	s_cselect_b32 s10, s17, s10
	s_load_dwordx2 s[16:17], s[4:5], 0x0
	s_load_dwordx4 s[28:31], s[4:5], 0x22c
	s_abs_i32 s21, s24
	v_cvt_f32_u32_e32 v1, s21
	s_xor_b32 s10, s10, s19
	s_waitcnt lgkmcnt(0)
	v_writelane_b32 v42, s28, 4
	v_writelane_b32 v42, s29, 5
	;; [unrolled: 1-line block ×4, first 2 shown]
	s_load_dwordx2 s[28:29], s[4:5], 0x1cc
	s_load_dwordx2 s[26:27], s[4:5], 0x1c0
	v_rcp_iflag_f32_e32 v1, v1
	s_waitcnt lgkmcnt(0)
	v_writelane_b32 v42, s26, 8
	v_writelane_b32 v42, s27, 9
	s_sub_i32 s26, s10, s19
	s_ashr_i32 s10, s29, 31
	s_add_i32 s11, s29, s10
	s_xor_b32 s11, s11, s10
	v_cvt_f32_u32_e32 v2, s11
	v_mul_f32_e32 v1, 0x4f7ffffe, v1
	v_cvt_u32_f32_e32 v1, v1
	v_writelane_b32 v42, s21, 10
	v_rcp_iflag_f32_e32 v2, v2
	s_sub_i32 s19, 0, s21
	v_readfirstlane_b32 s21, v1
	s_mul_i32 s19, s19, s21
	v_mul_f32_e32 v1, 0x4f7ffffe, v2
	v_cvt_u32_f32_e32 v1, v1
	s_mul_hi_u32 s19, s21, s19
	s_add_i32 s21, s21, s19
	s_xor_b32 s19, s8, s10
	s_sub_i32 s8, 0, s11
	v_readfirstlane_b32 s10, v1
	s_mul_i32 s8, s8, s10
	s_mul_hi_u32 s8, s10, s8
	s_add_i32 s10, s10, s8
	s_mul_hi_u32 s8, s9, s10
	s_mul_i32 s10, s8, s11
	s_sub_i32 s9, s9, s10
	s_abs_i32 s27, s26
	s_add_i32 s10, s8, 1
	s_sub_i32 s22, s9, s11
	s_cmp_ge_u32 s9, s11
	s_cselect_b32 s8, s10, s8
	s_cselect_b32 s9, s22, s9
	s_add_i32 s10, s8, 1
	s_cmp_ge_u32 s9, s11
	s_cselect_b32 s22, s10, s8
	s_abs_i32 s30, s28
	v_cvt_f32_u32_e32 v1, s30
	s_load_dwordx2 s[8:9], s[4:5], 0xe8
	v_rcp_iflag_f32_e32 v1, v1
	s_waitcnt lgkmcnt(0)
	v_writelane_b32 v42, s8, 11
	v_writelane_b32 v42, s9, 12
	v_mul_f32_e32 v1, 0x4f7ffffe, v1
	v_cvt_u32_f32_e32 v1, v1
	s_load_dwordx4 s[8:11], s[4:5], 0x6c
	v_writelane_b32 v42, s27, 13
	s_mul_hi_u32 s4, s27, s21
	v_writelane_b32 v42, s4, 14
	s_xor_b32 s4, s22, s19
	s_sub_i32 s19, s4, s19
	s_sub_i32 s4, 0, s30
	v_readfirstlane_b32 s5, v1
	s_mul_i32 s4, s4, s5
	s_mul_hi_u32 s4, s5, s4
	s_waitcnt lgkmcnt(0)
	s_mul_hi_u32 s11, s18, s20
	s_abs_i32 s20, s19
	v_writelane_b32 v42, s30, 15
	s_add_i32 s5, s5, s4
	v_writelane_b32 v42, s20, 16
	s_mul_hi_u32 s4, s20, s5
	v_writelane_b32 v42, s4, 17
	v_cmp_eq_u32_e64 s[20:21], 0, v0
	s_mov_b64 s[4:5], exec
	v_writelane_b32 v42, s20, 18
	v_writelane_b32 v42, s21, 19
	s_and_b64 s[20:21], s[4:5], s[20:21]
	s_mov_b64 exec, s[20:21]
	s_cbranch_execz .LBB10_3
; %bb.2:
	v_mov_b32_e32 v2, 0
	v_mov_b32_e32 v3, s68
	;; [unrolled: 1-line block ×3, first 2 shown]
	ds_write_b96 v2, v[2:4] offset:4096
.LBB10_3:
	s_or_b64 exec, exec, s[4:5]
	v_writelane_b32 v42, s26, 20
	s_ashr_i32 s4, s26, 31
	v_writelane_b32 v42, s4, 21
	v_writelane_b32 v42, s24, 22
	v_writelane_b32 v42, s25, 23
	s_ashr_i32 s4, s24, 31
	v_writelane_b32 v42, s4, 24
	v_writelane_b32 v42, s19, 25
	s_ashr_i32 s4, s19, 31
	v_writelane_b32 v42, s4, 26
	v_writelane_b32 v42, s28, 27
	;; [unrolled: 1-line block ×3, first 2 shown]
	s_ashr_i32 s4, s28, 31
	v_writelane_b32 v42, s4, 29
	s_mul_i32 s3, s7, s3
	s_mul_i32 s4, s11, s0
	s_sub_i32 s3, s23, s3
	s_sub_i32 s4, s18, s4
	s_mul_i32 s3, s3, s10
	s_xor_b32 s1, s15, s1
	s_add_i32 s5, s11, 1
	s_sub_i32 s10, s4, s0
	s_cmp_ge_u32 s4, s0
	s_cselect_b32 s5, s5, s11
	s_cselect_b32 s4, s10, s4
	s_add_i32 s10, s5, 1
	s_cmp_ge_u32 s4, s0
	s_cselect_b32 s0, s10, s5
	s_xor_b32 s0, s0, s1
	s_sub_i32 s0, s0, s1
	s_mul_i32 s1, s0, s2
	s_sub_i32 s1, s7, s1
	s_mul_i32 s1, s1, s9
	s_waitcnt lgkmcnt(0)
	s_barrier
	s_load_dword s2, s[12:13], 0xc
	s_add_i32 s1, s1, s3
	s_mul_i32 s0, s0, s8
	s_add_i32 s1, s1, s0
	s_ashr_i32 s0, s1, 31
	s_add_u32 s80, s16, s1
	v_mbcnt_lo_u32_b32 v1, -1, 0
	s_addc_u32 s81, s17, s0
	s_waitcnt lgkmcnt(0)
	s_and_b32 s70, s2, 0xffff
	v_mbcnt_hi_u32_b32 v12, -1, v1
	s_bfe_u32 s7, s2, 0xa0006
	v_cmp_gt_u32_e32 vcc, 64, v0
	v_cmp_gt_i32_e64 s[2:3], 4, v12
	s_add_i32 s0, s70, -1
	s_lshl_b32 s33, s70, 2
	s_and_b64 s[84:85], vcc, s[2:3]
	s_add_i32 s9, s0, s68
	v_writelane_b32 v42, s23, 30
	s_cmpk_gt_i32 s68, 0xc00
	v_writelane_b32 v42, s0, 31
	s_cselect_b64 s[0:1], -1, 0
	v_writelane_b32 v42, s0, 32
	s_cmp_gt_u32 s70, 63
	v_writelane_b32 v42, s1, 33
	s_cselect_b64 s[0:1], -1, 0
	v_writelane_b32 v42, s0, 34
	s_cmp_lt_u32 s6, s14
	v_writelane_b32 v42, s1, 35
	s_cselect_b32 s0, 12, 18
	s_add_u32 s0, s12, s0
	s_addc_u32 s1, s13, 0
	v_writelane_b32 v42, s0, 36
	v_writelane_b32 v42, s1, 37
	s_add_i32 s0, s7, -2
	s_lshr_b32 s1, s0, 1
	s_add_i32 s1, s1, 1
	s_cmpk_gt_u32 s70, 0x7f
	s_cselect_b64 s[2:3], -1, 0
	v_writelane_b32 v42, s2, 38
	v_writelane_b32 v42, s3, 39
	v_cmp_gt_u32_e64 s[10:11], s68, v0
	v_lshlrev_b64 v[2:3], v12, -1
	v_writelane_b32 v42, s10, 40
	v_not_b32_e32 v8, v2
	v_cvt_f32_u32_e32 v2, s33
	v_writelane_b32 v42, s11, 41
	v_cmp_gt_i32_e64 s[10:11], s68, v0
	s_and_b32 s6, s7, 0x3fe
	s_and_b32 s8, s1, 7
	v_writelane_b32 v42, s10, 42
	s_cmp_gt_u32 s0, 13
	v_writelane_b32 v42, s11, 43
	s_cselect_b64 s[10:11], -1, 0
	v_writelane_b32 v42, s10, 44
	v_rcp_iflag_f32_e32 v2, v2
	v_writelane_b32 v42, s11, 45
	s_and_b32 s0, s1, -8
	v_writelane_b32 v42, s0, 46
	s_cmp_lg_u32 s8, 0
	v_writelane_b32 v42, s8, 47
	s_cselect_b64 s[0:1], -1, 0
	v_writelane_b32 v42, s0, 48
	v_mul_f32_e32 v2, 0x4f7ffffe, v2
	v_writelane_b32 v42, s1, 49
	v_cvt_u32_f32_e32 v2, v2
	v_writelane_b32 v42, s7, 50
	s_cmp_lg_u32 s6, s7
	v_writelane_b32 v42, s6, 51
	s_cselect_b64 s[0:1], -1, 0
	v_writelane_b32 v42, s0, 52
	v_writelane_b32 v42, s1, 53
	v_readfirstlane_b32 s1, v2
	v_cvt_f32_u32_e32 v2, s70
	s_sub_i32 s0, 0, s33
	s_mul_i32 s0, s0, s1
	s_mul_hi_u32 s0, s1, s0
	s_add_i32 s6, s1, s0
	v_rcp_iflag_f32_e32 v2, v2
	s_mul_hi_u32 s0, s68, s6
	s_mul_i32 s0, s0, s33
	s_sub_i32 s0, s68, s0
	s_sub_i32 s1, s0, s33
	v_mul_f32_e32 v2, 0x4f7ffffe, v2
	s_cmp_ge_u32 s0, s33
	v_cvt_u32_f32_e32 v2, v2
	s_cselect_b32 s0, s1, s0
	s_sub_i32 s1, s0, s33
	s_cmp_ge_u32 s0, s33
	s_cselect_b32 s0, s1, s0
	s_sub_i32 s16, 0, s70
	v_readfirstlane_b32 s17, v2
	s_mul_i32 s16, s16, s17
	s_mul_hi_u32 s16, s17, s16
	s_abs_i32 s8, s9
	s_add_i32 s16, s17, s16
	v_writelane_b32 v42, s16, 54
	s_mul_hi_u32 s16, s8, s16
	s_mul_i32 s16, s16, s70
	s_sub_i32 s8, s8, s16
	s_sub_i32 s7, s68, s0
	s_ashr_i32 s1, s9, 31
	s_sub_i32 s16, s8, s70
	s_cmp_ge_u32 s8, s70
	s_cselect_b32 s8, s16, s8
	s_sub_i32 s16, s8, s70
	s_cmp_ge_u32 s8, s70
	v_lshlrev_b32_e32 v13, 2, v0
	s_cselect_b32 s8, s16, s8
	v_mul_lo_u32 v9, v0, s71
	s_xor_b32 s8, s8, s1
	v_mul_lo_u32 v2, s71, v13
	v_mov_b32_e32 v1, s81
	v_add_co_u32_e32 v6, vcc, s80, v9
	s_sub_i32 s1, s1, s8
	v_add_u32_e32 v17, s71, v2
	v_or_b32_e32 v2, 2, v13
	v_addc_co_u32_e32 v7, vcc, 0, v1, vcc
	v_lshrrev_b32_e32 v1, 4, v0
	v_add_u32_e32 v16, s7, v0
	s_add_i32 s9, s9, s1
	v_mul_lo_u32 v18, s71, v2
	v_or_b32_e32 v2, 3, v13
	s_add_i32 s1, s70, s68
	v_and_b32_e32 v14, 60, v1
	v_not_b32_e32 v1, v3
	v_mul_lo_u32 v3, v16, s71
	v_cmp_gt_i32_e64 s[16:17], s9, v0
	v_mul_lo_u32 v19, s71, v2
	v_add_u32_e32 v2, s1, v0
	v_lshlrev_b32_e32 v4, 2, v12
	v_ashrrev_i32_e32 v5, 31, v3
	v_mov_b32_e32 v11, s81
	v_add_co_u32_e32 v10, vcc, s80, v3
	v_writelane_b32 v42, s16, 55
	s_mul_i32 s92, s71, s70
	v_subrev_u32_e32 v2, s0, v2
	v_cmp_eq_u32_e64 s[2:3], 0, v12
	v_cmp_gt_u32_e64 s[4:5], 2, v0
	v_and_b32_e32 v15, 0x100, v4
	v_cmp_gt_i32_e64 s[10:11], s7, v13
	v_cmp_gt_u32_e64 s[12:13], s68, v16
	v_addc_co_u32_e32 v11, vcc, v11, v5, vcc
	v_cmp_gt_i32_e64 s[14:15], s68, v16
	v_writelane_b32 v42, s17, 56
	s_lshl_b32 s90, s92, 2
	v_lshlrev_b32_e32 v20, 2, v9
	v_mul_lo_u32 v21, s71, v2
	v_or_b32_e32 v22, 0xc00, v4
	s_mov_b32 s16, 6
	s_mov_b64 s[60:61], 0
	v_mov_b32_e32 v23, 0
	s_movk_i32 s91, 0x80
	v_mov_b32_e32 v24, 0xc00
	v_mov_b32_e32 v25, 0
	s_mov_b32 s17, 0
	s_mov_b32 s8, 0
	;; [unrolled: 1-line block ×3, first 2 shown]
                                        ; implicit-def: $sgpr62_sgpr63
                                        ; implicit-def: $sgpr66_sgpr67
                                        ; implicit-def: $sgpr64_sgpr65
                                        ; implicit-def: $sgpr72_sgpr73
                                        ; implicit-def: $sgpr76_sgpr77
                                        ; implicit-def: $sgpr94_sgpr95
	s_branch .LBB10_8
.LBB10_4:                               ;   in Loop: Header=BB10_8 Depth=1
	s_xor_b32 s17, s17, 1
	s_add_i32 s0, s16, -2
	s_cmp_eq_u32 s16, 0
	s_mov_b64 s[22:23], 0
	s_cselect_b64 s[30:31], -1, 0
	s_mov_b32 s16, s0
.LBB10_5:                               ;   in Loop: Header=BB10_8 Depth=1
	s_andn2_b64 s[0:1], s[26:27], exec
	s_and_b64 s[22:23], s[22:23], exec
	s_or_b64 s[26:27], s[0:1], s[22:23]
	s_andn2_b64 s[28:29], s[28:29], exec
	s_andn2_b64 s[24:25], s[24:25], exec
	s_orn2_b64 s[22:23], s[30:31], exec
	s_mov_b32 s69, s39
.LBB10_6:                               ;   in Loop: Header=BB10_8 Depth=1
	s_or_b64 exec, exec, s[18:19]
	s_andn2_b64 s[0:1], s[94:95], exec
	s_and_b64 s[18:19], s[26:27], exec
	s_or_b64 s[94:95], s[0:1], s[18:19]
	s_andn2_b64 s[0:1], s[76:77], exec
	s_and_b64 s[18:19], s[28:29], exec
	s_or_b64 s[76:77], s[0:1], s[18:19]
	;; [unrolled: 3-line block ×3, first 2 shown]
	s_orn2_b64 s[22:23], s[22:23], exec
.LBB10_7:                               ;   in Loop: Header=BB10_8 Depth=1
	s_or_b64 exec, exec, s[20:21]
	s_and_b64 s[0:1], exec, s[22:23]
	s_or_b64 s[60:61], s[0:1], s[60:61]
	s_andn2_b64 s[0:1], s[64:65], exec
	s_and_b64 s[18:19], s[94:95], exec
	s_or_b64 s[64:65], s[0:1], s[18:19]
	s_andn2_b64 s[0:1], s[66:67], exec
	s_and_b64 s[18:19], s[76:77], exec
	;; [unrolled: 3-line block ×3, first 2 shown]
	v_mov_b32_e32 v2, s8
	s_or_b64 s[62:63], s[0:1], s[18:19]
	s_andn2_b64 exec, exec, s[60:61]
	s_cbranch_execz .LBB10_243
.LBB10_8:                               ; =>This Loop Header: Depth=1
                                        ;     Child Loop BB10_13 Depth 2
                                        ;     Child Loop BB10_32 Depth 2
	;; [unrolled: 1-line block ×17, first 2 shown]
	ds_read_b64 v[2:3], v23 offset:4096
	s_waitcnt lgkmcnt(0)
	v_readfirstlane_b32 s83, v2
	s_cmp_gt_i32 s83, 0
	s_cbranch_scc1 .LBB10_39
; %bb.9:                                ;   in Loop: Header=BB10_8 Depth=1
	v_readlane_b32 s0, v42, 32
	v_readlane_b32 s1, v42, 33
	s_and_b64 vcc, exec, s[0:1]
	s_cbranch_vccz .LBB10_21
; %bb.10:                               ;   in Loop: Header=BB10_8 Depth=1
	s_movk_i32 s0, 0xc01
	v_cmp_gt_i32_e32 vcc, s0, v3
	s_mov_b64 s[20:21], 0
	s_mov_b64 s[18:19], 0
	s_cbranch_vccz .LBB10_26
; %bb.11:                               ;   in Loop: Header=BB10_8 Depth=1
	v_readlane_b32 s0, v42, 36
	v_readlane_b32 s1, v42, 37
	s_nop 4
	global_load_ushort v2, v23, s[0:1]
	global_load_ubyte v5, v[6:7], off
	s_mov_b64 s[22:23], 0
	v_mov_b32_e32 v26, v0
	s_waitcnt vmcnt(1)
	v_add_u32_e32 v4, v0, v2
	v_mul_lo_u32 v3, s71, v2
	v_mul_lo_u32 v4, s71, v4
	s_branch .LBB10_13
.LBB10_12:                              ;   in Loop: Header=BB10_13 Depth=2
	s_or_b64 exec, exec, s[18:19]
	v_cmp_le_i32_e32 vcc, s68, v26
	v_add_u32_e32 v4, v4, v3
	s_or_b64 s[22:23], vcc, s[22:23]
	v_mov_b32_e32 v5, v27
	s_andn2_b64 exec, exec, s[22:23]
	s_cbranch_execz .LBB10_22
.LBB10_13:                              ;   Parent Loop BB10_8 Depth=1
                                        ; =>  This Inner Loop Header: Depth=2
	v_add_u32_e32 v26, v26, v2
	v_cmp_gt_u32_e32 vcc, s68, v26
	s_waitcnt lgkmcnt(0)
	v_mov_b32_e32 v28, 0
	v_mov_b32_e32 v27, 0
	s_and_saveexec_b64 s[18:19], vcc
	s_cbranch_execz .LBB10_15
; %bb.14:                               ;   in Loop: Header=BB10_13 Depth=2
	global_load_ubyte v27, v4, s[80:81]
.LBB10_15:                              ;   in Loop: Header=BB10_13 Depth=2
	s_or_b64 exec, exec, s[18:19]
	s_waitcnt vmcnt(0)
	v_add_u32_sdwa v29, sext(v5), s91 dst_sel:DWORD dst_unused:UNUSED_PAD src0_sel:BYTE_0 src1_sel:DWORD
	v_and_b32_e32 v29, s93, v29
	v_cmp_eq_u32_e32 vcc, s8, v29
	s_cmp_lg_u64 vcc, 0
	s_cselect_b64 s[0:1], -1, 0
	s_and_b64 s[0:1], s[2:3], s[0:1]
	s_and_saveexec_b64 s[24:25], s[0:1]
	s_cbranch_execz .LBB10_19
; %bb.16:                               ;   in Loop: Header=BB10_13 Depth=2
	s_mov_b64 s[28:29], exec
	v_mbcnt_lo_u32_b32 v28, s28, 0
	v_mbcnt_hi_u32_b32 v28, s29, v28
	s_bcnt1_i32_b64 s0, vcc
	v_cmp_eq_u32_e64 s[18:19], 0, v28
                                        ; implicit-def: $vgpr29
	s_and_saveexec_b64 s[26:27], s[18:19]
	s_cbranch_execz .LBB10_18
; %bb.17:                               ;   in Loop: Header=BB10_13 Depth=2
	s_bcnt1_i32_b64 s1, s[28:29]
	s_mul_i32 s1, s0, s1
	v_mov_b32_e32 v29, s1
	ds_add_rtn_u32 v29, v23, v29 offset:4104
.LBB10_18:                              ;   in Loop: Header=BB10_13 Depth=2
	s_or_b64 exec, exec, s[26:27]
	s_waitcnt lgkmcnt(0)
	v_readfirstlane_b32 s1, v29
	v_mov_b32_e32 v29, s1
	v_mad_u32_u24 v28, s0, v28, v29
.LBB10_19:                              ;   in Loop: Header=BB10_13 Depth=2
	s_or_b64 exec, exec, s[24:25]
	ds_bpermute_b32 v28, v15, v28
	s_and_saveexec_b64 s[18:19], vcc
	s_cbranch_execz .LBB10_12
; %bb.20:                               ;   in Loop: Header=BB10_13 Depth=2
	v_and_b32_e32 v30, vcc_lo, v8
	v_and_b32_e32 v29, vcc_hi, v1
	v_bcnt_u32_b32 v30, v30, 0
	v_bcnt_u32_b32 v29, v29, v30
	s_waitcnt lgkmcnt(0)
	v_add_u32_e32 v28, v28, v29
	ds_write_b8 v28, v5
	s_branch .LBB10_12
.LBB10_21:                              ;   in Loop: Header=BB10_8 Depth=1
	s_mov_b64 s[20:21], -1
	s_mov_b64 s[18:19], 0
	s_branch .LBB10_25
.LBB10_22:                              ;   in Loop: Header=BB10_8 Depth=1
	s_or_b64 exec, exec, s[22:23]
	s_waitcnt lgkmcnt(0)
	s_barrier
	s_mov_b64 s[18:19], exec
	v_readlane_b32 s0, v42, 18
	v_readlane_b32 s1, v42, 19
	s_and_b64 s[0:1], s[18:19], s[0:1]
	s_mov_b64 exec, s[0:1]
	s_cbranch_execz .LBB10_24
; %bb.23:                               ;   in Loop: Header=BB10_8 Depth=1
	ds_read_b32 v2, v23 offset:4104
	s_waitcnt lgkmcnt(0)
	ds_write_b32 v23, v2 offset:4096
.LBB10_24:                              ;   in Loop: Header=BB10_8 Depth=1
	s_or_b64 exec, exec, s[18:19]
	s_waitcnt lgkmcnt(0)
	s_barrier
	s_mov_b64 s[18:19], -1
.LBB10_25:                              ;   in Loop: Header=BB10_8 Depth=1
                                        ; implicit-def: $sgpr83
.LBB10_26:                              ;   in Loop: Header=BB10_8 Depth=1
	s_and_b64 vcc, exec, s[20:21]
	s_cbranch_vccz .LBB10_37
; %bb.27:                               ;   in Loop: Header=BB10_8 Depth=1
	v_mov_b32_e32 v2, 0
	s_mov_b64 s[18:19], exec
	v_readlane_b32 s0, v42, 40
	v_readlane_b32 s1, v42, 41
	s_and_b64 s[0:1], s[18:19], s[0:1]
	s_mov_b64 exec, s[0:1]
	s_cbranch_execz .LBB10_29
; %bb.28:                               ;   in Loop: Header=BB10_8 Depth=1
	global_load_ubyte v2, v[6:7], off
.LBB10_29:                              ;   in Loop: Header=BB10_8 Depth=1
	s_or_b64 exec, exec, s[18:19]
	s_mov_b64 s[18:19], exec
	v_readlane_b32 s0, v42, 42
	v_readlane_b32 s1, v42, 43
	s_and_b64 s[0:1], s[18:19], s[0:1]
	s_mov_b64 exec, s[0:1]
	s_cbranch_execz .LBB10_34
; %bb.30:                               ;   in Loop: Header=BB10_8 Depth=1
	v_readlane_b32 s0, v42, 36
	v_readlane_b32 s1, v42, 37
	s_mov_b64 s[20:21], 0
	v_mov_b32_e32 v26, v0
	s_nop 2
	global_load_ushort v3, v23, s[0:1]
	s_waitcnt vmcnt(0)
	v_add_u32_e32 v5, v0, v3
	v_mul_lo_u32 v4, s71, v3
	v_mul_lo_u32 v5, s71, v5
	s_branch .LBB10_32
.LBB10_31:                              ;   in Loop: Header=BB10_32 Depth=2
	s_or_b64 exec, exec, s[22:23]
	v_cmp_le_i32_e32 vcc, s68, v27
	ds_write_b8 v26, v2
	v_add_u32_e32 v5, v5, v4
	s_or_b64 s[20:21], vcc, s[20:21]
	s_waitcnt vmcnt(0)
	v_mov_b32_e32 v2, v28
	v_mov_b32_e32 v26, v27
	s_andn2_b64 exec, exec, s[20:21]
	s_cbranch_execz .LBB10_34
.LBB10_32:                              ;   Parent Loop BB10_8 Depth=1
                                        ; =>  This Inner Loop Header: Depth=2
	v_add_u32_e32 v27, v26, v3
	v_cmp_gt_u32_e32 vcc, s68, v27
	v_mov_b32_e32 v28, 0
	s_and_saveexec_b64 s[22:23], vcc
	s_cbranch_execz .LBB10_31
; %bb.33:                               ;   in Loop: Header=BB10_32 Depth=2
	global_load_ubyte v28, v5, s[80:81]
	s_branch .LBB10_31
.LBB10_34:                              ;   in Loop: Header=BB10_8 Depth=1
	s_or_b64 exec, exec, s[18:19]
	s_waitcnt lgkmcnt(0)
	s_barrier
	s_mov_b64 s[18:19], exec
	v_readlane_b32 s0, v42, 18
	v_readlane_b32 s1, v42, 19
	s_and_b64 s[0:1], s[18:19], s[0:1]
	s_mov_b64 exec, s[0:1]
	s_cbranch_execz .LBB10_36
; %bb.35:                               ;   in Loop: Header=BB10_8 Depth=1
	s_waitcnt vmcnt(0)
	v_mov_b32_e32 v2, s68
	ds_write_b32 v23, v2 offset:4096
.LBB10_36:                              ;   in Loop: Header=BB10_8 Depth=1
	s_or_b64 exec, exec, s[18:19]
	s_mov_b64 s[18:19], -1
	s_waitcnt lgkmcnt(0)
	s_barrier
                                        ; implicit-def: $sgpr83
.LBB10_37:                              ;   in Loop: Header=BB10_8 Depth=1
	s_and_b64 vcc, exec, s[18:19]
	s_cbranch_vccz .LBB10_39
; %bb.38:                               ;   in Loop: Header=BB10_8 Depth=1
	s_waitcnt vmcnt(0)
	ds_read_b32 v2, v23 offset:4096
	s_waitcnt lgkmcnt(0)
	v_readfirstlane_b32 s83, v2
.LBB10_39:                              ;   in Loop: Header=BB10_8 Depth=1
	s_cmp_lt_i32 s83, 1
	s_cbranch_scc0 .LBB10_43
; %bb.40:                               ;   in Loop: Header=BB10_8 Depth=1
	s_waitcnt vmcnt(0)
	v_mov_b32_e32 v2, 0
	s_mov_b32 s0, 0
	v_mov_b32_e32 v3, 0
	v_mov_b32_e32 v4, v2
	;; [unrolled: 1-line block ×3, first 2 shown]
	s_and_saveexec_b64 s[74:75], s[10:11]
	s_cbranch_execnz .LBB10_44
; %bb.41:                               ;   in Loop: Header=BB10_8 Depth=1
	s_or_b64 exec, exec, s[74:75]
	v_mov_b32_e32 v28, 0
	s_and_saveexec_b64 s[18:19], s[12:13]
	s_cbranch_execnz .LBB10_47
.LBB10_42:                              ;   in Loop: Header=BB10_8 Depth=1
	s_or_b64 exec, exec, s[18:19]
	s_and_saveexec_b64 s[20:21], s[14:15]
	s_cbranch_execnz .LBB10_48
	s_branch .LBB10_53
.LBB10_43:                              ;   in Loop: Header=BB10_8 Depth=1
                                        ; implicit-def: $vgpr5
	s_cbranch_execnz .LBB10_54
	s_branch .LBB10_63
.LBB10_44:                              ;   in Loop: Header=BB10_8 Depth=1
	s_and_b32 s1, s16, 0xfe
	s_mov_b64 s[78:79], 0
	s_mov_b32 s86, 0
	s_mov_b32 s87, 0
	;; [unrolled: 1-line block ×4, first 2 shown]
	v_mov_b32_e32 v26, v13
.LBB10_45:                              ;   Parent Loop BB10_8 Depth=1
                                        ; =>  This Inner Loop Header: Depth=2
	v_add_u32_e32 v3, s0, v20
	v_add_u32_e32 v2, s0, v17
	v_mov_b32_e32 v27, s81
	v_add_u32_e32 v4, s0, v18
	v_add_u32_e32 v5, s0, v19
	v_ashrrev_i32_e32 v29, 31, v3
	v_ashrrev_i32_e32 v32, 31, v2
	v_add_co_u32_e64 v2, s[18:19], s80, v2
	v_add_co_u32_e64 v30, s[24:25], s80, v3
	v_ashrrev_i32_e32 v33, 31, v4
	v_add_co_u32_e64 v4, s[20:21], s80, v4
	v_ashrrev_i32_e32 v34, 31, v5
	v_add_co_u32_e64 v28, s[22:23], s80, v5
	v_addc_co_u32_e64 v31, s[24:25], v27, v29, s[24:25]
	v_addc_co_u32_e64 v3, s[18:19], v27, v32, s[18:19]
	;; [unrolled: 1-line block ×4, first 2 shown]
	global_load_sbyte v27, v[30:31], off
	s_nop 0
	global_load_sbyte v2, v[2:3], off
	s_nop 0
	;; [unrolled: 2-line block ×3, first 2 shown]
	global_load_sbyte v4, v[28:29], off
	v_add_u32_e32 v26, s33, v26
	s_add_i32 s0, s0, s90
	v_cmp_le_i32_e32 vcc, s7, v26
	s_waitcnt vmcnt(3)
	v_add_u32_e32 v5, 0x80, v27
	s_waitcnt vmcnt(2)
	v_add_u32_e32 v2, 0x80, v2
	v_and_b32_e32 v27, s93, v5
	v_bfe_u32 v5, v5, s1, 2
	s_waitcnt vmcnt(1)
	v_add_u32_e32 v3, 0x80, v3
	v_and_b32_e32 v28, s93, v2
	v_bfe_u32 v2, v2, s1, 2
	v_cmp_eq_u32_e64 s[18:19], s8, v27
	v_cmp_eq_u32_e64 s[26:27], 0, v5
	s_waitcnt vmcnt(0)
	v_add_u32_e32 v4, 0x80, v4
	v_and_b32_e32 v29, s93, v3
	v_bfe_u32 v3, v3, s1, 2
	v_cmp_eq_u32_e64 s[20:21], s8, v28
	v_cmp_eq_u32_e64 s[28:29], 0, v2
	s_and_b64 s[26:27], s[18:19], s[26:27]
	v_and_b32_e32 v30, s93, v4
	v_bfe_u32 v4, v4, s1, 2
	v_cmp_eq_u32_e64 s[22:23], s8, v29
	v_cmp_eq_u32_e64 s[30:31], 0, v3
	;; [unrolled: 1-line block ×5, first 2 shown]
	v_cndmask_b32_e64 v2, 0, 1, s[26:27]
	s_and_b64 s[26:27], s[20:21], s[28:29]
	v_cmp_eq_u32_e64 s[24:25], s8, v30
	v_cmp_eq_u32_e64 s[34:35], 0, v4
	;; [unrolled: 1-line block ×5, first 2 shown]
	v_cndmask_b32_e64 v3, 0, 1, s[26:27]
	s_and_b64 s[26:27], s[22:23], s[30:31]
	v_cmp_eq_u32_e64 s[36:37], 1, v5
	v_cmp_eq_u32_e64 s[42:43], 1, v4
	v_cmp_eq_u32_e64 s[50:51], 2, v4
	v_cmp_eq_u32_e64 s[58:59], 3, v4
	v_cndmask_b32_e64 v4, 0, 1, s[26:27]
	s_and_b64 s[26:27], s[24:25], s[34:35]
	v_cmp_eq_u32_e64 s[44:45], 2, v5
	v_cmp_eq_u32_e64 s[52:53], 3, v5
	v_cndmask_b32_e64 v5, 0, 1, s[26:27]
	s_and_b64 s[26:27], s[18:19], s[36:37]
	v_cndmask_b32_e64 v27, 0, 1, s[26:27]
	s_and_b64 s[26:27], s[20:21], s[38:39]
	;; [unrolled: 2-line block ×5, first 2 shown]
	s_and_b64 s[18:19], s[18:19], s[52:53]
	v_cndmask_b32_e64 v31, 0, 1, s[26:27]
	s_and_b64 s[26:27], s[20:21], s[46:47]
	v_cndmask_b32_e64 v35, 0, 1, s[18:19]
	;; [unrolled: 2-line block ×7, first 2 shown]
	v_cndmask_b32_e64 v38, 0, 1, s[18:19]
	v_cmp_ne_u32_e64 s[18:19], 0, v2
	v_cmp_ne_u32_e64 s[20:21], 0, v3
	;; [unrolled: 1-line block ×11, first 2 shown]
	s_bcnt1_i32_b64 s18, s[18:19]
	s_bcnt1_i32_b64 s19, s[20:21]
	s_bcnt1_i32_b64 s20, s[22:23]
	s_bcnt1_i32_b64 s21, s[24:25]
	s_bcnt1_i32_b64 s22, s[26:27]
	s_bcnt1_i32_b64 s24, s[30:31]
	s_bcnt1_i32_b64 s26, s[36:37]
	s_bcnt1_i32_b64 s30, s[44:45]
	v_cmp_ne_u32_e64 s[34:35], 0, v30
	v_cmp_ne_u32_e64 s[40:41], 0, v33
	;; [unrolled: 1-line block ×3, first 2 shown]
	s_bcnt1_i32_b64 s23, s[28:29]
	s_bcnt1_i32_b64 s27, s[38:39]
	s_bcnt1_i32_b64 s31, s[46:47]
	s_add_i32 s18, s89, s18
	s_add_i32 s22, s88, s22
	;; [unrolled: 1-line block ×4, first 2 shown]
	v_cmp_ne_u32_e64 s[42:43], 0, v34
	v_cmp_ne_u32_e64 s[50:51], 0, v38
	s_bcnt1_i32_b64 s25, s[34:35]
	s_bcnt1_i32_b64 s28, s[40:41]
	s_bcnt1_i32_b64 s34, s[48:49]
	s_add_i32 s18, s18, s19
	s_add_i32 s19, s22, s23
	;; [unrolled: 1-line block ×4, first 2 shown]
	s_bcnt1_i32_b64 s29, s[42:43]
	s_bcnt1_i32_b64 s35, s[50:51]
	s_add_i32 s18, s18, s20
	s_add_i32 s19, s19, s24
	;; [unrolled: 1-line block ×8, first 2 shown]
	s_or_b64 s[78:79], vcc, s[78:79]
	v_mov_b32_e32 v2, s89
	v_mov_b32_e32 v3, s88
	;; [unrolled: 1-line block ×4, first 2 shown]
	s_andn2_b64 exec, exec, s[78:79]
	s_cbranch_execnz .LBB10_45
; %bb.46:                               ;   in Loop: Header=BB10_8 Depth=1
	s_or_b64 exec, exec, s[78:79]
	s_or_b64 exec, exec, s[74:75]
	v_mov_b32_e32 v28, 0
	s_and_saveexec_b64 s[18:19], s[12:13]
	s_cbranch_execz .LBB10_42
.LBB10_47:                              ;   in Loop: Header=BB10_8 Depth=1
	global_load_ubyte v28, v[10:11], off
	s_or_b64 exec, exec, s[18:19]
	s_and_saveexec_b64 s[20:21], s[14:15]
	s_cbranch_execz .LBB10_53
.LBB10_48:                              ;   in Loop: Header=BB10_8 Depth=1
	s_and_b32 s0, s16, 0xfe
	s_mov_b64 s[22:23], 0
	v_mov_b32_e32 v26, v21
	v_mov_b32_e32 v27, v16
	s_branch .LBB10_50
.LBB10_49:                              ;   in Loop: Header=BB10_50 Depth=2
	s_or_b64 exec, exec, s[18:19]
	s_waitcnt vmcnt(0)
	v_add_u32_sdwa v28, sext(v28), s91 dst_sel:DWORD dst_unused:UNUSED_PAD src0_sel:BYTE_0 src1_sel:DWORD
	v_and_b32_e32 v30, s93, v28
	v_bfe_u32 v28, v28, s0, 2
	v_cmp_eq_u32_e32 vcc, s8, v30
	v_cmp_eq_u32_e64 s[18:19], 0, v28
	s_and_b64 s[18:19], vcc, s[18:19]
	v_cndmask_b32_e64 v30, 0, 1, s[18:19]
	v_cmp_ne_u32_e64 s[18:19], 0, v30
	s_bcnt1_i32_b64 s1, s[18:19]
	v_cmp_eq_u32_e64 s[18:19], 1, v28
	s_and_b64 s[18:19], vcc, s[18:19]
	v_cndmask_b32_e64 v30, 0, 1, s[18:19]
	v_cmp_ne_u32_e64 s[18:19], 0, v30
	v_add_u32_e32 v2, s1, v2
	s_bcnt1_i32_b64 s1, s[18:19]
	v_cmp_eq_u32_e64 s[18:19], 2, v28
	s_and_b64 s[18:19], vcc, s[18:19]
	v_cndmask_b32_e64 v30, 0, 1, s[18:19]
	v_cmp_ne_u32_e64 s[18:19], 0, v30
	v_add_u32_e32 v3, s1, v3
	s_bcnt1_i32_b64 s1, s[18:19]
	v_cmp_eq_u32_e64 s[18:19], 3, v28
	s_and_b64 s[18:19], vcc, s[18:19]
	v_cndmask_b32_e64 v28, 0, 1, s[18:19]
	v_cmp_ne_u32_e32 vcc, 0, v28
	v_add_u32_e32 v4, s1, v4
	s_bcnt1_i32_b64 s1, vcc
	v_cmp_le_i32_e32 vcc, s68, v27
	v_add_u32_e32 v5, s1, v5
	v_add_u32_e32 v26, s92, v26
	s_or_b64 s[22:23], vcc, s[22:23]
	v_mov_b32_e32 v28, v29
	s_andn2_b64 exec, exec, s[22:23]
	s_cbranch_execz .LBB10_52
.LBB10_50:                              ;   Parent Loop BB10_8 Depth=1
                                        ; =>  This Inner Loop Header: Depth=2
	v_add_u32_e32 v27, s70, v27
	v_cmp_gt_u32_e32 vcc, s68, v27
	v_mov_b32_e32 v29, 0
	s_and_saveexec_b64 s[18:19], vcc
	s_cbranch_execz .LBB10_49
; %bb.51:                               ;   in Loop: Header=BB10_50 Depth=2
	v_ashrrev_i32_e32 v29, 31, v26
	v_mov_b32_e32 v31, s81
	v_add_co_u32_e32 v30, vcc, s80, v26
	v_addc_co_u32_e32 v31, vcc, v31, v29, vcc
	global_load_ubyte v29, v[30:31], off
	s_branch .LBB10_49
.LBB10_52:                              ;   in Loop: Header=BB10_8 Depth=1
	s_or_b64 exec, exec, s[22:23]
.LBB10_53:                              ;   in Loop: Header=BB10_8 Depth=1
	s_or_b64 exec, exec, s[20:21]
	s_branch .LBB10_63
.LBB10_54:                              ;   in Loop: Header=BB10_8 Depth=1
	s_mul_hi_u32 s0, s83, s6
	s_mul_i32 s0, s0, s33
	s_sub_i32 s0, s83, s0
	s_sub_i32 s1, s0, s33
	s_cmp_ge_u32 s0, s33
	s_cselect_b32 s0, s1, s0
	s_sub_i32 s1, s0, s33
	s_cmp_ge_u32 s0, s33
	s_cselect_b32 s0, s1, s0
	s_sub_i32 s0, s83, s0
	v_cmp_gt_u32_e32 vcc, s0, v13
	s_mov_b32 s86, 0
	s_waitcnt vmcnt(0)
	v_mov_b32_e32 v2, 0
	v_mov_b32_e32 v3, 0
	;; [unrolled: 1-line block ×4, first 2 shown]
	s_and_saveexec_b64 s[74:75], vcc
	s_cbranch_execz .LBB10_58
; %bb.55:                               ;   in Loop: Header=BB10_8 Depth=1
	s_and_b32 s1, s16, 0xfe
	s_mov_b64 s[78:79], 0
	s_mov_b32 s87, 0
	s_mov_b32 s88, 0
	;; [unrolled: 1-line block ×3, first 2 shown]
	v_mov_b32_e32 v26, v13
.LBB10_56:                              ;   Parent Loop BB10_8 Depth=1
                                        ; =>  This Inner Loop Header: Depth=2
	ds_read_b32 v2, v26
	v_add_u32_e32 v26, s33, v26
	v_cmp_le_i32_e32 vcc, s0, v26
	s_waitcnt lgkmcnt(0)
	v_add_u32_sdwa v3, sext(v2), s91 dst_sel:DWORD dst_unused:UNUSED_PAD src0_sel:BYTE_0 src1_sel:DWORD
	v_add_u32_sdwa v4, sext(v2), s91 dst_sel:DWORD dst_unused:UNUSED_PAD src0_sel:BYTE_1 src1_sel:DWORD
	v_and_b32_e32 v27, s93, v3
	v_bfe_u32 v3, v3, s1, 2
	v_add_u32_sdwa v5, sext(v2), s91 dst_sel:DWORD dst_unused:UNUSED_PAD src0_sel:BYTE_2 src1_sel:DWORD
	v_add_u32_sdwa v2, sext(v2), s91 dst_sel:DWORD dst_unused:UNUSED_PAD src0_sel:BYTE_3 src1_sel:DWORD
	v_and_b32_e32 v28, s93, v4
	v_bfe_u32 v4, v4, s1, 2
	v_cmp_eq_u32_e64 s[18:19], s8, v27
	v_cmp_eq_u32_e64 s[26:27], 0, v3
	v_and_b32_e32 v29, s93, v5
	v_and_b32_e32 v30, s93, v2
	v_bfe_u32 v5, v5, s1, 2
	v_bfe_u32 v2, v2, s1, 2
	v_cmp_eq_u32_e64 s[20:21], s8, v28
	v_cmp_eq_u32_e64 s[28:29], 0, v4
	s_and_b64 s[26:27], s[18:19], s[26:27]
	v_cmp_eq_u32_e64 s[22:23], s8, v29
	v_cmp_eq_u32_e64 s[30:31], 0, v5
	;; [unrolled: 1-line block ×6, first 2 shown]
	v_cndmask_b32_e64 v2, 0, 1, s[26:27]
	s_and_b64 s[26:27], s[20:21], s[28:29]
	v_cmp_eq_u32_e64 s[24:25], s8, v30
	v_cmp_eq_u32_e64 s[36:37], 1, v3
	v_cmp_eq_u32_e64 s[44:45], 2, v3
	v_cmp_eq_u32_e64 s[52:53], 3, v3
	v_cndmask_b32_e64 v3, 0, 1, s[26:27]
	s_and_b64 s[26:27], s[22:23], s[30:31]
	v_cmp_eq_u32_e64 s[38:39], 1, v4
	v_cmp_eq_u32_e64 s[46:47], 2, v4
	v_cmp_eq_u32_e64 s[54:55], 3, v4
	v_cndmask_b32_e64 v4, 0, 1, s[26:27]
	s_and_b64 s[26:27], s[24:25], s[34:35]
	v_cmp_eq_u32_e64 s[40:41], 1, v5
	v_cmp_eq_u32_e64 s[48:49], 2, v5
	;; [unrolled: 1-line block ×3, first 2 shown]
	v_cndmask_b32_e64 v5, 0, 1, s[26:27]
	s_and_b64 s[26:27], s[18:19], s[36:37]
	v_cndmask_b32_e64 v27, 0, 1, s[26:27]
	s_and_b64 s[26:27], s[20:21], s[38:39]
	;; [unrolled: 2-line block ×5, first 2 shown]
	s_and_b64 s[18:19], s[18:19], s[52:53]
	v_cndmask_b32_e64 v31, 0, 1, s[26:27]
	s_and_b64 s[26:27], s[20:21], s[46:47]
	v_cndmask_b32_e64 v35, 0, 1, s[18:19]
	;; [unrolled: 2-line block ×7, first 2 shown]
	v_cndmask_b32_e64 v38, 0, 1, s[18:19]
	v_cmp_ne_u32_e64 s[18:19], 0, v2
	v_cmp_ne_u32_e64 s[20:21], 0, v3
	;; [unrolled: 1-line block ×11, first 2 shown]
	s_bcnt1_i32_b64 s18, s[18:19]
	s_bcnt1_i32_b64 s19, s[20:21]
	;; [unrolled: 1-line block ×8, first 2 shown]
	v_cmp_ne_u32_e64 s[34:35], 0, v30
	v_cmp_ne_u32_e64 s[40:41], 0, v33
	;; [unrolled: 1-line block ×3, first 2 shown]
	s_bcnt1_i32_b64 s23, s[28:29]
	s_bcnt1_i32_b64 s27, s[38:39]
	;; [unrolled: 1-line block ×3, first 2 shown]
	s_add_i32 s18, s89, s18
	s_add_i32 s22, s88, s22
	;; [unrolled: 1-line block ×4, first 2 shown]
	v_cmp_ne_u32_e64 s[42:43], 0, v34
	v_cmp_ne_u32_e64 s[50:51], 0, v38
	s_bcnt1_i32_b64 s25, s[34:35]
	s_bcnt1_i32_b64 s28, s[40:41]
	;; [unrolled: 1-line block ×3, first 2 shown]
	s_add_i32 s18, s18, s19
	s_add_i32 s19, s22, s23
	s_add_i32 s22, s26, s27
	s_add_i32 s23, s30, s31
	s_bcnt1_i32_b64 s29, s[42:43]
	s_bcnt1_i32_b64 s35, s[50:51]
	s_add_i32 s18, s18, s20
	s_add_i32 s19, s19, s24
	;; [unrolled: 1-line block ×8, first 2 shown]
	s_or_b64 s[78:79], vcc, s[78:79]
	v_mov_b32_e32 v2, s89
	v_mov_b32_e32 v3, s88
	;; [unrolled: 1-line block ×4, first 2 shown]
	s_andn2_b64 exec, exec, s[78:79]
	s_cbranch_execnz .LBB10_56
; %bb.57:                               ;   in Loop: Header=BB10_8 Depth=1
	s_or_b64 exec, exec, s[78:79]
.LBB10_58:                              ;   in Loop: Header=BB10_8 Depth=1
	s_or_b64 exec, exec, s[74:75]
	v_add_u32_e32 v26, s0, v0
	v_cmp_gt_i32_e32 vcc, s83, v26
	s_and_saveexec_b64 s[28:29], vcc
	s_cbranch_execz .LBB10_62
; %bb.59:                               ;   in Loop: Header=BB10_8 Depth=1
	s_and_b32 s0, s16, 0xfe
	s_mov_b64 s[30:31], 0
.LBB10_60:                              ;   Parent Loop BB10_8 Depth=1
                                        ; =>  This Inner Loop Header: Depth=2
	ds_read_i8 v27, v26
	v_add_u32_e32 v26, s70, v26
	v_cmp_le_i32_e32 vcc, s83, v26
	s_waitcnt lgkmcnt(0)
	v_add_u32_e32 v27, 0x80, v27
	v_and_b32_e32 v28, s93, v27
	v_bfe_u32 v27, v27, s0, 2
	v_cmp_eq_u32_e64 s[18:19], s8, v28
	v_cmp_eq_u32_e64 s[20:21], 0, v27
	;; [unrolled: 1-line block ×3, first 2 shown]
	s_and_b64 s[20:21], s[18:19], s[20:21]
	v_cmp_eq_u32_e64 s[24:25], 2, v27
	v_cmp_eq_u32_e64 s[26:27], 3, v27
	v_cndmask_b32_e64 v27, 0, 1, s[20:21]
	s_and_b64 s[20:21], s[18:19], s[22:23]
	v_cndmask_b32_e64 v28, 0, 1, s[20:21]
	s_and_b64 s[20:21], s[18:19], s[24:25]
	s_and_b64 s[18:19], s[18:19], s[26:27]
	v_cndmask_b32_e64 v29, 0, 1, s[20:21]
	v_cndmask_b32_e64 v30, 0, 1, s[18:19]
	v_cmp_ne_u32_e64 s[18:19], 0, v27
	v_cmp_ne_u32_e64 s[20:21], 0, v28
	;; [unrolled: 1-line block ×4, first 2 shown]
	s_bcnt1_i32_b64 s1, s[18:19]
	s_bcnt1_i32_b64 s18, s[20:21]
	;; [unrolled: 1-line block ×4, first 2 shown]
	v_add_u32_e32 v2, s1, v2
	v_add_u32_e32 v3, s18, v3
	;; [unrolled: 1-line block ×3, first 2 shown]
	s_or_b64 s[30:31], vcc, s[30:31]
	v_add_u32_e32 v5, s20, v5
	s_andn2_b64 exec, exec, s[30:31]
	s_cbranch_execnz .LBB10_60
; %bb.61:                               ;   in Loop: Header=BB10_8 Depth=1
	s_or_b64 exec, exec, s[30:31]
.LBB10_62:                              ;   in Loop: Header=BB10_8 Depth=1
	s_or_b64 exec, exec, s[28:29]
.LBB10_63:                              ;   in Loop: Header=BB10_8 Depth=1
	s_lshl_b32 s0, s17, 6
	s_and_saveexec_b64 s[18:19], s[2:3]
	s_cbranch_execz .LBB10_65
; %bb.64:                               ;   in Loop: Header=BB10_8 Depth=1
	v_or_b32_e32 v26, s0, v14
	v_lshlrev_b32_e32 v26, 2, v26
	s_waitcnt vmcnt(0)
	ds_write_b128 v26, v[2:5] offset:3072
.LBB10_65:                              ;   in Loop: Header=BB10_8 Depth=1
	s_or_b64 exec, exec, s[18:19]
	s_waitcnt lgkmcnt(0)
	s_barrier
	s_and_saveexec_b64 s[18:19], s[84:85]
	s_cbranch_execz .LBB10_79
; %bb.66:                               ;   in Loop: Header=BB10_8 Depth=1
	v_readlane_b32 s20, v42, 34
	v_readlane_b32 s21, v42, 35
	v_add_u32_e32 v4, s0, v12
	s_andn2_b64 vcc, exec, s[20:21]
	s_waitcnt vmcnt(0)
	v_mov_b32_e32 v2, 0
	s_cbranch_vccnz .LBB10_78
; %bb.67:                               ;   in Loop: Header=BB10_8 Depth=1
	v_readlane_b32 s20, v42, 38
	v_readlane_b32 s21, v42, 39
	s_mov_b32 s1, 0
	s_and_b64 vcc, exec, s[20:21]
	v_mov_b32_e32 v2, 0
	s_cbranch_vccz .LBB10_71
; %bb.68:                               ;   in Loop: Header=BB10_8 Depth=1
	v_readlane_b32 s20, v42, 44
	v_readlane_b32 s21, v42, 45
	v_lshl_add_u32 v5, v4, 2, v24
	s_andn2_b64 vcc, exec, s[20:21]
	s_cbranch_vccnz .LBB10_72
; %bb.69:                               ;   in Loop: Header=BB10_8 Depth=1
	s_mov_b32 s21, 1
	s_mov_b32 s20, 0
	v_mov_b32_e32 v2, 0
	v_readlane_b32 s1, v42, 46
	v_mov_b32_e32 v3, 0
.LBB10_70:                              ;   Parent Loop BB10_8 Depth=1
                                        ; =>  This Inner Loop Header: Depth=2
	v_lshl_add_u32 v38, s20, 4, v5
	v_lshl_add_u32 v40, s21, 4, v5
	ds_read2_b32 v[26:27], v38 offset1:8
	ds_read2_b32 v[28:29], v40 offset1:8
	ds_read2_b32 v[30:31], v38 offset0:16 offset1:24
	ds_read2_b32 v[32:33], v40 offset0:16 offset1:24
	;; [unrolled: 1-line block ×6, first 2 shown]
	s_waitcnt lgkmcnt(7)
	v_add3_u32 v2, v26, v2, v27
	s_waitcnt lgkmcnt(6)
	v_add3_u32 v3, v28, v3, v29
	;; [unrolled: 2-line block ×3, first 2 shown]
	v_add3_u32 v2, v30, v2, v31
	s_add_i32 s21, s21, 16
	s_add_i32 s20, s20, 16
	s_add_i32 s1, s1, -8
	s_waitcnt lgkmcnt(3)
	v_add3_u32 v2, v34, v2, v35
	s_waitcnt lgkmcnt(2)
	v_add3_u32 v3, v36, v3, v37
	s_cmp_lg_u32 s1, 0
	s_waitcnt lgkmcnt(0)
	v_add3_u32 v3, v40, v3, v41
	v_add3_u32 v2, v38, v2, v39
	s_cbranch_scc1 .LBB10_70
	s_branch .LBB10_73
.LBB10_71:                              ;   in Loop: Header=BB10_8 Depth=1
	s_cbranch_execnz .LBB10_76
	s_branch .LBB10_78
.LBB10_72:                              ;   in Loop: Header=BB10_8 Depth=1
	s_mov_b32 s83, s82
	v_pk_mov_b32 v[2:3], s[82:83], s[82:83] op_sel:[0,1]
	s_mov_b32 s83, 1
	s_mov_b64 s[20:21], s[82:83]
.LBB10_73:                              ;   in Loop: Header=BB10_8 Depth=1
	v_readlane_b32 s22, v42, 48
	v_readlane_b32 s23, v42, 49
	s_andn2_b64 vcc, exec, s[22:23]
	v_readlane_b32 s1, v42, 47
	s_cbranch_vccnz .LBB10_75
.LBB10_74:                              ;   Parent Loop BB10_8 Depth=1
                                        ; =>  This Inner Loop Header: Depth=2
	v_lshl_add_u32 v26, s20, 4, v5
	v_lshl_add_u32 v27, s21, 4, v5
	ds_read_b32 v27, v27
	ds_read_b32 v26, v26
	s_add_i32 s21, s21, 2
	s_add_i32 s20, s20, 2
	s_add_i32 s1, s1, -1
	s_cmp_lg_u32 s1, 0
	s_waitcnt lgkmcnt(1)
	v_add_u32_e32 v3, v27, v3
	s_waitcnt lgkmcnt(0)
	v_add_u32_e32 v2, v26, v2
	s_cbranch_scc1 .LBB10_74
.LBB10_75:                              ;   in Loop: Header=BB10_8 Depth=1
	v_readlane_b32 s20, v42, 52
	v_add_u32_e32 v2, v2, v3
	v_readlane_b32 s1, v42, 51
	v_readlane_b32 s21, v42, 53
	s_and_b64 vcc, exec, s[20:21]
	s_cbranch_vccz .LBB10_78
.LBB10_76:                              ;   in Loop: Header=BB10_8 Depth=1
	s_lshl_b32 s20, s17, 8
	s_lshl_b32 s21, s1, 4
	s_add_i32 s20, s20, s21
	v_add_u32_e32 v3, s20, v22
	v_readlane_b32 s20, v42, 50
	s_sub_i32 s1, s20, s1
.LBB10_77:                              ;   Parent Loop BB10_8 Depth=1
                                        ; =>  This Inner Loop Header: Depth=2
	ds_read_b32 v5, v3
	s_add_i32 s1, s1, -1
	v_add_u32_e32 v3, 16, v3
	s_cmp_eq_u32 s1, 0
	s_waitcnt lgkmcnt(0)
	v_add_u32_e32 v2, v5, v2
	s_cbranch_scc0 .LBB10_77
.LBB10_78:                              ;   in Loop: Header=BB10_8 Depth=1
	v_lshlrev_b32_e32 v3, 2, v4
	ds_write_b32 v3, v2 offset:3072
.LBB10_79:                              ;   in Loop: Header=BB10_8 Depth=1
	s_or_b64 exec, exec, s[18:19]
	s_lshl_b32 s0, s0, 2
	s_waitcnt vmcnt(0)
	v_mov_b32_e32 v2, s0
	s_waitcnt lgkmcnt(0)
	s_barrier
	ds_read_b128 v[2:5], v2 offset:3072
	s_and_b32 s47, s16, 0xfe
	s_lshl_b32 s55, 3, s47
	s_not_b32 s48, s55
	s_mov_b64 s[22:23], -1
	s_waitcnt lgkmcnt(0)
	v_readfirstlane_b32 s34, v2
	s_cmp_eq_u32 s34, 1
	s_cselect_b64 s[0:1], -1, 0
	s_cmp_eq_u32 s69, 1
	s_cselect_b64 s[18:19], -1, 0
	s_and_b64 s[24:25], s[0:1], s[18:19]
	v_readfirstlane_b32 s38, v3
	v_readfirstlane_b32 s46, v4
	;; [unrolled: 1-line block ×3, first 2 shown]
	s_and_b64 vcc, exec, s[24:25]
	s_cbranch_vccz .LBB10_91
; %bb.80:                               ;   in Loop: Header=BB10_8 Depth=1
	ds_read_b32 v2, v23 offset:4096
	s_waitcnt lgkmcnt(0)
	s_barrier
	v_readfirstlane_b32 s0, v2
	s_and_saveexec_b64 s[18:19], s[4:5]
	s_cbranch_execz .LBB10_82
; %bb.81:                               ;   in Loop: Header=BB10_8 Depth=1
	ds_write_b8 v0, v23 offset:3072
.LBB10_82:                              ;   in Loop: Header=BB10_8 Depth=1
	s_or_b64 exec, exec, s[18:19]
	s_and_b32 s8, s8, s48
	s_or_b32 s93, s93, s55
	s_cmp_lt_i32 s0, 1
	s_waitcnt lgkmcnt(0)
	s_barrier
	s_cbranch_scc0 .LBB10_92
; %bb.83:                               ;   in Loop: Header=BB10_8 Depth=1
	s_mov_b64 s[18:19], 0
                                        ; implicit-def: $vgpr25
	s_mov_b64 s[20:21], exec
	v_readlane_b32 s26, v42, 55
	v_readlane_b32 s27, v42, 56
	s_and_b64 s[26:27], s[20:21], s[26:27]
	s_mov_b64 exec, s[26:27]
	s_cbranch_execz .LBB10_94
; %bb.84:                               ;   in Loop: Header=BB10_8 Depth=1
	s_mov_b64 s[26:27], 0
	v_mov_b32_e32 v2, v9
	v_mov_b32_e32 v3, v0
                                        ; implicit-def: $sgpr28_sgpr29
	s_branch .LBB10_86
.LBB10_85:                              ;   in Loop: Header=BB10_86 Depth=2
	s_or_b64 exec, exec, s[18:19]
	s_waitcnt lgkmcnt(0)
	s_barrier
	s_waitcnt vmcnt(0)
	ds_read_u16 v4, v23 offset:3072
	v_add_u32_e32 v3, s70, v3
	v_cmp_le_i32_e32 vcc, s9, v3
	v_add_u32_e32 v2, s92, v2
	s_waitcnt lgkmcnt(0)
	v_cmp_ne_u16_sdwa s[18:19], v4, v23 src0_sel:BYTE_0 src1_sel:DWORD
	s_or_b64 s[30:31], vcc, s[18:19]
	s_and_b64 s[30:31], exec, s[30:31]
	s_or_b64 s[26:27], s[30:31], s[26:27]
	s_andn2_b64 s[28:29], s[28:29], exec
	s_and_b64 s[18:19], s[18:19], exec
	s_or_b64 s[28:29], s[28:29], s[18:19]
	s_barrier
	s_andn2_b64 exec, exec, s[26:27]
	s_cbranch_execz .LBB10_93
.LBB10_86:                              ;   Parent Loop BB10_8 Depth=1
                                        ; =>  This Inner Loop Header: Depth=2
	v_cmp_gt_i32_e32 vcc, s68, v3
	v_mov_b32_e32 v4, 0
	s_and_saveexec_b64 s[30:31], vcc
	s_cbranch_execz .LBB10_88
; %bb.87:                               ;   in Loop: Header=BB10_86 Depth=2
	v_ashrrev_i32_e32 v5, 31, v2
	v_mov_b32_e32 v25, s81
	v_add_co_u32_e64 v4, s[18:19], s80, v2
	v_addc_co_u32_e64 v5, s[18:19], v25, v5, s[18:19]
	global_load_ubyte v4, v[4:5], off
.LBB10_88:                              ;   in Loop: Header=BB10_86 Depth=2
	s_or_b64 exec, exec, s[30:31]
	s_and_saveexec_b64 s[18:19], vcc
	s_cbranch_execz .LBB10_85
; %bb.89:                               ;   in Loop: Header=BB10_86 Depth=2
	s_waitcnt vmcnt(0)
	v_add_u32_sdwa v5, sext(v4), s91 dst_sel:DWORD dst_unused:UNUSED_PAD src0_sel:BYTE_0 src1_sel:DWORD
	v_and_b32_e32 v5, s93, v5
	v_cmp_eq_u32_e32 vcc, s8, v5
	s_and_b64 exec, exec, vcc
	s_cbranch_execz .LBB10_85
; %bb.90:                               ;   in Loop: Header=BB10_86 Depth=2
	v_lshlrev_b16_e32 v4, 8, v4
	v_or_b32_e32 v4, 1, v4
	ds_write_b16 v23, v4 offset:3072
	s_branch .LBB10_85
.LBB10_91:                              ;   in Loop: Header=BB10_8 Depth=1
	s_mov_b64 s[18:19], -1
                                        ; implicit-def: $sgpr20_sgpr21
                                        ; implicit-def: $sgpr28_sgpr29
                                        ; implicit-def: $sgpr26_sgpr27
	s_branch .LBB10_105
.LBB10_92:                              ;   in Loop: Header=BB10_8 Depth=1
	s_mov_b64 s[20:21], -1
	s_mov_b64 s[18:19], 0
                                        ; implicit-def: $sgpr26_sgpr27
                                        ; implicit-def: $vgpr25
	s_mov_b64 s[28:29], s[20:21]
	s_cbranch_execnz .LBB10_95
	s_branch .LBB10_105
.LBB10_93:                              ;   in Loop: Header=BB10_8 Depth=1
	s_or_b64 exec, exec, s[26:27]
	v_lshrrev_b16_e32 v25, 8, v4
	s_and_b64 s[18:19], s[28:29], exec
.LBB10_94:                              ;   in Loop: Header=BB10_8 Depth=1
	s_or_b64 exec, exec, s[20:21]
	s_mov_b64 s[26:27], -1
	s_mov_b64 s[20:21], 0
	s_mov_b64 s[28:29], s[20:21]
	s_branch .LBB10_105
.LBB10_95:                              ;   in Loop: Header=BB10_8 Depth=1
	v_readlane_b32 s1, v42, 31
	s_add_i32 s1, s0, s1
	s_abs_i32 s19, s1
	v_readlane_b32 s20, v42, 54
	s_mul_hi_u32 s20, s19, s20
	s_mul_i32 s20, s20, s70
	s_sub_i32 s19, s19, s20
	s_ashr_i32 s18, s1, 31
	s_sub_i32 s20, s19, s70
	s_cmp_ge_u32 s19, s70
	s_cselect_b32 s19, s20, s19
	s_sub_i32 s20, s19, s70
	s_cmp_ge_u32 s19, s70
	s_cselect_b32 s19, s20, s19
	s_xor_b32 s19, s19, s18
	s_sub_i32 s18, s18, s19
	s_add_i32 s1, s1, s18
	v_cmp_gt_i32_e32 vcc, s1, v0
	s_mov_b64 s[18:19], 0
                                        ; implicit-def: $vgpr25
	s_and_saveexec_b64 s[20:21], vcc
	s_cbranch_execz .LBB10_104
; %bb.96:                               ;   in Loop: Header=BB10_8 Depth=1
	v_mov_b32_e32 v2, v0
                                        ; implicit-def: $sgpr26_sgpr27
	s_branch .LBB10_98
.LBB10_97:                              ;   in Loop: Header=BB10_98 Depth=2
	s_or_b64 exec, exec, s[28:29]
	s_waitcnt lgkmcnt(0)
	s_barrier
	ds_read_u16 v3, v23 offset:3072
	v_add_u32_e32 v2, s70, v2
	v_cmp_le_i32_e32 vcc, s1, v2
	s_waitcnt lgkmcnt(0)
	s_barrier
	v_cmp_ne_u16_sdwa s[28:29], v3, v23 src0_sel:BYTE_0 src1_sel:DWORD
	s_or_b64 s[30:31], vcc, s[28:29]
	s_and_b64 s[30:31], exec, s[30:31]
	s_or_b64 s[18:19], s[30:31], s[18:19]
	s_andn2_b64 s[26:27], s[26:27], exec
	s_and_b64 s[28:29], s[28:29], exec
	s_or_b64 s[26:27], s[26:27], s[28:29]
	s_andn2_b64 exec, exec, s[18:19]
	s_cbranch_execz .LBB10_103
.LBB10_98:                              ;   Parent Loop BB10_8 Depth=1
                                        ; =>  This Inner Loop Header: Depth=2
	v_cmp_gt_i32_e32 vcc, s0, v2
	v_mov_b32_e32 v3, 0
	s_and_saveexec_b64 s[28:29], vcc
	s_cbranch_execz .LBB10_100
; %bb.99:                               ;   in Loop: Header=BB10_98 Depth=2
	ds_read_u8 v3, v2
.LBB10_100:                             ;   in Loop: Header=BB10_98 Depth=2
	s_or_b64 exec, exec, s[28:29]
	s_and_saveexec_b64 s[28:29], vcc
	s_cbranch_execz .LBB10_97
; %bb.101:                              ;   in Loop: Header=BB10_98 Depth=2
	s_waitcnt lgkmcnt(0)
	v_add_u32_sdwa v4, sext(v3), s91 dst_sel:DWORD dst_unused:UNUSED_PAD src0_sel:BYTE_0 src1_sel:DWORD
	v_and_b32_e32 v4, s93, v4
	v_cmp_eq_u32_e32 vcc, s8, v4
	s_and_b64 exec, exec, vcc
	s_cbranch_execz .LBB10_97
; %bb.102:                              ;   in Loop: Header=BB10_98 Depth=2
	v_lshlrev_b16_e32 v3, 8, v3
	v_or_b32_e32 v3, 1, v3
	ds_write_b16 v23, v3 offset:3072
	s_branch .LBB10_97
.LBB10_103:                             ;   in Loop: Header=BB10_8 Depth=1
	s_or_b64 exec, exec, s[18:19]
	v_lshrrev_b16_e32 v25, 8, v3
	s_and_b64 s[18:19], s[26:27], exec
.LBB10_104:                             ;   in Loop: Header=BB10_8 Depth=1
	s_or_b64 exec, exec, s[20:21]
	s_mov_b64 s[28:29], -1
	s_mov_b64 s[20:21], 0
	s_mov_b64 s[26:27], 0
.LBB10_105:                             ;   in Loop: Header=BB10_8 Depth=1
	s_andn2_b64 s[0:1], s[94:95], exec
	s_and_b64 s[20:21], s[20:21], exec
	s_or_b64 s[94:95], s[0:1], s[20:21]
	s_andn2_b64 s[0:1], s[76:77], exec
	s_and_b64 s[20:21], s[28:29], exec
	s_or_b64 s[76:77], s[0:1], s[20:21]
	;; [unrolled: 3-line block ×3, first 2 shown]
	s_and_saveexec_b64 s[20:21], s[18:19]
	s_cbranch_execz .LBB10_7
; %bb.106:                              ;   in Loop: Header=BB10_8 Depth=1
	s_xor_b64 s[0:1], s[24:25], -1
	s_mov_b64 s[18:19], 0
	s_andn2_b64 vcc, exec, s[0:1]
	s_mov_b32 s39, 1
	s_cbranch_vccnz .LBB10_117
; %bb.107:                              ;   in Loop: Header=BB10_8 Depth=1
	s_cmp_gt_i32 s69, s34
	s_mov_b64 s[18:19], -1
                                        ; implicit-def: $sgpr57
                                        ; implicit-def: $sgpr0
                                        ; implicit-def: $sgpr1
	s_cbranch_scc1 .LBB10_113
; %bb.108:                              ;   in Loop: Header=BB10_8 Depth=1
	ds_read_b32 v2, v23 offset:4096
	s_waitcnt lgkmcnt(0)
	v_cmp_ne_u32_e32 vcc, 0, v2
	s_cbranch_vccnz .LBB10_112
; %bb.109:                              ;   in Loop: Header=BB10_8 Depth=1
	s_mov_b64 s[18:19], exec
	v_readlane_b32 s0, v42, 18
	v_readlane_b32 s1, v42, 19
	s_and_b64 s[0:1], s[18:19], s[0:1]
	s_mov_b64 exec, s[0:1]
	s_cbranch_execz .LBB10_111
; %bb.110:                              ;   in Loop: Header=BB10_8 Depth=1
	v_mov_b32_e32 v2, s34
	ds_write_b32 v23, v2 offset:4100
.LBB10_111:                             ;   in Loop: Header=BB10_8 Depth=1
	s_or_b64 exec, exec, s[18:19]
	s_waitcnt lgkmcnt(0)
	s_barrier
.LBB10_112:                             ;   in Loop: Header=BB10_8 Depth=1
	s_and_b32 s0, s8, s48
	s_or_b32 s1, s93, s55
	s_mov_b64 s[18:19], 0
	s_mov_b32 s57, 8
.LBB10_113:                             ;   in Loop: Header=BB10_8 Depth=1
	s_andn2_b64 vcc, exec, s[18:19]
	s_cbranch_vccnz .LBB10_115
; %bb.114:                              ;   in Loop: Header=BB10_8 Depth=1
	s_sub_i32 s69, s69, s34
	s_mov_b64 s[18:19], -1
	s_mov_b32 s57, 0
	s_mov_b32 s0, s8
	;; [unrolled: 1-line block ×3, first 2 shown]
.LBB10_115:                             ;   in Loop: Header=BB10_8 Depth=1
	s_mov_b32 s93, s1
	s_mov_b32 s8, s0
	;; [unrolled: 1-line block ×3, first 2 shown]
	s_mov_b64 s[22:23], -1
	s_and_b64 vcc, exec, s[18:19]
	s_cbranch_vccnz .LBB10_118
.LBB10_116:                             ;   in Loop: Header=BB10_8 Depth=1
	s_mov_b64 s[36:37], -1
                                        ; implicit-def: $sgpr24_sgpr25
                                        ; implicit-def: $sgpr28_sgpr29
                                        ; implicit-def: $sgpr26_sgpr27
	s_and_saveexec_b64 s[0:1], s[36:37]
	s_xor_b64 s[18:19], exec, s[0:1]
	s_cbranch_execz .LBB10_6
	s_branch .LBB10_241
.LBB10_117:                             ;   in Loop: Header=BB10_8 Depth=1
	s_mov_b32 s57, 1
	s_mov_b64 s[22:23], -1
	s_and_b64 vcc, exec, s[18:19]
	s_cbranch_vccz .LBB10_116
.LBB10_118:                             ;   in Loop: Header=BB10_8 Depth=1
	s_cmp_eq_u32 s38, 1
	s_cselect_b64 s[0:1], -1, 0
	s_cmp_eq_u32 s39, 1
	s_cselect_b64 s[18:19], -1, 0
	s_and_b64 s[34:35], s[0:1], s[18:19]
	s_mov_b64 s[18:19], -1
	s_and_b64 vcc, exec, s[34:35]
	s_cbranch_vccz .LBB10_130
; %bb.119:                              ;   in Loop: Header=BB10_8 Depth=1
	ds_read_b32 v2, v23 offset:4096
	s_waitcnt lgkmcnt(0)
	s_barrier
	v_readfirstlane_b32 s0, v2
	s_and_saveexec_b64 s[18:19], s[4:5]
	s_cbranch_execz .LBB10_121
; %bb.120:                              ;   in Loop: Header=BB10_8 Depth=1
	ds_write_b8 v0, v23 offset:3072
.LBB10_121:                             ;   in Loop: Header=BB10_8 Depth=1
	s_or_b64 exec, exec, s[18:19]
	s_lshl_b32 s1, 1, s47
	s_and_b32 s8, s8, s48
	s_or_b32 s8, s8, s1
	s_or_b32 s93, s93, s55
	s_cmp_gt_i32 s0, 0
	s_waitcnt lgkmcnt(0)
	s_barrier
	s_cbranch_scc1 .LBB10_131
; %bb.122:                              ;   in Loop: Header=BB10_8 Depth=1
	s_mov_b64 s[18:19], 0
                                        ; implicit-def: $vgpr25
	s_mov_b64 s[24:25], exec
	v_readlane_b32 s26, v42, 55
	v_readlane_b32 s27, v42, 56
	s_and_b64 s[26:27], s[24:25], s[26:27]
	s_mov_b64 exec, s[26:27]
	s_cbranch_execz .LBB10_133
; %bb.123:                              ;   in Loop: Header=BB10_8 Depth=1
	s_mov_b64 s[26:27], 0
	v_mov_b32_e32 v2, v9
	v_mov_b32_e32 v3, v0
                                        ; implicit-def: $sgpr28_sgpr29
	s_branch .LBB10_125
.LBB10_124:                             ;   in Loop: Header=BB10_125 Depth=2
	s_or_b64 exec, exec, s[18:19]
	s_waitcnt lgkmcnt(0)
	s_barrier
	s_waitcnt vmcnt(0)
	ds_read_u16 v4, v23 offset:3072
	v_add_u32_e32 v3, s70, v3
	v_cmp_le_i32_e32 vcc, s9, v3
	v_add_u32_e32 v2, s92, v2
	s_waitcnt lgkmcnt(0)
	v_cmp_ne_u16_sdwa s[18:19], v4, v23 src0_sel:BYTE_0 src1_sel:DWORD
	s_or_b64 s[30:31], vcc, s[18:19]
	s_and_b64 s[30:31], exec, s[30:31]
	s_or_b64 s[26:27], s[30:31], s[26:27]
	s_andn2_b64 s[28:29], s[28:29], exec
	s_and_b64 s[18:19], s[18:19], exec
	s_or_b64 s[28:29], s[28:29], s[18:19]
	s_barrier
	s_andn2_b64 exec, exec, s[26:27]
	s_cbranch_execz .LBB10_132
.LBB10_125:                             ;   Parent Loop BB10_8 Depth=1
                                        ; =>  This Inner Loop Header: Depth=2
	v_cmp_gt_i32_e32 vcc, s68, v3
	v_mov_b32_e32 v4, 0
	s_and_saveexec_b64 s[30:31], vcc
	s_cbranch_execz .LBB10_127
; %bb.126:                              ;   in Loop: Header=BB10_125 Depth=2
	v_ashrrev_i32_e32 v5, 31, v2
	v_mov_b32_e32 v25, s81
	v_add_co_u32_e64 v4, s[18:19], s80, v2
	v_addc_co_u32_e64 v5, s[18:19], v25, v5, s[18:19]
	global_load_ubyte v4, v[4:5], off
.LBB10_127:                             ;   in Loop: Header=BB10_125 Depth=2
	s_or_b64 exec, exec, s[30:31]
	s_and_saveexec_b64 s[18:19], vcc
	s_cbranch_execz .LBB10_124
; %bb.128:                              ;   in Loop: Header=BB10_125 Depth=2
	s_waitcnt vmcnt(0)
	v_add_u32_sdwa v5, sext(v4), s91 dst_sel:DWORD dst_unused:UNUSED_PAD src0_sel:BYTE_0 src1_sel:DWORD
	v_and_b32_e32 v5, s93, v5
	v_cmp_eq_u32_e32 vcc, s8, v5
	s_and_b64 exec, exec, vcc
	s_cbranch_execz .LBB10_124
; %bb.129:                              ;   in Loop: Header=BB10_125 Depth=2
	v_lshlrev_b16_e32 v4, 8, v4
	v_or_b32_e32 v4, 1, v4
	ds_write_b16 v23, v4 offset:3072
	s_branch .LBB10_124
.LBB10_130:                             ;   in Loop: Header=BB10_8 Depth=1
                                        ; implicit-def: $sgpr26_sgpr27
                                        ; implicit-def: $sgpr28_sgpr29
                                        ; implicit-def: $sgpr24_sgpr25
	s_branch .LBB10_144
.LBB10_131:                             ;   in Loop: Header=BB10_8 Depth=1
	s_mov_b64 s[26:27], -1
	s_mov_b64 s[18:19], 0
                                        ; implicit-def: $sgpr24_sgpr25
                                        ; implicit-def: $vgpr25
	s_mov_b64 s[28:29], s[26:27]
	s_cbranch_execnz .LBB10_134
	s_branch .LBB10_144
.LBB10_132:                             ;   in Loop: Header=BB10_8 Depth=1
	s_or_b64 exec, exec, s[26:27]
	v_lshrrev_b16_e32 v25, 8, v4
	s_and_b64 s[18:19], s[28:29], exec
.LBB10_133:                             ;   in Loop: Header=BB10_8 Depth=1
	s_or_b64 exec, exec, s[24:25]
	s_mov_b64 s[24:25], -1
	s_mov_b64 s[26:27], 0
	s_mov_b64 s[28:29], s[26:27]
	s_branch .LBB10_144
.LBB10_134:                             ;   in Loop: Header=BB10_8 Depth=1
	v_readlane_b32 s1, v42, 31
	s_add_i32 s1, s0, s1
	s_abs_i32 s19, s1
	v_readlane_b32 s24, v42, 54
	s_mul_hi_u32 s24, s19, s24
	s_mul_i32 s24, s24, s70
	s_sub_i32 s19, s19, s24
	s_ashr_i32 s18, s1, 31
	s_sub_i32 s24, s19, s70
	s_cmp_ge_u32 s19, s70
	s_cselect_b32 s19, s24, s19
	s_sub_i32 s24, s19, s70
	s_cmp_ge_u32 s19, s70
	s_cselect_b32 s19, s24, s19
	s_xor_b32 s19, s19, s18
	s_sub_i32 s18, s18, s19
	s_add_i32 s1, s1, s18
	v_cmp_gt_i32_e32 vcc, s1, v0
	s_mov_b64 s[18:19], 0
                                        ; implicit-def: $vgpr25
	s_and_saveexec_b64 s[24:25], vcc
	s_cbranch_execz .LBB10_143
; %bb.135:                              ;   in Loop: Header=BB10_8 Depth=1
	v_mov_b32_e32 v2, v0
                                        ; implicit-def: $sgpr26_sgpr27
	s_branch .LBB10_137
.LBB10_136:                             ;   in Loop: Header=BB10_137 Depth=2
	s_or_b64 exec, exec, s[28:29]
	s_waitcnt lgkmcnt(0)
	s_barrier
	ds_read_u16 v3, v23 offset:3072
	v_add_u32_e32 v2, s70, v2
	v_cmp_le_i32_e32 vcc, s1, v2
	s_waitcnt lgkmcnt(0)
	s_barrier
	v_cmp_ne_u16_sdwa s[28:29], v3, v23 src0_sel:BYTE_0 src1_sel:DWORD
	s_or_b64 s[30:31], vcc, s[28:29]
	s_and_b64 s[30:31], exec, s[30:31]
	s_or_b64 s[18:19], s[30:31], s[18:19]
	s_andn2_b64 s[26:27], s[26:27], exec
	s_and_b64 s[28:29], s[28:29], exec
	s_or_b64 s[26:27], s[26:27], s[28:29]
	s_andn2_b64 exec, exec, s[18:19]
	s_cbranch_execz .LBB10_142
.LBB10_137:                             ;   Parent Loop BB10_8 Depth=1
                                        ; =>  This Inner Loop Header: Depth=2
	v_cmp_gt_i32_e32 vcc, s0, v2
	v_mov_b32_e32 v3, 0
	s_and_saveexec_b64 s[28:29], vcc
	s_cbranch_execz .LBB10_139
; %bb.138:                              ;   in Loop: Header=BB10_137 Depth=2
	ds_read_u8 v3, v2
.LBB10_139:                             ;   in Loop: Header=BB10_137 Depth=2
	s_or_b64 exec, exec, s[28:29]
	s_and_saveexec_b64 s[28:29], vcc
	s_cbranch_execz .LBB10_136
; %bb.140:                              ;   in Loop: Header=BB10_137 Depth=2
	s_waitcnt lgkmcnt(0)
	v_add_u32_sdwa v4, sext(v3), s91 dst_sel:DWORD dst_unused:UNUSED_PAD src0_sel:BYTE_0 src1_sel:DWORD
	v_and_b32_e32 v4, s93, v4
	v_cmp_eq_u32_e32 vcc, s8, v4
	s_and_b64 exec, exec, vcc
	s_cbranch_execz .LBB10_136
; %bb.141:                              ;   in Loop: Header=BB10_137 Depth=2
	v_lshlrev_b16_e32 v3, 8, v3
	v_or_b32_e32 v3, 1, v3
	ds_write_b16 v23, v3 offset:3072
	s_branch .LBB10_136
.LBB10_142:                             ;   in Loop: Header=BB10_8 Depth=1
	s_or_b64 exec, exec, s[18:19]
	v_lshrrev_b16_e32 v25, 8, v3
	s_and_b64 s[18:19], s[26:27], exec
.LBB10_143:                             ;   in Loop: Header=BB10_8 Depth=1
	s_or_b64 exec, exec, s[24:25]
	s_mov_b64 s[28:29], -1
	s_mov_b64 s[26:27], 0
	s_mov_b64 s[24:25], 0
.LBB10_144:                             ;   in Loop: Header=BB10_8 Depth=1
	s_mov_b64 s[36:37], 0
                                        ; implicit-def: $sgpr57
	s_and_saveexec_b64 s[30:31], s[18:19]
	s_cbranch_execz .LBB10_240
; %bb.145:                              ;   in Loop: Header=BB10_8 Depth=1
	s_xor_b64 s[0:1], s[34:35], -1
	s_mov_b64 s[18:19], 0
	s_andn2_b64 vcc, exec, s[0:1]
	s_mov_b32 s49, 1
	s_cbranch_vccnz .LBB10_156
; %bb.146:                              ;   in Loop: Header=BB10_8 Depth=1
	s_cmp_gt_i32 s39, s38
	s_mov_b64 s[18:19], -1
                                        ; implicit-def: $sgpr57
                                        ; implicit-def: $sgpr0
                                        ; implicit-def: $sgpr1
	s_cbranch_scc1 .LBB10_152
; %bb.147:                              ;   in Loop: Header=BB10_8 Depth=1
	ds_read_b32 v2, v23 offset:4096
	s_waitcnt lgkmcnt(0)
	v_cmp_ne_u32_e32 vcc, 0, v2
	s_cbranch_vccnz .LBB10_151
; %bb.148:                              ;   in Loop: Header=BB10_8 Depth=1
	s_mov_b64 s[18:19], exec
	v_readlane_b32 s0, v42, 18
	v_readlane_b32 s1, v42, 19
	s_and_b64 s[0:1], s[18:19], s[0:1]
	s_mov_b64 exec, s[0:1]
	s_cbranch_execz .LBB10_150
; %bb.149:                              ;   in Loop: Header=BB10_8 Depth=1
	v_mov_b32_e32 v2, s38
	ds_write_b32 v23, v2 offset:4100
.LBB10_150:                             ;   in Loop: Header=BB10_8 Depth=1
	s_or_b64 exec, exec, s[18:19]
	s_waitcnt lgkmcnt(0)
	s_barrier
.LBB10_151:                             ;   in Loop: Header=BB10_8 Depth=1
	s_lshl_b32 s0, 1, s47
	s_and_b32 s1, s8, s48
	s_or_b32 s0, s1, s0
	s_or_b32 s1, s93, s55
	s_mov_b64 s[18:19], 0
	s_mov_b32 s57, 8
.LBB10_152:                             ;   in Loop: Header=BB10_8 Depth=1
	s_andn2_b64 vcc, exec, s[18:19]
	s_cbranch_vccnz .LBB10_154
; %bb.153:                              ;   in Loop: Header=BB10_8 Depth=1
	s_sub_i32 s39, s39, s38
	s_mov_b64 s[18:19], -1
	s_mov_b32 s57, 0
	s_mov_b32 s0, s8
	;; [unrolled: 1-line block ×3, first 2 shown]
.LBB10_154:                             ;   in Loop: Header=BB10_8 Depth=1
	s_mov_b32 s93, s1
	s_mov_b32 s8, s0
	;; [unrolled: 1-line block ×3, first 2 shown]
	s_andn2_b64 vcc, exec, s[18:19]
	s_mov_b64 s[44:45], -1
	s_cbranch_vccz .LBB10_157
.LBB10_155:                             ;   in Loop: Header=BB10_8 Depth=1
                                        ; implicit-def: $sgpr36_sgpr37
                                        ; implicit-def: $sgpr38_sgpr39
                                        ; implicit-def: $sgpr34_sgpr35
	s_branch .LBB10_239
.LBB10_156:                             ;   in Loop: Header=BB10_8 Depth=1
	s_mov_b32 s57, 1
	s_andn2_b64 vcc, exec, s[18:19]
	s_mov_b64 s[44:45], -1
	s_cbranch_vccnz .LBB10_155
.LBB10_157:                             ;   in Loop: Header=BB10_8 Depth=1
	s_cmp_eq_u32 s46, 1
	s_cselect_b64 s[0:1], -1, 0
	s_cmp_eq_u32 s49, 1
	s_cselect_b64 s[18:19], -1, 0
	s_and_b64 s[42:43], s[0:1], s[18:19]
	s_mov_b64 s[18:19], -1
	s_and_b64 vcc, exec, s[42:43]
	s_cbranch_vccz .LBB10_169
; %bb.158:                              ;   in Loop: Header=BB10_8 Depth=1
	ds_read_b32 v2, v23 offset:4096
	s_waitcnt lgkmcnt(0)
	s_barrier
	v_readfirstlane_b32 s0, v2
	s_and_saveexec_b64 s[18:19], s[4:5]
	s_cbranch_execz .LBB10_160
; %bb.159:                              ;   in Loop: Header=BB10_8 Depth=1
	ds_write_b8 v0, v23 offset:3072
.LBB10_160:                             ;   in Loop: Header=BB10_8 Depth=1
	s_or_b64 exec, exec, s[18:19]
	s_lshl_b32 s1, 2, s47
	s_and_b32 s8, s8, s48
	s_or_b32 s8, s8, s1
	s_or_b32 s93, s93, s55
	s_cmp_gt_i32 s0, 0
	s_waitcnt lgkmcnt(0)
	s_barrier
	s_cbranch_scc1 .LBB10_170
; %bb.161:                              ;   in Loop: Header=BB10_8 Depth=1
	s_mov_b64 s[18:19], 0
                                        ; implicit-def: $vgpr25
	s_mov_b64 s[34:35], exec
	v_readlane_b32 s36, v42, 55
	v_readlane_b32 s37, v42, 56
	s_and_b64 s[36:37], s[34:35], s[36:37]
	s_mov_b64 exec, s[36:37]
	s_cbranch_execz .LBB10_172
; %bb.162:                              ;   in Loop: Header=BB10_8 Depth=1
	s_mov_b64 s[36:37], 0
	v_mov_b32_e32 v2, v9
	v_mov_b32_e32 v3, v0
                                        ; implicit-def: $sgpr38_sgpr39
	s_branch .LBB10_164
.LBB10_163:                             ;   in Loop: Header=BB10_164 Depth=2
	s_or_b64 exec, exec, s[18:19]
	s_waitcnt lgkmcnt(0)
	s_barrier
	s_waitcnt vmcnt(0)
	ds_read_u16 v4, v23 offset:3072
	v_add_u32_e32 v3, s70, v3
	v_cmp_le_i32_e32 vcc, s9, v3
	v_add_u32_e32 v2, s92, v2
	s_waitcnt lgkmcnt(0)
	v_cmp_ne_u16_sdwa s[18:19], v4, v23 src0_sel:BYTE_0 src1_sel:DWORD
	s_or_b64 s[40:41], vcc, s[18:19]
	s_and_b64 s[40:41], exec, s[40:41]
	s_or_b64 s[36:37], s[40:41], s[36:37]
	s_andn2_b64 s[38:39], s[38:39], exec
	s_and_b64 s[18:19], s[18:19], exec
	s_or_b64 s[38:39], s[38:39], s[18:19]
	s_barrier
	s_andn2_b64 exec, exec, s[36:37]
	s_cbranch_execz .LBB10_171
.LBB10_164:                             ;   Parent Loop BB10_8 Depth=1
                                        ; =>  This Inner Loop Header: Depth=2
	v_cmp_gt_i32_e32 vcc, s68, v3
	v_mov_b32_e32 v4, 0
	s_and_saveexec_b64 s[40:41], vcc
	s_cbranch_execz .LBB10_166
; %bb.165:                              ;   in Loop: Header=BB10_164 Depth=2
	v_ashrrev_i32_e32 v5, 31, v2
	v_mov_b32_e32 v25, s81
	v_add_co_u32_e64 v4, s[18:19], s80, v2
	v_addc_co_u32_e64 v5, s[18:19], v25, v5, s[18:19]
	global_load_ubyte v4, v[4:5], off
.LBB10_166:                             ;   in Loop: Header=BB10_164 Depth=2
	s_or_b64 exec, exec, s[40:41]
	s_and_saveexec_b64 s[18:19], vcc
	s_cbranch_execz .LBB10_163
; %bb.167:                              ;   in Loop: Header=BB10_164 Depth=2
	s_waitcnt vmcnt(0)
	v_add_u32_sdwa v5, sext(v4), s91 dst_sel:DWORD dst_unused:UNUSED_PAD src0_sel:BYTE_0 src1_sel:DWORD
	v_and_b32_e32 v5, s93, v5
	v_cmp_eq_u32_e32 vcc, s8, v5
	s_and_b64 exec, exec, vcc
	s_cbranch_execz .LBB10_163
; %bb.168:                              ;   in Loop: Header=BB10_164 Depth=2
	v_lshlrev_b16_e32 v4, 8, v4
	v_or_b32_e32 v4, 1, v4
	ds_write_b16 v23, v4 offset:3072
	s_branch .LBB10_163
.LBB10_169:                             ;   in Loop: Header=BB10_8 Depth=1
                                        ; implicit-def: $sgpr34_sgpr35
                                        ; implicit-def: $sgpr38_sgpr39
                                        ; implicit-def: $sgpr36_sgpr37
	s_branch .LBB10_183
.LBB10_170:                             ;   in Loop: Header=BB10_8 Depth=1
	s_mov_b64 s[34:35], -1
	s_mov_b64 s[18:19], 0
                                        ; implicit-def: $sgpr36_sgpr37
                                        ; implicit-def: $vgpr25
	s_mov_b64 s[38:39], s[34:35]
	s_cbranch_execnz .LBB10_173
	s_branch .LBB10_183
.LBB10_171:                             ;   in Loop: Header=BB10_8 Depth=1
	s_or_b64 exec, exec, s[36:37]
	v_lshrrev_b16_e32 v25, 8, v4
	s_and_b64 s[18:19], s[38:39], exec
.LBB10_172:                             ;   in Loop: Header=BB10_8 Depth=1
	s_or_b64 exec, exec, s[34:35]
	s_mov_b64 s[36:37], -1
	s_mov_b64 s[34:35], 0
	s_mov_b64 s[38:39], s[34:35]
	s_branch .LBB10_183
.LBB10_173:                             ;   in Loop: Header=BB10_8 Depth=1
	v_readlane_b32 s1, v42, 31
	s_add_i32 s1, s0, s1
	s_abs_i32 s19, s1
	v_readlane_b32 s34, v42, 54
	s_mul_hi_u32 s34, s19, s34
	s_mul_i32 s34, s34, s70
	s_sub_i32 s19, s19, s34
	s_ashr_i32 s18, s1, 31
	s_sub_i32 s34, s19, s70
	s_cmp_ge_u32 s19, s70
	s_cselect_b32 s19, s34, s19
	s_sub_i32 s34, s19, s70
	s_cmp_ge_u32 s19, s70
	s_cselect_b32 s19, s34, s19
	s_xor_b32 s19, s19, s18
	s_sub_i32 s18, s18, s19
	s_add_i32 s1, s1, s18
	v_cmp_gt_i32_e32 vcc, s1, v0
	s_mov_b64 s[18:19], 0
                                        ; implicit-def: $vgpr25
	s_and_saveexec_b64 s[34:35], vcc
	s_cbranch_execz .LBB10_182
; %bb.174:                              ;   in Loop: Header=BB10_8 Depth=1
	v_mov_b32_e32 v2, v0
                                        ; implicit-def: $sgpr36_sgpr37
	s_branch .LBB10_176
.LBB10_175:                             ;   in Loop: Header=BB10_176 Depth=2
	s_or_b64 exec, exec, s[38:39]
	s_waitcnt lgkmcnt(0)
	s_barrier
	ds_read_u16 v3, v23 offset:3072
	v_add_u32_e32 v2, s70, v2
	v_cmp_le_i32_e32 vcc, s1, v2
	s_waitcnt lgkmcnt(0)
	s_barrier
	v_cmp_ne_u16_sdwa s[38:39], v3, v23 src0_sel:BYTE_0 src1_sel:DWORD
	s_or_b64 s[40:41], vcc, s[38:39]
	s_and_b64 s[40:41], exec, s[40:41]
	s_or_b64 s[18:19], s[40:41], s[18:19]
	s_andn2_b64 s[36:37], s[36:37], exec
	s_and_b64 s[38:39], s[38:39], exec
	s_or_b64 s[36:37], s[36:37], s[38:39]
	s_andn2_b64 exec, exec, s[18:19]
	s_cbranch_execz .LBB10_181
.LBB10_176:                             ;   Parent Loop BB10_8 Depth=1
                                        ; =>  This Inner Loop Header: Depth=2
	v_cmp_gt_i32_e32 vcc, s0, v2
	v_mov_b32_e32 v3, 0
	s_and_saveexec_b64 s[38:39], vcc
	s_cbranch_execz .LBB10_178
; %bb.177:                              ;   in Loop: Header=BB10_176 Depth=2
	ds_read_u8 v3, v2
.LBB10_178:                             ;   in Loop: Header=BB10_176 Depth=2
	s_or_b64 exec, exec, s[38:39]
	s_and_saveexec_b64 s[38:39], vcc
	s_cbranch_execz .LBB10_175
; %bb.179:                              ;   in Loop: Header=BB10_176 Depth=2
	s_waitcnt lgkmcnt(0)
	v_add_u32_sdwa v4, sext(v3), s91 dst_sel:DWORD dst_unused:UNUSED_PAD src0_sel:BYTE_0 src1_sel:DWORD
	v_and_b32_e32 v4, s93, v4
	v_cmp_eq_u32_e32 vcc, s8, v4
	s_and_b64 exec, exec, vcc
	s_cbranch_execz .LBB10_175
; %bb.180:                              ;   in Loop: Header=BB10_176 Depth=2
	v_lshlrev_b16_e32 v3, 8, v3
	v_or_b32_e32 v3, 1, v3
	ds_write_b16 v23, v3 offset:3072
	s_branch .LBB10_175
.LBB10_181:                             ;   in Loop: Header=BB10_8 Depth=1
	s_or_b64 exec, exec, s[18:19]
	v_lshrrev_b16_e32 v25, 8, v3
	s_and_b64 s[18:19], s[36:37], exec
.LBB10_182:                             ;   in Loop: Header=BB10_8 Depth=1
	s_or_b64 exec, exec, s[34:35]
	s_mov_b64 s[38:39], -1
	s_mov_b64 s[34:35], 0
	s_mov_b64 s[36:37], 0
.LBB10_183:                             ;   in Loop: Header=BB10_8 Depth=1
	s_mov_b64 s[44:45], 0
                                        ; implicit-def: $sgpr57
	s_and_saveexec_b64 s[40:41], s[18:19]
	s_cbranch_execz .LBB10_238
; %bb.184:                              ;   in Loop: Header=BB10_8 Depth=1
	s_xor_b64 s[0:1], s[42:43], -1
	s_mov_b64 s[18:19], 0
	s_andn2_b64 vcc, exec, s[0:1]
	s_mov_b32 s56, 1
	s_cbranch_vccnz .LBB10_195
; %bb.185:                              ;   in Loop: Header=BB10_8 Depth=1
	s_cmp_gt_i32 s49, s46
	s_mov_b64 s[18:19], -1
                                        ; implicit-def: $sgpr57
                                        ; implicit-def: $sgpr0
                                        ; implicit-def: $sgpr1
	s_cbranch_scc1 .LBB10_191
; %bb.186:                              ;   in Loop: Header=BB10_8 Depth=1
	ds_read_b32 v2, v23 offset:4096
	s_waitcnt lgkmcnt(0)
	v_cmp_ne_u32_e32 vcc, 0, v2
	s_cbranch_vccnz .LBB10_190
; %bb.187:                              ;   in Loop: Header=BB10_8 Depth=1
	s_mov_b64 s[18:19], exec
	v_readlane_b32 s0, v42, 18
	v_readlane_b32 s1, v42, 19
	s_and_b64 s[0:1], s[18:19], s[0:1]
	s_mov_b64 exec, s[0:1]
	s_cbranch_execz .LBB10_189
; %bb.188:                              ;   in Loop: Header=BB10_8 Depth=1
	v_mov_b32_e32 v2, s46
	ds_write_b32 v23, v2 offset:4100
.LBB10_189:                             ;   in Loop: Header=BB10_8 Depth=1
	s_or_b64 exec, exec, s[18:19]
	s_waitcnt lgkmcnt(0)
	s_barrier
.LBB10_190:                             ;   in Loop: Header=BB10_8 Depth=1
	s_lshl_b32 s0, 2, s47
	s_and_b32 s1, s8, s48
	s_or_b32 s0, s1, s0
	s_or_b32 s1, s93, s55
	s_mov_b64 s[18:19], 0
	s_mov_b32 s57, 8
.LBB10_191:                             ;   in Loop: Header=BB10_8 Depth=1
	s_andn2_b64 vcc, exec, s[18:19]
	s_cbranch_vccnz .LBB10_193
; %bb.192:                              ;   in Loop: Header=BB10_8 Depth=1
	s_sub_i32 s49, s49, s46
	s_mov_b64 s[18:19], -1
	s_mov_b32 s57, 0
	s_mov_b32 s0, s8
	;; [unrolled: 1-line block ×3, first 2 shown]
.LBB10_193:                             ;   in Loop: Header=BB10_8 Depth=1
	s_mov_b32 s93, s1
	s_mov_b32 s8, s0
	;; [unrolled: 1-line block ×3, first 2 shown]
	s_andn2_b64 vcc, exec, s[18:19]
	s_mov_b64 s[52:53], -1
	s_cbranch_vccz .LBB10_196
.LBB10_194:                             ;   in Loop: Header=BB10_8 Depth=1
                                        ; implicit-def: $sgpr18_sgpr19
                                        ; implicit-def: $sgpr46_sgpr47
                                        ; implicit-def: $sgpr44_sgpr45
	s_branch .LBB10_237
.LBB10_195:                             ;   in Loop: Header=BB10_8 Depth=1
	s_mov_b32 s57, 1
	s_andn2_b64 vcc, exec, s[18:19]
	s_mov_b64 s[52:53], -1
	s_cbranch_vccnz .LBB10_194
.LBB10_196:                             ;   in Loop: Header=BB10_8 Depth=1
	s_cmp_eq_u32 s54, 1
	s_cselect_b64 s[0:1], -1, 0
	s_cmp_eq_u32 s56, 1
	s_cselect_b64 s[18:19], -1, 0
	s_and_b64 s[42:43], s[0:1], s[18:19]
	s_mov_b64 s[48:49], -1
	s_and_b64 vcc, exec, s[42:43]
	s_cbranch_vccz .LBB10_208
; %bb.197:                              ;   in Loop: Header=BB10_8 Depth=1
	ds_read_b32 v2, v23 offset:4096
	s_waitcnt lgkmcnt(0)
	s_barrier
	v_readfirstlane_b32 s0, v2
	s_and_saveexec_b64 s[18:19], s[4:5]
	s_cbranch_execz .LBB10_199
; %bb.198:                              ;   in Loop: Header=BB10_8 Depth=1
	ds_write_b8 v0, v23 offset:3072
.LBB10_199:                             ;   in Loop: Header=BB10_8 Depth=1
	s_or_b64 exec, exec, s[18:19]
	s_or_b32 s8, s8, s55
	s_or_b32 s93, s93, s55
	s_cmp_gt_i32 s0, 0
	s_waitcnt lgkmcnt(0)
	s_barrier
	s_cbranch_scc1 .LBB10_209
; %bb.200:                              ;   in Loop: Header=BB10_8 Depth=1
	s_mov_b64 s[48:49], 0
                                        ; implicit-def: $vgpr25
	s_mov_b64 s[44:45], exec
	v_readlane_b32 s18, v42, 55
	v_readlane_b32 s19, v42, 56
	s_and_b64 s[18:19], s[44:45], s[18:19]
	s_mov_b64 exec, s[18:19]
	s_cbranch_execz .LBB10_211
; %bb.201:                              ;   in Loop: Header=BB10_8 Depth=1
	s_mov_b64 s[46:47], 0
	v_mov_b32_e32 v2, v9
	v_mov_b32_e32 v3, v0
                                        ; implicit-def: $sgpr48_sgpr49
	s_branch .LBB10_203
.LBB10_202:                             ;   in Loop: Header=BB10_203 Depth=2
	s_or_b64 exec, exec, s[18:19]
	s_waitcnt lgkmcnt(0)
	s_barrier
	s_waitcnt vmcnt(0)
	ds_read_u16 v4, v23 offset:3072
	v_add_u32_e32 v3, s70, v3
	v_cmp_le_i32_e32 vcc, s9, v3
	v_add_u32_e32 v2, s92, v2
	s_waitcnt lgkmcnt(0)
	v_cmp_ne_u16_sdwa s[18:19], v4, v23 src0_sel:BYTE_0 src1_sel:DWORD
	s_or_b64 s[50:51], vcc, s[18:19]
	s_and_b64 s[50:51], exec, s[50:51]
	s_or_b64 s[46:47], s[50:51], s[46:47]
	s_andn2_b64 s[48:49], s[48:49], exec
	s_and_b64 s[18:19], s[18:19], exec
	s_or_b64 s[48:49], s[48:49], s[18:19]
	s_barrier
	s_andn2_b64 exec, exec, s[46:47]
	s_cbranch_execz .LBB10_210
.LBB10_203:                             ;   Parent Loop BB10_8 Depth=1
                                        ; =>  This Inner Loop Header: Depth=2
	v_cmp_gt_i32_e32 vcc, s68, v3
	v_mov_b32_e32 v4, 0
	s_and_saveexec_b64 s[50:51], vcc
	s_cbranch_execz .LBB10_205
; %bb.204:                              ;   in Loop: Header=BB10_203 Depth=2
	v_ashrrev_i32_e32 v5, 31, v2
	v_mov_b32_e32 v25, s81
	v_add_co_u32_e64 v4, s[18:19], s80, v2
	v_addc_co_u32_e64 v5, s[18:19], v25, v5, s[18:19]
	global_load_ubyte v4, v[4:5], off
.LBB10_205:                             ;   in Loop: Header=BB10_203 Depth=2
	s_or_b64 exec, exec, s[50:51]
	s_and_saveexec_b64 s[18:19], vcc
	s_cbranch_execz .LBB10_202
; %bb.206:                              ;   in Loop: Header=BB10_203 Depth=2
	s_waitcnt vmcnt(0)
	v_add_u32_sdwa v5, sext(v4), s91 dst_sel:DWORD dst_unused:UNUSED_PAD src0_sel:BYTE_0 src1_sel:DWORD
	v_and_b32_e32 v5, s93, v5
	v_cmp_eq_u32_e32 vcc, s8, v5
	s_and_b64 exec, exec, vcc
	s_cbranch_execz .LBB10_202
; %bb.207:                              ;   in Loop: Header=BB10_203 Depth=2
	v_lshlrev_b16_e32 v4, 8, v4
	v_or_b32_e32 v4, 1, v4
	ds_write_b16 v23, v4 offset:3072
	s_branch .LBB10_202
.LBB10_208:                             ;   in Loop: Header=BB10_8 Depth=1
                                        ; implicit-def: $sgpr18_sgpr19
                                        ; implicit-def: $sgpr46_sgpr47
                                        ; implicit-def: $sgpr44_sgpr45
	s_branch .LBB10_222
.LBB10_209:                             ;   in Loop: Header=BB10_8 Depth=1
	s_mov_b64 s[18:19], -1
	s_mov_b64 s[48:49], 0
                                        ; implicit-def: $sgpr44_sgpr45
                                        ; implicit-def: $vgpr25
	s_mov_b64 s[46:47], s[18:19]
	s_cbranch_execnz .LBB10_212
	s_branch .LBB10_222
.LBB10_210:                             ;   in Loop: Header=BB10_8 Depth=1
	s_or_b64 exec, exec, s[46:47]
	v_lshrrev_b16_e32 v25, 8, v4
	s_and_b64 s[48:49], s[48:49], exec
.LBB10_211:                             ;   in Loop: Header=BB10_8 Depth=1
	s_or_b64 exec, exec, s[44:45]
	s_mov_b64 s[44:45], -1
	s_mov_b64 s[18:19], 0
	s_mov_b64 s[46:47], s[18:19]
	s_branch .LBB10_222
.LBB10_212:                             ;   in Loop: Header=BB10_8 Depth=1
	v_readlane_b32 s1, v42, 31
	s_add_i32 s1, s0, s1
	s_abs_i32 s19, s1
	v_readlane_b32 s44, v42, 54
	s_mul_hi_u32 s44, s19, s44
	s_mul_i32 s44, s44, s70
	s_sub_i32 s19, s19, s44
	s_ashr_i32 s18, s1, 31
	s_sub_i32 s44, s19, s70
	s_cmp_ge_u32 s19, s70
	s_cselect_b32 s19, s44, s19
	s_sub_i32 s44, s19, s70
	s_cmp_ge_u32 s19, s70
	s_cselect_b32 s19, s44, s19
	s_xor_b32 s19, s19, s18
	s_sub_i32 s18, s18, s19
	s_add_i32 s1, s1, s18
	v_cmp_gt_i32_e32 vcc, s1, v0
	s_mov_b64 s[48:49], 0
                                        ; implicit-def: $vgpr25
	s_and_saveexec_b64 s[18:19], vcc
	s_cbranch_execz .LBB10_221
; %bb.213:                              ;   in Loop: Header=BB10_8 Depth=1
	s_mov_b64 s[44:45], 0
	v_mov_b32_e32 v2, v0
                                        ; implicit-def: $sgpr46_sgpr47
	s_branch .LBB10_215
.LBB10_214:                             ;   in Loop: Header=BB10_215 Depth=2
	s_or_b64 exec, exec, s[48:49]
	s_waitcnt lgkmcnt(0)
	s_barrier
	ds_read_u16 v3, v23 offset:3072
	v_add_u32_e32 v2, s70, v2
	v_cmp_le_i32_e32 vcc, s1, v2
	s_waitcnt lgkmcnt(0)
	s_barrier
	v_cmp_ne_u16_sdwa s[48:49], v3, v23 src0_sel:BYTE_0 src1_sel:DWORD
	s_or_b64 s[50:51], vcc, s[48:49]
	s_and_b64 s[50:51], exec, s[50:51]
	s_or_b64 s[44:45], s[50:51], s[44:45]
	s_andn2_b64 s[46:47], s[46:47], exec
	s_and_b64 s[48:49], s[48:49], exec
	s_or_b64 s[46:47], s[46:47], s[48:49]
	s_andn2_b64 exec, exec, s[44:45]
	s_cbranch_execz .LBB10_220
.LBB10_215:                             ;   Parent Loop BB10_8 Depth=1
                                        ; =>  This Inner Loop Header: Depth=2
	v_cmp_gt_i32_e32 vcc, s0, v2
	v_mov_b32_e32 v3, 0
	s_and_saveexec_b64 s[48:49], vcc
	s_cbranch_execz .LBB10_217
; %bb.216:                              ;   in Loop: Header=BB10_215 Depth=2
	ds_read_u8 v3, v2
.LBB10_217:                             ;   in Loop: Header=BB10_215 Depth=2
	s_or_b64 exec, exec, s[48:49]
	s_and_saveexec_b64 s[48:49], vcc
	s_cbranch_execz .LBB10_214
; %bb.218:                              ;   in Loop: Header=BB10_215 Depth=2
	s_waitcnt lgkmcnt(0)
	v_add_u32_sdwa v4, sext(v3), s91 dst_sel:DWORD dst_unused:UNUSED_PAD src0_sel:BYTE_0 src1_sel:DWORD
	v_and_b32_e32 v4, s93, v4
	v_cmp_eq_u32_e32 vcc, s8, v4
	s_and_b64 exec, exec, vcc
	s_cbranch_execz .LBB10_214
; %bb.219:                              ;   in Loop: Header=BB10_215 Depth=2
	v_lshlrev_b16_e32 v3, 8, v3
	v_or_b32_e32 v3, 1, v3
	ds_write_b16 v23, v3 offset:3072
	s_branch .LBB10_214
.LBB10_220:                             ;   in Loop: Header=BB10_8 Depth=1
	s_or_b64 exec, exec, s[44:45]
	v_lshrrev_b16_e32 v25, 8, v3
	s_and_b64 s[48:49], s[46:47], exec
.LBB10_221:                             ;   in Loop: Header=BB10_8 Depth=1
	s_or_b64 exec, exec, s[18:19]
	s_mov_b64 s[46:47], -1
	s_mov_b64 s[18:19], 0
	s_mov_b64 s[44:45], 0
.LBB10_222:                             ;   in Loop: Header=BB10_8 Depth=1
	s_mov_b64 s[52:53], 0
                                        ; implicit-def: $sgpr57
	s_and_saveexec_b64 s[50:51], s[48:49]
	s_cbranch_execz .LBB10_236
; %bb.223:                              ;   in Loop: Header=BB10_8 Depth=1
	s_xor_b64 s[0:1], s[42:43], -1
	s_andn2_b64 vcc, exec, s[0:1]
	s_mov_b32 s57, 1
	s_cbranch_vccnz .LBB10_230
; %bb.224:                              ;   in Loop: Header=BB10_8 Depth=1
	s_cmp_gt_i32 s56, s54
	s_cbranch_scc1 .LBB10_231
; %bb.225:                              ;   in Loop: Header=BB10_8 Depth=1
	ds_read_b32 v2, v23 offset:4096
	s_waitcnt lgkmcnt(0)
	v_cmp_ne_u32_e32 vcc, 0, v2
	s_cbranch_vccnz .LBB10_229
; %bb.226:                              ;   in Loop: Header=BB10_8 Depth=1
	s_mov_b64 s[42:43], exec
	v_readlane_b32 s0, v42, 18
	v_readlane_b32 s1, v42, 19
	s_and_b64 s[0:1], s[42:43], s[0:1]
	s_mov_b64 exec, s[0:1]
	s_cbranch_execz .LBB10_228
; %bb.227:                              ;   in Loop: Header=BB10_8 Depth=1
	v_mov_b32_e32 v2, s54
	ds_write_b32 v23, v2 offset:4100
.LBB10_228:                             ;   in Loop: Header=BB10_8 Depth=1
	s_or_b64 exec, exec, s[42:43]
	s_waitcnt lgkmcnt(0)
	s_barrier
.LBB10_229:                             ;   in Loop: Header=BB10_8 Depth=1
	s_or_b32 s0, s8, s55
	s_or_b32 s1, s93, s55
	s_mov_b64 s[42:43], 0
	s_mov_b32 s57, 8
	s_branch .LBB10_232
.LBB10_230:                             ;   in Loop: Header=BB10_8 Depth=1
	s_mov_b32 s56, 1
	s_branch .LBB10_235
.LBB10_231:                             ;   in Loop: Header=BB10_8 Depth=1
	s_mov_b64 s[42:43], -1
                                        ; implicit-def: $sgpr57
                                        ; implicit-def: $sgpr0
                                        ; implicit-def: $sgpr1
.LBB10_232:                             ;   in Loop: Header=BB10_8 Depth=1
	s_andn2_b64 vcc, exec, s[42:43]
	s_cbranch_vccnz .LBB10_234
; %bb.233:                              ;   in Loop: Header=BB10_8 Depth=1
	s_sub_i32 s56, s56, s54
	s_mov_b32 s57, 8
	s_mov_b32 s0, s8
	s_mov_b32 s1, s93
.LBB10_234:                             ;   in Loop: Header=BB10_8 Depth=1
	s_mov_b32 s8, s0
	s_mov_b32 s93, s1
.LBB10_235:                             ;   in Loop: Header=BB10_8 Depth=1
	s_mov_b64 s[52:53], exec
.LBB10_236:                             ;   in Loop: Header=BB10_8 Depth=1
	s_or_b64 exec, exec, s[50:51]
.LBB10_237:                             ;   in Loop: Header=BB10_8 Depth=1
	s_andn2_b64 s[0:1], s[34:35], exec
	s_and_b64 s[18:19], s[18:19], exec
	s_or_b64 s[34:35], s[0:1], s[18:19]
	s_andn2_b64 s[0:1], s[38:39], exec
	s_and_b64 s[18:19], s[46:47], exec
	s_or_b64 s[38:39], s[0:1], s[18:19]
	;; [unrolled: 3-line block ×3, first 2 shown]
	s_and_b64 s[44:45], s[52:53], exec
	s_mov_b32 s49, s56
.LBB10_238:                             ;   in Loop: Header=BB10_8 Depth=1
	s_or_b64 exec, exec, s[40:41]
.LBB10_239:                             ;   in Loop: Header=BB10_8 Depth=1
	s_andn2_b64 s[0:1], s[26:27], exec
	s_and_b64 s[18:19], s[34:35], exec
	s_or_b64 s[26:27], s[0:1], s[18:19]
	s_andn2_b64 s[0:1], s[28:29], exec
	s_and_b64 s[18:19], s[38:39], exec
	s_or_b64 s[28:29], s[0:1], s[18:19]
	;; [unrolled: 3-line block ×3, first 2 shown]
	s_and_b64 s[36:37], s[44:45], exec
	s_mov_b32 s39, s49
.LBB10_240:                             ;   in Loop: Header=BB10_8 Depth=1
	s_or_b64 exec, exec, s[30:31]
	s_and_saveexec_b64 s[0:1], s[36:37]
	s_xor_b64 s[18:19], exec, s[0:1]
	s_cbranch_execz .LBB10_6
.LBB10_241:                             ;   in Loop: Header=BB10_8 Depth=1
	s_and_b32 s0, s57, -9
	s_cmp_eq_u32 s0, 0
	s_cbranch_scc1 .LBB10_4
; %bb.242:                              ;   in Loop: Header=BB10_8 Depth=1
	s_mov_b64 s[22:23], -1
                                        ; implicit-def: $sgpr93
                                        ; implicit-def: $sgpr39
                                        ; implicit-def: $sgpr16
                                        ; implicit-def: $sgpr17
	s_mov_b64 s[30:31], -1
	s_branch .LBB10_5
.LBB10_243:
	s_or_b64 exec, exec, s[60:61]
	s_xor_b64 s[8:9], s[66:67], -1
	s_xor_b64 s[0:1], s[62:63], -1
	;; [unrolled: 1-line block ×3, first 2 shown]
	s_mov_b64 s[4:5], 0
	s_and_saveexec_b64 s[2:3], s[0:1]
	s_xor_b64 s[2:3], exec, s[2:3]
	s_cbranch_execnz .LBB10_248
; %bb.244:
	s_andn2_saveexec_b64 s[0:1], s[2:3]
	s_cbranch_execnz .LBB10_268
.LBB10_245:
	s_or_b64 exec, exec, s[0:1]
	s_and_saveexec_b64 s[0:1], s[4:5]
.LBB10_246:
	; divergent unreachable
.LBB10_247:
	s_endpgm
.LBB10_248:
	s_and_saveexec_b64 s[0:1], s[8:9]
	s_xor_b64 s[4:5], exec, s[0:1]
	s_cbranch_execz .LBB10_266
; %bb.249:
	s_and_saveexec_b64 s[0:1], s[6:7]
	s_xor_b64 s[6:7], exec, s[0:1]
; %bb.250:
	v_xor_b32_e32 v25, 0xffffff80, v2
; %bb.251:
	s_or_b64 exec, exec, s[6:7]
	s_mov_b64 s[6:7], exec
	v_readlane_b32 s0, v42, 18
	v_readlane_b32 s1, v42, 19
	;; [unrolled: 1-line block ×4, first 2 shown]
	s_and_b64 s[0:1], s[6:7], s[0:1]
	v_readlane_b32 s18, v42, 30
	v_readlane_b32 s21, v42, 23
	;; [unrolled: 1-line block ×5, first 2 shown]
	s_mov_b64 exec, s[0:1]
	s_cbranch_execz .LBB10_253
; %bb.252:
	v_mov_b32_e32 v1, 0
	v_mov_b32_e32 v2, s68
	ds_write_b32 v1, v2 offset:4108
.LBB10_253:
	s_or_b64 exec, exec, s[6:7]
	v_mov_b32_e32 v1, 0
	s_waitcnt lgkmcnt(0)
	s_barrier
	ds_read_b32 v1, v1 offset:4108
	s_waitcnt lgkmcnt(0)
	v_min_i32_e32 v2, s68, v1
	v_cmp_lt_i32_e32 vcc, v0, v2
	s_and_saveexec_b64 s[6:7], vcc
	s_cbranch_execz .LBB10_263
; %bb.254:
	s_mov_b64 s[8:9], 0
	v_mov_b32_e32 v3, s81
                                        ; implicit-def: $sgpr10_sgpr11
                                        ; implicit-def: $sgpr14_sgpr15
                                        ; implicit-def: $sgpr12_sgpr13
	s_branch .LBB10_256
.LBB10_255:                             ;   in Loop: Header=BB10_256 Depth=1
	s_or_b64 exec, exec, s[16:17]
	s_and_b64 s[0:1], exec, s[14:15]
	s_or_b64 s[8:9], s[0:1], s[8:9]
	s_andn2_b64 s[0:1], s[10:11], exec
	s_and_b64 s[10:11], s[12:13], exec
	s_or_b64 s[10:11], s[0:1], s[10:11]
	s_andn2_b64 exec, exec, s[8:9]
	s_cbranch_execz .LBB10_258
.LBB10_256:                             ; =>This Inner Loop Header: Depth=1
	v_ashrrev_i32_e32 v1, 31, v9
	v_add_co_u32_e32 v4, vcc, s80, v9
	v_addc_co_u32_e32 v5, vcc, v3, v1, vcc
	global_load_ubyte v4, v[4:5], off
	v_mov_b32_e32 v1, v0
	s_or_b64 s[12:13], s[12:13], exec
	s_or_b64 s[14:15], s[14:15], exec
                                        ; implicit-def: $vgpr0
	s_waitcnt vmcnt(0)
	v_cmp_ne_u16_sdwa s[0:1], v4, v25 src0_sel:DWORD src1_sel:BYTE_0
	s_and_saveexec_b64 s[16:17], s[0:1]
	s_cbranch_execz .LBB10_255
; %bb.257:                              ;   in Loop: Header=BB10_256 Depth=1
	v_add_u32_e32 v0, s70, v1
	v_cmp_ge_i32_e32 vcc, v0, v2
	s_andn2_b64 s[0:1], s[14:15], exec
	s_and_b64 s[14:15], vcc, exec
	v_add_u32_e32 v9, s92, v9
	s_andn2_b64 s[12:13], s[12:13], exec
	s_or_b64 s[14:15], s[0:1], s[14:15]
	s_branch .LBB10_255
.LBB10_258:
	s_or_b64 exec, exec, s[8:9]
	s_and_saveexec_b64 s[0:1], s[10:11]
	s_xor_b64 s[0:1], exec, s[0:1]
	s_cbranch_execz .LBB10_263
; %bb.259:
	s_mov_b64 s[8:9], exec
	s_brev_b32 s0, -2
.LBB10_260:                             ; =>This Inner Loop Header: Depth=1
	s_ff1_i32_b64 s1, s[8:9]
	v_readlane_b32 s12, v1, s1
	s_lshl_b64 s[10:11], 1, s1
	s_min_i32 s0, s0, s12
	s_andn2_b64 s[8:9], s[8:9], s[10:11]
	s_cmp_lg_u64 s[8:9], 0
	s_cbranch_scc1 .LBB10_260
; %bb.261:
	v_mbcnt_lo_u32_b32 v0, exec_lo, 0
	v_mbcnt_hi_u32_b32 v0, exec_hi, v0
	v_cmp_eq_u32_e32 vcc, 0, v0
	s_and_saveexec_b64 s[8:9], vcc
	s_xor_b64 s[8:9], exec, s[8:9]
	s_cbranch_execz .LBB10_263
; %bb.262:
	v_mov_b32_e32 v0, 0
	v_mov_b32_e32 v1, s0
	ds_min_i32 v0, v1 offset:4108
.LBB10_263:
	s_or_b64 exec, exec, s[6:7]
	s_waitcnt lgkmcnt(0)
	s_barrier
	s_mov_b64 s[6:7], exec
	v_readlane_b32 s0, v42, 18
	v_readlane_b32 s1, v42, 19
	s_and_b64 s[0:1], s[6:7], s[0:1]
	s_mov_b64 exec, s[0:1]
	s_cbranch_execz .LBB10_265
; %bb.264:
	v_readlane_b32 s8, v42, 0
	s_mul_i32 s0, s19, s21
	v_readlane_b32 s10, v42, 2
	s_sub_i32 s0, s18, s0
	v_readlane_b32 s9, v42, 1
	v_readlane_b32 s11, v42, 3
	s_mov_b32 s14, s10
	s_mov_b64 s[12:13], s[8:9]
	s_mul_i32 s0, s0, s14
	v_readlane_b32 s1, v42, 21
	v_readlane_b32 s8, v42, 24
	;; [unrolled: 1-line block ×4, first 2 shown]
	s_xor_b32 s1, s1, s8
	s_mul_i32 s8, s14, s11
	v_readlane_b32 s9, v42, 13
	s_sub_i32 s8, s9, s8
	s_add_i32 s9, s14, 1
	s_sub_i32 s10, s8, s11
	s_cmp_ge_u32 s8, s11
	s_cselect_b32 s9, s9, s14
	s_cselect_b32 s8, s10, s8
	s_add_i32 s10, s9, 1
	s_cmp_ge_u32 s8, s11
	s_cselect_b32 s8, s10, s9
	s_xor_b32 s8, s8, s1
	s_sub_i32 s1, s8, s1
	s_mul_i32 s8, s1, s20
	s_sub_i32 s8, s19, s8
	s_mul_i32 s8, s8, s13
	s_add_i32 s0, s8, s0
	s_mul_i32 s1, s1, s12
	v_readlane_b32 s8, v42, 4
	s_add_i32 s1, s0, s1
	s_mul_i32 s0, s24, s23
	v_readlane_b32 s10, v42, 6
	s_sub_i32 s0, s18, s0
	v_readlane_b32 s9, v42, 5
	s_mov_b32 s14, s10
	s_mov_b64 s[12:13], s[8:9]
	s_mul_i32 s0, s0, s14
	v_readlane_b32 s8, v42, 26
	v_readlane_b32 s9, v42, 29
	;; [unrolled: 1-line block ×4, first 2 shown]
	s_xor_b32 s8, s8, s9
	s_mul_i32 s9, s15, s14
	v_readlane_b32 s10, v42, 16
	v_readlane_b32 s11, v42, 7
	s_sub_i32 s9, s10, s9
	s_add_i32 s10, s15, 1
	s_sub_i32 s11, s9, s14
	s_cmp_ge_u32 s9, s14
	s_cselect_b32 s10, s10, s15
	s_cselect_b32 s9, s11, s9
	s_add_i32 s11, s10, 1
	s_cmp_ge_u32 s9, s14
	s_cselect_b32 s9, s11, s10
	s_xor_b32 s9, s9, s8
	s_sub_i32 s8, s9, s8
	s_mul_i32 s9, s8, s22
	s_sub_i32 s9, s24, s9
	s_mul_i32 s9, s9, s13
	s_add_i32 s0, s9, s0
	s_mul_i32 s8, s8, s12
	v_mov_b32_e32 v2, 0
	s_add_i32 s0, s0, s8
	s_ashr_i32 s9, s1, 31
	v_readlane_b32 s10, v42, 11
	ds_read_b32 v0, v2 offset:4108
	v_readlane_b32 s11, v42, 12
	s_add_u32 s8, s10, s1
	s_addc_u32 s9, s11, s9
	s_ashr_i32 s1, s0, 31
	s_lshl_b64 s[0:1], s[0:1], 3
	v_readlane_b32 s10, v42, 8
	v_readlane_b32 s11, v42, 9
	s_add_u32 s0, s10, s0
	s_addc_u32 s1, s11, s1
	s_waitcnt lgkmcnt(0)
	v_ashrrev_i32_e32 v1, 31, v0
	global_store_dwordx2 v2, v[0:1], s[0:1]
	global_store_byte v2, v25, s[8:9]
.LBB10_265:
	s_or_b64 exec, exec, s[6:7]
.LBB10_266:
	s_or_saveexec_b64 s[0:1], s[4:5]
	s_mov_b64 s[4:5], 0
	s_xor_b64 exec, exec, s[0:1]
	s_cbranch_execnz .LBB10_269
.LBB10_267:
	s_or_b64 exec, exec, s[0:1]
	s_and_b64 s[4:5], s[4:5], exec
	s_andn2_saveexec_b64 s[0:1], s[2:3]
	s_cbranch_execz .LBB10_245
.LBB10_268:
	s_or_b64 s[4:5], s[4:5], exec
	s_trap 2
	s_or_b64 exec, exec, s[0:1]
	s_and_saveexec_b64 s[0:1], s[4:5]
	s_cbranch_execnz .LBB10_246
	s_branch .LBB10_247
.LBB10_269:
	s_mov_b64 s[4:5], exec
	s_trap 2
	s_branch .LBB10_267
	.section	.rodata,"a",@progbits
	.p2align	6, 0x0
	.amdhsa_kernel _ZN2at6native12_GLOBAL__N_114gatherKthValueIaiLi3EEEvNS_4cuda6detail10TensorInfoIKT_T0_EES8_S8_S8_S8_NS5_IS6_S8_EENS5_IlS8_EE
		.amdhsa_group_segment_fixed_size 4112
		.amdhsa_private_segment_fixed_size 0
		.amdhsa_kernarg_size 920
		.amdhsa_user_sgpr_count 6
		.amdhsa_user_sgpr_private_segment_buffer 1
		.amdhsa_user_sgpr_dispatch_ptr 0
		.amdhsa_user_sgpr_queue_ptr 0
		.amdhsa_user_sgpr_kernarg_segment_ptr 1
		.amdhsa_user_sgpr_dispatch_id 0
		.amdhsa_user_sgpr_flat_scratch_init 0
		.amdhsa_user_sgpr_kernarg_preload_length 0
		.amdhsa_user_sgpr_kernarg_preload_offset 0
		.amdhsa_user_sgpr_private_segment_size 0
		.amdhsa_uses_dynamic_stack 0
		.amdhsa_system_sgpr_private_segment_wavefront_offset 0
		.amdhsa_system_sgpr_workgroup_id_x 1
		.amdhsa_system_sgpr_workgroup_id_y 1
		.amdhsa_system_sgpr_workgroup_id_z 1
		.amdhsa_system_sgpr_workgroup_info 0
		.amdhsa_system_vgpr_workitem_id 0
		.amdhsa_next_free_vgpr 43
		.amdhsa_next_free_sgpr 96
		.amdhsa_accum_offset 44
		.amdhsa_reserve_vcc 1
		.amdhsa_reserve_flat_scratch 0
		.amdhsa_float_round_mode_32 0
		.amdhsa_float_round_mode_16_64 0
		.amdhsa_float_denorm_mode_32 3
		.amdhsa_float_denorm_mode_16_64 3
		.amdhsa_dx10_clamp 1
		.amdhsa_ieee_mode 1
		.amdhsa_fp16_overflow 0
		.amdhsa_tg_split 0
		.amdhsa_exception_fp_ieee_invalid_op 0
		.amdhsa_exception_fp_denorm_src 0
		.amdhsa_exception_fp_ieee_div_zero 0
		.amdhsa_exception_fp_ieee_overflow 0
		.amdhsa_exception_fp_ieee_underflow 0
		.amdhsa_exception_fp_ieee_inexact 0
		.amdhsa_exception_int_div_zero 0
	.end_amdhsa_kernel
	.section	.text._ZN2at6native12_GLOBAL__N_114gatherKthValueIaiLi3EEEvNS_4cuda6detail10TensorInfoIKT_T0_EES8_S8_S8_S8_NS5_IS6_S8_EENS5_IlS8_EE,"axG",@progbits,_ZN2at6native12_GLOBAL__N_114gatherKthValueIaiLi3EEEvNS_4cuda6detail10TensorInfoIKT_T0_EES8_S8_S8_S8_NS5_IS6_S8_EENS5_IlS8_EE,comdat
.Lfunc_end10:
	.size	_ZN2at6native12_GLOBAL__N_114gatherKthValueIaiLi3EEEvNS_4cuda6detail10TensorInfoIKT_T0_EES8_S8_S8_S8_NS5_IS6_S8_EENS5_IlS8_EE, .Lfunc_end10-_ZN2at6native12_GLOBAL__N_114gatherKthValueIaiLi3EEEvNS_4cuda6detail10TensorInfoIKT_T0_EES8_S8_S8_S8_NS5_IS6_S8_EENS5_IlS8_EE
                                        ; -- End function
	.section	.AMDGPU.csdata,"",@progbits
; Kernel info:
; codeLenInByte = 10720
; NumSgprs: 100
; NumVgprs: 43
; NumAgprs: 0
; TotalNumVgprs: 43
; ScratchSize: 0
; MemoryBound: 0
; FloatMode: 240
; IeeeMode: 1
; LDSByteSize: 4112 bytes/workgroup (compile time only)
; SGPRBlocks: 12
; VGPRBlocks: 5
; NumSGPRsForWavesPerEU: 100
; NumVGPRsForWavesPerEU: 43
; AccumOffset: 44
; Occupancy: 8
; WaveLimiterHint : 1
; COMPUTE_PGM_RSRC2:SCRATCH_EN: 0
; COMPUTE_PGM_RSRC2:USER_SGPR: 6
; COMPUTE_PGM_RSRC2:TRAP_HANDLER: 0
; COMPUTE_PGM_RSRC2:TGID_X_EN: 1
; COMPUTE_PGM_RSRC2:TGID_Y_EN: 1
; COMPUTE_PGM_RSRC2:TGID_Z_EN: 1
; COMPUTE_PGM_RSRC2:TIDIG_COMP_CNT: 0
; COMPUTE_PGM_RSRC3_GFX90A:ACCUM_OFFSET: 10
; COMPUTE_PGM_RSRC3_GFX90A:TG_SPLIT: 0
	.section	.text._ZN2at6native12_GLOBAL__N_114gatherKthValueIaiLin1EEEvNS_4cuda6detail10TensorInfoIKT_T0_EES8_S8_S8_S8_NS5_IS6_S8_EENS5_IlS8_EE,"axG",@progbits,_ZN2at6native12_GLOBAL__N_114gatherKthValueIaiLin1EEEvNS_4cuda6detail10TensorInfoIKT_T0_EES8_S8_S8_S8_NS5_IS6_S8_EENS5_IlS8_EE,comdat
	.globl	_ZN2at6native12_GLOBAL__N_114gatherKthValueIaiLin1EEEvNS_4cuda6detail10TensorInfoIKT_T0_EES8_S8_S8_S8_NS5_IS6_S8_EENS5_IlS8_EE ; -- Begin function _ZN2at6native12_GLOBAL__N_114gatherKthValueIaiLin1EEEvNS_4cuda6detail10TensorInfoIKT_T0_EES8_S8_S8_S8_NS5_IS6_S8_EENS5_IlS8_EE
	.p2align	8
	.type	_ZN2at6native12_GLOBAL__N_114gatherKthValueIaiLin1EEEvNS_4cuda6detail10TensorInfoIKT_T0_EES8_S8_S8_S8_NS5_IS6_S8_EENS5_IlS8_EE,@function
_ZN2at6native12_GLOBAL__N_114gatherKthValueIaiLin1EEEvNS_4cuda6detail10TensorInfoIKT_T0_EES8_S8_S8_S8_NS5_IS6_S8_EENS5_IlS8_EE: ; @_ZN2at6native12_GLOBAL__N_114gatherKthValueIaiLin1EEEvNS_4cuda6detail10TensorInfoIKT_T0_EES8_S8_S8_S8_NS5_IS6_S8_EENS5_IlS8_EE
; %bb.0:
	s_load_dwordx2 s[12:13], s[4:5], 0x298
	s_load_dwordx4 s[60:63], s[4:5], 0xd8
	s_add_u32 s10, s4, 0x298
	s_addc_u32 s11, s5, 0
	s_waitcnt lgkmcnt(0)
	s_mul_i32 s0, s13, s8
	s_add_i32 s0, s0, s7
	s_mul_i32 s0, s0, s12
	s_add_i32 s33, s0, s6
	s_cmp_ge_i32 s33, s62
	s_cbranch_scc1 .LBB11_256
; %bb.1:
	s_load_dword s0, s[4:5], 0xd0
	s_mov_b32 s3, 0
	s_mov_b32 s2, s33
	s_waitcnt lgkmcnt(0)
	s_cmp_lt_i32 s0, 2
	s_cbranch_scc1 .LBB11_4
; %bb.2:
	s_add_i32 s2, s0, -1
	s_add_i32 s7, s0, 1
	s_lshl_b64 s[0:1], s[2:3], 2
	s_add_u32 s0, s0, s4
	s_addc_u32 s1, s1, s5
	s_add_u32 s0, s0, 8
	s_addc_u32 s1, s1, 0
	s_mov_b32 s2, s33
.LBB11_3:                               ; =>This Inner Loop Header: Depth=1
	s_load_dword s8, s[0:1], 0x0
	s_load_dword s13, s[0:1], 0x64
	s_mov_b32 s9, s2
	s_abs_i32 s2, s2
	s_waitcnt lgkmcnt(0)
	s_abs_i32 s15, s8
	v_cvt_f32_u32_e32 v1, s15
	s_sub_i32 s16, 0, s15
	s_xor_b32 s14, s9, s8
	s_ashr_i32 s14, s14, 31
	v_rcp_iflag_f32_e32 v1, v1
	v_mul_f32_e32 v1, 0x4f7ffffe, v1
	v_cvt_u32_f32_e32 v1, v1
	v_readfirstlane_b32 s17, v1
	s_mul_i32 s16, s16, s17
	s_mul_hi_u32 s16, s17, s16
	s_add_i32 s17, s17, s16
	s_mul_hi_u32 s16, s2, s17
	s_mul_i32 s17, s16, s15
	s_sub_i32 s2, s2, s17
	s_add_i32 s18, s16, 1
	s_sub_i32 s17, s2, s15
	s_cmp_ge_u32 s2, s15
	s_cselect_b32 s16, s18, s16
	s_cselect_b32 s2, s17, s2
	s_add_i32 s17, s16, 1
	s_cmp_ge_u32 s2, s15
	s_cselect_b32 s2, s17, s16
	s_xor_b32 s2, s2, s14
	s_sub_i32 s2, s2, s14
	s_mul_i32 s8, s2, s8
	s_sub_i32 s8, s9, s8
	s_mul_i32 s8, s13, s8
	s_add_i32 s7, s7, -1
	s_add_i32 s3, s8, s3
	s_add_u32 s0, s0, -4
	s_addc_u32 s1, s1, -1
	s_cmp_gt_u32 s7, 2
	s_cbranch_scc1 .LBB11_3
.LBB11_4:
	s_load_dword s8, s[4:5], 0x1b8
	s_add_u32 s0, s4, 0xe8
	s_addc_u32 s1, s5, 0
	s_mov_b32 s65, 0
	s_mov_b32 s62, s33
	s_waitcnt lgkmcnt(0)
	s_cmp_lt_i32 s8, 2
	s_cbranch_scc1 .LBB11_7
; %bb.5:
	s_add_i32 s64, s8, -1
	s_add_i32 s7, s8, 1
	s_lshl_b64 s[8:9], s[64:65], 2
	s_add_u32 s8, s8, s0
	s_addc_u32 s9, s9, s1
	s_add_u32 s8, s8, 8
	s_addc_u32 s9, s9, 0
	s_mov_b32 s62, s33
.LBB11_6:                               ; =>This Inner Loop Header: Depth=1
	s_load_dword s13, s[8:9], 0x0
	s_load_dword s15, s[8:9], 0x64
	s_abs_i32 s16, s62
	s_mov_b32 s14, s62
	s_waitcnt lgkmcnt(0)
	s_abs_i32 s18, s13
	v_cvt_f32_u32_e32 v1, s18
	s_sub_i32 s19, 0, s18
	s_xor_b32 s17, s62, s13
	s_ashr_i32 s17, s17, 31
	v_rcp_iflag_f32_e32 v1, v1
	v_mul_f32_e32 v1, 0x4f7ffffe, v1
	v_cvt_u32_f32_e32 v1, v1
	v_readfirstlane_b32 s20, v1
	s_mul_i32 s19, s19, s20
	s_mul_hi_u32 s19, s20, s19
	s_add_i32 s20, s20, s19
	s_mul_hi_u32 s19, s16, s20
	s_mul_i32 s20, s19, s18
	s_sub_i32 s16, s16, s20
	s_add_i32 s21, s19, 1
	s_sub_i32 s20, s16, s18
	s_cmp_ge_u32 s16, s18
	s_cselect_b32 s19, s21, s19
	s_cselect_b32 s16, s20, s16
	s_add_i32 s20, s19, 1
	s_cmp_ge_u32 s16, s18
	s_cselect_b32 s16, s20, s19
	s_xor_b32 s16, s16, s17
	s_sub_i32 s62, s16, s17
	s_mul_i32 s13, s62, s13
	s_sub_i32 s13, s14, s13
	s_mul_i32 s13, s15, s13
	s_add_i32 s7, s7, -1
	s_add_i32 s65, s13, s65
	s_add_u32 s8, s8, -4
	s_addc_u32 s9, s9, -1
	s_cmp_gt_u32 s7, 2
	s_cbranch_scc1 .LBB11_6
.LBB11_7:
	s_load_dword s7, s[4:5], 0x6c
	s_load_dword s14, s[4:5], 0x290
	s_add_u32 s8, s4, 0x1c0
	s_addc_u32 s9, s5, 0
	s_mov_b32 s67, 0
	s_waitcnt lgkmcnt(0)
	s_cmp_lt_i32 s14, 2
	s_cbranch_scc1 .LBB11_10
; %bb.8:
	s_add_i32 s66, s14, -1
	s_add_i32 s13, s14, 1
	s_lshl_b64 s[14:15], s[66:67], 2
	s_add_u32 s8, s14, s8
	s_addc_u32 s9, s15, s9
	s_add_u32 s8, s8, 8
	s_addc_u32 s9, s9, 0
.LBB11_9:                               ; =>This Inner Loop Header: Depth=1
	s_load_dword s14, s[8:9], 0x0
	s_load_dword s16, s[8:9], 0x64
	s_abs_i32 s17, s33
	s_mov_b32 s15, s33
	s_waitcnt lgkmcnt(0)
	s_abs_i32 s19, s14
	v_cvt_f32_u32_e32 v1, s19
	s_sub_i32 s20, 0, s19
	s_xor_b32 s18, s33, s14
	s_ashr_i32 s18, s18, 31
	v_rcp_iflag_f32_e32 v1, v1
	v_mul_f32_e32 v1, 0x4f7ffffe, v1
	v_cvt_u32_f32_e32 v1, v1
	v_readfirstlane_b32 s21, v1
	s_mul_i32 s20, s20, s21
	s_mul_hi_u32 s20, s21, s20
	s_add_i32 s21, s21, s20
	s_mul_hi_u32 s20, s17, s21
	s_mul_i32 s21, s20, s19
	s_sub_i32 s17, s17, s21
	s_add_i32 s22, s20, 1
	s_sub_i32 s21, s17, s19
	s_cmp_ge_u32 s17, s19
	s_cselect_b32 s20, s22, s20
	s_cselect_b32 s17, s21, s17
	s_add_i32 s21, s20, 1
	s_cmp_ge_u32 s17, s19
	s_cselect_b32 s17, s21, s20
	s_xor_b32 s17, s17, s18
	s_sub_i32 s33, s17, s18
	s_mul_i32 s14, s33, s14
	s_sub_i32 s14, s15, s14
	s_mul_i32 s14, s16, s14
	s_add_i32 s13, s13, -1
	s_add_i32 s67, s14, s67
	s_add_u32 s8, s8, -4
	s_addc_u32 s9, s9, -1
	s_cmp_gt_u32 s13, 2
	s_cbranch_scc1 .LBB11_9
.LBB11_10:
	s_load_dword s0, s[0:1], 0x6c
                                        ; implicit-def: $vgpr42 : SGPR spill to VGPR lane
	s_mov_b32 s74, 0
	s_waitcnt lgkmcnt(0)
	v_writelane_b32 v42, s0, 0
	s_load_dwordx2 s[8:9], s[4:5], 0x0
	s_load_dwordx2 s[0:1], s[4:5], 0xe8
	s_waitcnt lgkmcnt(0)
	v_writelane_b32 v42, s0, 1
	v_writelane_b32 v42, s1, 2
	s_load_dwordx2 s[0:1], s[4:5], 0x1c0
	s_waitcnt lgkmcnt(0)
	v_writelane_b32 v42, s0, 3
	v_writelane_b32 v42, s1, 4
	v_cmp_eq_u32_e64 s[0:1], 0, v0
	s_mov_b64 s[14:15], exec
	v_writelane_b32 v42, s0, 5
	v_writelane_b32 v42, s1, 6
	s_and_b64 s[0:1], s[14:15], s[0:1]
	s_mov_b64 exec, s[0:1]
	s_cbranch_execz .LBB11_12
; %bb.11:
	v_mov_b32_e32 v2, 0
	v_mov_b32_e32 v3, s60
	;; [unrolled: 1-line block ×3, first 2 shown]
	ds_write_b96 v2, v[2:4] offset:4096
.LBB11_12:
	s_or_b64 exec, exec, s[14:15]
	s_load_dword s0, s[4:5], 0x22c
	s_waitcnt lgkmcnt(0)
	s_barrier
	s_load_dword s1, s[10:11], 0xc
	v_writelane_b32 v42, s0, 7
	s_mul_i32 s0, s7, s2
	s_add_i32 s0, s0, s3
	s_ashr_i32 s2, s0, 31
	s_add_u32 s72, s8, s0
	v_mbcnt_lo_u32_b32 v1, -1, 0
	s_addc_u32 s73, s9, s2
	s_waitcnt lgkmcnt(0)
	s_and_b32 s64, s1, 0xffff
	v_mbcnt_hi_u32_b32 v12, -1, v1
	v_cmp_gt_u32_e32 vcc, 64, v0
	v_cmp_gt_i32_e64 s[2:3], 4, v12
	s_add_i32 s0, s64, -1
	s_lshl_b32 s66, s64, 2
	s_bfe_u32 s7, s1, 0xa0006
	s_and_b64 s[76:77], vcc, s[2:3]
	s_add_i32 s17, s0, s60
	s_cmpk_gt_i32 s60, 0xc00
	v_writelane_b32 v42, s0, 8
	s_cselect_b64 s[0:1], -1, 0
	v_writelane_b32 v42, s0, 9
	s_cmp_gt_u32 s64, 63
	v_writelane_b32 v42, s1, 10
	s_cselect_b64 s[0:1], -1, 0
	v_writelane_b32 v42, s0, 11
	s_cmp_lt_u32 s6, s12
	v_writelane_b32 v42, s1, 12
	s_cselect_b32 s0, 12, 18
	s_add_u32 s0, s10, s0
	s_addc_u32 s1, s11, 0
	v_writelane_b32 v42, s0, 13
	v_writelane_b32 v42, s1, 14
	s_add_i32 s0, s7, -2
	s_lshr_b32 s1, s0, 1
	s_add_i32 s1, s1, 1
	s_cmpk_gt_u32 s64, 0x7f
	s_cselect_b64 s[2:3], -1, 0
	v_writelane_b32 v42, s2, 15
	v_writelane_b32 v42, s3, 16
	v_cmp_gt_u32_e64 s[8:9], s60, v0
	v_writelane_b32 v42, s8, 17
	v_writelane_b32 v42, s9, 18
	v_cmp_gt_i32_e64 s[8:9], s60, v0
	v_lshlrev_b64 v[2:3], v12, -1
	v_writelane_b32 v42, s8, 19
	v_not_b32_e32 v8, v2
	v_cvt_f32_u32_e32 v2, s66
	v_writelane_b32 v42, s9, 20
	s_and_b32 s6, s7, 0x3fe
	s_and_b32 s8, s1, 7
	s_cmp_gt_u32 s0, 13
	s_cselect_b64 s[10:11], -1, 0
	v_writelane_b32 v42, s10, 21
	v_rcp_iflag_f32_e32 v2, v2
	v_writelane_b32 v42, s11, 22
	s_and_b32 s0, s1, -8
	v_writelane_b32 v42, s0, 23
	s_cmp_lg_u32 s8, 0
	v_writelane_b32 v42, s8, 24
	s_cselect_b64 s[0:1], -1, 0
	v_writelane_b32 v42, s0, 25
	v_mul_f32_e32 v2, 0x4f7ffffe, v2
	v_writelane_b32 v42, s1, 26
	v_cvt_u32_f32_e32 v2, v2
	v_writelane_b32 v42, s7, 27
	s_cmp_lg_u32 s6, s7
	v_writelane_b32 v42, s6, 28
	s_cselect_b64 s[0:1], -1, 0
	v_writelane_b32 v42, s0, 29
	v_writelane_b32 v42, s1, 30
	s_sub_i32 s0, 0, s66
	v_readfirstlane_b32 s1, v2
	s_mul_i32 s0, s0, s1
	s_mul_hi_u32 s0, s1, s0
	s_add_i32 s8, s1, s0
	s_mul_hi_u32 s0, s60, s8
	s_mul_i32 s0, s0, s66
	v_cvt_f32_u32_e32 v2, s64
	s_sub_i32 s0, s60, s0
	s_sub_i32 s1, s0, s66
	s_cmp_ge_u32 s0, s66
	s_cselect_b32 s0, s1, s0
	v_rcp_iflag_f32_e32 v2, v2
	s_sub_i32 s1, s0, s66
	s_cmp_ge_u32 s0, s66
	s_cselect_b32 s0, s1, s0
	v_lshlrev_b32_e32 v13, 2, v0
	s_sub_i32 s9, s60, s0
	v_mul_f32_e32 v2, 0x4f7ffffe, v2
	v_cmp_gt_i32_e64 s[6:7], s9, v13
	v_cvt_u32_f32_e32 v2, v2
	v_writelane_b32 v42, s6, 31
	v_add_u32_e32 v16, s9, v0
	v_writelane_b32 v42, s7, 32
	v_cmp_gt_u32_e64 s[6:7], s60, v16
	v_writelane_b32 v42, s6, 33
	v_writelane_b32 v42, s7, 34
	s_sub_i32 s7, 0, s64
	v_readfirstlane_b32 s10, v2
	s_mul_i32 s7, s7, s10
	s_mul_hi_u32 s7, s10, s7
	s_abs_i32 s6, s17
	s_add_i32 s7, s10, s7
	v_writelane_b32 v42, s7, 35
	s_mul_hi_u32 s7, s6, s7
	s_mul_i32 s7, s7, s64
	s_sub_i32 s6, s6, s7
	s_ashr_i32 s1, s17, 31
	s_sub_i32 s7, s6, s64
	s_cmp_ge_u32 s6, s64
	s_cselect_b32 s6, s7, s6
	s_sub_i32 s7, s6, s64
	s_cmp_ge_u32 s6, s64
	s_cselect_b32 s6, s7, s6
	v_mul_lo_u32 v9, v0, s63
	s_xor_b32 s6, s6, s1
	v_mul_lo_u32 v2, s63, v13
	v_mov_b32_e32 v1, s73
	v_add_co_u32_e32 v6, vcc, s72, v9
	s_sub_i32 s1, s1, s6
	v_add_u32_e32 v17, s63, v2
	v_or_b32_e32 v2, 2, v13
	v_addc_co_u32_e32 v7, vcc, 0, v1, vcc
	v_lshrrev_b32_e32 v1, 4, v0
	s_add_i32 s17, s17, s1
	v_mul_lo_u32 v18, s63, v2
	v_or_b32_e32 v2, 3, v13
	s_add_i32 s1, s64, s60
	v_and_b32_e32 v14, 60, v1
	v_not_b32_e32 v1, v3
	v_mul_lo_u32 v3, v16, s63
	v_mul_lo_u32 v19, s63, v2
	v_add_u32_e32 v2, s1, v0
	v_lshlrev_b32_e32 v4, 2, v12
	v_ashrrev_i32_e32 v5, 31, v3
	v_mov_b32_e32 v11, s73
	v_add_co_u32_e32 v10, vcc, s72, v3
	v_cmp_gt_i32_e64 s[6:7], s17, v0
	s_mul_i32 s82, s63, s64
	v_subrev_u32_e32 v2, s0, v2
	v_cmp_eq_u32_e64 s[2:3], 0, v12
	v_cmp_gt_u32_e64 s[4:5], 2, v0
	v_and_b32_e32 v15, 0x100, v4
	v_addc_co_u32_e32 v11, vcc, v11, v5, vcc
	v_cmp_gt_i32_e64 s[14:15], s60, v16
	v_writelane_b32 v42, s6, 36
	s_lshl_b32 s83, s82, 2
	v_lshlrev_b32_e32 v20, 2, v9
	v_mul_lo_u32 v21, s63, v2
	v_or_b32_e32 v22, 0xc00, v4
	s_mov_b32 s0, 6
	s_mov_b64 s[92:93], 0
	v_mov_b32_e32 v23, 0
	s_movk_i32 s16, 0x80
	v_mov_b32_e32 v24, 0xc00
	v_mov_b32_e32 v25, 0
	s_mov_b32 s1, 0
	s_mov_b32 s79, 0
	;; [unrolled: 1-line block ×3, first 2 shown]
	v_writelane_b32 v42, s7, 37
                                        ; implicit-def: $sgpr94_sgpr95
                                        ; implicit-def: $sgpr70_sgpr71
                                        ; implicit-def: $sgpr68_sgpr69
                                        ; implicit-def: $sgpr86_sgpr87
                                        ; implicit-def: $sgpr88_sgpr89
                                        ; implicit-def: $sgpr90_sgpr91
	s_branch .LBB11_17
.LBB11_13:                              ;   in Loop: Header=BB11_17 Depth=1
	s_xor_b32 s1, s1, 1
	s_add_i32 s10, s0, -2
	s_cmp_eq_u32 s0, 0
	s_mov_b64 s[18:19], 0
	s_cselect_b64 s[22:23], -1, 0
	s_mov_b32 s0, s10
.LBB11_14:                              ;   in Loop: Header=BB11_17 Depth=1
	s_andn2_b64 s[10:11], s[26:27], exec
	s_and_b64 s[12:13], s[18:19], exec
	s_or_b64 s[26:27], s[10:11], s[12:13]
	s_andn2_b64 s[28:29], s[28:29], exec
	s_andn2_b64 s[24:25], s[24:25], exec
	s_orn2_b64 s[22:23], s[22:23], exec
	s_mov_b32 s61, s37
.LBB11_15:                              ;   in Loop: Header=BB11_17 Depth=1
	s_or_b64 exec, exec, s[6:7]
	s_andn2_b64 s[6:7], s[90:91], exec
	s_and_b64 s[10:11], s[26:27], exec
	s_or_b64 s[90:91], s[6:7], s[10:11]
	s_andn2_b64 s[6:7], s[88:89], exec
	s_and_b64 s[10:11], s[28:29], exec
	s_or_b64 s[88:89], s[6:7], s[10:11]
	;; [unrolled: 3-line block ×3, first 2 shown]
	s_orn2_b64 s[22:23], s[22:23], exec
.LBB11_16:                              ;   in Loop: Header=BB11_17 Depth=1
	s_or_b64 exec, exec, s[20:21]
	s_and_b64 s[6:7], exec, s[22:23]
	s_or_b64 s[92:93], s[6:7], s[92:93]
	s_andn2_b64 s[6:7], s[68:69], exec
	s_and_b64 s[10:11], s[90:91], exec
	s_or_b64 s[68:69], s[6:7], s[10:11]
	s_andn2_b64 s[6:7], s[70:71], exec
	s_and_b64 s[10:11], s[88:89], exec
	;; [unrolled: 3-line block ×3, first 2 shown]
	v_mov_b32_e32 v2, s79
	s_or_b64 s[94:95], s[6:7], s[10:11]
	s_andn2_b64 exec, exec, s[92:93]
	s_cbranch_execz .LBB11_252
.LBB11_17:                              ; =>This Loop Header: Depth=1
                                        ;     Child Loop BB11_22 Depth 2
                                        ;     Child Loop BB11_41 Depth 2
	;; [unrolled: 1-line block ×17, first 2 shown]
	ds_read_b64 v[2:3], v23 offset:4096
	s_waitcnt lgkmcnt(0)
	v_readfirstlane_b32 s75, v2
	s_cmp_gt_i32 s75, 0
	s_cbranch_scc1 .LBB11_48
; %bb.18:                               ;   in Loop: Header=BB11_17 Depth=1
	v_readlane_b32 s6, v42, 9
	v_readlane_b32 s7, v42, 10
	s_and_b64 vcc, exec, s[6:7]
	s_cbranch_vccz .LBB11_30
; %bb.19:                               ;   in Loop: Header=BB11_17 Depth=1
	s_movk_i32 s10, 0xc01
	v_cmp_gt_i32_e32 vcc, s10, v3
	s_mov_b64 s[6:7], 0
	s_mov_b64 s[18:19], 0
	s_cbranch_vccz .LBB11_35
; %bb.20:                               ;   in Loop: Header=BB11_17 Depth=1
	v_readlane_b32 s10, v42, 13
	v_readlane_b32 s11, v42, 14
	s_nop 4
	global_load_ushort v2, v23, s[10:11]
	global_load_ubyte v5, v[6:7], off
	s_mov_b64 s[20:21], 0
	v_mov_b32_e32 v26, v0
	s_waitcnt vmcnt(1)
	v_add_u32_e32 v4, v0, v2
	v_mul_lo_u32 v3, s63, v2
	v_mul_lo_u32 v4, s63, v4
	s_branch .LBB11_22
.LBB11_21:                              ;   in Loop: Header=BB11_22 Depth=2
	s_or_b64 exec, exec, s[18:19]
	v_cmp_le_i32_e32 vcc, s60, v26
	v_add_u32_e32 v4, v4, v3
	s_or_b64 s[20:21], vcc, s[20:21]
	v_mov_b32_e32 v5, v27
	s_andn2_b64 exec, exec, s[20:21]
	s_cbranch_execz .LBB11_31
.LBB11_22:                              ;   Parent Loop BB11_17 Depth=1
                                        ; =>  This Inner Loop Header: Depth=2
	v_add_u32_e32 v26, v26, v2
	v_cmp_gt_u32_e32 vcc, s60, v26
	s_waitcnt lgkmcnt(0)
	v_mov_b32_e32 v28, 0
	v_mov_b32_e32 v27, 0
	s_and_saveexec_b64 s[18:19], vcc
	s_cbranch_execz .LBB11_24
; %bb.23:                               ;   in Loop: Header=BB11_22 Depth=2
	global_load_ubyte v27, v4, s[72:73]
.LBB11_24:                              ;   in Loop: Header=BB11_22 Depth=2
	s_or_b64 exec, exec, s[18:19]
	s_waitcnt vmcnt(0)
	v_add_u32_sdwa v29, sext(v5), s16 dst_sel:DWORD dst_unused:UNUSED_PAD src0_sel:BYTE_0 src1_sel:DWORD
	v_and_b32_e32 v29, s78, v29
	v_cmp_eq_u32_e32 vcc, s79, v29
	s_cmp_lg_u64 vcc, 0
	s_cselect_b64 s[10:11], -1, 0
	s_and_b64 s[10:11], s[2:3], s[10:11]
	s_and_saveexec_b64 s[22:23], s[10:11]
	s_cbranch_execz .LBB11_28
; %bb.25:                               ;   in Loop: Header=BB11_22 Depth=2
	s_mov_b64 s[26:27], exec
	v_mbcnt_lo_u32_b32 v28, s26, 0
	v_mbcnt_hi_u32_b32 v28, s27, v28
	s_bcnt1_i32_b64 s10, vcc
	v_cmp_eq_u32_e64 s[18:19], 0, v28
                                        ; implicit-def: $vgpr29
	s_and_saveexec_b64 s[24:25], s[18:19]
	s_cbranch_execz .LBB11_27
; %bb.26:                               ;   in Loop: Header=BB11_22 Depth=2
	s_bcnt1_i32_b64 s11, s[26:27]
	s_mul_i32 s11, s10, s11
	v_mov_b32_e32 v29, s11
	ds_add_rtn_u32 v29, v23, v29 offset:4104
.LBB11_27:                              ;   in Loop: Header=BB11_22 Depth=2
	s_or_b64 exec, exec, s[24:25]
	s_waitcnt lgkmcnt(0)
	v_readfirstlane_b32 s11, v29
	v_mov_b32_e32 v29, s11
	v_mad_u32_u24 v28, s10, v28, v29
.LBB11_28:                              ;   in Loop: Header=BB11_22 Depth=2
	s_or_b64 exec, exec, s[22:23]
	ds_bpermute_b32 v28, v15, v28
	s_and_saveexec_b64 s[18:19], vcc
	s_cbranch_execz .LBB11_21
; %bb.29:                               ;   in Loop: Header=BB11_22 Depth=2
	v_and_b32_e32 v30, vcc_lo, v8
	v_and_b32_e32 v29, vcc_hi, v1
	v_bcnt_u32_b32 v30, v30, 0
	v_bcnt_u32_b32 v29, v29, v30
	s_waitcnt lgkmcnt(0)
	v_add_u32_e32 v28, v28, v29
	ds_write_b8 v28, v5
	s_branch .LBB11_21
.LBB11_30:                              ;   in Loop: Header=BB11_17 Depth=1
	s_mov_b64 s[6:7], -1
	s_mov_b64 s[18:19], 0
	s_branch .LBB11_34
.LBB11_31:                              ;   in Loop: Header=BB11_17 Depth=1
	s_or_b64 exec, exec, s[20:21]
	s_waitcnt lgkmcnt(0)
	s_barrier
	s_mov_b64 s[18:19], exec
	v_readlane_b32 s10, v42, 5
	v_readlane_b32 s11, v42, 6
	s_and_b64 s[10:11], s[18:19], s[10:11]
	s_mov_b64 exec, s[10:11]
	s_cbranch_execz .LBB11_33
; %bb.32:                               ;   in Loop: Header=BB11_17 Depth=1
	ds_read_b32 v2, v23 offset:4104
	s_waitcnt lgkmcnt(0)
	ds_write_b32 v23, v2 offset:4096
.LBB11_33:                              ;   in Loop: Header=BB11_17 Depth=1
	s_or_b64 exec, exec, s[18:19]
	s_waitcnt lgkmcnt(0)
	s_barrier
	s_mov_b64 s[18:19], -1
.LBB11_34:                              ;   in Loop: Header=BB11_17 Depth=1
                                        ; implicit-def: $sgpr75
.LBB11_35:                              ;   in Loop: Header=BB11_17 Depth=1
	s_and_b64 vcc, exec, s[6:7]
	s_cbranch_vccz .LBB11_46
; %bb.36:                               ;   in Loop: Header=BB11_17 Depth=1
	v_mov_b32_e32 v2, 0
	s_mov_b64 s[6:7], exec
	v_readlane_b32 s10, v42, 17
	v_readlane_b32 s11, v42, 18
	s_and_b64 s[10:11], s[6:7], s[10:11]
	s_mov_b64 exec, s[10:11]
	s_cbranch_execz .LBB11_38
; %bb.37:                               ;   in Loop: Header=BB11_17 Depth=1
	global_load_ubyte v2, v[6:7], off
.LBB11_38:                              ;   in Loop: Header=BB11_17 Depth=1
	s_or_b64 exec, exec, s[6:7]
	s_mov_b64 s[6:7], exec
	v_readlane_b32 s10, v42, 19
	v_readlane_b32 s11, v42, 20
	s_and_b64 s[10:11], s[6:7], s[10:11]
	s_mov_b64 exec, s[10:11]
	s_cbranch_execz .LBB11_43
; %bb.39:                               ;   in Loop: Header=BB11_17 Depth=1
	v_readlane_b32 s10, v42, 13
	v_readlane_b32 s11, v42, 14
	s_mov_b64 s[18:19], 0
	v_mov_b32_e32 v26, v0
	s_nop 2
	global_load_ushort v3, v23, s[10:11]
	s_waitcnt vmcnt(0)
	v_add_u32_e32 v5, v0, v3
	v_mul_lo_u32 v4, s63, v3
	v_mul_lo_u32 v5, s63, v5
	s_branch .LBB11_41
.LBB11_40:                              ;   in Loop: Header=BB11_41 Depth=2
	s_or_b64 exec, exec, s[20:21]
	v_cmp_le_i32_e32 vcc, s60, v27
	ds_write_b8 v26, v2
	v_add_u32_e32 v5, v5, v4
	s_or_b64 s[18:19], vcc, s[18:19]
	s_waitcnt vmcnt(0)
	v_mov_b32_e32 v2, v28
	v_mov_b32_e32 v26, v27
	s_andn2_b64 exec, exec, s[18:19]
	s_cbranch_execz .LBB11_43
.LBB11_41:                              ;   Parent Loop BB11_17 Depth=1
                                        ; =>  This Inner Loop Header: Depth=2
	v_add_u32_e32 v27, v26, v3
	v_cmp_gt_u32_e32 vcc, s60, v27
	v_mov_b32_e32 v28, 0
	s_and_saveexec_b64 s[20:21], vcc
	s_cbranch_execz .LBB11_40
; %bb.42:                               ;   in Loop: Header=BB11_41 Depth=2
	global_load_ubyte v28, v5, s[72:73]
	s_branch .LBB11_40
.LBB11_43:                              ;   in Loop: Header=BB11_17 Depth=1
	s_or_b64 exec, exec, s[6:7]
	s_waitcnt lgkmcnt(0)
	s_barrier
	s_mov_b64 s[6:7], exec
	v_readlane_b32 s10, v42, 5
	v_readlane_b32 s11, v42, 6
	s_and_b64 s[10:11], s[6:7], s[10:11]
	s_mov_b64 exec, s[10:11]
	s_cbranch_execz .LBB11_45
; %bb.44:                               ;   in Loop: Header=BB11_17 Depth=1
	s_waitcnt vmcnt(0)
	v_mov_b32_e32 v2, s60
	ds_write_b32 v23, v2 offset:4096
.LBB11_45:                              ;   in Loop: Header=BB11_17 Depth=1
	s_or_b64 exec, exec, s[6:7]
	s_mov_b64 s[18:19], -1
	s_waitcnt lgkmcnt(0)
	s_barrier
                                        ; implicit-def: $sgpr75
.LBB11_46:                              ;   in Loop: Header=BB11_17 Depth=1
	s_and_b64 vcc, exec, s[18:19]
	s_cbranch_vccz .LBB11_48
; %bb.47:                               ;   in Loop: Header=BB11_17 Depth=1
	s_waitcnt vmcnt(0)
	ds_read_b32 v2, v23 offset:4096
	s_waitcnt lgkmcnt(0)
	v_readfirstlane_b32 s75, v2
.LBB11_48:                              ;   in Loop: Header=BB11_17 Depth=1
	s_cmp_lt_i32 s75, 1
	s_cbranch_scc0 .LBB11_60
; %bb.49:                               ;   in Loop: Header=BB11_17 Depth=1
	s_waitcnt vmcnt(0)
	v_mov_b32_e32 v2, 0
	s_mov_b32 s80, 0
	v_mov_b32_e32 v3, 0
	v_mov_b32_e32 v4, v2
	;; [unrolled: 1-line block ×3, first 2 shown]
	s_mov_b64 s[84:85], exec
	v_readlane_b32 s6, v42, 31
	v_readlane_b32 s7, v42, 32
	s_and_b64 s[6:7], s[84:85], s[6:7]
	s_mov_b64 exec, s[6:7]
	s_cbranch_execz .LBB11_53
; %bb.50:                               ;   in Loop: Header=BB11_17 Depth=1
	s_and_b32 s81, s0, 0xfe
	s_mov_b64 s[6:7], 0
	s_mov_b32 s10, 0
	s_mov_b32 s11, 0
	;; [unrolled: 1-line block ×4, first 2 shown]
	v_mov_b32_e32 v26, v13
.LBB11_51:                              ;   Parent Loop BB11_17 Depth=1
                                        ; =>  This Inner Loop Header: Depth=2
	v_add_u32_e32 v3, s80, v20
	v_add_u32_e32 v2, s80, v17
	v_mov_b32_e32 v27, s73
	v_add_u32_e32 v4, s80, v18
	v_add_u32_e32 v5, s80, v19
	v_ashrrev_i32_e32 v29, 31, v3
	v_ashrrev_i32_e32 v32, 31, v2
	v_add_co_u32_e64 v2, s[18:19], s72, v2
	v_add_co_u32_e64 v30, s[24:25], s72, v3
	v_ashrrev_i32_e32 v33, 31, v4
	v_add_co_u32_e64 v4, s[20:21], s72, v4
	v_ashrrev_i32_e32 v34, 31, v5
	v_add_co_u32_e64 v28, s[22:23], s72, v5
	v_addc_co_u32_e64 v31, s[24:25], v27, v29, s[24:25]
	v_addc_co_u32_e64 v3, s[18:19], v27, v32, s[18:19]
	;; [unrolled: 1-line block ×4, first 2 shown]
	global_load_sbyte v27, v[30:31], off
	s_nop 0
	global_load_sbyte v2, v[2:3], off
	s_nop 0
	;; [unrolled: 2-line block ×3, first 2 shown]
	global_load_sbyte v4, v[28:29], off
	v_add_u32_e32 v26, s66, v26
	s_add_i32 s80, s80, s83
	v_cmp_le_i32_e32 vcc, s9, v26
	s_waitcnt vmcnt(3)
	v_add_u32_e32 v5, 0x80, v27
	s_waitcnt vmcnt(2)
	v_add_u32_e32 v2, 0x80, v2
	v_and_b32_e32 v27, s78, v5
	v_bfe_u32 v5, v5, s81, 2
	s_waitcnt vmcnt(1)
	v_add_u32_e32 v3, 0x80, v3
	v_and_b32_e32 v28, s78, v2
	v_bfe_u32 v2, v2, s81, 2
	v_cmp_eq_u32_e64 s[18:19], s79, v27
	v_cmp_eq_u32_e64 s[26:27], 0, v5
	s_waitcnt vmcnt(0)
	v_add_u32_e32 v4, 0x80, v4
	v_and_b32_e32 v29, s78, v3
	v_bfe_u32 v3, v3, s81, 2
	v_cmp_eq_u32_e64 s[20:21], s79, v28
	v_cmp_eq_u32_e64 s[28:29], 0, v2
	s_and_b64 s[26:27], s[18:19], s[26:27]
	v_and_b32_e32 v30, s78, v4
	v_bfe_u32 v4, v4, s81, 2
	v_cmp_eq_u32_e64 s[22:23], s79, v29
	v_cmp_eq_u32_e64 s[30:31], 0, v3
	;; [unrolled: 1-line block ×5, first 2 shown]
	v_cndmask_b32_e64 v2, 0, 1, s[26:27]
	s_and_b64 s[26:27], s[20:21], s[28:29]
	v_cmp_eq_u32_e64 s[24:25], s79, v30
	v_cmp_eq_u32_e64 s[34:35], 0, v4
	;; [unrolled: 1-line block ×5, first 2 shown]
	v_cndmask_b32_e64 v3, 0, 1, s[26:27]
	s_and_b64 s[26:27], s[22:23], s[30:31]
	v_cmp_eq_u32_e64 s[36:37], 1, v5
	v_cmp_eq_u32_e64 s[42:43], 1, v4
	;; [unrolled: 1-line block ×4, first 2 shown]
	v_cndmask_b32_e64 v4, 0, 1, s[26:27]
	s_and_b64 s[26:27], s[24:25], s[34:35]
	v_cmp_eq_u32_e64 s[44:45], 2, v5
	v_cmp_eq_u32_e64 s[52:53], 3, v5
	v_cndmask_b32_e64 v5, 0, 1, s[26:27]
	s_and_b64 s[26:27], s[18:19], s[36:37]
	v_cndmask_b32_e64 v27, 0, 1, s[26:27]
	s_and_b64 s[26:27], s[20:21], s[38:39]
	v_cndmask_b32_e64 v28, 0, 1, s[26:27]
	s_and_b64 s[26:27], s[22:23], s[40:41]
	v_cndmask_b32_e64 v29, 0, 1, s[26:27]
	s_and_b64 s[26:27], s[24:25], s[42:43]
	v_cndmask_b32_e64 v30, 0, 1, s[26:27]
	s_and_b64 s[26:27], s[18:19], s[44:45]
	s_and_b64 s[18:19], s[18:19], s[52:53]
	v_cndmask_b32_e64 v31, 0, 1, s[26:27]
	s_and_b64 s[26:27], s[20:21], s[46:47]
	v_cndmask_b32_e64 v35, 0, 1, s[18:19]
	;; [unrolled: 2-line block ×7, first 2 shown]
	v_cndmask_b32_e64 v38, 0, 1, s[18:19]
	v_cmp_ne_u32_e64 s[18:19], 0, v2
	v_cmp_ne_u32_e64 s[20:21], 0, v3
	v_cmp_ne_u32_e64 s[22:23], 0, v4
	v_cmp_ne_u32_e64 s[24:25], 0, v5
	v_cmp_ne_u32_e64 s[26:27], 0, v27
	v_cmp_ne_u32_e64 s[30:31], 0, v29
	v_cmp_ne_u32_e64 s[36:37], 0, v31
	v_cmp_ne_u32_e64 s[44:45], 0, v35
	v_cmp_ne_u32_e64 s[28:29], 0, v28
	v_cmp_ne_u32_e64 s[38:39], 0, v32
	v_cmp_ne_u32_e64 s[46:47], 0, v36
	s_bcnt1_i32_b64 s18, s[18:19]
	s_bcnt1_i32_b64 s19, s[20:21]
	;; [unrolled: 1-line block ×8, first 2 shown]
	v_cmp_ne_u32_e64 s[34:35], 0, v30
	v_cmp_ne_u32_e64 s[40:41], 0, v33
	;; [unrolled: 1-line block ×3, first 2 shown]
	s_bcnt1_i32_b64 s23, s[28:29]
	s_bcnt1_i32_b64 s27, s[38:39]
	;; [unrolled: 1-line block ×3, first 2 shown]
	s_add_i32 s13, s13, s18
	s_add_i32 s12, s12, s22
	;; [unrolled: 1-line block ×4, first 2 shown]
	v_cmp_ne_u32_e64 s[42:43], 0, v34
	v_cmp_ne_u32_e64 s[50:51], 0, v38
	s_bcnt1_i32_b64 s25, s[34:35]
	s_bcnt1_i32_b64 s28, s[40:41]
	;; [unrolled: 1-line block ×3, first 2 shown]
	s_add_i32 s13, s13, s19
	s_add_i32 s12, s12, s23
	;; [unrolled: 1-line block ×4, first 2 shown]
	s_bcnt1_i32_b64 s29, s[42:43]
	s_bcnt1_i32_b64 s35, s[50:51]
	s_add_i32 s13, s13, s20
	s_add_i32 s12, s12, s24
	;; [unrolled: 1-line block ×8, first 2 shown]
	s_or_b64 s[6:7], vcc, s[6:7]
	v_mov_b32_e32 v2, s13
	v_mov_b32_e32 v3, s12
	;; [unrolled: 1-line block ×4, first 2 shown]
	s_andn2_b64 exec, exec, s[6:7]
	s_cbranch_execnz .LBB11_51
; %bb.52:                               ;   in Loop: Header=BB11_17 Depth=1
	s_or_b64 exec, exec, s[6:7]
.LBB11_53:                              ;   in Loop: Header=BB11_17 Depth=1
	s_or_b64 exec, exec, s[84:85]
	v_mov_b32_e32 v28, 0
	s_mov_b64 s[6:7], exec
	v_readlane_b32 s10, v42, 33
	v_readlane_b32 s11, v42, 34
	s_and_b64 s[10:11], s[6:7], s[10:11]
	s_mov_b64 exec, s[10:11]
	s_cbranch_execz .LBB11_55
; %bb.54:                               ;   in Loop: Header=BB11_17 Depth=1
	global_load_ubyte v28, v[10:11], off
.LBB11_55:                              ;   in Loop: Header=BB11_17 Depth=1
	s_or_b64 exec, exec, s[6:7]
	s_and_saveexec_b64 s[6:7], s[14:15]
	s_cbranch_execz .LBB11_62
; %bb.56:                               ;   in Loop: Header=BB11_17 Depth=1
	s_and_b32 s10, s0, 0xfe
	s_mov_b64 s[20:21], 0
	v_mov_b32_e32 v26, v21
	v_mov_b32_e32 v27, v16
	s_branch .LBB11_58
.LBB11_57:                              ;   in Loop: Header=BB11_58 Depth=2
	s_or_b64 exec, exec, s[18:19]
	s_waitcnt vmcnt(0)
	v_add_u32_sdwa v28, sext(v28), s16 dst_sel:DWORD dst_unused:UNUSED_PAD src0_sel:BYTE_0 src1_sel:DWORD
	v_and_b32_e32 v30, s78, v28
	v_bfe_u32 v28, v28, s10, 2
	v_cmp_eq_u32_e32 vcc, s79, v30
	v_cmp_eq_u32_e64 s[18:19], 0, v28
	s_and_b64 s[12:13], vcc, s[18:19]
	v_cndmask_b32_e64 v30, 0, 1, s[12:13]
	v_cmp_ne_u32_e64 s[18:19], 0, v30
	s_bcnt1_i32_b64 s11, s[18:19]
	v_cmp_eq_u32_e64 s[18:19], 1, v28
	s_and_b64 s[12:13], vcc, s[18:19]
	v_cndmask_b32_e64 v30, 0, 1, s[12:13]
	v_cmp_ne_u32_e64 s[18:19], 0, v30
	v_add_u32_e32 v2, s11, v2
	s_bcnt1_i32_b64 s11, s[18:19]
	v_cmp_eq_u32_e64 s[18:19], 2, v28
	s_and_b64 s[12:13], vcc, s[18:19]
	v_cndmask_b32_e64 v30, 0, 1, s[12:13]
	v_cmp_ne_u32_e64 s[18:19], 0, v30
	v_add_u32_e32 v3, s11, v3
	s_bcnt1_i32_b64 s11, s[18:19]
	v_cmp_eq_u32_e64 s[18:19], 3, v28
	s_and_b64 s[12:13], vcc, s[18:19]
	v_cndmask_b32_e64 v28, 0, 1, s[12:13]
	v_cmp_ne_u32_e32 vcc, 0, v28
	v_add_u32_e32 v4, s11, v4
	s_bcnt1_i32_b64 s11, vcc
	v_cmp_le_i32_e32 vcc, s60, v27
	v_add_u32_e32 v5, s11, v5
	v_add_u32_e32 v26, s82, v26
	s_or_b64 s[20:21], vcc, s[20:21]
	v_mov_b32_e32 v28, v29
	s_andn2_b64 exec, exec, s[20:21]
	s_cbranch_execz .LBB11_61
.LBB11_58:                              ;   Parent Loop BB11_17 Depth=1
                                        ; =>  This Inner Loop Header: Depth=2
	v_add_u32_e32 v27, s64, v27
	v_cmp_gt_u32_e32 vcc, s60, v27
	v_mov_b32_e32 v29, 0
	s_and_saveexec_b64 s[18:19], vcc
	s_cbranch_execz .LBB11_57
; %bb.59:                               ;   in Loop: Header=BB11_58 Depth=2
	v_ashrrev_i32_e32 v29, 31, v26
	v_mov_b32_e32 v31, s73
	v_add_co_u32_e32 v30, vcc, s72, v26
	v_addc_co_u32_e32 v31, vcc, v31, v29, vcc
	global_load_ubyte v29, v[30:31], off
	s_branch .LBB11_57
.LBB11_60:                              ;   in Loop: Header=BB11_17 Depth=1
                                        ; implicit-def: $vgpr5
	s_cbranch_execnz .LBB11_63
	s_branch .LBB11_72
.LBB11_61:                              ;   in Loop: Header=BB11_17 Depth=1
	s_or_b64 exec, exec, s[20:21]
.LBB11_62:                              ;   in Loop: Header=BB11_17 Depth=1
	s_or_b64 exec, exec, s[6:7]
	s_branch .LBB11_72
.LBB11_63:                              ;   in Loop: Header=BB11_17 Depth=1
	s_mul_hi_u32 s6, s75, s8
	s_mul_i32 s6, s6, s66
	s_sub_i32 s6, s75, s6
	s_sub_i32 s7, s6, s66
	s_cmp_ge_u32 s6, s66
	s_cselect_b32 s6, s7, s6
	s_sub_i32 s7, s6, s66
	s_cmp_ge_u32 s6, s66
	s_cselect_b32 s6, s7, s6
	s_sub_i32 s10, s75, s6
	v_cmp_gt_u32_e32 vcc, s10, v13
	s_mov_b32 s12, 0
	s_waitcnt vmcnt(0)
	v_mov_b32_e32 v2, 0
	v_mov_b32_e32 v3, 0
	;; [unrolled: 1-line block ×4, first 2 shown]
	s_and_saveexec_b64 s[6:7], vcc
	s_cbranch_execz .LBB11_67
; %bb.64:                               ;   in Loop: Header=BB11_17 Depth=1
	s_and_b32 s11, s0, 0xfe
	s_mov_b64 s[84:85], 0
	s_mov_b32 s13, 0
	s_mov_b32 s80, 0
	;; [unrolled: 1-line block ×3, first 2 shown]
	v_mov_b32_e32 v26, v13
.LBB11_65:                              ;   Parent Loop BB11_17 Depth=1
                                        ; =>  This Inner Loop Header: Depth=2
	ds_read_b32 v2, v26
	v_add_u32_e32 v26, s66, v26
	v_cmp_le_i32_e32 vcc, s10, v26
	s_waitcnt lgkmcnt(0)
	v_add_u32_sdwa v3, sext(v2), s16 dst_sel:DWORD dst_unused:UNUSED_PAD src0_sel:BYTE_0 src1_sel:DWORD
	v_add_u32_sdwa v4, sext(v2), s16 dst_sel:DWORD dst_unused:UNUSED_PAD src0_sel:BYTE_1 src1_sel:DWORD
	v_and_b32_e32 v27, s78, v3
	v_bfe_u32 v3, v3, s11, 2
	v_add_u32_sdwa v5, sext(v2), s16 dst_sel:DWORD dst_unused:UNUSED_PAD src0_sel:BYTE_2 src1_sel:DWORD
	v_add_u32_sdwa v2, sext(v2), s16 dst_sel:DWORD dst_unused:UNUSED_PAD src0_sel:BYTE_3 src1_sel:DWORD
	v_and_b32_e32 v28, s78, v4
	v_bfe_u32 v4, v4, s11, 2
	v_cmp_eq_u32_e64 s[18:19], s79, v27
	v_cmp_eq_u32_e64 s[26:27], 0, v3
	v_and_b32_e32 v29, s78, v5
	v_and_b32_e32 v30, s78, v2
	v_bfe_u32 v5, v5, s11, 2
	v_bfe_u32 v2, v2, s11, 2
	v_cmp_eq_u32_e64 s[20:21], s79, v28
	v_cmp_eq_u32_e64 s[28:29], 0, v4
	s_and_b64 s[26:27], s[18:19], s[26:27]
	v_cmp_eq_u32_e64 s[22:23], s79, v29
	v_cmp_eq_u32_e64 s[30:31], 0, v5
	;; [unrolled: 1-line block ×6, first 2 shown]
	v_cndmask_b32_e64 v2, 0, 1, s[26:27]
	s_and_b64 s[26:27], s[20:21], s[28:29]
	v_cmp_eq_u32_e64 s[24:25], s79, v30
	v_cmp_eq_u32_e64 s[36:37], 1, v3
	;; [unrolled: 1-line block ×4, first 2 shown]
	v_cndmask_b32_e64 v3, 0, 1, s[26:27]
	s_and_b64 s[26:27], s[22:23], s[30:31]
	v_cmp_eq_u32_e64 s[38:39], 1, v4
	v_cmp_eq_u32_e64 s[46:47], 2, v4
	v_cmp_eq_u32_e64 s[54:55], 3, v4
	v_cndmask_b32_e64 v4, 0, 1, s[26:27]
	s_and_b64 s[26:27], s[24:25], s[34:35]
	v_cmp_eq_u32_e64 s[40:41], 1, v5
	v_cmp_eq_u32_e64 s[48:49], 2, v5
	;; [unrolled: 1-line block ×3, first 2 shown]
	v_cndmask_b32_e64 v5, 0, 1, s[26:27]
	s_and_b64 s[26:27], s[18:19], s[36:37]
	v_cndmask_b32_e64 v27, 0, 1, s[26:27]
	s_and_b64 s[26:27], s[20:21], s[38:39]
	;; [unrolled: 2-line block ×5, first 2 shown]
	s_and_b64 s[18:19], s[18:19], s[52:53]
	v_cndmask_b32_e64 v31, 0, 1, s[26:27]
	s_and_b64 s[26:27], s[20:21], s[46:47]
	v_cndmask_b32_e64 v35, 0, 1, s[18:19]
	;; [unrolled: 2-line block ×7, first 2 shown]
	v_cndmask_b32_e64 v38, 0, 1, s[18:19]
	v_cmp_ne_u32_e64 s[18:19], 0, v2
	v_cmp_ne_u32_e64 s[20:21], 0, v3
	;; [unrolled: 1-line block ×11, first 2 shown]
	s_bcnt1_i32_b64 s18, s[18:19]
	s_bcnt1_i32_b64 s19, s[20:21]
	;; [unrolled: 1-line block ×8, first 2 shown]
	v_cmp_ne_u32_e64 s[34:35], 0, v30
	v_cmp_ne_u32_e64 s[40:41], 0, v33
	;; [unrolled: 1-line block ×3, first 2 shown]
	s_bcnt1_i32_b64 s23, s[28:29]
	s_bcnt1_i32_b64 s27, s[38:39]
	;; [unrolled: 1-line block ×3, first 2 shown]
	s_add_i32 s18, s81, s18
	s_add_i32 s22, s80, s22
	s_add_i32 s13, s13, s26
	s_add_i32 s12, s12, s30
	v_cmp_ne_u32_e64 s[42:43], 0, v34
	v_cmp_ne_u32_e64 s[50:51], 0, v38
	s_bcnt1_i32_b64 s25, s[34:35]
	s_bcnt1_i32_b64 s28, s[40:41]
	;; [unrolled: 1-line block ×3, first 2 shown]
	s_add_i32 s18, s18, s19
	s_add_i32 s19, s22, s23
	;; [unrolled: 1-line block ×4, first 2 shown]
	s_bcnt1_i32_b64 s29, s[42:43]
	s_bcnt1_i32_b64 s35, s[50:51]
	s_add_i32 s18, s18, s20
	s_add_i32 s19, s19, s24
	;; [unrolled: 1-line block ×8, first 2 shown]
	s_or_b64 s[84:85], vcc, s[84:85]
	v_mov_b32_e32 v2, s81
	v_mov_b32_e32 v3, s80
	;; [unrolled: 1-line block ×4, first 2 shown]
	s_andn2_b64 exec, exec, s[84:85]
	s_cbranch_execnz .LBB11_65
; %bb.66:                               ;   in Loop: Header=BB11_17 Depth=1
	s_or_b64 exec, exec, s[84:85]
.LBB11_67:                              ;   in Loop: Header=BB11_17 Depth=1
	s_or_b64 exec, exec, s[6:7]
	v_add_u32_e32 v26, s10, v0
	v_cmp_gt_i32_e32 vcc, s75, v26
	s_and_saveexec_b64 s[6:7], vcc
	s_cbranch_execz .LBB11_71
; %bb.68:                               ;   in Loop: Header=BB11_17 Depth=1
	s_and_b32 s10, s0, 0xfe
	s_mov_b64 s[28:29], 0
.LBB11_69:                              ;   Parent Loop BB11_17 Depth=1
                                        ; =>  This Inner Loop Header: Depth=2
	ds_read_i8 v27, v26
	v_add_u32_e32 v26, s64, v26
	v_cmp_le_i32_e32 vcc, s75, v26
	s_waitcnt lgkmcnt(0)
	v_add_u32_e32 v27, 0x80, v27
	v_and_b32_e32 v28, s78, v27
	v_bfe_u32 v27, v27, s10, 2
	v_cmp_eq_u32_e64 s[18:19], s79, v28
	v_cmp_eq_u32_e64 s[20:21], 0, v27
	;; [unrolled: 1-line block ×3, first 2 shown]
	s_and_b64 s[12:13], s[18:19], s[20:21]
	v_cmp_eq_u32_e64 s[24:25], 2, v27
	v_cmp_eq_u32_e64 s[26:27], 3, v27
	v_cndmask_b32_e64 v27, 0, 1, s[12:13]
	s_and_b64 s[12:13], s[18:19], s[22:23]
	v_cndmask_b32_e64 v28, 0, 1, s[12:13]
	s_and_b64 s[12:13], s[18:19], s[24:25]
	;; [unrolled: 2-line block ×3, first 2 shown]
	v_cndmask_b32_e64 v30, 0, 1, s[12:13]
	v_cmp_ne_u32_e64 s[18:19], 0, v27
	v_cmp_ne_u32_e64 s[20:21], 0, v28
	;; [unrolled: 1-line block ×4, first 2 shown]
	s_bcnt1_i32_b64 s11, s[18:19]
	s_bcnt1_i32_b64 s12, s[20:21]
	;; [unrolled: 1-line block ×4, first 2 shown]
	v_add_u32_e32 v2, s11, v2
	v_add_u32_e32 v3, s12, v3
	;; [unrolled: 1-line block ×3, first 2 shown]
	s_or_b64 s[28:29], vcc, s[28:29]
	v_add_u32_e32 v5, s18, v5
	s_andn2_b64 exec, exec, s[28:29]
	s_cbranch_execnz .LBB11_69
; %bb.70:                               ;   in Loop: Header=BB11_17 Depth=1
	s_or_b64 exec, exec, s[28:29]
.LBB11_71:                              ;   in Loop: Header=BB11_17 Depth=1
	s_or_b64 exec, exec, s[6:7]
.LBB11_72:                              ;   in Loop: Header=BB11_17 Depth=1
	s_lshl_b32 s10, s1, 6
	s_and_saveexec_b64 s[6:7], s[2:3]
	s_cbranch_execz .LBB11_74
; %bb.73:                               ;   in Loop: Header=BB11_17 Depth=1
	v_or_b32_e32 v26, s10, v14
	v_lshlrev_b32_e32 v26, 2, v26
	s_waitcnt vmcnt(0)
	ds_write_b128 v26, v[2:5] offset:3072
.LBB11_74:                              ;   in Loop: Header=BB11_17 Depth=1
	s_or_b64 exec, exec, s[6:7]
	s_waitcnt lgkmcnt(0)
	s_barrier
	s_and_saveexec_b64 s[6:7], s[76:77]
	s_cbranch_execz .LBB11_88
; %bb.75:                               ;   in Loop: Header=BB11_17 Depth=1
	v_readlane_b32 s12, v42, 11
	v_readlane_b32 s13, v42, 12
	v_add_u32_e32 v4, s10, v12
	s_andn2_b64 vcc, exec, s[12:13]
	s_waitcnt vmcnt(0)
	v_mov_b32_e32 v2, 0
	s_cbranch_vccnz .LBB11_87
; %bb.76:                               ;   in Loop: Header=BB11_17 Depth=1
	v_readlane_b32 s12, v42, 15
	v_readlane_b32 s13, v42, 16
	s_mov_b32 s11, 0
	s_and_b64 vcc, exec, s[12:13]
	v_mov_b32_e32 v2, 0
	s_cbranch_vccz .LBB11_80
; %bb.77:                               ;   in Loop: Header=BB11_17 Depth=1
	v_readlane_b32 s12, v42, 21
	v_readlane_b32 s13, v42, 22
	v_lshl_add_u32 v5, v4, 2, v24
	s_andn2_b64 vcc, exec, s[12:13]
	s_cbranch_vccnz .LBB11_81
; %bb.78:                               ;   in Loop: Header=BB11_17 Depth=1
	s_mov_b32 s19, 1
	s_mov_b32 s18, 0
	v_mov_b32_e32 v2, 0
	v_readlane_b32 s11, v42, 23
	v_mov_b32_e32 v3, 0
.LBB11_79:                              ;   Parent Loop BB11_17 Depth=1
                                        ; =>  This Inner Loop Header: Depth=2
	v_lshl_add_u32 v38, s18, 4, v5
	v_lshl_add_u32 v40, s19, 4, v5
	ds_read2_b32 v[26:27], v38 offset1:8
	ds_read2_b32 v[28:29], v40 offset1:8
	ds_read2_b32 v[30:31], v38 offset0:16 offset1:24
	ds_read2_b32 v[32:33], v40 offset0:16 offset1:24
	;; [unrolled: 1-line block ×6, first 2 shown]
	s_waitcnt lgkmcnt(7)
	v_add3_u32 v2, v26, v2, v27
	s_waitcnt lgkmcnt(6)
	v_add3_u32 v3, v28, v3, v29
	;; [unrolled: 2-line block ×3, first 2 shown]
	v_add3_u32 v2, v30, v2, v31
	s_add_i32 s19, s19, 16
	s_add_i32 s18, s18, 16
	s_add_i32 s11, s11, -8
	s_waitcnt lgkmcnt(3)
	v_add3_u32 v2, v34, v2, v35
	s_waitcnt lgkmcnt(2)
	v_add3_u32 v3, v36, v3, v37
	s_cmp_lg_u32 s11, 0
	s_waitcnt lgkmcnt(0)
	v_add3_u32 v3, v40, v3, v41
	v_add3_u32 v2, v38, v2, v39
	s_cbranch_scc1 .LBB11_79
	s_branch .LBB11_82
.LBB11_80:                              ;   in Loop: Header=BB11_17 Depth=1
	s_cbranch_execnz .LBB11_85
	s_branch .LBB11_87
.LBB11_81:                              ;   in Loop: Header=BB11_17 Depth=1
	s_mov_b32 s75, s74
	v_pk_mov_b32 v[2:3], s[74:75], s[74:75] op_sel:[0,1]
	s_mov_b32 s75, 1
	s_mov_b64 s[18:19], s[74:75]
.LBB11_82:                              ;   in Loop: Header=BB11_17 Depth=1
	v_readlane_b32 s12, v42, 25
	v_readlane_b32 s13, v42, 26
	s_andn2_b64 vcc, exec, s[12:13]
	v_readlane_b32 s11, v42, 24
	s_cbranch_vccnz .LBB11_84
.LBB11_83:                              ;   Parent Loop BB11_17 Depth=1
                                        ; =>  This Inner Loop Header: Depth=2
	v_lshl_add_u32 v26, s18, 4, v5
	v_lshl_add_u32 v27, s19, 4, v5
	ds_read_b32 v27, v27
	ds_read_b32 v26, v26
	s_add_i32 s19, s19, 2
	s_add_i32 s18, s18, 2
	s_add_i32 s11, s11, -1
	s_cmp_lg_u32 s11, 0
	s_waitcnt lgkmcnt(1)
	v_add_u32_e32 v3, v27, v3
	s_waitcnt lgkmcnt(0)
	v_add_u32_e32 v2, v26, v2
	s_cbranch_scc1 .LBB11_83
.LBB11_84:                              ;   in Loop: Header=BB11_17 Depth=1
	v_readlane_b32 s18, v42, 29
	v_add_u32_e32 v2, v2, v3
	v_readlane_b32 s11, v42, 28
	v_readlane_b32 s19, v42, 30
	s_and_b64 vcc, exec, s[18:19]
	s_cbranch_vccz .LBB11_87
.LBB11_85:                              ;   in Loop: Header=BB11_17 Depth=1
	s_lshl_b32 s12, s1, 8
	s_lshl_b32 s13, s11, 4
	s_add_i32 s12, s12, s13
	v_add_u32_e32 v3, s12, v22
	v_readlane_b32 s12, v42, 27
	s_sub_i32 s11, s12, s11
.LBB11_86:                              ;   Parent Loop BB11_17 Depth=1
                                        ; =>  This Inner Loop Header: Depth=2
	ds_read_b32 v5, v3
	s_add_i32 s11, s11, -1
	v_add_u32_e32 v3, 16, v3
	s_cmp_eq_u32 s11, 0
	s_waitcnt lgkmcnt(0)
	v_add_u32_e32 v2, v5, v2
	s_cbranch_scc0 .LBB11_86
.LBB11_87:                              ;   in Loop: Header=BB11_17 Depth=1
	v_lshlrev_b32_e32 v3, 2, v4
	ds_write_b32 v3, v2 offset:3072
.LBB11_88:                              ;   in Loop: Header=BB11_17 Depth=1
	s_or_b64 exec, exec, s[6:7]
	s_lshl_b32 s6, s10, 2
	s_waitcnt vmcnt(0)
	v_mov_b32_e32 v2, s6
	s_waitcnt lgkmcnt(0)
	s_barrier
	ds_read_b128 v[2:5], v2 offset:3072
	s_and_b32 s45, s0, 0xfe
	s_lshl_b32 s53, 3, s45
	s_not_b32 s46, s53
	s_mov_b64 s[22:23], -1
	s_waitcnt lgkmcnt(0)
	v_readfirstlane_b32 s30, v2
	s_cmp_eq_u32 s30, 1
	s_cselect_b64 s[6:7], -1, 0
	s_cmp_eq_u32 s61, 1
	s_cselect_b64 s[10:11], -1, 0
	s_and_b64 s[24:25], s[6:7], s[10:11]
	v_readfirstlane_b32 s36, v3
	v_readfirstlane_b32 s44, v4
	;; [unrolled: 1-line block ×3, first 2 shown]
	s_and_b64 vcc, exec, s[24:25]
	s_cbranch_vccz .LBB11_100
; %bb.89:                               ;   in Loop: Header=BB11_17 Depth=1
	ds_read_b32 v2, v23 offset:4096
	s_waitcnt lgkmcnt(0)
	s_barrier
	v_readfirstlane_b32 s10, v2
	s_and_saveexec_b64 s[6:7], s[4:5]
	s_cbranch_execz .LBB11_91
; %bb.90:                               ;   in Loop: Header=BB11_17 Depth=1
	ds_write_b8 v0, v23 offset:3072
.LBB11_91:                              ;   in Loop: Header=BB11_17 Depth=1
	s_or_b64 exec, exec, s[6:7]
	s_and_b32 s79, s79, s46
	s_or_b32 s78, s78, s53
	s_cmp_lt_i32 s10, 1
	s_waitcnt lgkmcnt(0)
	s_barrier
	s_cbranch_scc0 .LBB11_101
; %bb.92:                               ;   in Loop: Header=BB11_17 Depth=1
	s_mov_b64 s[6:7], 0
                                        ; implicit-def: $vgpr25
	s_mov_b64 s[20:21], exec
	v_readlane_b32 s12, v42, 36
	v_readlane_b32 s13, v42, 37
	s_and_b64 s[12:13], s[20:21], s[12:13]
	s_mov_b64 exec, s[12:13]
	s_cbranch_execz .LBB11_103
; %bb.93:                               ;   in Loop: Header=BB11_17 Depth=1
	v_mov_b32_e32 v2, v9
	v_mov_b32_e32 v3, v0
                                        ; implicit-def: $sgpr26_sgpr27
	s_branch .LBB11_95
.LBB11_94:                              ;   in Loop: Header=BB11_95 Depth=2
	s_or_b64 exec, exec, s[18:19]
	s_waitcnt lgkmcnt(0)
	s_barrier
	s_waitcnt vmcnt(0)
	ds_read_u16 v4, v23 offset:3072
	v_add_u32_e32 v3, s64, v3
	v_cmp_le_i32_e32 vcc, s17, v3
	v_add_u32_e32 v2, s82, v2
	s_waitcnt lgkmcnt(0)
	v_cmp_ne_u16_sdwa s[12:13], v4, v23 src0_sel:BYTE_0 src1_sel:DWORD
	s_or_b64 s[18:19], vcc, s[12:13]
	s_and_b64 s[18:19], exec, s[18:19]
	s_or_b64 s[6:7], s[18:19], s[6:7]
	s_andn2_b64 s[18:19], s[26:27], exec
	s_and_b64 s[12:13], s[12:13], exec
	s_or_b64 s[26:27], s[18:19], s[12:13]
	s_barrier
	s_andn2_b64 exec, exec, s[6:7]
	s_cbranch_execz .LBB11_102
.LBB11_95:                              ;   Parent Loop BB11_17 Depth=1
                                        ; =>  This Inner Loop Header: Depth=2
	v_cmp_gt_i32_e32 vcc, s60, v3
	v_mov_b32_e32 v4, 0
	s_and_saveexec_b64 s[28:29], vcc
	s_cbranch_execz .LBB11_97
; %bb.96:                               ;   in Loop: Header=BB11_95 Depth=2
	v_ashrrev_i32_e32 v5, 31, v2
	v_mov_b32_e32 v25, s73
	v_add_co_u32_e64 v4, s[18:19], s72, v2
	v_addc_co_u32_e64 v5, s[18:19], v25, v5, s[18:19]
	global_load_ubyte v4, v[4:5], off
.LBB11_97:                              ;   in Loop: Header=BB11_95 Depth=2
	s_or_b64 exec, exec, s[28:29]
	s_and_saveexec_b64 s[18:19], vcc
	s_cbranch_execz .LBB11_94
; %bb.98:                               ;   in Loop: Header=BB11_95 Depth=2
	s_waitcnt vmcnt(0)
	v_add_u32_sdwa v5, sext(v4), s16 dst_sel:DWORD dst_unused:UNUSED_PAD src0_sel:BYTE_0 src1_sel:DWORD
	v_and_b32_e32 v5, s78, v5
	v_cmp_eq_u32_e32 vcc, s79, v5
	s_and_b64 exec, exec, vcc
	s_cbranch_execz .LBB11_94
; %bb.99:                               ;   in Loop: Header=BB11_95 Depth=2
	v_lshlrev_b16_e32 v4, 8, v4
	v_or_b32_e32 v4, 1, v4
	ds_write_b16 v23, v4 offset:3072
	s_branch .LBB11_94
.LBB11_100:                             ;   in Loop: Header=BB11_17 Depth=1
	s_mov_b64 s[6:7], -1
                                        ; implicit-def: $sgpr18_sgpr19
                                        ; implicit-def: $sgpr26_sgpr27
                                        ; implicit-def: $sgpr20_sgpr21
	s_branch .LBB11_114
.LBB11_101:                             ;   in Loop: Header=BB11_17 Depth=1
	s_mov_b64 s[18:19], -1
	s_mov_b64 s[6:7], 0
                                        ; implicit-def: $sgpr20_sgpr21
                                        ; implicit-def: $vgpr25
	s_mov_b64 s[26:27], s[18:19]
	s_cbranch_execnz .LBB11_104
	s_branch .LBB11_114
.LBB11_102:                             ;   in Loop: Header=BB11_17 Depth=1
	s_or_b64 exec, exec, s[6:7]
	v_lshrrev_b16_e32 v25, 8, v4
	s_and_b64 s[6:7], s[26:27], exec
.LBB11_103:                             ;   in Loop: Header=BB11_17 Depth=1
	s_or_b64 exec, exec, s[20:21]
	s_mov_b64 s[20:21], -1
	s_mov_b64 s[18:19], 0
	s_mov_b64 s[26:27], s[18:19]
	s_branch .LBB11_114
.LBB11_104:                             ;   in Loop: Header=BB11_17 Depth=1
	v_readlane_b32 s6, v42, 8
	s_add_i32 s11, s10, s6
	s_abs_i32 s7, s11
	v_readlane_b32 s12, v42, 35
	s_mul_hi_u32 s12, s7, s12
	s_mul_i32 s12, s12, s64
	s_sub_i32 s7, s7, s12
	s_ashr_i32 s6, s11, 31
	s_sub_i32 s12, s7, s64
	s_cmp_ge_u32 s7, s64
	s_cselect_b32 s7, s12, s7
	s_sub_i32 s12, s7, s64
	s_cmp_ge_u32 s7, s64
	s_cselect_b32 s7, s12, s7
	s_xor_b32 s7, s7, s6
	s_sub_i32 s6, s6, s7
	s_add_i32 s11, s11, s6
	v_cmp_gt_i32_e32 vcc, s11, v0
	s_mov_b64 s[6:7], 0
                                        ; implicit-def: $vgpr25
	s_and_saveexec_b64 s[18:19], vcc
	s_cbranch_execz .LBB11_113
; %bb.105:                              ;   in Loop: Header=BB11_17 Depth=1
	v_mov_b32_e32 v2, v0
                                        ; implicit-def: $sgpr20_sgpr21
	s_branch .LBB11_107
.LBB11_106:                             ;   in Loop: Header=BB11_107 Depth=2
	s_or_b64 exec, exec, s[26:27]
	s_waitcnt lgkmcnt(0)
	s_barrier
	ds_read_u16 v3, v23 offset:3072
	v_add_u32_e32 v2, s64, v2
	v_cmp_le_i32_e32 vcc, s11, v2
	s_waitcnt lgkmcnt(0)
	s_barrier
	v_cmp_ne_u16_sdwa s[12:13], v3, v23 src0_sel:BYTE_0 src1_sel:DWORD
	s_or_b64 s[26:27], vcc, s[12:13]
	s_and_b64 s[26:27], exec, s[26:27]
	s_or_b64 s[6:7], s[26:27], s[6:7]
	s_andn2_b64 s[20:21], s[20:21], exec
	s_and_b64 s[12:13], s[12:13], exec
	s_or_b64 s[20:21], s[20:21], s[12:13]
	s_andn2_b64 exec, exec, s[6:7]
	s_cbranch_execz .LBB11_112
.LBB11_107:                             ;   Parent Loop BB11_17 Depth=1
                                        ; =>  This Inner Loop Header: Depth=2
	v_cmp_gt_i32_e32 vcc, s10, v2
	v_mov_b32_e32 v3, 0
	s_and_saveexec_b64 s[26:27], vcc
	s_cbranch_execz .LBB11_109
; %bb.108:                              ;   in Loop: Header=BB11_107 Depth=2
	ds_read_u8 v3, v2
.LBB11_109:                             ;   in Loop: Header=BB11_107 Depth=2
	s_or_b64 exec, exec, s[26:27]
	s_and_saveexec_b64 s[26:27], vcc
	s_cbranch_execz .LBB11_106
; %bb.110:                              ;   in Loop: Header=BB11_107 Depth=2
	s_waitcnt lgkmcnt(0)
	v_add_u32_sdwa v4, sext(v3), s16 dst_sel:DWORD dst_unused:UNUSED_PAD src0_sel:BYTE_0 src1_sel:DWORD
	v_and_b32_e32 v4, s78, v4
	v_cmp_eq_u32_e32 vcc, s79, v4
	s_and_b64 exec, exec, vcc
	s_cbranch_execz .LBB11_106
; %bb.111:                              ;   in Loop: Header=BB11_107 Depth=2
	v_lshlrev_b16_e32 v3, 8, v3
	v_or_b32_e32 v3, 1, v3
	ds_write_b16 v23, v3 offset:3072
	s_branch .LBB11_106
.LBB11_112:                             ;   in Loop: Header=BB11_17 Depth=1
	s_or_b64 exec, exec, s[6:7]
	v_lshrrev_b16_e32 v25, 8, v3
	s_and_b64 s[6:7], s[20:21], exec
.LBB11_113:                             ;   in Loop: Header=BB11_17 Depth=1
	s_or_b64 exec, exec, s[18:19]
	s_mov_b64 s[26:27], -1
	s_mov_b64 s[18:19], 0
	s_mov_b64 s[20:21], 0
.LBB11_114:                             ;   in Loop: Header=BB11_17 Depth=1
	s_andn2_b64 s[10:11], s[90:91], exec
	s_and_b64 s[12:13], s[18:19], exec
	s_or_b64 s[90:91], s[10:11], s[12:13]
	s_andn2_b64 s[10:11], s[88:89], exec
	s_and_b64 s[12:13], s[26:27], exec
	s_or_b64 s[88:89], s[10:11], s[12:13]
	;; [unrolled: 3-line block ×3, first 2 shown]
	s_and_saveexec_b64 s[20:21], s[6:7]
	s_cbranch_execz .LBB11_16
; %bb.115:                              ;   in Loop: Header=BB11_17 Depth=1
	s_xor_b64 s[10:11], s[24:25], -1
	s_mov_b64 s[6:7], 0
	s_andn2_b64 vcc, exec, s[10:11]
	s_mov_b32 s37, 1
	s_cbranch_vccnz .LBB11_126
; %bb.116:                              ;   in Loop: Header=BB11_17 Depth=1
	s_cmp_gt_i32 s61, s30
	s_mov_b64 s[6:7], -1
                                        ; implicit-def: $sgpr55
                                        ; implicit-def: $sgpr10
                                        ; implicit-def: $sgpr11
	s_cbranch_scc1 .LBB11_122
; %bb.117:                              ;   in Loop: Header=BB11_17 Depth=1
	ds_read_b32 v2, v23 offset:4096
	s_waitcnt lgkmcnt(0)
	v_cmp_ne_u32_e32 vcc, 0, v2
	s_cbranch_vccnz .LBB11_121
; %bb.118:                              ;   in Loop: Header=BB11_17 Depth=1
	s_mov_b64 s[6:7], exec
	v_readlane_b32 s10, v42, 5
	v_readlane_b32 s11, v42, 6
	s_and_b64 s[10:11], s[6:7], s[10:11]
	s_mov_b64 exec, s[10:11]
	s_cbranch_execz .LBB11_120
; %bb.119:                              ;   in Loop: Header=BB11_17 Depth=1
	v_mov_b32_e32 v2, s30
	ds_write_b32 v23, v2 offset:4100
.LBB11_120:                             ;   in Loop: Header=BB11_17 Depth=1
	s_or_b64 exec, exec, s[6:7]
	s_waitcnt lgkmcnt(0)
	s_barrier
.LBB11_121:                             ;   in Loop: Header=BB11_17 Depth=1
	s_and_b32 s10, s79, s46
	s_or_b32 s11, s78, s53
	s_mov_b64 s[6:7], 0
	s_mov_b32 s55, 8
.LBB11_122:                             ;   in Loop: Header=BB11_17 Depth=1
	s_andn2_b64 vcc, exec, s[6:7]
	s_cbranch_vccnz .LBB11_124
; %bb.123:                              ;   in Loop: Header=BB11_17 Depth=1
	s_sub_i32 s61, s61, s30
	s_mov_b64 s[6:7], -1
	s_mov_b32 s55, 0
	s_mov_b32 s10, s79
	;; [unrolled: 1-line block ×3, first 2 shown]
.LBB11_124:                             ;   in Loop: Header=BB11_17 Depth=1
	s_mov_b32 s78, s11
	s_mov_b32 s79, s10
	;; [unrolled: 1-line block ×3, first 2 shown]
	s_mov_b64 s[22:23], -1
	s_and_b64 vcc, exec, s[6:7]
	s_cbranch_vccnz .LBB11_127
.LBB11_125:                             ;   in Loop: Header=BB11_17 Depth=1
	s_mov_b64 s[18:19], -1
                                        ; implicit-def: $sgpr24_sgpr25
                                        ; implicit-def: $sgpr28_sgpr29
                                        ; implicit-def: $sgpr26_sgpr27
	s_and_saveexec_b64 s[6:7], s[18:19]
	s_xor_b64 s[6:7], exec, s[6:7]
	s_cbranch_execz .LBB11_15
	s_branch .LBB11_250
.LBB11_126:                             ;   in Loop: Header=BB11_17 Depth=1
	s_mov_b32 s55, 1
	s_mov_b64 s[22:23], -1
	s_and_b64 vcc, exec, s[6:7]
	s_cbranch_vccz .LBB11_125
.LBB11_127:                             ;   in Loop: Header=BB11_17 Depth=1
	s_cmp_eq_u32 s36, 1
	s_cselect_b64 s[6:7], -1, 0
	s_cmp_eq_u32 s37, 1
	s_cselect_b64 s[10:11], -1, 0
	s_and_b64 s[34:35], s[6:7], s[10:11]
	s_mov_b64 s[6:7], -1
	s_and_b64 vcc, exec, s[34:35]
	s_cbranch_vccz .LBB11_139
; %bb.128:                              ;   in Loop: Header=BB11_17 Depth=1
	ds_read_b32 v2, v23 offset:4096
	s_waitcnt lgkmcnt(0)
	s_barrier
	v_readfirstlane_b32 s10, v2
	s_and_saveexec_b64 s[6:7], s[4:5]
	s_cbranch_execz .LBB11_130
; %bb.129:                              ;   in Loop: Header=BB11_17 Depth=1
	ds_write_b8 v0, v23 offset:3072
.LBB11_130:                             ;   in Loop: Header=BB11_17 Depth=1
	s_or_b64 exec, exec, s[6:7]
	s_lshl_b32 s6, 1, s45
	s_and_b32 s7, s79, s46
	s_or_b32 s79, s7, s6
	s_or_b32 s78, s78, s53
	s_cmp_gt_i32 s10, 0
	s_waitcnt lgkmcnt(0)
	s_barrier
	s_cbranch_scc1 .LBB11_140
; %bb.131:                              ;   in Loop: Header=BB11_17 Depth=1
	s_mov_b64 s[6:7], 0
                                        ; implicit-def: $vgpr25
	s_mov_b64 s[24:25], exec
	v_readlane_b32 s12, v42, 36
	v_readlane_b32 s13, v42, 37
	s_and_b64 s[12:13], s[24:25], s[12:13]
	s_mov_b64 exec, s[12:13]
	s_cbranch_execz .LBB11_142
; %bb.132:                              ;   in Loop: Header=BB11_17 Depth=1
	v_mov_b32_e32 v2, v9
	v_mov_b32_e32 v3, v0
                                        ; implicit-def: $sgpr26_sgpr27
	s_branch .LBB11_134
.LBB11_133:                             ;   in Loop: Header=BB11_134 Depth=2
	s_or_b64 exec, exec, s[18:19]
	s_waitcnt lgkmcnt(0)
	s_barrier
	s_waitcnt vmcnt(0)
	ds_read_u16 v4, v23 offset:3072
	v_add_u32_e32 v3, s64, v3
	v_cmp_le_i32_e32 vcc, s17, v3
	v_add_u32_e32 v2, s82, v2
	s_waitcnt lgkmcnt(0)
	v_cmp_ne_u16_sdwa s[12:13], v4, v23 src0_sel:BYTE_0 src1_sel:DWORD
	s_or_b64 s[18:19], vcc, s[12:13]
	s_and_b64 s[18:19], exec, s[18:19]
	s_or_b64 s[6:7], s[18:19], s[6:7]
	s_andn2_b64 s[18:19], s[26:27], exec
	s_and_b64 s[12:13], s[12:13], exec
	s_or_b64 s[26:27], s[18:19], s[12:13]
	s_barrier
	s_andn2_b64 exec, exec, s[6:7]
	s_cbranch_execz .LBB11_141
.LBB11_134:                             ;   Parent Loop BB11_17 Depth=1
                                        ; =>  This Inner Loop Header: Depth=2
	v_cmp_gt_i32_e32 vcc, s60, v3
	v_mov_b32_e32 v4, 0
	s_and_saveexec_b64 s[28:29], vcc
	s_cbranch_execz .LBB11_136
; %bb.135:                              ;   in Loop: Header=BB11_134 Depth=2
	v_ashrrev_i32_e32 v5, 31, v2
	v_mov_b32_e32 v25, s73
	v_add_co_u32_e64 v4, s[18:19], s72, v2
	v_addc_co_u32_e64 v5, s[18:19], v25, v5, s[18:19]
	global_load_ubyte v4, v[4:5], off
.LBB11_136:                             ;   in Loop: Header=BB11_134 Depth=2
	s_or_b64 exec, exec, s[28:29]
	s_and_saveexec_b64 s[18:19], vcc
	s_cbranch_execz .LBB11_133
; %bb.137:                              ;   in Loop: Header=BB11_134 Depth=2
	s_waitcnt vmcnt(0)
	v_add_u32_sdwa v5, sext(v4), s16 dst_sel:DWORD dst_unused:UNUSED_PAD src0_sel:BYTE_0 src1_sel:DWORD
	v_and_b32_e32 v5, s78, v5
	v_cmp_eq_u32_e32 vcc, s79, v5
	s_and_b64 exec, exec, vcc
	s_cbranch_execz .LBB11_133
; %bb.138:                              ;   in Loop: Header=BB11_134 Depth=2
	v_lshlrev_b16_e32 v4, 8, v4
	v_or_b32_e32 v4, 1, v4
	ds_write_b16 v23, v4 offset:3072
	s_branch .LBB11_133
.LBB11_139:                             ;   in Loop: Header=BB11_17 Depth=1
                                        ; implicit-def: $sgpr26_sgpr27
                                        ; implicit-def: $sgpr28_sgpr29
                                        ; implicit-def: $sgpr24_sgpr25
	s_branch .LBB11_153
.LBB11_140:                             ;   in Loop: Header=BB11_17 Depth=1
	s_mov_b64 s[26:27], -1
	s_mov_b64 s[6:7], 0
                                        ; implicit-def: $sgpr24_sgpr25
                                        ; implicit-def: $vgpr25
	s_mov_b64 s[28:29], s[26:27]
	s_cbranch_execnz .LBB11_143
	s_branch .LBB11_153
.LBB11_141:                             ;   in Loop: Header=BB11_17 Depth=1
	s_or_b64 exec, exec, s[6:7]
	v_lshrrev_b16_e32 v25, 8, v4
	s_and_b64 s[6:7], s[26:27], exec
.LBB11_142:                             ;   in Loop: Header=BB11_17 Depth=1
	s_or_b64 exec, exec, s[24:25]
	s_mov_b64 s[24:25], -1
	s_mov_b64 s[26:27], 0
	s_mov_b64 s[28:29], s[26:27]
	s_branch .LBB11_153
.LBB11_143:                             ;   in Loop: Header=BB11_17 Depth=1
	v_readlane_b32 s6, v42, 8
	s_add_i32 s11, s10, s6
	s_abs_i32 s7, s11
	v_readlane_b32 s12, v42, 35
	s_mul_hi_u32 s12, s7, s12
	s_mul_i32 s12, s12, s64
	s_sub_i32 s7, s7, s12
	s_ashr_i32 s6, s11, 31
	s_sub_i32 s12, s7, s64
	s_cmp_ge_u32 s7, s64
	s_cselect_b32 s7, s12, s7
	s_sub_i32 s12, s7, s64
	s_cmp_ge_u32 s7, s64
	s_cselect_b32 s7, s12, s7
	s_xor_b32 s7, s7, s6
	s_sub_i32 s6, s6, s7
	s_add_i32 s11, s11, s6
	v_cmp_gt_i32_e32 vcc, s11, v0
	s_mov_b64 s[6:7], 0
                                        ; implicit-def: $vgpr25
	s_and_saveexec_b64 s[18:19], vcc
	s_cbranch_execz .LBB11_152
; %bb.144:                              ;   in Loop: Header=BB11_17 Depth=1
	v_mov_b32_e32 v2, v0
                                        ; implicit-def: $sgpr24_sgpr25
	s_branch .LBB11_146
.LBB11_145:                             ;   in Loop: Header=BB11_146 Depth=2
	s_or_b64 exec, exec, s[26:27]
	s_waitcnt lgkmcnt(0)
	s_barrier
	ds_read_u16 v3, v23 offset:3072
	v_add_u32_e32 v2, s64, v2
	v_cmp_le_i32_e32 vcc, s11, v2
	s_waitcnt lgkmcnt(0)
	s_barrier
	v_cmp_ne_u16_sdwa s[12:13], v3, v23 src0_sel:BYTE_0 src1_sel:DWORD
	s_or_b64 s[26:27], vcc, s[12:13]
	s_and_b64 s[26:27], exec, s[26:27]
	s_or_b64 s[6:7], s[26:27], s[6:7]
	s_andn2_b64 s[24:25], s[24:25], exec
	s_and_b64 s[12:13], s[12:13], exec
	s_or_b64 s[24:25], s[24:25], s[12:13]
	s_andn2_b64 exec, exec, s[6:7]
	s_cbranch_execz .LBB11_151
.LBB11_146:                             ;   Parent Loop BB11_17 Depth=1
                                        ; =>  This Inner Loop Header: Depth=2
	v_cmp_gt_i32_e32 vcc, s10, v2
	v_mov_b32_e32 v3, 0
	s_and_saveexec_b64 s[26:27], vcc
	s_cbranch_execz .LBB11_148
; %bb.147:                              ;   in Loop: Header=BB11_146 Depth=2
	ds_read_u8 v3, v2
.LBB11_148:                             ;   in Loop: Header=BB11_146 Depth=2
	s_or_b64 exec, exec, s[26:27]
	s_and_saveexec_b64 s[26:27], vcc
	s_cbranch_execz .LBB11_145
; %bb.149:                              ;   in Loop: Header=BB11_146 Depth=2
	s_waitcnt lgkmcnt(0)
	v_add_u32_sdwa v4, sext(v3), s16 dst_sel:DWORD dst_unused:UNUSED_PAD src0_sel:BYTE_0 src1_sel:DWORD
	v_and_b32_e32 v4, s78, v4
	v_cmp_eq_u32_e32 vcc, s79, v4
	s_and_b64 exec, exec, vcc
	s_cbranch_execz .LBB11_145
; %bb.150:                              ;   in Loop: Header=BB11_146 Depth=2
	v_lshlrev_b16_e32 v3, 8, v3
	v_or_b32_e32 v3, 1, v3
	ds_write_b16 v23, v3 offset:3072
	s_branch .LBB11_145
.LBB11_151:                             ;   in Loop: Header=BB11_17 Depth=1
	s_or_b64 exec, exec, s[6:7]
	v_lshrrev_b16_e32 v25, 8, v3
	s_and_b64 s[6:7], s[24:25], exec
.LBB11_152:                             ;   in Loop: Header=BB11_17 Depth=1
	s_or_b64 exec, exec, s[18:19]
	s_mov_b64 s[28:29], -1
	s_mov_b64 s[26:27], 0
	s_mov_b64 s[24:25], 0
.LBB11_153:                             ;   in Loop: Header=BB11_17 Depth=1
	s_mov_b64 s[18:19], 0
                                        ; implicit-def: $sgpr55
	s_and_saveexec_b64 s[30:31], s[6:7]
	s_cbranch_execz .LBB11_249
; %bb.154:                              ;   in Loop: Header=BB11_17 Depth=1
	s_xor_b64 s[10:11], s[34:35], -1
	s_mov_b64 s[6:7], 0
	s_andn2_b64 vcc, exec, s[10:11]
	s_mov_b32 s47, 1
	s_cbranch_vccnz .LBB11_165
; %bb.155:                              ;   in Loop: Header=BB11_17 Depth=1
	s_cmp_gt_i32 s37, s36
	s_mov_b64 s[6:7], -1
                                        ; implicit-def: $sgpr55
                                        ; implicit-def: $sgpr10
                                        ; implicit-def: $sgpr11
	s_cbranch_scc1 .LBB11_161
; %bb.156:                              ;   in Loop: Header=BB11_17 Depth=1
	ds_read_b32 v2, v23 offset:4096
	s_waitcnt lgkmcnt(0)
	v_cmp_ne_u32_e32 vcc, 0, v2
	s_cbranch_vccnz .LBB11_160
; %bb.157:                              ;   in Loop: Header=BB11_17 Depth=1
	s_mov_b64 s[6:7], exec
	v_readlane_b32 s10, v42, 5
	v_readlane_b32 s11, v42, 6
	s_and_b64 s[10:11], s[6:7], s[10:11]
	s_mov_b64 exec, s[10:11]
	s_cbranch_execz .LBB11_159
; %bb.158:                              ;   in Loop: Header=BB11_17 Depth=1
	v_mov_b32_e32 v2, s36
	ds_write_b32 v23, v2 offset:4100
.LBB11_159:                             ;   in Loop: Header=BB11_17 Depth=1
	s_or_b64 exec, exec, s[6:7]
	s_waitcnt lgkmcnt(0)
	s_barrier
.LBB11_160:                             ;   in Loop: Header=BB11_17 Depth=1
	s_lshl_b32 s6, 1, s45
	s_and_b32 s7, s79, s46
	s_or_b32 s10, s7, s6
	s_or_b32 s11, s78, s53
	s_mov_b64 s[6:7], 0
	s_mov_b32 s55, 8
.LBB11_161:                             ;   in Loop: Header=BB11_17 Depth=1
	s_andn2_b64 vcc, exec, s[6:7]
	s_cbranch_vccnz .LBB11_163
; %bb.162:                              ;   in Loop: Header=BB11_17 Depth=1
	s_sub_i32 s37, s37, s36
	s_mov_b64 s[6:7], -1
	s_mov_b32 s55, 0
	s_mov_b32 s10, s79
	;; [unrolled: 1-line block ×3, first 2 shown]
.LBB11_163:                             ;   in Loop: Header=BB11_17 Depth=1
	s_mov_b32 s78, s11
	s_mov_b32 s79, s10
	;; [unrolled: 1-line block ×3, first 2 shown]
	s_andn2_b64 vcc, exec, s[6:7]
	s_mov_b64 s[18:19], -1
	s_cbranch_vccz .LBB11_166
.LBB11_164:                             ;   in Loop: Header=BB11_17 Depth=1
                                        ; implicit-def: $sgpr36_sgpr37
                                        ; implicit-def: $sgpr38_sgpr39
                                        ; implicit-def: $sgpr34_sgpr35
	s_branch .LBB11_248
.LBB11_165:                             ;   in Loop: Header=BB11_17 Depth=1
	s_mov_b32 s55, 1
	s_andn2_b64 vcc, exec, s[6:7]
	s_mov_b64 s[18:19], -1
	s_cbranch_vccnz .LBB11_164
.LBB11_166:                             ;   in Loop: Header=BB11_17 Depth=1
	s_cmp_eq_u32 s44, 1
	s_cselect_b64 s[6:7], -1, 0
	s_cmp_eq_u32 s47, 1
	s_cselect_b64 s[10:11], -1, 0
	s_and_b64 s[42:43], s[6:7], s[10:11]
	s_mov_b64 s[6:7], -1
	s_and_b64 vcc, exec, s[42:43]
	s_cbranch_vccz .LBB11_178
; %bb.167:                              ;   in Loop: Header=BB11_17 Depth=1
	ds_read_b32 v2, v23 offset:4096
	s_waitcnt lgkmcnt(0)
	s_barrier
	v_readfirstlane_b32 s10, v2
	s_and_saveexec_b64 s[6:7], s[4:5]
	s_cbranch_execz .LBB11_169
; %bb.168:                              ;   in Loop: Header=BB11_17 Depth=1
	ds_write_b8 v0, v23 offset:3072
.LBB11_169:                             ;   in Loop: Header=BB11_17 Depth=1
	s_or_b64 exec, exec, s[6:7]
	s_lshl_b32 s6, 2, s45
	s_and_b32 s7, s79, s46
	s_or_b32 s79, s7, s6
	s_or_b32 s78, s78, s53
	s_cmp_gt_i32 s10, 0
	s_waitcnt lgkmcnt(0)
	s_barrier
	s_cbranch_scc1 .LBB11_179
; %bb.170:                              ;   in Loop: Header=BB11_17 Depth=1
	s_mov_b64 s[6:7], 0
                                        ; implicit-def: $vgpr25
	s_mov_b64 s[34:35], exec
	v_readlane_b32 s12, v42, 36
	v_readlane_b32 s13, v42, 37
	s_and_b64 s[12:13], s[34:35], s[12:13]
	s_mov_b64 exec, s[12:13]
	s_cbranch_execz .LBB11_181
; %bb.171:                              ;   in Loop: Header=BB11_17 Depth=1
	v_mov_b32_e32 v2, v9
	v_mov_b32_e32 v3, v0
                                        ; implicit-def: $sgpr36_sgpr37
	s_branch .LBB11_173
.LBB11_172:                             ;   in Loop: Header=BB11_173 Depth=2
	s_or_b64 exec, exec, s[18:19]
	s_waitcnt lgkmcnt(0)
	s_barrier
	s_waitcnt vmcnt(0)
	ds_read_u16 v4, v23 offset:3072
	v_add_u32_e32 v3, s64, v3
	v_cmp_le_i32_e32 vcc, s17, v3
	v_add_u32_e32 v2, s82, v2
	s_waitcnt lgkmcnt(0)
	v_cmp_ne_u16_sdwa s[12:13], v4, v23 src0_sel:BYTE_0 src1_sel:DWORD
	s_or_b64 s[18:19], vcc, s[12:13]
	s_and_b64 s[18:19], exec, s[18:19]
	s_or_b64 s[6:7], s[18:19], s[6:7]
	s_andn2_b64 s[18:19], s[36:37], exec
	s_and_b64 s[12:13], s[12:13], exec
	s_or_b64 s[36:37], s[18:19], s[12:13]
	s_barrier
	s_andn2_b64 exec, exec, s[6:7]
	s_cbranch_execz .LBB11_180
.LBB11_173:                             ;   Parent Loop BB11_17 Depth=1
                                        ; =>  This Inner Loop Header: Depth=2
	v_cmp_gt_i32_e32 vcc, s60, v3
	v_mov_b32_e32 v4, 0
	s_and_saveexec_b64 s[38:39], vcc
	s_cbranch_execz .LBB11_175
; %bb.174:                              ;   in Loop: Header=BB11_173 Depth=2
	v_ashrrev_i32_e32 v5, 31, v2
	v_mov_b32_e32 v25, s73
	v_add_co_u32_e64 v4, s[18:19], s72, v2
	v_addc_co_u32_e64 v5, s[18:19], v25, v5, s[18:19]
	global_load_ubyte v4, v[4:5], off
.LBB11_175:                             ;   in Loop: Header=BB11_173 Depth=2
	s_or_b64 exec, exec, s[38:39]
	s_and_saveexec_b64 s[18:19], vcc
	s_cbranch_execz .LBB11_172
; %bb.176:                              ;   in Loop: Header=BB11_173 Depth=2
	s_waitcnt vmcnt(0)
	v_add_u32_sdwa v5, sext(v4), s16 dst_sel:DWORD dst_unused:UNUSED_PAD src0_sel:BYTE_0 src1_sel:DWORD
	v_and_b32_e32 v5, s78, v5
	v_cmp_eq_u32_e32 vcc, s79, v5
	s_and_b64 exec, exec, vcc
	s_cbranch_execz .LBB11_172
; %bb.177:                              ;   in Loop: Header=BB11_173 Depth=2
	v_lshlrev_b16_e32 v4, 8, v4
	v_or_b32_e32 v4, 1, v4
	ds_write_b16 v23, v4 offset:3072
	s_branch .LBB11_172
.LBB11_178:                             ;   in Loop: Header=BB11_17 Depth=1
                                        ; implicit-def: $sgpr34_sgpr35
                                        ; implicit-def: $sgpr38_sgpr39
                                        ; implicit-def: $sgpr36_sgpr37
	s_branch .LBB11_192
.LBB11_179:                             ;   in Loop: Header=BB11_17 Depth=1
	s_mov_b64 s[34:35], -1
	s_mov_b64 s[6:7], 0
                                        ; implicit-def: $sgpr36_sgpr37
                                        ; implicit-def: $vgpr25
	s_mov_b64 s[38:39], s[34:35]
	s_cbranch_execnz .LBB11_182
	s_branch .LBB11_192
.LBB11_180:                             ;   in Loop: Header=BB11_17 Depth=1
	s_or_b64 exec, exec, s[6:7]
	v_lshrrev_b16_e32 v25, 8, v4
	s_and_b64 s[6:7], s[36:37], exec
.LBB11_181:                             ;   in Loop: Header=BB11_17 Depth=1
	s_or_b64 exec, exec, s[34:35]
	s_mov_b64 s[36:37], -1
	s_mov_b64 s[34:35], 0
	s_mov_b64 s[38:39], s[34:35]
	s_branch .LBB11_192
.LBB11_182:                             ;   in Loop: Header=BB11_17 Depth=1
	v_readlane_b32 s6, v42, 8
	s_add_i32 s11, s10, s6
	s_abs_i32 s7, s11
	v_readlane_b32 s12, v42, 35
	s_mul_hi_u32 s12, s7, s12
	s_mul_i32 s12, s12, s64
	s_sub_i32 s7, s7, s12
	s_ashr_i32 s6, s11, 31
	s_sub_i32 s12, s7, s64
	s_cmp_ge_u32 s7, s64
	s_cselect_b32 s7, s12, s7
	s_sub_i32 s12, s7, s64
	s_cmp_ge_u32 s7, s64
	s_cselect_b32 s7, s12, s7
	s_xor_b32 s7, s7, s6
	s_sub_i32 s6, s6, s7
	s_add_i32 s11, s11, s6
	v_cmp_gt_i32_e32 vcc, s11, v0
	s_mov_b64 s[6:7], 0
                                        ; implicit-def: $vgpr25
	s_and_saveexec_b64 s[18:19], vcc
	s_cbranch_execz .LBB11_191
; %bb.183:                              ;   in Loop: Header=BB11_17 Depth=1
	v_mov_b32_e32 v2, v0
                                        ; implicit-def: $sgpr34_sgpr35
	s_branch .LBB11_185
.LBB11_184:                             ;   in Loop: Header=BB11_185 Depth=2
	s_or_b64 exec, exec, s[36:37]
	s_waitcnt lgkmcnt(0)
	s_barrier
	ds_read_u16 v3, v23 offset:3072
	v_add_u32_e32 v2, s64, v2
	v_cmp_le_i32_e32 vcc, s11, v2
	s_waitcnt lgkmcnt(0)
	s_barrier
	v_cmp_ne_u16_sdwa s[12:13], v3, v23 src0_sel:BYTE_0 src1_sel:DWORD
	s_or_b64 s[36:37], vcc, s[12:13]
	s_and_b64 s[36:37], exec, s[36:37]
	s_or_b64 s[6:7], s[36:37], s[6:7]
	s_andn2_b64 s[34:35], s[34:35], exec
	s_and_b64 s[12:13], s[12:13], exec
	s_or_b64 s[34:35], s[34:35], s[12:13]
	s_andn2_b64 exec, exec, s[6:7]
	s_cbranch_execz .LBB11_190
.LBB11_185:                             ;   Parent Loop BB11_17 Depth=1
                                        ; =>  This Inner Loop Header: Depth=2
	v_cmp_gt_i32_e32 vcc, s10, v2
	v_mov_b32_e32 v3, 0
	s_and_saveexec_b64 s[36:37], vcc
	s_cbranch_execz .LBB11_187
; %bb.186:                              ;   in Loop: Header=BB11_185 Depth=2
	ds_read_u8 v3, v2
.LBB11_187:                             ;   in Loop: Header=BB11_185 Depth=2
	s_or_b64 exec, exec, s[36:37]
	s_and_saveexec_b64 s[36:37], vcc
	s_cbranch_execz .LBB11_184
; %bb.188:                              ;   in Loop: Header=BB11_185 Depth=2
	s_waitcnt lgkmcnt(0)
	v_add_u32_sdwa v4, sext(v3), s16 dst_sel:DWORD dst_unused:UNUSED_PAD src0_sel:BYTE_0 src1_sel:DWORD
	v_and_b32_e32 v4, s78, v4
	v_cmp_eq_u32_e32 vcc, s79, v4
	s_and_b64 exec, exec, vcc
	s_cbranch_execz .LBB11_184
; %bb.189:                              ;   in Loop: Header=BB11_185 Depth=2
	v_lshlrev_b16_e32 v3, 8, v3
	v_or_b32_e32 v3, 1, v3
	ds_write_b16 v23, v3 offset:3072
	s_branch .LBB11_184
.LBB11_190:                             ;   in Loop: Header=BB11_17 Depth=1
	s_or_b64 exec, exec, s[6:7]
	v_lshrrev_b16_e32 v25, 8, v3
	s_and_b64 s[6:7], s[34:35], exec
.LBB11_191:                             ;   in Loop: Header=BB11_17 Depth=1
	s_or_b64 exec, exec, s[18:19]
	s_mov_b64 s[38:39], -1
	s_mov_b64 s[34:35], 0
	s_mov_b64 s[36:37], 0
.LBB11_192:                             ;   in Loop: Header=BB11_17 Depth=1
	s_mov_b64 s[18:19], 0
                                        ; implicit-def: $sgpr55
	s_and_saveexec_b64 s[40:41], s[6:7]
	s_cbranch_execz .LBB11_247
; %bb.193:                              ;   in Loop: Header=BB11_17 Depth=1
	s_xor_b64 s[10:11], s[42:43], -1
	s_mov_b64 s[6:7], 0
	s_andn2_b64 vcc, exec, s[10:11]
	s_mov_b32 s54, 1
	s_cbranch_vccnz .LBB11_204
; %bb.194:                              ;   in Loop: Header=BB11_17 Depth=1
	s_cmp_gt_i32 s47, s44
	s_mov_b64 s[6:7], -1
                                        ; implicit-def: $sgpr55
                                        ; implicit-def: $sgpr10
                                        ; implicit-def: $sgpr11
	s_cbranch_scc1 .LBB11_200
; %bb.195:                              ;   in Loop: Header=BB11_17 Depth=1
	ds_read_b32 v2, v23 offset:4096
	s_waitcnt lgkmcnt(0)
	v_cmp_ne_u32_e32 vcc, 0, v2
	s_cbranch_vccnz .LBB11_199
; %bb.196:                              ;   in Loop: Header=BB11_17 Depth=1
	s_mov_b64 s[6:7], exec
	v_readlane_b32 s10, v42, 5
	v_readlane_b32 s11, v42, 6
	s_and_b64 s[10:11], s[6:7], s[10:11]
	s_mov_b64 exec, s[10:11]
	s_cbranch_execz .LBB11_198
; %bb.197:                              ;   in Loop: Header=BB11_17 Depth=1
	v_mov_b32_e32 v2, s44
	ds_write_b32 v23, v2 offset:4100
.LBB11_198:                             ;   in Loop: Header=BB11_17 Depth=1
	s_or_b64 exec, exec, s[6:7]
	s_waitcnt lgkmcnt(0)
	s_barrier
.LBB11_199:                             ;   in Loop: Header=BB11_17 Depth=1
	s_lshl_b32 s6, 2, s45
	s_and_b32 s7, s79, s46
	s_or_b32 s10, s7, s6
	s_or_b32 s11, s78, s53
	s_mov_b64 s[6:7], 0
	s_mov_b32 s55, 8
.LBB11_200:                             ;   in Loop: Header=BB11_17 Depth=1
	s_andn2_b64 vcc, exec, s[6:7]
	s_cbranch_vccnz .LBB11_202
; %bb.201:                              ;   in Loop: Header=BB11_17 Depth=1
	s_sub_i32 s47, s47, s44
	s_mov_b64 s[6:7], -1
	s_mov_b32 s55, 0
	s_mov_b32 s10, s79
	;; [unrolled: 1-line block ×3, first 2 shown]
.LBB11_202:                             ;   in Loop: Header=BB11_17 Depth=1
	s_mov_b32 s78, s11
	s_mov_b32 s79, s10
	;; [unrolled: 1-line block ×3, first 2 shown]
	s_andn2_b64 vcc, exec, s[6:7]
	s_mov_b64 s[50:51], -1
	s_cbranch_vccz .LBB11_205
.LBB11_203:                             ;   in Loop: Header=BB11_17 Depth=1
                                        ; implicit-def: $sgpr18_sgpr19
                                        ; implicit-def: $sgpr44_sgpr45
                                        ; implicit-def: $sgpr42_sgpr43
	s_branch .LBB11_246
.LBB11_204:                             ;   in Loop: Header=BB11_17 Depth=1
	s_mov_b32 s55, 1
	s_andn2_b64 vcc, exec, s[6:7]
	s_mov_b64 s[50:51], -1
	s_cbranch_vccnz .LBB11_203
.LBB11_205:                             ;   in Loop: Header=BB11_17 Depth=1
	s_cmp_eq_u32 s52, 1
	s_cselect_b64 s[6:7], -1, 0
	s_cmp_eq_u32 s54, 1
	s_cselect_b64 s[10:11], -1, 0
	s_and_b64 s[6:7], s[6:7], s[10:11]
	s_mov_b64 s[46:47], -1
	s_and_b64 vcc, exec, s[6:7]
	s_cbranch_vccz .LBB11_217
; %bb.206:                              ;   in Loop: Header=BB11_17 Depth=1
	ds_read_b32 v2, v23 offset:4096
	s_waitcnt lgkmcnt(0)
	s_barrier
	v_readfirstlane_b32 s10, v2
	s_and_saveexec_b64 s[18:19], s[4:5]
	s_cbranch_execz .LBB11_208
; %bb.207:                              ;   in Loop: Header=BB11_17 Depth=1
	ds_write_b8 v0, v23 offset:3072
.LBB11_208:                             ;   in Loop: Header=BB11_17 Depth=1
	s_or_b64 exec, exec, s[18:19]
	s_or_b32 s79, s79, s53
	s_or_b32 s78, s78, s53
	s_cmp_gt_i32 s10, 0
	s_waitcnt lgkmcnt(0)
	s_barrier
	s_cbranch_scc1 .LBB11_218
; %bb.209:                              ;   in Loop: Header=BB11_17 Depth=1
	s_mov_b64 s[46:47], 0
                                        ; implicit-def: $vgpr25
	s_mov_b64 s[42:43], exec
	v_readlane_b32 s12, v42, 36
	v_readlane_b32 s13, v42, 37
	s_and_b64 s[12:13], s[42:43], s[12:13]
	s_mov_b64 exec, s[12:13]
	s_cbranch_execz .LBB11_220
; %bb.210:                              ;   in Loop: Header=BB11_17 Depth=1
	s_mov_b64 s[44:45], 0
	v_mov_b32_e32 v2, v9
	v_mov_b32_e32 v3, v0
                                        ; implicit-def: $sgpr46_sgpr47
	s_branch .LBB11_212
.LBB11_211:                             ;   in Loop: Header=BB11_212 Depth=2
	s_or_b64 exec, exec, s[18:19]
	s_waitcnt lgkmcnt(0)
	s_barrier
	s_waitcnt vmcnt(0)
	ds_read_u16 v4, v23 offset:3072
	v_add_u32_e32 v3, s64, v3
	v_cmp_le_i32_e32 vcc, s17, v3
	v_add_u32_e32 v2, s82, v2
	s_waitcnt lgkmcnt(0)
	v_cmp_ne_u16_sdwa s[12:13], v4, v23 src0_sel:BYTE_0 src1_sel:DWORD
	s_or_b64 s[18:19], vcc, s[12:13]
	s_and_b64 s[18:19], exec, s[18:19]
	s_or_b64 s[44:45], s[18:19], s[44:45]
	s_andn2_b64 s[18:19], s[46:47], exec
	s_and_b64 s[12:13], s[12:13], exec
	s_or_b64 s[46:47], s[18:19], s[12:13]
	s_barrier
	s_andn2_b64 exec, exec, s[44:45]
	s_cbranch_execz .LBB11_219
.LBB11_212:                             ;   Parent Loop BB11_17 Depth=1
                                        ; =>  This Inner Loop Header: Depth=2
	v_cmp_gt_i32_e32 vcc, s60, v3
	v_mov_b32_e32 v4, 0
	s_and_saveexec_b64 s[48:49], vcc
	s_cbranch_execz .LBB11_214
; %bb.213:                              ;   in Loop: Header=BB11_212 Depth=2
	v_ashrrev_i32_e32 v5, 31, v2
	v_mov_b32_e32 v25, s73
	v_add_co_u32_e64 v4, s[18:19], s72, v2
	v_addc_co_u32_e64 v5, s[18:19], v25, v5, s[18:19]
	global_load_ubyte v4, v[4:5], off
.LBB11_214:                             ;   in Loop: Header=BB11_212 Depth=2
	s_or_b64 exec, exec, s[48:49]
	s_and_saveexec_b64 s[18:19], vcc
	s_cbranch_execz .LBB11_211
; %bb.215:                              ;   in Loop: Header=BB11_212 Depth=2
	s_waitcnt vmcnt(0)
	v_add_u32_sdwa v5, sext(v4), s16 dst_sel:DWORD dst_unused:UNUSED_PAD src0_sel:BYTE_0 src1_sel:DWORD
	v_and_b32_e32 v5, s78, v5
	v_cmp_eq_u32_e32 vcc, s79, v5
	s_and_b64 exec, exec, vcc
	s_cbranch_execz .LBB11_211
; %bb.216:                              ;   in Loop: Header=BB11_212 Depth=2
	v_lshlrev_b16_e32 v4, 8, v4
	v_or_b32_e32 v4, 1, v4
	ds_write_b16 v23, v4 offset:3072
	s_branch .LBB11_211
.LBB11_217:                             ;   in Loop: Header=BB11_17 Depth=1
                                        ; implicit-def: $sgpr18_sgpr19
                                        ; implicit-def: $sgpr44_sgpr45
                                        ; implicit-def: $sgpr42_sgpr43
	s_branch .LBB11_231
.LBB11_218:                             ;   in Loop: Header=BB11_17 Depth=1
	s_mov_b64 s[18:19], -1
	s_mov_b64 s[46:47], 0
                                        ; implicit-def: $sgpr42_sgpr43
                                        ; implicit-def: $vgpr25
	s_mov_b64 s[44:45], s[18:19]
	s_cbranch_execnz .LBB11_221
	s_branch .LBB11_231
.LBB11_219:                             ;   in Loop: Header=BB11_17 Depth=1
	s_or_b64 exec, exec, s[44:45]
	v_lshrrev_b16_e32 v25, 8, v4
	s_and_b64 s[46:47], s[46:47], exec
.LBB11_220:                             ;   in Loop: Header=BB11_17 Depth=1
	s_or_b64 exec, exec, s[42:43]
	s_mov_b64 s[42:43], -1
	s_mov_b64 s[18:19], 0
	s_mov_b64 s[44:45], s[18:19]
	s_branch .LBB11_231
.LBB11_221:                             ;   in Loop: Header=BB11_17 Depth=1
	v_readlane_b32 s11, v42, 8
	s_add_i32 s11, s10, s11
	s_abs_i32 s13, s11
	v_readlane_b32 s18, v42, 35
	s_mul_hi_u32 s18, s13, s18
	s_mul_i32 s18, s18, s64
	s_sub_i32 s13, s13, s18
	s_ashr_i32 s12, s11, 31
	s_sub_i32 s18, s13, s64
	s_cmp_ge_u32 s13, s64
	s_cselect_b32 s13, s18, s13
	s_sub_i32 s18, s13, s64
	s_cmp_ge_u32 s13, s64
	s_cselect_b32 s13, s18, s13
	s_xor_b32 s13, s13, s12
	s_sub_i32 s12, s12, s13
	s_add_i32 s11, s11, s12
	v_cmp_gt_i32_e32 vcc, s11, v0
	s_mov_b64 s[46:47], 0
                                        ; implicit-def: $vgpr25
	s_and_saveexec_b64 s[18:19], vcc
	s_cbranch_execz .LBB11_230
; %bb.222:                              ;   in Loop: Header=BB11_17 Depth=1
	s_mov_b64 s[42:43], 0
	v_mov_b32_e32 v2, v0
                                        ; implicit-def: $sgpr44_sgpr45
	s_branch .LBB11_224
.LBB11_223:                             ;   in Loop: Header=BB11_224 Depth=2
	s_or_b64 exec, exec, s[46:47]
	s_waitcnt lgkmcnt(0)
	s_barrier
	ds_read_u16 v3, v23 offset:3072
	v_add_u32_e32 v2, s64, v2
	v_cmp_le_i32_e32 vcc, s11, v2
	s_waitcnt lgkmcnt(0)
	s_barrier
	v_cmp_ne_u16_sdwa s[12:13], v3, v23 src0_sel:BYTE_0 src1_sel:DWORD
	s_or_b64 s[46:47], vcc, s[12:13]
	s_and_b64 s[46:47], exec, s[46:47]
	s_or_b64 s[42:43], s[46:47], s[42:43]
	s_andn2_b64 s[44:45], s[44:45], exec
	s_and_b64 s[12:13], s[12:13], exec
	s_or_b64 s[44:45], s[44:45], s[12:13]
	s_andn2_b64 exec, exec, s[42:43]
	s_cbranch_execz .LBB11_229
.LBB11_224:                             ;   Parent Loop BB11_17 Depth=1
                                        ; =>  This Inner Loop Header: Depth=2
	v_cmp_gt_i32_e32 vcc, s10, v2
	v_mov_b32_e32 v3, 0
	s_and_saveexec_b64 s[46:47], vcc
	s_cbranch_execz .LBB11_226
; %bb.225:                              ;   in Loop: Header=BB11_224 Depth=2
	ds_read_u8 v3, v2
.LBB11_226:                             ;   in Loop: Header=BB11_224 Depth=2
	s_or_b64 exec, exec, s[46:47]
	s_and_saveexec_b64 s[46:47], vcc
	s_cbranch_execz .LBB11_223
; %bb.227:                              ;   in Loop: Header=BB11_224 Depth=2
	s_waitcnt lgkmcnt(0)
	v_add_u32_sdwa v4, sext(v3), s16 dst_sel:DWORD dst_unused:UNUSED_PAD src0_sel:BYTE_0 src1_sel:DWORD
	v_and_b32_e32 v4, s78, v4
	v_cmp_eq_u32_e32 vcc, s79, v4
	s_and_b64 exec, exec, vcc
	s_cbranch_execz .LBB11_223
; %bb.228:                              ;   in Loop: Header=BB11_224 Depth=2
	v_lshlrev_b16_e32 v3, 8, v3
	v_or_b32_e32 v3, 1, v3
	ds_write_b16 v23, v3 offset:3072
	s_branch .LBB11_223
.LBB11_229:                             ;   in Loop: Header=BB11_17 Depth=1
	s_or_b64 exec, exec, s[42:43]
	v_lshrrev_b16_e32 v25, 8, v3
	s_and_b64 s[46:47], s[44:45], exec
.LBB11_230:                             ;   in Loop: Header=BB11_17 Depth=1
	s_or_b64 exec, exec, s[18:19]
	s_mov_b64 s[44:45], -1
	s_mov_b64 s[18:19], 0
	s_mov_b64 s[42:43], 0
.LBB11_231:                             ;   in Loop: Header=BB11_17 Depth=1
	s_mov_b64 s[50:51], 0
                                        ; implicit-def: $sgpr55
	s_and_saveexec_b64 s[48:49], s[46:47]
	s_cbranch_execz .LBB11_245
; %bb.232:                              ;   in Loop: Header=BB11_17 Depth=1
	s_xor_b64 s[6:7], s[6:7], -1
	s_andn2_b64 vcc, exec, s[6:7]
	s_mov_b32 s55, 1
	s_cbranch_vccnz .LBB11_239
; %bb.233:                              ;   in Loop: Header=BB11_17 Depth=1
	s_cmp_gt_i32 s54, s52
	s_cbranch_scc1 .LBB11_240
; %bb.234:                              ;   in Loop: Header=BB11_17 Depth=1
	ds_read_b32 v2, v23 offset:4096
	s_waitcnt lgkmcnt(0)
	v_cmp_ne_u32_e32 vcc, 0, v2
	s_cbranch_vccnz .LBB11_238
; %bb.235:                              ;   in Loop: Header=BB11_17 Depth=1
	s_mov_b64 s[6:7], exec
	v_readlane_b32 s10, v42, 5
	v_readlane_b32 s11, v42, 6
	s_and_b64 s[10:11], s[6:7], s[10:11]
	s_mov_b64 exec, s[10:11]
	s_cbranch_execz .LBB11_237
; %bb.236:                              ;   in Loop: Header=BB11_17 Depth=1
	v_mov_b32_e32 v2, s52
	ds_write_b32 v23, v2 offset:4100
.LBB11_237:                             ;   in Loop: Header=BB11_17 Depth=1
	s_or_b64 exec, exec, s[6:7]
	s_waitcnt lgkmcnt(0)
	s_barrier
.LBB11_238:                             ;   in Loop: Header=BB11_17 Depth=1
	s_or_b32 s10, s79, s53
	s_or_b32 s11, s78, s53
	s_mov_b64 s[6:7], 0
	s_mov_b32 s55, 8
	s_branch .LBB11_241
.LBB11_239:                             ;   in Loop: Header=BB11_17 Depth=1
	s_mov_b32 s54, 1
	s_branch .LBB11_244
.LBB11_240:                             ;   in Loop: Header=BB11_17 Depth=1
	s_mov_b64 s[6:7], -1
                                        ; implicit-def: $sgpr55
                                        ; implicit-def: $sgpr10
                                        ; implicit-def: $sgpr11
.LBB11_241:                             ;   in Loop: Header=BB11_17 Depth=1
	s_andn2_b64 vcc, exec, s[6:7]
	s_cbranch_vccnz .LBB11_243
; %bb.242:                              ;   in Loop: Header=BB11_17 Depth=1
	s_sub_i32 s54, s54, s52
	s_mov_b32 s55, 8
	s_mov_b32 s10, s79
	;; [unrolled: 1-line block ×3, first 2 shown]
.LBB11_243:                             ;   in Loop: Header=BB11_17 Depth=1
	s_mov_b32 s79, s10
	s_mov_b32 s78, s11
.LBB11_244:                             ;   in Loop: Header=BB11_17 Depth=1
	s_mov_b64 s[50:51], exec
.LBB11_245:                             ;   in Loop: Header=BB11_17 Depth=1
	s_or_b64 exec, exec, s[48:49]
.LBB11_246:                             ;   in Loop: Header=BB11_17 Depth=1
	s_andn2_b64 s[6:7], s[34:35], exec
	s_and_b64 s[10:11], s[18:19], exec
	s_or_b64 s[34:35], s[6:7], s[10:11]
	s_andn2_b64 s[6:7], s[38:39], exec
	s_and_b64 s[10:11], s[44:45], exec
	s_or_b64 s[38:39], s[6:7], s[10:11]
	;; [unrolled: 3-line block ×3, first 2 shown]
	s_and_b64 s[18:19], s[50:51], exec
	s_mov_b32 s47, s54
.LBB11_247:                             ;   in Loop: Header=BB11_17 Depth=1
	s_or_b64 exec, exec, s[40:41]
.LBB11_248:                             ;   in Loop: Header=BB11_17 Depth=1
	s_andn2_b64 s[6:7], s[26:27], exec
	s_and_b64 s[10:11], s[34:35], exec
	s_or_b64 s[26:27], s[6:7], s[10:11]
	s_andn2_b64 s[6:7], s[28:29], exec
	s_and_b64 s[10:11], s[38:39], exec
	s_or_b64 s[28:29], s[6:7], s[10:11]
	;; [unrolled: 3-line block ×3, first 2 shown]
	s_and_b64 s[18:19], s[18:19], exec
	s_mov_b32 s37, s47
.LBB11_249:                             ;   in Loop: Header=BB11_17 Depth=1
	s_or_b64 exec, exec, s[30:31]
	s_and_saveexec_b64 s[6:7], s[18:19]
	s_xor_b64 s[6:7], exec, s[6:7]
	s_cbranch_execz .LBB11_15
.LBB11_250:                             ;   in Loop: Header=BB11_17 Depth=1
	s_and_b32 s10, s55, -9
	s_cmp_eq_u32 s10, 0
	s_cbranch_scc1 .LBB11_13
; %bb.251:                              ;   in Loop: Header=BB11_17 Depth=1
	s_mov_b64 s[18:19], -1
                                        ; implicit-def: $sgpr78
                                        ; implicit-def: $sgpr37
                                        ; implicit-def: $sgpr0
                                        ; implicit-def: $sgpr1
	s_mov_b64 s[22:23], -1
	s_branch .LBB11_14
.LBB11_252:
	s_or_b64 exec, exec, s[92:93]
	s_xor_b64 s[8:9], s[70:71], -1
	s_xor_b64 s[0:1], s[94:95], -1
	;; [unrolled: 1-line block ×3, first 2 shown]
	s_mov_b64 s[4:5], 0
	s_and_saveexec_b64 s[2:3], s[0:1]
	s_xor_b64 s[2:3], exec, s[2:3]
	s_cbranch_execnz .LBB11_257
; %bb.253:
	s_andn2_saveexec_b64 s[0:1], s[2:3]
	s_cbranch_execnz .LBB11_277
.LBB11_254:
	s_or_b64 exec, exec, s[0:1]
	s_and_saveexec_b64 s[0:1], s[4:5]
.LBB11_255:
	; divergent unreachable
.LBB11_256:
	s_endpgm
.LBB11_257:
	s_and_saveexec_b64 s[0:1], s[8:9]
	s_xor_b64 s[4:5], exec, s[0:1]
	s_cbranch_execz .LBB11_275
; %bb.258:
	s_and_saveexec_b64 s[0:1], s[6:7]
	s_xor_b64 s[6:7], exec, s[0:1]
; %bb.259:
	v_xor_b32_e32 v25, 0xffffff80, v2
; %bb.260:
	s_or_b64 exec, exec, s[6:7]
	s_mov_b64 s[6:7], exec
	v_readlane_b32 s0, v42, 5
	v_readlane_b32 s1, v42, 6
	s_and_b64 s[0:1], s[6:7], s[0:1]
	s_mov_b64 exec, s[0:1]
	s_cbranch_execz .LBB11_262
; %bb.261:
	v_mov_b32_e32 v1, 0
	v_mov_b32_e32 v2, s60
	ds_write_b32 v1, v2 offset:4108
.LBB11_262:
	s_or_b64 exec, exec, s[6:7]
	v_mov_b32_e32 v1, 0
	s_waitcnt lgkmcnt(0)
	s_barrier
	ds_read_b32 v1, v1 offset:4108
	s_waitcnt lgkmcnt(0)
	v_min_i32_e32 v2, s60, v1
	v_cmp_lt_i32_e32 vcc, v0, v2
	s_and_saveexec_b64 s[6:7], vcc
	s_cbranch_execz .LBB11_272
; %bb.263:
	s_mov_b64 s[8:9], 0
	v_mov_b32_e32 v3, s73
                                        ; implicit-def: $sgpr10_sgpr11
                                        ; implicit-def: $sgpr14_sgpr15
                                        ; implicit-def: $sgpr12_sgpr13
	s_branch .LBB11_265
.LBB11_264:                             ;   in Loop: Header=BB11_265 Depth=1
	s_or_b64 exec, exec, s[16:17]
	s_and_b64 s[0:1], exec, s[14:15]
	s_or_b64 s[8:9], s[0:1], s[8:9]
	s_andn2_b64 s[0:1], s[10:11], exec
	s_and_b64 s[10:11], s[12:13], exec
	s_or_b64 s[10:11], s[0:1], s[10:11]
	s_andn2_b64 exec, exec, s[8:9]
	s_cbranch_execz .LBB11_267
.LBB11_265:                             ; =>This Inner Loop Header: Depth=1
	v_ashrrev_i32_e32 v1, 31, v9
	v_add_co_u32_e32 v4, vcc, s72, v9
	v_addc_co_u32_e32 v5, vcc, v3, v1, vcc
	global_load_ubyte v4, v[4:5], off
	v_mov_b32_e32 v1, v0
	s_or_b64 s[12:13], s[12:13], exec
	s_or_b64 s[14:15], s[14:15], exec
                                        ; implicit-def: $vgpr0
	s_waitcnt vmcnt(0)
	v_cmp_ne_u16_sdwa s[0:1], v4, v25 src0_sel:DWORD src1_sel:BYTE_0
	s_and_saveexec_b64 s[16:17], s[0:1]
	s_cbranch_execz .LBB11_264
; %bb.266:                              ;   in Loop: Header=BB11_265 Depth=1
	v_add_u32_e32 v0, s64, v1
	v_cmp_ge_i32_e32 vcc, v0, v2
	s_andn2_b64 s[0:1], s[14:15], exec
	s_and_b64 s[14:15], vcc, exec
	v_add_u32_e32 v9, s82, v9
	s_andn2_b64 s[12:13], s[12:13], exec
	s_or_b64 s[14:15], s[0:1], s[14:15]
	s_branch .LBB11_264
.LBB11_267:
	s_or_b64 exec, exec, s[8:9]
	s_and_saveexec_b64 s[0:1], s[10:11]
	s_xor_b64 s[0:1], exec, s[0:1]
	s_cbranch_execz .LBB11_272
; %bb.268:
	s_mov_b64 s[8:9], exec
	s_brev_b32 s0, -2
.LBB11_269:                             ; =>This Inner Loop Header: Depth=1
	s_ff1_i32_b64 s1, s[8:9]
	v_readlane_b32 s12, v1, s1
	s_lshl_b64 s[10:11], 1, s1
	s_min_i32 s0, s0, s12
	s_andn2_b64 s[8:9], s[8:9], s[10:11]
	s_cmp_lg_u64 s[8:9], 0
	s_cbranch_scc1 .LBB11_269
; %bb.270:
	v_mbcnt_lo_u32_b32 v0, exec_lo, 0
	v_mbcnt_hi_u32_b32 v0, exec_hi, v0
	v_cmp_eq_u32_e32 vcc, 0, v0
	s_and_saveexec_b64 s[8:9], vcc
	s_xor_b64 s[8:9], exec, s[8:9]
	s_cbranch_execz .LBB11_272
; %bb.271:
	v_mov_b32_e32 v0, 0
	v_mov_b32_e32 v1, s0
	ds_min_i32 v0, v1 offset:4108
.LBB11_272:
	s_or_b64 exec, exec, s[6:7]
	s_waitcnt lgkmcnt(0)
	s_barrier
	s_mov_b64 s[6:7], exec
	v_readlane_b32 s0, v42, 5
	v_readlane_b32 s1, v42, 6
	s_and_b64 s[0:1], s[6:7], s[0:1]
	s_mov_b64 exec, s[0:1]
	s_cbranch_execz .LBB11_274
; %bb.273:
	v_readlane_b32 s0, v42, 0
	s_mul_i32 s0, s0, s62
	s_add_i32 s1, s0, s65
	v_readlane_b32 s0, v42, 7
	s_mul_i32 s0, s0, s33
	v_mov_b32_e32 v2, 0
	s_add_i32 s0, s0, s67
	s_ashr_i32 s9, s1, 31
	v_readlane_b32 s10, v42, 1
	ds_read_b32 v0, v2 offset:4108
	v_readlane_b32 s11, v42, 2
	s_add_u32 s8, s10, s1
	s_addc_u32 s9, s11, s9
	s_ashr_i32 s1, s0, 31
	s_lshl_b64 s[0:1], s[0:1], 3
	v_readlane_b32 s10, v42, 3
	v_readlane_b32 s11, v42, 4
	s_add_u32 s0, s10, s0
	s_addc_u32 s1, s11, s1
	s_waitcnt lgkmcnt(0)
	v_ashrrev_i32_e32 v1, 31, v0
	global_store_dwordx2 v2, v[0:1], s[0:1]
	global_store_byte v2, v25, s[8:9]
.LBB11_274:
	s_or_b64 exec, exec, s[6:7]
.LBB11_275:
	s_or_saveexec_b64 s[0:1], s[4:5]
	s_mov_b64 s[4:5], 0
	s_xor_b64 exec, exec, s[0:1]
	s_cbranch_execnz .LBB11_278
.LBB11_276:
	s_or_b64 exec, exec, s[0:1]
	s_and_b64 s[4:5], s[4:5], exec
	s_andn2_saveexec_b64 s[0:1], s[2:3]
	s_cbranch_execz .LBB11_254
.LBB11_277:
	s_or_b64 s[4:5], s[4:5], exec
	s_trap 2
	s_or_b64 exec, exec, s[0:1]
	s_and_saveexec_b64 s[0:1], s[4:5]
	s_cbranch_execnz .LBB11_255
	s_branch .LBB11_256
.LBB11_278:
	s_mov_b64 s[4:5], exec
	s_trap 2
	s_branch .LBB11_276
	.section	.rodata,"a",@progbits
	.p2align	6, 0x0
	.amdhsa_kernel _ZN2at6native12_GLOBAL__N_114gatherKthValueIaiLin1EEEvNS_4cuda6detail10TensorInfoIKT_T0_EES8_S8_S8_S8_NS5_IS6_S8_EENS5_IlS8_EE
		.amdhsa_group_segment_fixed_size 4112
		.amdhsa_private_segment_fixed_size 0
		.amdhsa_kernarg_size 920
		.amdhsa_user_sgpr_count 6
		.amdhsa_user_sgpr_private_segment_buffer 1
		.amdhsa_user_sgpr_dispatch_ptr 0
		.amdhsa_user_sgpr_queue_ptr 0
		.amdhsa_user_sgpr_kernarg_segment_ptr 1
		.amdhsa_user_sgpr_dispatch_id 0
		.amdhsa_user_sgpr_flat_scratch_init 0
		.amdhsa_user_sgpr_kernarg_preload_length 0
		.amdhsa_user_sgpr_kernarg_preload_offset 0
		.amdhsa_user_sgpr_private_segment_size 0
		.amdhsa_uses_dynamic_stack 0
		.amdhsa_system_sgpr_private_segment_wavefront_offset 0
		.amdhsa_system_sgpr_workgroup_id_x 1
		.amdhsa_system_sgpr_workgroup_id_y 1
		.amdhsa_system_sgpr_workgroup_id_z 1
		.amdhsa_system_sgpr_workgroup_info 0
		.amdhsa_system_vgpr_workitem_id 0
		.amdhsa_next_free_vgpr 43
		.amdhsa_next_free_sgpr 96
		.amdhsa_accum_offset 44
		.amdhsa_reserve_vcc 1
		.amdhsa_reserve_flat_scratch 0
		.amdhsa_float_round_mode_32 0
		.amdhsa_float_round_mode_16_64 0
		.amdhsa_float_denorm_mode_32 3
		.amdhsa_float_denorm_mode_16_64 3
		.amdhsa_dx10_clamp 1
		.amdhsa_ieee_mode 1
		.amdhsa_fp16_overflow 0
		.amdhsa_tg_split 0
		.amdhsa_exception_fp_ieee_invalid_op 0
		.amdhsa_exception_fp_denorm_src 0
		.amdhsa_exception_fp_ieee_div_zero 0
		.amdhsa_exception_fp_ieee_overflow 0
		.amdhsa_exception_fp_ieee_underflow 0
		.amdhsa_exception_fp_ieee_inexact 0
		.amdhsa_exception_int_div_zero 0
	.end_amdhsa_kernel
	.section	.text._ZN2at6native12_GLOBAL__N_114gatherKthValueIaiLin1EEEvNS_4cuda6detail10TensorInfoIKT_T0_EES8_S8_S8_S8_NS5_IS6_S8_EENS5_IlS8_EE,"axG",@progbits,_ZN2at6native12_GLOBAL__N_114gatherKthValueIaiLin1EEEvNS_4cuda6detail10TensorInfoIKT_T0_EES8_S8_S8_S8_NS5_IS6_S8_EENS5_IlS8_EE,comdat
.Lfunc_end11:
	.size	_ZN2at6native12_GLOBAL__N_114gatherKthValueIaiLin1EEEvNS_4cuda6detail10TensorInfoIKT_T0_EES8_S8_S8_S8_NS5_IS6_S8_EENS5_IlS8_EE, .Lfunc_end11-_ZN2at6native12_GLOBAL__N_114gatherKthValueIaiLin1EEEvNS_4cuda6detail10TensorInfoIKT_T0_EES8_S8_S8_S8_NS5_IS6_S8_EENS5_IlS8_EE
                                        ; -- End function
	.section	.AMDGPU.csdata,"",@progbits
; Kernel info:
; codeLenInByte = 10288
; NumSgprs: 100
; NumVgprs: 43
; NumAgprs: 0
; TotalNumVgprs: 43
; ScratchSize: 0
; MemoryBound: 0
; FloatMode: 240
; IeeeMode: 1
; LDSByteSize: 4112 bytes/workgroup (compile time only)
; SGPRBlocks: 12
; VGPRBlocks: 5
; NumSGPRsForWavesPerEU: 100
; NumVGPRsForWavesPerEU: 43
; AccumOffset: 44
; Occupancy: 8
; WaveLimiterHint : 1
; COMPUTE_PGM_RSRC2:SCRATCH_EN: 0
; COMPUTE_PGM_RSRC2:USER_SGPR: 6
; COMPUTE_PGM_RSRC2:TRAP_HANDLER: 0
; COMPUTE_PGM_RSRC2:TGID_X_EN: 1
; COMPUTE_PGM_RSRC2:TGID_Y_EN: 1
; COMPUTE_PGM_RSRC2:TGID_Z_EN: 1
; COMPUTE_PGM_RSRC2:TIDIG_COMP_CNT: 0
; COMPUTE_PGM_RSRC3_GFX90A:ACCUM_OFFSET: 10
; COMPUTE_PGM_RSRC3_GFX90A:TG_SPLIT: 0
	.section	.text._ZN2at6native12_GLOBAL__N_114gatherKthValueIalLi1EEEvNS_4cuda6detail10TensorInfoIKT_T0_EES8_S8_S8_S8_NS5_IS6_S8_EENS5_IlS8_EE,"axG",@progbits,_ZN2at6native12_GLOBAL__N_114gatherKthValueIalLi1EEEvNS_4cuda6detail10TensorInfoIKT_T0_EES8_S8_S8_S8_NS5_IS6_S8_EENS5_IlS8_EE,comdat
	.globl	_ZN2at6native12_GLOBAL__N_114gatherKthValueIalLi1EEEvNS_4cuda6detail10TensorInfoIKT_T0_EES8_S8_S8_S8_NS5_IS6_S8_EENS5_IlS8_EE ; -- Begin function _ZN2at6native12_GLOBAL__N_114gatherKthValueIalLi1EEEvNS_4cuda6detail10TensorInfoIKT_T0_EES8_S8_S8_S8_NS5_IS6_S8_EENS5_IlS8_EE
	.p2align	8
	.type	_ZN2at6native12_GLOBAL__N_114gatherKthValueIalLi1EEEvNS_4cuda6detail10TensorInfoIKT_T0_EES8_S8_S8_S8_NS5_IS6_S8_EENS5_IlS8_EE,@function
_ZN2at6native12_GLOBAL__N_114gatherKthValueIalLi1EEEvNS_4cuda6detail10TensorInfoIKT_T0_EES8_S8_S8_S8_NS5_IS6_S8_EENS5_IlS8_EE: ; @_ZN2at6native12_GLOBAL__N_114gatherKthValueIalLi1EEEvNS_4cuda6detail10TensorInfoIKT_T0_EES8_S8_S8_S8_NS5_IS6_S8_EENS5_IlS8_EE
; %bb.0:
	s_load_dwordx8 s[52:59], s[4:5], 0x1a0
	s_load_dwordx2 s[10:11], s[4:5], 0x500
	s_add_u32 s0, s4, 0x500
	s_addc_u32 s1, s5, 0
	s_mov_b32 s15, 0
	s_waitcnt lgkmcnt(0)
	v_mov_b32_e32 v2, s56
	s_mul_i32 s2, s11, s8
	s_add_i32 s2, s2, s7
	s_mul_i32 s2, s2, s10
	v_mov_b32_e32 v3, s57
	s_add_i32 s14, s2, s6
	v_cmp_ge_i64_e32 vcc, s[14:15], v[2:3]
	s_cbranch_vccnz .LBB12_279
; %bb.1:
	s_load_dwordx2 s[2:3], s[4:5], 0x430
                                        ; implicit-def: $vgpr48 : SGPR spill to VGPR lane
	v_cmp_eq_u32_e64 s[12:13], 0, v0
	s_waitcnt lgkmcnt(0)
	v_writelane_b32 v48, s2, 0
	v_writelane_b32 v48, s3, 1
	s_load_dwordx2 s[2:3], s[4:5], 0x360
	s_waitcnt lgkmcnt(0)
	v_writelane_b32 v48, s2, 2
	v_writelane_b32 v48, s3, 3
	s_load_dwordx2 s[2:3], s[4:5], 0x290
	;; [unrolled: 4-line block ×4, first 2 shown]
	s_load_dwordx2 s[2:3], s[4:5], 0x0
	s_mov_b64 s[4:5], exec
	v_writelane_b32 v48, s12, 8
	v_writelane_b32 v48, s13, 9
	s_and_b64 s[12:13], s[4:5], s[12:13]
	s_mov_b64 exec, s[12:13]
	s_cbranch_execz .LBB12_3
; %bb.2:
	v_mov_b32_e32 v2, 0
	v_mov_b32_e32 v4, s52
	;; [unrolled: 1-line block ×4, first 2 shown]
	ds_write_b32 v2, v2 offset:5136
	ds_write_b128 v2, v[2:5] offset:5120
.LBB12_3:
	s_or_b64 exec, exec, s[4:5]
	s_waitcnt lgkmcnt(0)
	s_mul_i32 s4, s9, s14
	s_mul_hi_u32 s5, s8, s14
	s_add_i32 s5, s5, s4
	s_mov_b32 s4, s14
	v_writelane_b32 v48, s4, 10
	v_writelane_b32 v48, s5, 11
	s_mul_i32 s4, s8, s14
	v_mbcnt_lo_u32_b32 v1, -1, 0
	s_add_u32 s48, s2, s4
	v_mbcnt_hi_u32_b32 v32, -1, v1
	s_addc_u32 s49, s3, s5
	v_cmp_gt_u32_e32 vcc, 64, v0
	v_cmp_gt_i32_e64 s[2:3], 4, v32
	s_and_b64 s[50:51], vcc, s[2:3]
	v_cmp_gt_u32_e64 s[2:3], 2, v0
	v_mov_b32_e32 v2, 0xc00
	v_writelane_b32 v48, s2, 12
	v_mov_b32_e32 v3, 0
	v_writelane_b32 v48, s3, 13
	v_cmp_gt_i64_e64 s[2:3], s[52:53], v[2:3]
	v_writelane_b32 v48, s2, 14
	v_pk_mov_b32 v[4:5], s[48:49], s[48:49] op_sel:[0,1]
	v_writelane_b32 v48, s3, 15
	v_mad_u64_u32 v[2:3], s[2:3], v0, s58, 0
	v_mad_u64_u32 v[10:11], s[2:3], v0, s58, v[4:5]
	s_barrier
	s_load_dword s2, s[0:1], 0xc
	v_lshrrev_b32_e32 v4, 4, v0
	v_and_b32_e32 v33, 60, v4
	v_lshlrev_b32_e32 v4, 2, v32
	v_lshlrev_b32_e32 v14, 2, v0
	s_waitcnt lgkmcnt(0)
	s_and_b32 s33, s2, 0xffff
	s_bfe_u32 s7, s2, 0xa0006
	v_cmp_gt_u16_e64 s[2:3], s2, 63
	v_writelane_b32 v48, s2, 16
	v_writelane_b32 v48, s3, 17
	s_add_u32 s2, s33, -1
	s_addc_u32 s3, 0, -1
	v_writelane_b32 v48, s2, 18
	s_add_u32 s60, s2, s52
	v_writelane_b32 v48, s3, 19
	s_addc_u32 s3, s3, s53
	s_cmp_lt_u32 s6, s10
	s_cselect_b32 s2, 12, 18
	s_add_u32 s56, s0, s2
	s_addc_u32 s57, s1, 0
	s_add_i32 s0, s7, -1
	s_bfe_u32 s1, s33, 0x30006
	s_cmp_gt_u32 s0, 6
	s_cselect_b64 s[8:9], -1, 0
	v_writelane_b32 v48, s8, 20
	s_and_b32 s72, s7, 0x3f8
	v_writelane_b32 v48, s9, 21
	s_cmp_lg_u32 s1, 0
	v_and_b32_e32 v34, 0x100, v4
	v_lshlrev_b64 v[4:5], v32, -1
	v_writelane_b32 v48, s1, 22
	s_cselect_b64 s[0:1], -1, 0
	v_not_b32_e32 v17, v5
	v_writelane_b32 v48, s0, 23
	v_or_b32_e32 v5, 3, v14
	v_writelane_b32 v48, s1, 24
	v_mad_u64_u32 v[18:19], s[0:1], s58, v5, 0
	v_not_b32_e32 v16, v4
	v_mov_b32_e32 v4, v19
	v_mad_u64_u32 v[4:5], s[0:1], s59, v5, v[4:5]
	s_lshl_b64 s[0:1], s[58:59], 2
	v_writelane_b32 v48, s0, 25
	v_or_b32_e32 v5, 2, v14
	v_writelane_b32 v48, s1, 26
	v_mad_u64_u32 v[20:21], s[0:1], s58, v5, 0
	v_mov_b32_e32 v19, v4
	v_mov_b32_e32 v4, v21
	v_mad_u64_u32 v[4:5], s[0:1], s59, v5, v[4:5]
	v_writelane_b32 v48, s48, 27
	v_mov_b32_e32 v21, v4
	v_pk_mov_b32 v[4:5], s[58:59], s[58:59] op_sel:[0,1]
	v_writelane_b32 v48, s49, 28
	v_mul_lo_u32 v6, v0, s59
	v_mad_u64_u32 v[22:23], s[0:1], s58, v14, v[4:5]
	v_writelane_b32 v48, s50, 29
	v_add_u32_e32 v3, v3, v6
	v_mov_b32_e32 v4, v23
	v_writelane_b32 v48, s51, 30
	v_mov_b32_e32 v13, 0
	v_mad_u64_u32 v[4:5], s[0:1], s59, v14, v[4:5]
	v_lshlrev_b64 v[24:25], 2, v[2:3]
	v_mov_b32_e32 v2, s53
	v_add_co_u32_e32 v35, vcc, s52, v0
	v_writelane_b32 v48, s56, 31
	s_mov_b32 s71, 0
	v_cmp_eq_u32_e64 s[30:31], 0, v32
	v_mov_b32_e32 v1, v13
	v_addc_co_u32_e32 v36, vcc, 0, v2, vcc
	v_mov_b32_e32 v2, 0xc00
	s_mul_i32 s0, s59, s33
	s_mul_hi_u32 s1, s58, s33
	v_writelane_b32 v48, s57, 32
	v_add_u32_e32 v11, v6, v11
	v_cmp_gt_i64_e64 s[92:93], s[52:53], v[0:1]
	v_mov_b32_e32 v15, v13
	s_mov_b32 s26, s71
	s_mov_b32 s77, 6
	v_mov_b32_e32 v23, v4
	v_lshl_or_b32 v37, v32, 3, v2
	s_add_i32 s27, s1, s0
	s_mul_i32 s84, s58, s33
	s_mov_b64 s[86:87], 0
	s_movk_i32 s85, 0x80
	v_cvt_f32_ubyte0_e32 v38, 0
	v_mov_b32_e32 v39, 0
	s_mov_b32 s4, 0
	s_mov_b32 s82, 0
	s_mov_b32 s73, 0
	v_writelane_b32 v48, s30, 33
                                        ; implicit-def: $sgpr34_sgpr35
                                        ; implicit-def: $sgpr78_sgpr79
                                        ; implicit-def: $sgpr94_sgpr95
                                        ; implicit-def: $sgpr74_sgpr75
                                        ; implicit-def: $sgpr40_sgpr41
                                        ; implicit-def: $sgpr42_sgpr43
	v_writelane_b32 v48, s31, 34
	s_branch .LBB12_8
.LBB12_4:                               ;   in Loop: Header=BB12_8 Depth=1
	s_xor_b32 s4, s4, 1
	s_add_i32 s12, s77, -2
	s_cmp_eq_u32 s77, 0
	s_mov_b64 s[6:7], 0
	s_cselect_b64 s[8:9], -1, 0
	s_mov_b32 s77, s12
.LBB12_5:                               ;   in Loop: Header=BB12_8 Depth=1
	s_andn2_b64 s[12:13], s[18:19], exec
	s_and_b64 s[6:7], s[6:7], exec
	s_or_b64 s[18:19], s[12:13], s[6:7]
	s_andn2_b64 s[20:21], s[20:21], exec
	s_andn2_b64 s[16:17], s[16:17], exec
	s_orn2_b64 s[12:13], s[8:9], exec
.LBB12_6:                               ;   in Loop: Header=BB12_8 Depth=1
	s_or_b64 exec, exec, s[0:1]
	s_andn2_b64 s[0:1], s[42:43], exec
	s_and_b64 s[6:7], s[18:19], exec
	s_or_b64 s[42:43], s[0:1], s[6:7]
	s_andn2_b64 s[0:1], s[40:41], exec
	s_and_b64 s[6:7], s[20:21], exec
	s_or_b64 s[40:41], s[0:1], s[6:7]
	;; [unrolled: 3-line block ×3, first 2 shown]
	s_orn2_b64 s[16:17], s[12:13], exec
.LBB12_7:                               ;   in Loop: Header=BB12_8 Depth=1
	s_or_b64 exec, exec, s[10:11]
	s_and_b64 s[0:1], exec, s[16:17]
	s_or_b64 s[86:87], s[0:1], s[86:87]
	s_andn2_b64 s[0:1], s[94:95], exec
	s_and_b64 s[6:7], s[42:43], exec
	s_or_b64 s[94:95], s[0:1], s[6:7]
	s_andn2_b64 s[0:1], s[78:79], exec
	s_and_b64 s[6:7], s[40:41], exec
	;; [unrolled: 3-line block ×3, first 2 shown]
	v_mov_b32_e32 v2, s82
	s_or_b64 s[34:35], s[0:1], s[6:7]
	s_andn2_b64 exec, exec, s[86:87]
	s_cbranch_execz .LBB12_275
.LBB12_8:                               ; =>This Loop Header: Depth=1
                                        ;     Child Loop BB12_13 Depth 2
                                        ;     Child Loop BB12_32 Depth 2
	;; [unrolled: 1-line block ×16, first 2 shown]
	ds_read_b128 v[2:5], v13 offset:5120
	s_waitcnt lgkmcnt(0)
	v_readfirstlane_b32 s67, v3
	v_readfirstlane_b32 s66, v2
	v_cmp_gt_i64_e64 s[0:1], s[66:67], 0
	s_and_b64 vcc, exec, s[0:1]
	s_cbranch_vccnz .LBB12_39
; %bb.9:                                ;   in Loop: Header=BB12_8 Depth=1
	v_readlane_b32 s0, v48, 14
	v_readlane_b32 s1, v48, 15
	s_and_b64 vcc, exec, s[0:1]
	s_cbranch_vccz .LBB12_21
; %bb.10:                               ;   in Loop: Header=BB12_8 Depth=1
	s_mov_b64 s[0:1], 0xc01
	v_cmp_gt_i64_e32 vcc, s[0:1], v[4:5]
	s_mov_b64 s[0:1], 0
	s_mov_b64 s[6:7], 0
	s_cbranch_vccz .LBB12_26
; %bb.11:                               ;   in Loop: Header=BB12_8 Depth=1
	global_load_ushort v6, v13, s[56:57]
	global_load_ubyte v7, v[10:11], off
	v_pk_mov_b32 v[2:3], s[48:49], s[48:49] op_sel:[0,1]
	s_mov_b64 s[8:9], 0
	s_waitcnt vmcnt(1)
	v_readfirstlane_b32 s6, v6
	s_and_b32 s6, 0xffff, s6
	v_add_u32_e32 v5, s6, v0
	s_mul_i32 s10, s59, s6
	s_mul_hi_u32 s11, s58, s6
	s_mul_i32 s18, s58, s6
	v_mad_u64_u32 v[2:3], s[6:7], s58, v5, v[2:3]
	v_mov_b32_e32 v4, v3
	v_mad_u64_u32 v[4:5], s[6:7], s59, v5, v[4:5]
	s_add_i32 s19, s11, s10
	v_mov_b32_e32 v3, v4
	v_pk_mov_b32 v[4:5], v[0:1], v[0:1] op_sel:[0,1]
	s_branch .LBB12_13
.LBB12_12:                              ;   in Loop: Header=BB12_13 Depth=2
	s_or_b64 exec, exec, s[6:7]
	v_mov_b32_e32 v7, s19
	v_add_co_u32_e32 v2, vcc, s18, v2
	v_addc_co_u32_e32 v3, vcc, v3, v7, vcc
	v_mov_b32_e32 v7, v8
	s_andn2_b64 exec, exec, s[8:9]
	s_cbranch_execz .LBB12_22
.LBB12_13:                              ;   Parent Loop BB12_8 Depth=1
                                        ; =>  This Inner Loop Header: Depth=2
	v_add_co_u32_sdwa v4, vcc, v4, v6 dst_sel:DWORD dst_unused:UNUSED_PAD src0_sel:DWORD src1_sel:WORD_0
	v_addc_co_u32_e32 v5, vcc, 0, v5, vcc
	v_cmp_gt_i64_e64 s[6:7], s[52:53], v[4:5]
	v_cmp_le_i64_e32 vcc, s[52:53], v[4:5]
	s_waitcnt lgkmcnt(0)
	v_mov_b32_e32 v9, 0
	v_mov_b32_e32 v8, 0
	s_and_saveexec_b64 s[10:11], s[6:7]
	s_cbranch_execz .LBB12_15
; %bb.14:                               ;   in Loop: Header=BB12_13 Depth=2
	global_load_ubyte v8, v[2:3], off
.LBB12_15:                              ;   in Loop: Header=BB12_13 Depth=2
	s_or_b64 exec, exec, s[10:11]
	s_waitcnt vmcnt(0)
	v_add_u32_sdwa v12, sext(v7), s85 dst_sel:DWORD dst_unused:UNUSED_PAD src0_sel:BYTE_0 src1_sel:DWORD
	v_and_b32_e32 v12, s73, v12
	v_cmp_eq_u32_e64 s[10:11], s82, v12
	s_cmp_lg_u64 s[10:11], 0
	s_cselect_b64 s[6:7], -1, 0
	s_and_b64 s[6:7], s[30:31], s[6:7]
	s_and_saveexec_b64 s[12:13], s[6:7]
	s_cbranch_execz .LBB12_19
; %bb.16:                               ;   in Loop: Header=BB12_13 Depth=2
	s_mov_b64 s[16:17], exec
	v_mbcnt_lo_u32_b32 v9, s16, 0
	v_mbcnt_hi_u32_b32 v9, s17, v9
	s_bcnt1_i32_b64 s20, s[10:11]
	v_cmp_eq_u32_e64 s[6:7], 0, v9
                                        ; implicit-def: $vgpr12
	s_and_saveexec_b64 s[14:15], s[6:7]
	s_cbranch_execz .LBB12_18
; %bb.17:                               ;   in Loop: Header=BB12_13 Depth=2
	s_bcnt1_i32_b64 s6, s[16:17]
	s_mul_i32 s6, s20, s6
	v_mov_b32_e32 v12, s6
	ds_add_rtn_u32 v12, v13, v12 offset:5136
.LBB12_18:                              ;   in Loop: Header=BB12_13 Depth=2
	s_or_b64 exec, exec, s[14:15]
	s_waitcnt lgkmcnt(0)
	v_readfirstlane_b32 s6, v12
	v_mov_b32_e32 v12, s6
	v_mad_u32_u24 v9, s20, v9, v12
.LBB12_19:                              ;   in Loop: Header=BB12_13 Depth=2
	s_or_b64 exec, exec, s[12:13]
	ds_bpermute_b32 v9, v34, v9
	s_and_b64 s[6:7], exec, vcc
	s_or_b64 s[8:9], s[6:7], s[8:9]
	s_and_saveexec_b64 s[6:7], s[10:11]
	s_cbranch_execz .LBB12_12
; %bb.20:                               ;   in Loop: Header=BB12_13 Depth=2
	v_and_b32_e32 v26, s10, v16
	v_and_b32_e32 v12, s11, v17
	v_bcnt_u32_b32 v26, v26, 0
	v_bcnt_u32_b32 v12, v12, v26
	s_waitcnt lgkmcnt(0)
	v_add_u32_e32 v9, v9, v12
	ds_write_b8 v9, v7
	s_branch .LBB12_12
.LBB12_21:                              ;   in Loop: Header=BB12_8 Depth=1
	s_mov_b64 s[0:1], -1
	s_mov_b64 s[6:7], 0
	s_branch .LBB12_25
.LBB12_22:                              ;   in Loop: Header=BB12_8 Depth=1
	s_or_b64 exec, exec, s[8:9]
	s_waitcnt lgkmcnt(0)
	s_barrier
	s_mov_b64 s[6:7], exec
	v_readlane_b32 s8, v48, 8
	v_readlane_b32 s9, v48, 9
	s_and_b64 s[8:9], s[6:7], s[8:9]
	s_mov_b64 exec, s[8:9]
	s_cbranch_execz .LBB12_24
; %bb.23:                               ;   in Loop: Header=BB12_8 Depth=1
	ds_read_b32 v2, v13 offset:5136
	s_waitcnt lgkmcnt(0)
	v_ashrrev_i32_e32 v3, 31, v2
	ds_write_b64 v13, v[2:3] offset:5120
.LBB12_24:                              ;   in Loop: Header=BB12_8 Depth=1
	s_or_b64 exec, exec, s[6:7]
	s_waitcnt lgkmcnt(0)
	s_barrier
	s_mov_b64 s[6:7], -1
.LBB12_25:                              ;   in Loop: Header=BB12_8 Depth=1
                                        ; implicit-def: $sgpr66_sgpr67
.LBB12_26:                              ;   in Loop: Header=BB12_8 Depth=1
	s_and_b64 vcc, exec, s[0:1]
	s_cbranch_vccz .LBB12_37
; %bb.27:                               ;   in Loop: Header=BB12_8 Depth=1
	v_mov_b32_e32 v6, 0
	s_and_saveexec_b64 s[0:1], s[92:93]
	s_cbranch_execz .LBB12_29
; %bb.28:                               ;   in Loop: Header=BB12_8 Depth=1
	global_load_ubyte v6, v[10:11], off
.LBB12_29:                              ;   in Loop: Header=BB12_8 Depth=1
	s_or_b64 exec, exec, s[0:1]
	s_and_saveexec_b64 s[0:1], s[92:93]
	s_cbranch_execz .LBB12_34
; %bb.30:                               ;   in Loop: Header=BB12_8 Depth=1
	global_load_ushort v7, v13, s[56:57]
	v_pk_mov_b32 v[2:3], s[48:49], s[48:49] op_sel:[0,1]
	s_mov_b64 s[8:9], 0
	v_mov_b32_e32 v8, v0
	s_waitcnt vmcnt(0)
	v_readfirstlane_b32 s6, v7
	s_and_b32 s12, 0xffff, s6
	v_add_u32_e32 v5, s12, v0
	v_mad_u64_u32 v[2:3], s[6:7], s58, v5, v[2:3]
	v_mov_b32_e32 v4, v3
	s_mul_i32 s10, s59, s12
	s_mul_hi_u32 s11, s58, s12
	v_mad_u64_u32 v[4:5], s[6:7], s59, v5, v[4:5]
	s_mul_i32 s13, s58, s12
	s_add_i32 s14, s11, s10
	v_mov_b32_e32 v3, v4
	v_pk_mov_b32 v[4:5], v[0:1], v[0:1] op_sel:[0,1]
	s_branch .LBB12_32
.LBB12_31:                              ;   in Loop: Header=BB12_32 Depth=2
	s_or_b64 exec, exec, s[10:11]
	s_and_b64 s[6:7], exec, vcc
	ds_write_b8 v8, v6
	v_mov_b32_e32 v6, s14
	v_add_co_u32_e32 v2, vcc, s13, v2
	s_or_b64 s[8:9], s[6:7], s[8:9]
	v_add_u32_e32 v8, s12, v8
	v_addc_co_u32_e32 v3, vcc, v3, v6, vcc
	s_waitcnt vmcnt(0)
	v_mov_b32_e32 v6, v9
	s_andn2_b64 exec, exec, s[8:9]
	s_cbranch_execz .LBB12_34
.LBB12_32:                              ;   Parent Loop BB12_8 Depth=1
                                        ; =>  This Inner Loop Header: Depth=2
	v_add_co_u32_sdwa v4, vcc, v4, v7 dst_sel:DWORD dst_unused:UNUSED_PAD src0_sel:DWORD src1_sel:WORD_0
	v_addc_co_u32_e32 v5, vcc, 0, v5, vcc
	v_cmp_gt_i64_e64 s[6:7], s[52:53], v[4:5]
	v_cmp_le_i64_e32 vcc, s[52:53], v[4:5]
	v_mov_b32_e32 v9, 0
	s_and_saveexec_b64 s[10:11], s[6:7]
	s_cbranch_execz .LBB12_31
; %bb.33:                               ;   in Loop: Header=BB12_32 Depth=2
	global_load_ubyte v9, v[2:3], off
	s_branch .LBB12_31
.LBB12_34:                              ;   in Loop: Header=BB12_8 Depth=1
	s_or_b64 exec, exec, s[0:1]
	s_waitcnt lgkmcnt(0)
	s_barrier
	s_mov_b64 s[0:1], exec
	v_readlane_b32 s6, v48, 8
	v_readlane_b32 s7, v48, 9
	s_and_b64 s[6:7], s[0:1], s[6:7]
	s_mov_b64 exec, s[6:7]
	s_cbranch_execz .LBB12_36
; %bb.35:                               ;   in Loop: Header=BB12_8 Depth=1
	v_pk_mov_b32 v[2:3], s[52:53], s[52:53] op_sel:[0,1]
	ds_write_b64 v13, v[2:3] offset:5120
.LBB12_36:                              ;   in Loop: Header=BB12_8 Depth=1
	s_or_b64 exec, exec, s[0:1]
	s_mov_b64 s[6:7], -1
	s_waitcnt lgkmcnt(0)
	s_barrier
                                        ; implicit-def: $sgpr66_sgpr67
.LBB12_37:                              ;   in Loop: Header=BB12_8 Depth=1
	s_and_b64 vcc, exec, s[6:7]
	s_cbranch_vccz .LBB12_39
; %bb.38:                               ;   in Loop: Header=BB12_8 Depth=1
	ds_read_b64 v[2:3], v13 offset:5120
	s_waitcnt lgkmcnt(0)
	v_readfirstlane_b32 s66, v2
.LBB12_39:                              ;   in Loop: Header=BB12_8 Depth=1
	s_cmp_lt_i32 s66, 1
	s_cbranch_scc0 .LBB12_54
; %bb.40:                               ;   in Loop: Header=BB12_8 Depth=1
	global_load_ushort v2, v13, s[56:57]
	s_mov_b32 s0, s71
	s_waitcnt vmcnt(0)
	v_readfirstlane_b32 s1, v2
	s_and_b32 s67, s1, 0xffff
	s_lshl_b32 s70, s67, 2
	s_mov_b32 s1, s53
	s_cmp_lg_u64 s[0:1], 0
	s_cbranch_scc0 .LBB12_74
; %bb.41:                               ;   in Loop: Header=BB12_8 Depth=1
	v_cvt_f32_u32_e32 v2, s70
	s_sub_u32 s0, 0, s70
	s_subb_u32 s1, 0, 0
	v_mac_f32_e32 v2, 0x4f800000, v38
	v_rcp_f32_e32 v2, v2
	v_mul_f32_e32 v2, 0x5f7ffffc, v2
	v_mul_f32_e32 v3, 0x2f800000, v2
	v_trunc_f32_e32 v3, v3
	v_mac_f32_e32 v2, 0xcf800000, v3
	v_cvt_u32_f32_e32 v3, v3
	v_cvt_u32_f32_e32 v2, v2
	v_readfirstlane_b32 s6, v3
	v_readfirstlane_b32 s7, v2
	s_mul_i32 s8, s0, s6
	s_mul_hi_u32 s10, s0, s7
	s_mul_i32 s9, s1, s7
	s_add_i32 s8, s10, s8
	s_mul_i32 s11, s0, s7
	s_add_i32 s8, s8, s9
	s_mul_hi_u32 s10, s7, s11
	s_mul_hi_u32 s9, s7, s8
	s_mul_i32 s7, s7, s8
	s_add_u32 s7, s10, s7
	s_addc_u32 s9, 0, s9
	s_mul_hi_u32 s12, s6, s11
	s_mul_i32 s11, s6, s11
	s_add_u32 s7, s7, s11
	s_mul_hi_u32 s10, s6, s8
	s_addc_u32 s7, s9, s12
	s_addc_u32 s9, s10, 0
	s_mul_i32 s8, s6, s8
	s_add_u32 s7, s7, s8
	s_addc_u32 s8, 0, s9
	v_add_co_u32_e32 v2, vcc, s7, v2
	s_cmp_lg_u64 vcc, 0
	s_addc_u32 s6, s6, s8
	v_readfirstlane_b32 s8, v2
	s_mul_i32 s7, s0, s6
	s_mul_hi_u32 s9, s0, s8
	s_add_i32 s7, s9, s7
	s_mul_i32 s1, s1, s8
	s_add_i32 s7, s7, s1
	s_mul_i32 s0, s0, s8
	s_mul_hi_u32 s9, s6, s0
	s_mul_i32 s10, s6, s0
	s_mul_i32 s12, s8, s7
	s_mul_hi_u32 s0, s8, s0
	s_mul_hi_u32 s11, s8, s7
	s_add_u32 s0, s0, s12
	s_addc_u32 s8, 0, s11
	s_add_u32 s0, s0, s10
	s_mul_hi_u32 s1, s6, s7
	s_addc_u32 s0, s8, s9
	s_addc_u32 s1, s1, 0
	s_mul_i32 s7, s6, s7
	s_add_u32 s0, s0, s7
	s_addc_u32 s1, 0, s1
	v_add_co_u32_e32 v2, vcc, s0, v2
	s_cmp_lg_u64 vcc, 0
	s_addc_u32 s8, s6, s1
	s_ashr_i32 s0, s53, 31
	s_add_u32 s6, s52, s0
	s_mov_b32 s1, s0
	s_addc_u32 s7, s53, s0
	s_xor_b64 s[6:7], s[6:7], s[0:1]
	v_readfirstlane_b32 s10, v2
	s_mul_i32 s9, s6, s8
	s_mul_hi_u32 s11, s6, s10
	s_mul_hi_u32 s1, s6, s8
	s_add_u32 s9, s11, s9
	s_addc_u32 s1, 0, s1
	s_mul_hi_u32 s12, s7, s10
	s_mul_i32 s10, s7, s10
	s_add_u32 s9, s9, s10
	s_mul_hi_u32 s11, s7, s8
	s_addc_u32 s1, s1, s12
	s_addc_u32 s9, s11, 0
	s_mul_i32 s8, s7, s8
	s_add_u32 s1, s1, s8
	s_addc_u32 s8, 0, s9
	s_mul_hi_u32 s9, s70, s1
	s_mul_i32 s1, s70, s1
	s_mul_i32 s8, s70, s8
	v_mov_b32_e32 v2, s1
	s_add_i32 s9, s9, s8
	v_sub_co_u32_e32 v2, vcc, s6, v2
	s_cmp_lg_u64 vcc, 0
	s_subb_u32 s1, s7, s9
	v_subrev_co_u32_e32 v3, vcc, s70, v2
	s_cmp_lg_u64 vcc, 0
	s_subb_u32 s6, s1, 0
	v_subrev_co_u32_e32 v4, vcc, s70, v3
	s_cmp_lg_u64 vcc, 0
	s_subb_u32 s7, s6, 0
	v_cmp_le_u32_e32 vcc, s70, v3
	s_cmp_eq_u32 s6, 0
	v_cndmask_b32_e64 v5, 0, -1, vcc
	s_cselect_b64 vcc, -1, 0
	v_cndmask_b32_e32 v5, -1, v5, vcc
	v_mov_b32_e32 v6, s6
	v_mov_b32_e32 v7, s7
	v_cmp_ne_u32_e32 vcc, 0, v5
	v_cndmask_b32_e32 v5, v6, v7, vcc
	v_cndmask_b32_e32 v3, v3, v4, vcc
	v_cmp_le_u32_e32 vcc, s70, v2
	s_cmp_eq_u32 s1, 0
	v_cndmask_b32_e64 v4, 0, -1, vcc
	s_cselect_b64 vcc, -1, 0
	v_cndmask_b32_e32 v4, -1, v4, vcc
	v_cmp_ne_u32_e32 vcc, 0, v4
	v_mov_b32_e32 v6, s1
	v_cndmask_b32_e32 v2, v2, v3, vcc
	v_cndmask_b32_e32 v4, v6, v5, vcc
	v_xor_b32_e32 v2, s0, v2
	v_xor_b32_e32 v3, s0, v4
	v_mov_b32_e32 v4, s0
	v_subrev_co_u32_e32 v26, vcc, s0, v2
	v_subb_co_u32_e32 v27, vcc, v3, v4, vcc
	s_mov_b32 s5, s3
	s_mov_b64 s[2:3], s[78:79]
	s_cbranch_execnz .LBB12_43
.LBB12_42:                              ;   in Loop: Header=BB12_8 Depth=1
	v_cvt_f32_u32_e32 v2, s70
	s_sub_i32 s0, 0, s70
	v_rcp_iflag_f32_e32 v2, v2
	v_mul_f32_e32 v2, 0x4f7ffffe, v2
	v_cvt_u32_f32_e32 v2, v2
	v_mul_lo_u32 v3, s0, v2
	v_mul_hi_u32 v3, v2, v3
	v_add_u32_e32 v2, v2, v3
	v_mul_hi_u32 v2, s52, v2
	v_mul_lo_u32 v2, v2, s70
	v_sub_u32_e32 v2, s52, v2
	v_subrev_u32_e32 v3, s70, v2
	v_cmp_le_u32_e32 vcc, s70, v2
	v_cndmask_b32_e32 v2, v2, v3, vcc
	v_subrev_u32_e32 v3, s70, v2
	v_cmp_le_u32_e32 vcc, s70, v2
	v_cndmask_b32_e32 v12, v2, v3, vcc
	v_pk_mov_b32 v[26:27], v[12:13], v[12:13] op_sel:[0,1]
.LBB12_43:                              ;   in Loop: Header=BB12_8 Depth=1
	v_mov_b32_e32 v2, s53
	v_sub_co_u32_e32 v28, vcc, s52, v26
	v_subb_co_u32_e32 v29, vcc, v2, v27, vcc
	v_pk_mov_b32 v[2:3], 0, 0
	v_cmp_gt_i64_e32 vcc, v[28:29], v[14:15]
	s_mov_b64 s[80:81], 0
	v_pk_mov_b32 v[4:5], v[2:3], v[2:3] op_sel:[0,1]
	v_pk_mov_b32 v[6:7], v[2:3], v[2:3] op_sel:[0,1]
	;; [unrolled: 1-line block ×3, first 2 shown]
	s_and_saveexec_b64 s[88:89], vcc
	s_cbranch_execz .LBB12_47
; %bb.44:                               ;   in Loop: Header=BB12_8 Depth=1
	v_readlane_b32 s6, v48, 25
	s_mov_b64 s[0:1], s[92:93]
	v_readlane_b32 s7, v48, 26
	s_mov_b32 s79, s60
	s_mov_b64 s[60:61], s[0:1]
	s_mul_i32 s0, s7, s67
	s_mul_hi_u32 s1, s6, s67
	s_mov_b64 s[92:93], s[34:35]
	s_mov_b64 s[90:91], s[42:43]
	;; [unrolled: 1-line block ×4, first 2 shown]
	s_and_b32 s76, s77, 0xfe
	s_add_i32 s83, s1, s0
	s_mul_i32 s78, s6, s67
	s_mov_b64 s[68:69], s[48:49]
	s_mov_b64 s[56:57], 0
	;; [unrolled: 1-line block ×5, first 2 shown]
	v_pk_mov_b32 v[30:31], v[14:15], v[14:15] op_sel:[0,1]
.LBB12_45:                              ;   Parent Loop BB12_8 Depth=1
                                        ; =>  This Inner Loop Header: Depth=2
	v_add_co_u32_e64 v30, s[6:7], s70, v30
	v_addc_co_u32_e64 v31, s[6:7], 0, v31, s[6:7]
	v_mov_b32_e32 v7, s69
	v_add_co_u32_e32 v2, vcc, s68, v22
	v_add_co_u32_e64 v8, s[6:7], s68, v24
	v_add_co_u32_e64 v4, s[10:11], s68, v20
	;; [unrolled: 1-line block ×3, first 2 shown]
	v_addc_co_u32_e64 v9, s[6:7], v7, v25, s[6:7]
	v_addc_co_u32_e32 v3, vcc, v7, v23, vcc
	v_addc_co_u32_e64 v5, vcc, v7, v21, s[10:11]
	v_addc_co_u32_e64 v7, vcc, v7, v19, s[12:13]
	global_load_sbyte v8, v[8:9], off
	s_nop 0
	global_load_sbyte v2, v[2:3], off
	s_nop 0
	;; [unrolled: 2-line block ×3, first 2 shown]
	global_load_sbyte v4, v[6:7], off
	v_cmp_ge_i64_e32 vcc, v[30:31], v[28:29]
	s_waitcnt vmcnt(3)
	v_add_u32_e32 v5, 0x80, v8
	s_waitcnt vmcnt(2)
	v_add_u32_e32 v2, 0x80, v2
	v_and_b32_e32 v6, s73, v5
	v_bfe_u32 v5, v5, s76, 2
	s_waitcnt vmcnt(1)
	v_add_u32_e32 v3, 0x80, v3
	v_and_b32_e32 v7, s73, v2
	v_bfe_u32 v2, v2, s76, 2
	v_cmp_eq_u32_e64 s[16:17], s82, v6
	v_cmp_eq_u32_e64 s[6:7], 0, v5
	s_waitcnt vmcnt(0)
	v_add_u32_e32 v4, 0x80, v4
	v_and_b32_e32 v8, s73, v3
	v_bfe_u32 v3, v3, s76, 2
	v_cmp_eq_u32_e64 s[14:15], s82, v7
	v_cmp_eq_u32_e64 s[28:29], 0, v2
	s_and_b64 s[6:7], s[16:17], s[6:7]
	v_and_b32_e32 v9, s73, v4
	v_bfe_u32 v4, v4, s76, 2
	v_cmp_eq_u32_e64 s[12:13], s82, v8
	v_cmp_eq_u32_e64 s[30:31], 0, v3
	;; [unrolled: 1-line block ×5, first 2 shown]
	v_cndmask_b32_e64 v2, 0, 1, s[6:7]
	s_and_b64 s[6:7], s[14:15], s[28:29]
	v_cmp_eq_u32_e64 s[10:11], s82, v9
	v_cmp_eq_u32_e64 s[34:35], 0, v4
	;; [unrolled: 1-line block ×5, first 2 shown]
	v_cndmask_b32_e64 v3, 0, 1, s[6:7]
	s_and_b64 s[6:7], s[12:13], s[30:31]
	v_cmp_eq_u32_e64 s[42:43], 1, v4
	v_cmp_eq_u32_e64 s[50:51], 2, v4
	;; [unrolled: 1-line block ×3, first 2 shown]
	v_cndmask_b32_e64 v4, 0, 1, s[6:7]
	s_and_b64 s[6:7], s[10:11], s[34:35]
	v_cmp_eq_u32_e64 s[36:37], 1, v5
	v_cmp_eq_u32_e64 s[44:45], 2, v5
	;; [unrolled: 1-line block ×3, first 2 shown]
	v_cndmask_b32_e64 v5, 0, 1, s[6:7]
	v_cmp_ne_u32_e64 s[6:7], 0, v2
	v_cmp_ne_u32_e64 s[28:29], 0, v3
	v_cmp_ne_u32_e64 s[30:31], 0, v4
	v_cmp_ne_u32_e64 s[34:35], 0, v5
	s_bcnt1_i32_b64 s6, s[6:7]
	s_bcnt1_i32_b64 s7, s[28:29]
	s_bcnt1_i32_b64 s28, s[30:31]
	s_bcnt1_i32_b64 s29, s[34:35]
	s_add_u32 s6, s6, s74
	s_addc_u32 s30, 0, s75
	s_add_u32 s6, s6, s7
	s_addc_u32 s7, s30, 0
	s_add_u32 s6, s6, s28
	s_addc_u32 s7, s7, 0
	s_add_u32 s74, s6, s29
	s_addc_u32 s75, s7, 0
	s_and_b64 s[6:7], s[16:17], s[36:37]
	v_cndmask_b32_e64 v4, 0, 1, s[6:7]
	s_and_b64 s[6:7], s[14:15], s[38:39]
	v_cndmask_b32_e64 v5, 0, 1, s[6:7]
	s_and_b64 s[6:7], s[12:13], s[40:41]
	v_cndmask_b32_e64 v6, 0, 1, s[6:7]
	s_and_b64 s[6:7], s[10:11], s[42:43]
	v_cndmask_b32_e64 v7, 0, 1, s[6:7]
	v_cmp_ne_u32_e64 s[6:7], 0, v4
	v_cmp_ne_u32_e64 s[28:29], 0, v5
	v_cmp_ne_u32_e64 s[30:31], 0, v6
	v_cmp_ne_u32_e64 s[34:35], 0, v7
	s_bcnt1_i32_b64 s6, s[6:7]
	s_bcnt1_i32_b64 s7, s[28:29]
	s_bcnt1_i32_b64 s28, s[30:31]
	s_bcnt1_i32_b64 s29, s[34:35]
	s_add_u32 s6, s6, s8
	s_addc_u32 s8, 0, s9
	s_add_u32 s6, s6, s7
	s_addc_u32 s7, s8, 0
	s_add_u32 s6, s6, s28
	s_addc_u32 s7, s7, 0
	s_add_u32 s8, s6, s29
	s_addc_u32 s9, s7, 0
	s_and_b64 s[6:7], s[16:17], s[44:45]
	v_cndmask_b32_e64 v6, 0, 1, s[6:7]
	s_and_b64 s[6:7], s[14:15], s[46:47]
	v_cndmask_b32_e64 v7, 0, 1, s[6:7]
	s_and_b64 s[6:7], s[12:13], s[48:49]
	v_cndmask_b32_e64 v8, 0, 1, s[6:7]
	s_and_b64 s[6:7], s[10:11], s[50:51]
	;; [unrolled: 24-line block ×3, first 2 shown]
	v_cndmask_b32_e64 v40, 0, 1, s[6:7]
	v_cmp_ne_u32_e64 s[6:7], 0, v8
	v_cmp_ne_u32_e64 s[10:11], 0, v9
	;; [unrolled: 1-line block ×4, first 2 shown]
	s_bcnt1_i32_b64 s6, s[6:7]
	s_bcnt1_i32_b64 s7, s[10:11]
	;; [unrolled: 1-line block ×4, first 2 shown]
	s_add_u32 s6, s6, s56
	s_addc_u32 s12, 0, s57
	s_add_u32 s6, s6, s7
	s_addc_u32 s7, s12, 0
	;; [unrolled: 2-line block ×5, first 2 shown]
	v_pk_mov_b32 v[2:3], s[74:75], s[74:75] op_sel:[0,1]
	v_pk_mov_b32 v[4:5], s[8:9], s[8:9] op_sel:[0,1]
	;; [unrolled: 1-line block ×3, first 2 shown]
	s_or_b64 s[80:81], vcc, s[80:81]
	v_pk_mov_b32 v[8:9], s[56:57], s[56:57] op_sel:[0,1]
	s_andn2_b64 exec, exec, s[80:81]
	s_cbranch_execnz .LBB12_45
; %bb.46:                               ;   in Loop: Header=BB12_8 Depth=1
	s_or_b64 exec, exec, s[80:81]
	s_mov_b64 s[0:1], s[60:61]
	v_readlane_b32 s48, v48, 27
	v_readlane_b32 s50, v48, 29
	;; [unrolled: 1-line block ×6, first 2 shown]
	s_mov_b32 s60, s79
	v_readlane_b32 s57, v48, 32
	s_mov_b64 s[74:75], s[62:63]
	s_mov_b64 s[40:41], s[64:65]
	s_mov_b64 s[42:43], s[90:91]
	s_mov_b64 s[34:35], s[92:93]
	s_mov_b64 s[92:93], s[0:1]
	v_readlane_b32 s31, v48, 34
.LBB12_47:                              ;   in Loop: Header=BB12_8 Depth=1
	s_or_b64 exec, exec, s[88:89]
	v_add_co_u32_e32 v28, vcc, v28, v0
	v_addc_co_u32_e32 v29, vcc, 0, v29, vcc
	v_cmp_gt_i64_e32 vcc, s[52:53], v[28:29]
	v_mov_b32_e32 v12, 0
	s_and_saveexec_b64 s[0:1], vcc
	s_mov_b64 s[78:79], s[2:3]
	s_mov_b32 s3, s5
	s_cbranch_execz .LBB12_49
; %bb.48:                               ;   in Loop: Header=BB12_8 Depth=1
	v_pk_mov_b32 v[30:31], s[48:49], s[48:49] op_sel:[0,1]
	v_mad_u64_u32 v[30:31], s[6:7], v28, s58, v[30:31]
	v_mul_lo_u32 v12, v28, s59
	v_mul_lo_u32 v40, v29, s58
	v_add3_u32 v31, v40, v31, v12
	global_load_ubyte v12, v[30:31], off
.LBB12_49:                              ;   in Loop: Header=BB12_8 Depth=1
	s_or_b64 exec, exec, s[0:1]
	s_and_saveexec_b64 s[0:1], vcc
	s_cbranch_execz .LBB12_56
; %bb.50:                               ;   in Loop: Header=BB12_8 Depth=1
	v_mov_b32_e32 v30, s71
	v_add_co_u32_e32 v31, vcc, s67, v35
	v_addc_co_u32_e32 v30, vcc, v36, v30, vcc
	v_sub_co_u32_e32 v31, vcc, v31, v26
	v_subb_co_u32_e32 v26, vcc, v30, v27, vcc
	v_mul_lo_u32 v30, s58, v26
	v_pk_mov_b32 v[26:27], s[48:49], s[48:49] op_sel:[0,1]
	v_mad_u64_u32 v[26:27], s[6:7], s58, v31, v[26:27]
	v_mul_lo_u32 v40, s59, v31
	s_mul_i32 s6, s59, s67
	s_mul_hi_u32 s7, s58, s67
	s_and_b32 s12, s77, 0xfe
	v_add3_u32 v27, v40, v27, v30
	s_add_i32 s13, s7, s6
	s_mul_i32 s14, s58, s67
	s_mov_b64 s[8:9], 0
	s_branch .LBB12_52
.LBB12_51:                              ;   in Loop: Header=BB12_52 Depth=2
	s_or_b64 exec, exec, s[10:11]
	s_waitcnt vmcnt(0)
	v_add_u32_sdwa v12, sext(v12), s85 dst_sel:DWORD dst_unused:UNUSED_PAD src0_sel:BYTE_0 src1_sel:DWORD
	s_and_b64 s[6:7], exec, vcc
	v_and_b32_e32 v31, s73, v12
	v_bfe_u32 v12, v12, s12, 2
	s_or_b64 s[8:9], s[6:7], s[8:9]
	v_cmp_eq_u32_e32 vcc, s82, v31
	v_cmp_eq_u32_e64 s[6:7], 0, v12
	s_and_b64 s[6:7], vcc, s[6:7]
	v_cndmask_b32_e64 v31, 0, 1, s[6:7]
	v_cmp_ne_u32_e64 s[6:7], 0, v31
	s_bcnt1_i32_b64 s6, s[6:7]
	v_add_co_u32_e64 v2, s[6:7], s6, v2
	v_addc_co_u32_e64 v3, s[6:7], 0, v3, s[6:7]
	v_cmp_eq_u32_e64 s[6:7], 1, v12
	s_and_b64 s[6:7], vcc, s[6:7]
	v_cndmask_b32_e64 v31, 0, 1, s[6:7]
	v_cmp_ne_u32_e64 s[6:7], 0, v31
	s_bcnt1_i32_b64 s6, s[6:7]
	v_add_co_u32_e64 v4, s[6:7], s6, v4
	v_addc_co_u32_e64 v5, s[6:7], 0, v5, s[6:7]
	;; [unrolled: 7-line block ×3, first 2 shown]
	v_cmp_eq_u32_e64 s[6:7], 3, v12
	s_and_b64 s[6:7], vcc, s[6:7]
	v_cndmask_b32_e64 v12, 0, 1, s[6:7]
	v_cmp_ne_u32_e32 vcc, 0, v12
	s_bcnt1_i32_b64 s6, vcc
	v_add_co_u32_e32 v8, vcc, s6, v8
	v_addc_co_u32_e32 v9, vcc, 0, v9, vcc
	v_mov_b32_e32 v12, s13
	v_add_co_u32_e32 v26, vcc, s14, v26
	v_addc_co_u32_e32 v27, vcc, v27, v12, vcc
	v_mov_b32_e32 v12, v30
	s_andn2_b64 exec, exec, s[8:9]
	s_cbranch_execz .LBB12_55
.LBB12_52:                              ;   Parent Loop BB12_8 Depth=1
                                        ; =>  This Inner Loop Header: Depth=2
	v_mov_b32_e32 v30, s71
	v_add_co_u32_e32 v28, vcc, s67, v28
	v_addc_co_u32_e32 v29, vcc, v29, v30, vcc
	v_cmp_gt_i64_e64 s[6:7], s[52:53], v[28:29]
	v_cmp_le_i64_e32 vcc, s[52:53], v[28:29]
	v_mov_b32_e32 v30, 0
	s_and_saveexec_b64 s[10:11], s[6:7]
	s_cbranch_execz .LBB12_51
; %bb.53:                               ;   in Loop: Header=BB12_52 Depth=2
	global_load_ubyte v30, v[26:27], off
	s_branch .LBB12_51
.LBB12_54:                              ;   in Loop: Header=BB12_8 Depth=1
                                        ; implicit-def: $vgpr8_vgpr9
                                        ; implicit-def: $vgpr4_vgpr5
	s_cbranch_execnz .LBB12_57
	s_branch .LBB12_66
.LBB12_55:                              ;   in Loop: Header=BB12_8 Depth=1
	s_or_b64 exec, exec, s[8:9]
.LBB12_56:                              ;   in Loop: Header=BB12_8 Depth=1
	s_or_b64 exec, exec, s[0:1]
	s_branch .LBB12_66
.LBB12_57:                              ;   in Loop: Header=BB12_8 Depth=1
	global_load_ushort v12, v13, s[56:57]
	s_mov_b64 s[68:69], 0
	s_waitcnt vmcnt(0)
	v_readfirstlane_b32 s0, v12
	s_and_b32 s0, 0xffff, s0
	s_lshl_b32 s67, s0, 2
	v_cvt_f32_u32_e32 v2, s67
	s_sub_i32 s0, 0, s67
	v_rcp_iflag_f32_e32 v4, v2
	v_pk_mov_b32 v[2:3], 0, 0
	v_pk_mov_b32 v[6:7], v[2:3], v[2:3] op_sel:[0,1]
	v_mul_f32_e32 v4, 0x4f7ffffe, v4
	v_cvt_u32_f32_e32 v8, v4
	v_pk_mov_b32 v[4:5], v[2:3], v[2:3] op_sel:[0,1]
	v_readfirstlane_b32 s1, v8
	s_mul_i32 s0, s0, s1
	s_mul_hi_u32 s0, s1, s0
	s_add_i32 s1, s1, s0
	s_mul_hi_u32 s0, s66, s1
	s_mul_i32 s0, s0, s67
	s_sub_i32 s0, s66, s0
	s_sub_i32 s1, s0, s67
	s_cmp_ge_u32 s0, s67
	s_cselect_b32 s0, s1, s0
	s_sub_i32 s1, s0, s67
	s_cmp_ge_u32 s0, s67
	s_cselect_b32 s0, s1, s0
	s_sub_i32 s70, s66, s0
	v_cmp_gt_u32_e32 vcc, s70, v14
	v_pk_mov_b32 v[8:9], v[2:3], v[2:3] op_sel:[0,1]
	s_and_saveexec_b64 s[0:1], vcc
	s_cbranch_execz .LBB12_61
; %bb.58:                               ;   in Loop: Header=BB12_8 Depth=1
	s_mov_b32 s5, s3
	s_mov_b64 s[2:3], s[78:79]
	s_mov_b64 s[88:89], s[34:35]
	;; [unrolled: 1-line block ×5, first 2 shown]
	s_and_b32 s76, s77, 0xfe
	v_mov_b32_e32 v28, v14
	s_mov_b64 s[8:9], 0
	s_mov_b64 s[56:57], 0
	;; [unrolled: 1-line block ×4, first 2 shown]
	v_pk_mov_b32 v[26:27], v[14:15], v[14:15] op_sel:[0,1]
.LBB12_59:                              ;   Parent Loop BB12_8 Depth=1
                                        ; =>  This Inner Loop Header: Depth=2
	ds_read_b32 v2, v28
	v_add_co_u32_e32 v26, vcc, s67, v26
	v_addc_co_u32_e32 v27, vcc, 0, v27, vcc
	s_waitcnt lgkmcnt(0)
	v_add_u32_sdwa v3, sext(v2), s85 dst_sel:DWORD dst_unused:UNUSED_PAD src0_sel:BYTE_0 src1_sel:DWORD
	v_add_u32_sdwa v4, sext(v2), s85 dst_sel:DWORD dst_unused:UNUSED_PAD src0_sel:BYTE_1 src1_sel:DWORD
	v_and_b32_e32 v6, s73, v3
	v_bfe_u32 v3, v3, s76, 2
	v_add_u32_sdwa v5, sext(v2), s85 dst_sel:DWORD dst_unused:UNUSED_PAD src0_sel:BYTE_2 src1_sel:DWORD
	v_add_u32_sdwa v2, sext(v2), s85 dst_sel:DWORD dst_unused:UNUSED_PAD src0_sel:BYTE_3 src1_sel:DWORD
	v_and_b32_e32 v7, s73, v4
	v_bfe_u32 v4, v4, s76, 2
	v_cmp_eq_u32_e64 s[16:17], s82, v6
	v_cmp_eq_u32_e64 s[6:7], 0, v3
	v_and_b32_e32 v8, s73, v5
	v_and_b32_e32 v9, s73, v2
	v_bfe_u32 v5, v5, s76, 2
	v_bfe_u32 v2, v2, s76, 2
	v_cmp_eq_u32_e64 s[14:15], s82, v7
	v_cmp_eq_u32_e64 s[28:29], 0, v4
	s_and_b64 s[6:7], s[16:17], s[6:7]
	v_cmp_eq_u32_e64 s[12:13], s82, v8
	v_cmp_eq_u32_e64 s[30:31], 0, v5
	;; [unrolled: 1-line block ×6, first 2 shown]
	v_cndmask_b32_e64 v2, 0, 1, s[6:7]
	s_and_b64 s[6:7], s[14:15], s[28:29]
	v_cmp_eq_u32_e64 s[10:11], s82, v9
	v_cmp_eq_u32_e64 s[36:37], 1, v3
	;; [unrolled: 1-line block ×4, first 2 shown]
	v_cndmask_b32_e64 v3, 0, 1, s[6:7]
	s_and_b64 s[6:7], s[12:13], s[30:31]
	v_cmp_eq_u32_e64 s[38:39], 1, v4
	v_cmp_eq_u32_e64 s[46:47], 2, v4
	;; [unrolled: 1-line block ×3, first 2 shown]
	v_cndmask_b32_e64 v4, 0, 1, s[6:7]
	s_and_b64 s[6:7], s[10:11], s[34:35]
	v_cmp_eq_u32_e64 s[40:41], 1, v5
	v_cmp_eq_u32_e64 s[48:49], 2, v5
	;; [unrolled: 1-line block ×3, first 2 shown]
	v_cndmask_b32_e64 v5, 0, 1, s[6:7]
	v_cmp_ne_u32_e64 s[6:7], 0, v2
	v_cmp_ne_u32_e64 s[28:29], 0, v3
	v_cmp_ne_u32_e64 s[30:31], 0, v4
	v_cmp_ne_u32_e64 s[34:35], 0, v5
	s_bcnt1_i32_b64 s6, s[6:7]
	s_bcnt1_i32_b64 s7, s[28:29]
	s_bcnt1_i32_b64 s28, s[30:31]
	s_bcnt1_i32_b64 s29, s[34:35]
	s_add_u32 s6, s6, s80
	s_addc_u32 s30, 0, s81
	s_add_u32 s6, s6, s7
	s_addc_u32 s7, s30, 0
	s_add_u32 s6, s6, s28
	s_addc_u32 s7, s7, 0
	s_add_u32 s80, s6, s29
	s_addc_u32 s81, s7, 0
	s_and_b64 s[6:7], s[16:17], s[36:37]
	v_cndmask_b32_e64 v4, 0, 1, s[6:7]
	s_and_b64 s[6:7], s[14:15], s[38:39]
	v_cndmask_b32_e64 v5, 0, 1, s[6:7]
	s_and_b64 s[6:7], s[12:13], s[40:41]
	v_cndmask_b32_e64 v6, 0, 1, s[6:7]
	s_and_b64 s[6:7], s[10:11], s[42:43]
	v_cndmask_b32_e64 v7, 0, 1, s[6:7]
	v_cmp_ne_u32_e64 s[6:7], 0, v4
	v_cmp_ne_u32_e64 s[28:29], 0, v5
	v_cmp_ne_u32_e64 s[30:31], 0, v6
	v_cmp_ne_u32_e64 s[34:35], 0, v7
	s_bcnt1_i32_b64 s6, s[6:7]
	s_bcnt1_i32_b64 s7, s[28:29]
	s_bcnt1_i32_b64 s28, s[30:31]
	s_bcnt1_i32_b64 s29, s[34:35]
	s_add_u32 s6, s6, s74
	s_addc_u32 s30, 0, s75
	s_add_u32 s6, s6, s7
	s_addc_u32 s7, s30, 0
	s_add_u32 s6, s6, s28
	s_addc_u32 s7, s7, 0
	s_add_u32 s74, s6, s29
	s_addc_u32 s75, s7, 0
	s_and_b64 s[6:7], s[16:17], s[44:45]
	v_cndmask_b32_e64 v6, 0, 1, s[6:7]
	s_and_b64 s[6:7], s[14:15], s[46:47]
	v_cndmask_b32_e64 v7, 0, 1, s[6:7]
	s_and_b64 s[6:7], s[12:13], s[48:49]
	v_cndmask_b32_e64 v8, 0, 1, s[6:7]
	s_and_b64 s[6:7], s[10:11], s[50:51]
	;; [unrolled: 24-line block ×3, first 2 shown]
	v_cndmask_b32_e64 v30, 0, 1, s[6:7]
	v_cmp_ne_u32_e64 s[6:7], 0, v8
	v_cmp_ne_u32_e64 s[10:11], 0, v9
	;; [unrolled: 1-line block ×4, first 2 shown]
	s_bcnt1_i32_b64 s6, s[6:7]
	s_bcnt1_i32_b64 s7, s[10:11]
	;; [unrolled: 1-line block ×4, first 2 shown]
	s_add_u32 s6, s6, s8
	s_addc_u32 s8, 0, s9
	s_add_u32 s6, s6, s7
	s_addc_u32 s7, s8, 0
	;; [unrolled: 2-line block ×3, first 2 shown]
	s_add_u32 s8, s6, s11
	v_cmp_le_u64_e32 vcc, s[70:71], v[26:27]
	s_addc_u32 s9, s7, 0
	v_add_u32_e32 v28, s67, v28
	v_pk_mov_b32 v[2:3], s[80:81], s[80:81] op_sel:[0,1]
	v_pk_mov_b32 v[4:5], s[74:75], s[74:75] op_sel:[0,1]
	v_pk_mov_b32 v[6:7], s[56:57], s[56:57] op_sel:[0,1]
	s_or_b64 s[68:69], vcc, s[68:69]
	v_pk_mov_b32 v[8:9], s[8:9], s[8:9] op_sel:[0,1]
	s_andn2_b64 exec, exec, s[68:69]
	s_cbranch_execnz .LBB12_59
; %bb.60:                               ;   in Loop: Header=BB12_8 Depth=1
	s_or_b64 exec, exec, s[68:69]
	v_readlane_b32 s48, v48, 27
	v_readlane_b32 s50, v48, 29
	;; [unrolled: 1-line block ×7, first 2 shown]
	s_mov_b64 s[74:75], s[62:63]
	s_mov_b64 s[40:41], s[64:65]
	;; [unrolled: 1-line block ×5, first 2 shown]
	s_mov_b32 s3, s5
	v_readlane_b32 s31, v48, 34
.LBB12_61:                              ;   in Loop: Header=BB12_8 Depth=1
	s_or_b64 exec, exec, s[0:1]
	v_and_b32_e32 v28, 0xffff, v12
	v_add_u32_e32 v12, s70, v0
	v_cmp_gt_u32_e32 vcc, s66, v12
	s_and_saveexec_b64 s[0:1], vcc
	s_cbranch_execz .LBB12_65
; %bb.62:                               ;   in Loop: Header=BB12_8 Depth=1
	s_and_b32 s70, s66, 0x7fffffff
	s_and_b32 s18, s77, 0xfe
	s_mov_b64 s[8:9], 0
	v_pk_mov_b32 v[26:27], v[12:13], v[12:13] op_sel:[0,1]
.LBB12_63:                              ;   Parent Loop BB12_8 Depth=1
                                        ; =>  This Inner Loop Header: Depth=2
	ds_read_i8 v29, v12
	v_add_co_u32_e32 v26, vcc, v26, v28
	v_addc_co_u32_e32 v27, vcc, 0, v27, vcc
	s_waitcnt lgkmcnt(0)
	v_add_u32_e32 v29, 0x80, v29
	v_and_b32_e32 v30, s73, v29
	v_bfe_u32 v29, v29, s18, 2
	v_cmp_eq_u32_e64 s[6:7], s82, v30
	v_cmp_eq_u32_e64 s[10:11], 0, v29
	;; [unrolled: 1-line block ×3, first 2 shown]
	s_and_b64 s[10:11], s[6:7], s[10:11]
	v_cmp_eq_u32_e64 s[14:15], 2, v29
	v_cmp_eq_u32_e64 s[16:17], 3, v29
	v_cndmask_b32_e64 v29, 0, 1, s[10:11]
	s_and_b64 s[10:11], s[6:7], s[12:13]
	v_cndmask_b32_e64 v30, 0, 1, s[10:11]
	s_and_b64 s[10:11], s[6:7], s[14:15]
	s_and_b64 s[6:7], s[6:7], s[16:17]
	v_cndmask_b32_e64 v40, 0, 1, s[6:7]
	v_cmp_ne_u32_e64 s[6:7], 0, v29
	s_bcnt1_i32_b64 s6, s[6:7]
	v_cndmask_b32_e64 v31, 0, 1, s[10:11]
	v_cmp_ne_u32_e64 s[10:11], 0, v30
	v_add_co_u32_e64 v2, s[6:7], s6, v2
	s_bcnt1_i32_b64 s10, s[10:11]
	v_addc_co_u32_e64 v3, s[6:7], 0, v3, s[6:7]
	v_cmp_ne_u32_e64 s[12:13], 0, v31
	v_cmp_ne_u32_e64 s[14:15], 0, v40
	v_add_co_u32_e64 v4, s[6:7], s10, v4
	v_cmp_le_u64_e32 vcc, s[70:71], v[26:27]
	s_bcnt1_i32_b64 s11, s[12:13]
	s_bcnt1_i32_b64 s12, s[14:15]
	v_addc_co_u32_e64 v5, s[6:7], 0, v5, s[6:7]
	v_add_co_u32_e64 v6, s[6:7], s11, v6
	s_or_b64 s[8:9], vcc, s[8:9]
	v_add_co_u32_e32 v8, vcc, s12, v8
	v_add_u32_e32 v12, v12, v28
	v_addc_co_u32_e64 v7, s[6:7], 0, v7, s[6:7]
	v_addc_co_u32_e32 v9, vcc, 0, v9, vcc
	s_andn2_b64 exec, exec, s[8:9]
	s_cbranch_execnz .LBB12_63
; %bb.64:                               ;   in Loop: Header=BB12_8 Depth=1
	s_or_b64 exec, exec, s[8:9]
.LBB12_65:                              ;   in Loop: Header=BB12_8 Depth=1
	s_or_b64 exec, exec, s[0:1]
.LBB12_66:                              ;   in Loop: Header=BB12_8 Depth=1
	s_lshl_b32 s6, s4, 6
	s_and_saveexec_b64 s[0:1], s[30:31]
	s_cbranch_execz .LBB12_68
; %bb.67:                               ;   in Loop: Header=BB12_8 Depth=1
	s_waitcnt vmcnt(0)
	v_or_b32_e32 v12, s6, v33
	v_lshlrev_b32_e32 v12, 3, v12
	ds_write_b128 v12, v[2:5] offset:3072
	ds_write_b128 v12, v[6:9] offset:3088
.LBB12_68:                              ;   in Loop: Header=BB12_8 Depth=1
	s_or_b64 exec, exec, s[0:1]
	s_waitcnt lgkmcnt(0)
	s_barrier
	s_and_saveexec_b64 s[0:1], s[50:51]
	s_cbranch_execz .LBB12_80
; %bb.69:                               ;   in Loop: Header=BB12_8 Depth=1
	v_readlane_b32 s8, v48, 16
	v_readlane_b32 s9, v48, 17
	s_andn2_b64 vcc, exec, s[8:9]
	v_pk_mov_b32 v[2:3], 0, 0
	s_cbranch_vccnz .LBB12_79
; %bb.70:                               ;   in Loop: Header=BB12_8 Depth=1
	v_readlane_b32 s8, v48, 20
	v_readlane_b32 s9, v48, 21
	s_andn2_b64 vcc, exec, s[8:9]
	s_cbranch_vccnz .LBB12_75
; %bb.71:                               ;   in Loop: Header=BB12_8 Depth=1
	v_lshl_add_u32 v4, s4, 9, v37
	s_mov_b32 s7, 0
	v_pk_mov_b32 v[2:3], 0, 0
.LBB12_72:                              ;   Parent Loop BB12_8 Depth=1
                                        ; =>  This Inner Loop Header: Depth=2
	s_waitcnt vmcnt(0)
	ds_read2_b64 v[6:9], v4 offset1:4
	ds_read2_b64 v[26:29], v4 offset0:8 offset1:12
	ds_read2_b64 v[40:43], v4 offset0:16 offset1:20
	;; [unrolled: 1-line block ×3, first 2 shown]
	s_add_i32 s7, s7, 8
	s_waitcnt lgkmcnt(3)
	v_add_co_u32_e32 v2, vcc, v6, v2
	v_addc_co_u32_e32 v3, vcc, v7, v3, vcc
	v_add_co_u32_e32 v2, vcc, v8, v2
	v_addc_co_u32_e32 v3, vcc, v9, v3, vcc
	s_waitcnt lgkmcnt(2)
	v_add_co_u32_e32 v2, vcc, v26, v2
	v_addc_co_u32_e32 v3, vcc, v27, v3, vcc
	v_add_co_u32_e32 v2, vcc, v28, v2
	v_addc_co_u32_e32 v3, vcc, v29, v3, vcc
	;; [unrolled: 5-line block ×3, first 2 shown]
	s_waitcnt lgkmcnt(0)
	v_add_co_u32_e32 v2, vcc, v44, v2
	v_addc_co_u32_e32 v3, vcc, v45, v3, vcc
	v_add_co_u32_e32 v2, vcc, v46, v2
	v_add_u32_e32 v4, 0x100, v4
	s_cmp_eq_u32 s72, s7
	v_addc_co_u32_e32 v3, vcc, v47, v3, vcc
	s_cbranch_scc0 .LBB12_72
; %bb.73:                               ;   in Loop: Header=BB12_8 Depth=1
	s_mov_b32 s7, s72
	s_branch .LBB12_76
.LBB12_74:                              ;   in Loop: Header=BB12_8 Depth=1
                                        ; implicit-def: $vgpr26_vgpr27
	s_mov_b32 s5, s3
	s_mov_b64 s[2:3], s[78:79]
	s_branch .LBB12_42
.LBB12_75:                              ;   in Loop: Header=BB12_8 Depth=1
	s_mov_b32 s7, 0
	v_pk_mov_b32 v[2:3], 0, 0
.LBB12_76:                              ;   in Loop: Header=BB12_8 Depth=1
	v_readlane_b32 s8, v48, 23
	v_readlane_b32 s9, v48, 24
	s_andn2_b64 vcc, exec, s[8:9]
	s_cbranch_vccnz .LBB12_79
; %bb.77:                               ;   in Loop: Header=BB12_8 Depth=1
	s_lshl_b32 s8, s4, 9
	s_lshl_b32 s7, s7, 5
	s_add_i32 s8, s8, s7
	v_add_u32_e32 v4, s8, v37
	v_readlane_b32 s7, v48, 22
.LBB12_78:                              ;   Parent Loop BB12_8 Depth=1
                                        ; =>  This Inner Loop Header: Depth=2
	s_waitcnt vmcnt(0)
	ds_read_b64 v[6:7], v4
	s_add_i32 s7, s7, -1
	v_add_u32_e32 v4, 32, v4
	s_cmp_lg_u32 s7, 0
	s_waitcnt lgkmcnt(0)
	v_add_co_u32_e32 v2, vcc, v6, v2
	v_addc_co_u32_e32 v3, vcc, v7, v3, vcc
	s_cbranch_scc1 .LBB12_78
.LBB12_79:                              ;   in Loop: Header=BB12_8 Depth=1
	v_add_lshl_u32 v4, s6, v32, 3
	ds_write_b64 v4, v[2:3] offset:3072
.LBB12_80:                              ;   in Loop: Header=BB12_8 Depth=1
	s_or_b64 exec, exec, s[0:1]
	s_lshl_b32 s0, s6, 3
	s_waitcnt vmcnt(0)
	v_mov_b32_e32 v6, s0
	s_waitcnt lgkmcnt(0)
	s_barrier
	ds_read_b128 v[2:5], v6 offset:3072
	ds_read_b128 v[6:9], v6 offset:3088
	s_and_b32 s38, s77, 0xfe
	s_lshl_b32 s46, 3, s38
	s_not_b32 s39, s46
	s_waitcnt lgkmcnt(1)
	v_readfirstlane_b32 s13, v3
	v_readfirstlane_b32 s12, v2
	s_cmp_eq_u64 s[12:13], 1
	s_cselect_b64 s[0:1], -1, 0
	s_cmp_eq_u64 s[54:55], 1
	s_cselect_b64 s[8:9], -1, 0
	s_and_b64 s[18:19], s[0:1], s[8:9]
	v_readfirstlane_b32 s24, v4
	v_readfirstlane_b32 s25, v5
	s_waitcnt lgkmcnt(0)
	v_readfirstlane_b32 s14, v6
	v_readfirstlane_b32 s15, v7
	;; [unrolled: 1-line block ×4, first 2 shown]
	s_mov_b64 s[16:17], -1
	s_and_b64 vcc, exec, s[18:19]
	s_cbranch_vccz .LBB12_95
; %bb.81:                               ;   in Loop: Header=BB12_8 Depth=1
	ds_read_b64 v[2:3], v13 offset:5120
	s_waitcnt lgkmcnt(0)
	s_barrier
	v_readfirstlane_b32 s10, v2
	v_readfirstlane_b32 s11, v3
	s_mov_b64 s[0:1], exec
	v_readlane_b32 s8, v48, 12
	v_readlane_b32 s9, v48, 13
	s_and_b64 s[8:9], s[0:1], s[8:9]
	s_mov_b64 exec, s[8:9]
	s_cbranch_execz .LBB12_83
; %bb.82:                               ;   in Loop: Header=BB12_8 Depth=1
	ds_write_b8 v0, v13 offset:3072
.LBB12_83:                              ;   in Loop: Header=BB12_8 Depth=1
	s_or_b64 exec, exec, s[0:1]
	v_cmp_lt_i64_e64 s[0:1], s[10:11], 1
	s_and_b32 s82, s82, s39
	s_or_b32 s73, s73, s46
	s_and_b64 vcc, exec, s[0:1]
	s_waitcnt lgkmcnt(0)
	s_barrier
	s_cbranch_vccz .LBB12_96
; %bb.84:                               ;   in Loop: Header=BB12_8 Depth=1
	s_mov_b32 s2, s71
	s_cmp_lg_u64 s[2:3], 0
	s_cbranch_scc0 .LBB12_141
; %bb.85:                               ;   in Loop: Header=BB12_8 Depth=1
	v_cvt_f32_u32_e32 v2, s33
	s_sub_u32 s0, 0, s33
	s_subb_u32 s1, 0, 0
	v_mac_f32_e32 v2, 0x4f800000, v38
	v_rcp_f32_e32 v2, v2
	v_mul_f32_e32 v2, 0x5f7ffffc, v2
	v_mul_f32_e32 v3, 0x2f800000, v2
	v_trunc_f32_e32 v3, v3
	v_mac_f32_e32 v2, 0xcf800000, v3
	v_cvt_u32_f32_e32 v3, v3
	v_cvt_u32_f32_e32 v2, v2
	v_readfirstlane_b32 s8, v3
	v_readfirstlane_b32 s9, v2
	s_mul_i32 s20, s0, s8
	s_mul_hi_u32 s22, s0, s9
	s_mul_i32 s21, s1, s9
	s_add_i32 s20, s22, s20
	s_mul_i32 s23, s0, s9
	s_add_i32 s20, s20, s21
	s_mul_hi_u32 s22, s9, s23
	s_mul_hi_u32 s21, s9, s20
	s_mul_i32 s9, s9, s20
	s_add_u32 s9, s22, s9
	s_addc_u32 s21, 0, s21
	s_mul_hi_u32 s28, s8, s23
	s_mul_i32 s23, s8, s23
	s_add_u32 s9, s9, s23
	s_mul_hi_u32 s22, s8, s20
	s_addc_u32 s9, s21, s28
	s_addc_u32 s21, s22, 0
	s_mul_i32 s20, s8, s20
	s_add_u32 s9, s9, s20
	s_addc_u32 s20, 0, s21
	v_add_co_u32_e32 v2, vcc, s9, v2
	s_cmp_lg_u64 vcc, 0
	s_addc_u32 s8, s8, s20
	v_readfirstlane_b32 s20, v2
	s_mul_i32 s9, s0, s8
	s_mul_hi_u32 s21, s0, s20
	s_add_i32 s9, s21, s9
	s_mul_i32 s1, s1, s20
	s_add_i32 s9, s9, s1
	s_mul_i32 s0, s0, s20
	s_mul_hi_u32 s21, s8, s0
	s_mul_i32 s22, s8, s0
	s_mul_i32 s28, s20, s9
	s_mul_hi_u32 s0, s20, s0
	s_mul_hi_u32 s23, s20, s9
	s_add_u32 s0, s0, s28
	s_addc_u32 s20, 0, s23
	s_add_u32 s0, s0, s22
	s_mul_hi_u32 s1, s8, s9
	s_addc_u32 s0, s20, s21
	s_addc_u32 s1, s1, 0
	s_mul_i32 s9, s8, s9
	s_add_u32 s0, s0, s9
	s_addc_u32 s1, 0, s1
	v_add_co_u32_e32 v2, vcc, s0, v2
	s_cmp_lg_u64 vcc, 0
	s_addc_u32 s20, s8, s1
	s_ashr_i32 s0, s3, 31
	s_add_u32 s8, s60, s0
	s_mov_b32 s1, s0
	s_addc_u32 s9, s3, s0
	s_xor_b64 s[8:9], s[8:9], s[0:1]
	v_readfirstlane_b32 s22, v2
	s_mul_i32 s21, s8, s20
	s_mul_hi_u32 s23, s8, s22
	s_mul_hi_u32 s1, s8, s20
	s_add_u32 s21, s23, s21
	s_addc_u32 s1, 0, s1
	s_mul_hi_u32 s28, s9, s22
	s_mul_i32 s22, s9, s22
	s_add_u32 s21, s21, s22
	s_mul_hi_u32 s23, s9, s20
	s_addc_u32 s1, s1, s28
	s_addc_u32 s21, s23, 0
	s_mul_i32 s20, s9, s20
	s_add_u32 s1, s1, s20
	s_addc_u32 s20, 0, s21
	s_mul_hi_u32 s21, s33, s1
	s_mul_i32 s1, s33, s1
	s_mul_i32 s20, s33, s20
	v_mov_b32_e32 v2, s1
	s_add_i32 s21, s21, s20
	v_sub_co_u32_e32 v2, vcc, s8, v2
	s_cmp_lg_u64 vcc, 0
	s_subb_u32 s1, s9, s21
	v_subrev_co_u32_e32 v3, vcc, s33, v2
	s_cmp_lg_u64 vcc, 0
	s_subb_u32 s8, s1, 0
	v_subrev_co_u32_e32 v4, vcc, s33, v3
	s_cmp_lg_u64 vcc, 0
	s_subb_u32 s9, s8, 0
	v_cmp_le_u32_e32 vcc, s33, v3
	s_cmp_eq_u32 s8, 0
	v_cndmask_b32_e64 v5, 0, -1, vcc
	s_cselect_b64 vcc, -1, 0
	v_cndmask_b32_e32 v5, -1, v5, vcc
	v_mov_b32_e32 v6, s8
	v_mov_b32_e32 v7, s9
	v_cmp_ne_u32_e32 vcc, 0, v5
	v_cndmask_b32_e32 v5, v6, v7, vcc
	v_cndmask_b32_e32 v3, v3, v4, vcc
	v_cmp_le_u32_e32 vcc, s33, v2
	s_cmp_eq_u32 s1, 0
	v_cndmask_b32_e64 v4, 0, -1, vcc
	s_cselect_b64 vcc, -1, 0
	v_cndmask_b32_e32 v4, -1, v4, vcc
	v_cmp_ne_u32_e32 vcc, 0, v4
	v_mov_b32_e32 v6, s1
	v_cndmask_b32_e32 v2, v2, v3, vcc
	v_cndmask_b32_e32 v4, v6, v5, vcc
	v_xor_b32_e32 v2, s0, v2
	v_xor_b32_e32 v3, s0, v4
	v_mov_b32_e32 v4, s0
	v_subrev_co_u32_e32 v2, vcc, s0, v2
	v_subb_co_u32_e32 v3, vcc, v3, v4, vcc
	s_cbranch_execnz .LBB12_87
.LBB12_86:                              ;   in Loop: Header=BB12_8 Depth=1
	v_cvt_f32_u32_e32 v2, s33
	s_sub_i32 s0, 0, s33
	v_rcp_iflag_f32_e32 v2, v2
	v_mul_f32_e32 v2, 0x4f7ffffe, v2
	v_cvt_u32_f32_e32 v2, v2
	v_mul_lo_u32 v3, s0, v2
	v_mul_hi_u32 v3, v2, v3
	v_add_u32_e32 v2, v2, v3
	v_mul_hi_u32 v2, s60, v2
	v_mul_lo_u32 v2, v2, s33
	v_sub_u32_e32 v2, s60, v2
	v_subrev_u32_e32 v3, s33, v2
	v_cmp_le_u32_e32 vcc, s33, v2
	v_cndmask_b32_e32 v2, v2, v3, vcc
	v_subrev_u32_e32 v3, s33, v2
	v_cmp_le_u32_e32 vcc, s33, v2
	v_cndmask_b32_e32 v12, v2, v3, vcc
	v_pk_mov_b32 v[2:3], v[12:13], v[12:13] op_sel:[0,1]
.LBB12_87:                              ;   in Loop: Header=BB12_8 Depth=1
	v_mov_b32_e32 v4, s3
	v_sub_co_u32_e32 v2, vcc, s60, v2
	v_subb_co_u32_e32 v3, vcc, v4, v3, vcc
	v_cmp_gt_i64_e32 vcc, v[2:3], v[0:1]
	s_mov_b64 s[0:1], 0
                                        ; implicit-def: $vgpr39
	s_and_saveexec_b64 s[8:9], vcc
	s_cbranch_execz .LBB12_98
; %bb.88:                               ;   in Loop: Header=BB12_8 Depth=1
	v_pk_mov_b32 v[4:5], v[10:11], v[10:11] op_sel:[0,1]
	v_pk_mov_b32 v[6:7], v[0:1], v[0:1] op_sel:[0,1]
                                        ; implicit-def: $sgpr20_sgpr21
	s_branch .LBB12_90
.LBB12_89:                              ;   in Loop: Header=BB12_90 Depth=2
	s_or_b64 exec, exec, s[22:23]
	s_waitcnt lgkmcnt(0)
	s_barrier
	s_waitcnt vmcnt(0)
	ds_read_u16 v8, v13 offset:3072
	v_mov_b32_e32 v9, s26
	v_add_co_u32_e32 v6, vcc, s33, v6
	v_addc_co_u32_e32 v7, vcc, v7, v9, vcc
	s_waitcnt lgkmcnt(0)
	v_cmp_ne_u16_sdwa s[22:23], v8, v13 src0_sel:BYTE_0 src1_sel:DWORD
	v_cmp_ge_i64_e32 vcc, v[6:7], v[2:3]
	s_or_b64 s[28:29], s[22:23], vcc
	s_and_b64 s[28:29], exec, s[28:29]
	s_or_b64 s[0:1], s[28:29], s[0:1]
	v_mov_b32_e32 v9, s27
	v_add_co_u32_e32 v4, vcc, s84, v4
	s_andn2_b64 s[20:21], s[20:21], exec
	s_and_b64 s[22:23], s[22:23], exec
	v_addc_co_u32_e32 v5, vcc, v5, v9, vcc
	s_or_b64 s[20:21], s[20:21], s[22:23]
	s_barrier
	s_andn2_b64 exec, exec, s[0:1]
	s_cbranch_execz .LBB12_97
.LBB12_90:                              ;   Parent Loop BB12_8 Depth=1
                                        ; =>  This Inner Loop Header: Depth=2
	v_cmp_gt_i64_e32 vcc, s[52:53], v[6:7]
	v_mov_b32_e32 v8, 0
	s_and_saveexec_b64 s[22:23], vcc
	s_cbranch_execz .LBB12_92
; %bb.91:                               ;   in Loop: Header=BB12_90 Depth=2
	global_load_ubyte v8, v[4:5], off
.LBB12_92:                              ;   in Loop: Header=BB12_90 Depth=2
	s_or_b64 exec, exec, s[22:23]
	s_and_saveexec_b64 s[22:23], vcc
	s_cbranch_execz .LBB12_89
; %bb.93:                               ;   in Loop: Header=BB12_90 Depth=2
	s_waitcnt vmcnt(0)
	v_add_u32_sdwa v9, sext(v8), s85 dst_sel:DWORD dst_unused:UNUSED_PAD src0_sel:BYTE_0 src1_sel:DWORD
	v_and_b32_e32 v9, s73, v9
	v_cmp_eq_u32_e32 vcc, s82, v9
	s_and_b64 exec, exec, vcc
	s_cbranch_execz .LBB12_89
; %bb.94:                               ;   in Loop: Header=BB12_90 Depth=2
	v_lshlrev_b16_e32 v8, 8, v8
	v_or_b32_e32 v8, 1, v8
	ds_write_b16 v13, v8 offset:3072
	s_branch .LBB12_89
.LBB12_95:                              ;   in Loop: Header=BB12_8 Depth=1
	s_mov_b64 s[0:1], -1
                                        ; implicit-def: $sgpr8_sgpr9
                                        ; implicit-def: $sgpr22_sgpr23
                                        ; implicit-def: $sgpr20_sgpr21
	s_branch .LBB12_112
.LBB12_96:                              ;   in Loop: Header=BB12_8 Depth=1
	s_mov_b64 s[8:9], -1
	s_mov_b64 s[0:1], 0
                                        ; implicit-def: $sgpr20_sgpr21
                                        ; implicit-def: $vgpr39
	s_mov_b64 s[22:23], s[8:9]
	s_cbranch_execnz .LBB12_99
	s_branch .LBB12_112
.LBB12_97:                              ;   in Loop: Header=BB12_8 Depth=1
	s_or_b64 exec, exec, s[0:1]
	v_lshrrev_b16_e32 v39, 8, v8
	s_and_b64 s[0:1], s[20:21], exec
.LBB12_98:                              ;   in Loop: Header=BB12_8 Depth=1
	s_or_b64 exec, exec, s[8:9]
	s_mov_b64 s[20:21], -1
	s_mov_b64 s[8:9], 0
	s_mov_b64 s[22:23], s[8:9]
	s_branch .LBB12_112
.LBB12_99:                              ;   in Loop: Header=BB12_8 Depth=1
	v_readlane_b32 s0, v48, 18
	s_add_u32 s20, s0, s10
	v_readlane_b32 s0, v48, 19
	s_addc_u32 s1, s0, s11
	s_mov_b32 s0, s71
	s_cmp_lg_u64 s[0:1], 0
	s_cbranch_scc0 .LBB12_142
; %bb.100:                              ;   in Loop: Header=BB12_8 Depth=1
	v_cvt_f32_u32_e32 v2, s33
	s_sub_u32 s0, 0, s33
	s_subb_u32 s8, 0, 0
	v_mac_f32_e32 v2, 0x4f800000, v38
	v_rcp_f32_e32 v2, v2
	v_mul_f32_e32 v2, 0x5f7ffffc, v2
	v_mul_f32_e32 v3, 0x2f800000, v2
	v_trunc_f32_e32 v3, v3
	v_mac_f32_e32 v2, 0xcf800000, v3
	v_cvt_u32_f32_e32 v3, v3
	v_cvt_u32_f32_e32 v2, v2
	v_readfirstlane_b32 s9, v3
	v_readfirstlane_b32 s21, v2
	s_mul_i32 s22, s0, s9
	s_mul_hi_u32 s28, s0, s21
	s_mul_i32 s23, s8, s21
	s_add_i32 s22, s28, s22
	s_mul_i32 s29, s0, s21
	s_add_i32 s22, s22, s23
	s_mul_hi_u32 s28, s21, s29
	s_mul_hi_u32 s23, s21, s22
	s_mul_i32 s21, s21, s22
	s_add_u32 s21, s28, s21
	s_addc_u32 s23, 0, s23
	s_mul_hi_u32 s30, s9, s29
	s_mul_i32 s29, s9, s29
	s_add_u32 s21, s21, s29
	s_mul_hi_u32 s28, s9, s22
	s_addc_u32 s21, s23, s30
	s_addc_u32 s23, s28, 0
	s_mul_i32 s22, s9, s22
	s_add_u32 s21, s21, s22
	s_addc_u32 s22, 0, s23
	v_add_co_u32_e32 v2, vcc, s21, v2
	s_cmp_lg_u64 vcc, 0
	s_addc_u32 s9, s9, s22
	v_readfirstlane_b32 s22, v2
	s_mul_i32 s21, s0, s9
	s_mul_hi_u32 s23, s0, s22
	s_add_i32 s21, s23, s21
	s_mul_i32 s8, s8, s22
	s_add_i32 s21, s21, s8
	s_mul_i32 s0, s0, s22
	s_mul_hi_u32 s23, s9, s0
	s_mul_i32 s28, s9, s0
	s_mul_i32 s30, s22, s21
	s_mul_hi_u32 s0, s22, s0
	s_mul_hi_u32 s29, s22, s21
	s_add_u32 s0, s0, s30
	s_addc_u32 s22, 0, s29
	s_add_u32 s0, s0, s28
	s_mul_hi_u32 s8, s9, s21
	s_addc_u32 s0, s22, s23
	s_addc_u32 s8, s8, 0
	s_mul_i32 s21, s9, s21
	s_add_u32 s0, s0, s21
	s_addc_u32 s8, 0, s8
	v_add_co_u32_e32 v2, vcc, s0, v2
	s_cmp_lg_u64 vcc, 0
	s_addc_u32 s0, s9, s8
	s_ashr_i32 s8, s1, 31
	s_add_u32 s22, s20, s8
	s_mov_b32 s9, s8
	s_addc_u32 s23, s1, s8
	s_xor_b64 s[22:23], s[22:23], s[8:9]
	v_readfirstlane_b32 s28, v2
	s_mul_i32 s21, s22, s0
	s_mul_hi_u32 s29, s22, s28
	s_mul_hi_u32 s9, s22, s0
	s_add_u32 s21, s29, s21
	s_addc_u32 s9, 0, s9
	s_mul_hi_u32 s30, s23, s28
	s_mul_i32 s28, s23, s28
	s_add_u32 s21, s21, s28
	s_mul_hi_u32 s29, s23, s0
	s_addc_u32 s9, s9, s30
	s_addc_u32 s21, s29, 0
	s_mul_i32 s0, s23, s0
	s_add_u32 s0, s9, s0
	s_addc_u32 s9, 0, s21
	s_mul_hi_u32 s21, s33, s0
	s_mul_i32 s0, s33, s0
	s_mul_i32 s9, s33, s9
	v_mov_b32_e32 v2, s0
	s_add_i32 s21, s21, s9
	v_sub_co_u32_e32 v2, vcc, s22, v2
	s_cmp_lg_u64 vcc, 0
	s_subb_u32 s0, s23, s21
	v_subrev_co_u32_e32 v3, vcc, s33, v2
	s_cmp_lg_u64 vcc, 0
	s_subb_u32 s9, s0, 0
	v_subrev_co_u32_e32 v4, vcc, s33, v3
	s_cmp_lg_u64 vcc, 0
	s_subb_u32 s21, s9, 0
	v_cmp_le_u32_e32 vcc, s33, v3
	s_cmp_eq_u32 s9, 0
	v_cndmask_b32_e64 v5, 0, -1, vcc
	s_cselect_b64 vcc, -1, 0
	v_cndmask_b32_e32 v5, -1, v5, vcc
	v_mov_b32_e32 v6, s9
	v_mov_b32_e32 v7, s21
	v_cmp_ne_u32_e32 vcc, 0, v5
	v_cndmask_b32_e32 v5, v6, v7, vcc
	v_cndmask_b32_e32 v3, v3, v4, vcc
	v_cmp_le_u32_e32 vcc, s33, v2
	s_cmp_eq_u32 s0, 0
	v_cndmask_b32_e64 v4, 0, -1, vcc
	s_cselect_b64 vcc, -1, 0
	v_cndmask_b32_e32 v4, -1, v4, vcc
	v_cmp_ne_u32_e32 vcc, 0, v4
	v_mov_b32_e32 v6, s0
	v_cndmask_b32_e32 v2, v2, v3, vcc
	v_cndmask_b32_e32 v4, v6, v5, vcc
	v_xor_b32_e32 v2, s8, v2
	v_xor_b32_e32 v3, s8, v4
	v_mov_b32_e32 v4, s8
	v_subrev_co_u32_e32 v2, vcc, s8, v2
	v_subb_co_u32_e32 v3, vcc, v3, v4, vcc
	s_cbranch_execnz .LBB12_102
.LBB12_101:                             ;   in Loop: Header=BB12_8 Depth=1
	v_cvt_f32_u32_e32 v2, s33
	s_sub_i32 s0, 0, s33
	v_rcp_iflag_f32_e32 v2, v2
	v_mul_f32_e32 v2, 0x4f7ffffe, v2
	v_cvt_u32_f32_e32 v2, v2
	v_mul_lo_u32 v3, s0, v2
	v_mul_hi_u32 v3, v2, v3
	v_add_u32_e32 v2, v2, v3
	v_mul_hi_u32 v2, s20, v2
	v_mul_lo_u32 v2, v2, s33
	v_sub_u32_e32 v2, s20, v2
	v_subrev_u32_e32 v3, s33, v2
	v_cmp_le_u32_e32 vcc, s33, v2
	v_cndmask_b32_e32 v2, v2, v3, vcc
	v_subrev_u32_e32 v3, s33, v2
	v_cmp_le_u32_e32 vcc, s33, v2
	v_cndmask_b32_e32 v12, v2, v3, vcc
	v_pk_mov_b32 v[2:3], v[12:13], v[12:13] op_sel:[0,1]
.LBB12_102:                             ;   in Loop: Header=BB12_8 Depth=1
	v_mov_b32_e32 v4, s1
	v_sub_co_u32_e32 v2, vcc, s20, v2
	v_subb_co_u32_e32 v3, vcc, v4, v3, vcc
	v_cmp_gt_i64_e32 vcc, v[2:3], v[0:1]
	s_mov_b64 s[0:1], 0
                                        ; implicit-def: $vgpr39
	s_and_saveexec_b64 s[8:9], vcc
	v_readlane_b32 s30, v48, 33
	v_readlane_b32 s31, v48, 34
	s_cbranch_execz .LBB12_111
; %bb.103:                              ;   in Loop: Header=BB12_8 Depth=1
	v_mov_b32_e32 v6, v0
	v_pk_mov_b32 v[4:5], v[0:1], v[0:1] op_sel:[0,1]
                                        ; implicit-def: $sgpr20_sgpr21
	s_branch .LBB12_105
.LBB12_104:                             ;   in Loop: Header=BB12_105 Depth=2
	s_or_b64 exec, exec, s[22:23]
	s_waitcnt lgkmcnt(0)
	s_barrier
	ds_read_u16 v7, v13 offset:3072
	v_mov_b32_e32 v8, s26
	v_add_co_u32_e32 v4, vcc, s33, v4
	v_addc_co_u32_e32 v5, vcc, v5, v8, vcc
	s_waitcnt lgkmcnt(0)
	v_cmp_ne_u16_sdwa s[22:23], v7, v13 src0_sel:BYTE_0 src1_sel:DWORD
	v_cmp_ge_i64_e32 vcc, v[4:5], v[2:3]
	s_or_b64 s[28:29], s[22:23], vcc
	s_and_b64 s[28:29], exec, s[28:29]
	s_or_b64 s[0:1], s[28:29], s[0:1]
	s_andn2_b64 s[20:21], s[20:21], exec
	s_and_b64 s[22:23], s[22:23], exec
	v_add_u32_e32 v6, s33, v6
	s_or_b64 s[20:21], s[20:21], s[22:23]
	s_barrier
	s_andn2_b64 exec, exec, s[0:1]
	s_cbranch_execz .LBB12_110
.LBB12_105:                             ;   Parent Loop BB12_8 Depth=1
                                        ; =>  This Inner Loop Header: Depth=2
	v_cmp_gt_i64_e32 vcc, s[10:11], v[4:5]
	v_mov_b32_e32 v7, 0
	s_and_saveexec_b64 s[22:23], vcc
	s_cbranch_execz .LBB12_107
; %bb.106:                              ;   in Loop: Header=BB12_105 Depth=2
	ds_read_u8 v7, v6
.LBB12_107:                             ;   in Loop: Header=BB12_105 Depth=2
	s_or_b64 exec, exec, s[22:23]
	s_and_saveexec_b64 s[22:23], vcc
	s_cbranch_execz .LBB12_104
; %bb.108:                              ;   in Loop: Header=BB12_105 Depth=2
	s_waitcnt lgkmcnt(0)
	v_add_u32_sdwa v8, sext(v7), s85 dst_sel:DWORD dst_unused:UNUSED_PAD src0_sel:BYTE_0 src1_sel:DWORD
	v_and_b32_e32 v8, s73, v8
	v_cmp_eq_u32_e32 vcc, s82, v8
	s_and_b64 exec, exec, vcc
	s_cbranch_execz .LBB12_104
; %bb.109:                              ;   in Loop: Header=BB12_105 Depth=2
	v_lshlrev_b16_e32 v7, 8, v7
	v_or_b32_e32 v7, 1, v7
	ds_write_b16 v13, v7 offset:3072
	s_branch .LBB12_104
.LBB12_110:                             ;   in Loop: Header=BB12_8 Depth=1
	s_or_b64 exec, exec, s[0:1]
	v_lshrrev_b16_e32 v39, 8, v7
	s_and_b64 s[0:1], s[20:21], exec
.LBB12_111:                             ;   in Loop: Header=BB12_8 Depth=1
	s_or_b64 exec, exec, s[8:9]
	s_mov_b64 s[22:23], -1
	s_mov_b64 s[8:9], 0
	s_mov_b64 s[20:21], 0
.LBB12_112:                             ;   in Loop: Header=BB12_8 Depth=1
	s_andn2_b64 s[10:11], s[42:43], exec
	s_and_b64 s[8:9], s[8:9], exec
	s_or_b64 s[42:43], s[10:11], s[8:9]
	s_andn2_b64 s[8:9], s[40:41], exec
	s_and_b64 s[10:11], s[22:23], exec
	s_or_b64 s[40:41], s[8:9], s[10:11]
	;; [unrolled: 3-line block ×3, first 2 shown]
	s_and_saveexec_b64 s[10:11], s[0:1]
	s_cbranch_execz .LBB12_7
; %bb.113:                              ;   in Loop: Header=BB12_8 Depth=1
	s_xor_b64 s[0:1], s[18:19], -1
	s_andn2_b64 vcc, exec, s[0:1]
	s_mov_b32 s47, 1
	s_cbranch_vccnz .LBB12_124
; %bb.114:                              ;   in Loop: Header=BB12_8 Depth=1
	v_pk_mov_b32 v[2:3], s[12:13], s[12:13] op_sel:[0,1]
	v_cmp_gt_i64_e32 vcc, s[54:55], v[2:3]
	s_mov_b64 s[0:1], -1
                                        ; implicit-def: $sgpr47
                                        ; implicit-def: $sgpr8
                                        ; implicit-def: $sgpr9
	s_cbranch_vccnz .LBB12_120
; %bb.115:                              ;   in Loop: Header=BB12_8 Depth=1
	ds_read_b64 v[2:3], v13 offset:5120
	s_waitcnt lgkmcnt(0)
	v_cmp_ne_u64_e32 vcc, 0, v[2:3]
	s_cbranch_vccnz .LBB12_119
; %bb.116:                              ;   in Loop: Header=BB12_8 Depth=1
	s_mov_b64 s[0:1], exec
	v_readlane_b32 s8, v48, 8
	v_readlane_b32 s9, v48, 9
	s_and_b64 s[8:9], s[0:1], s[8:9]
	s_mov_b64 exec, s[8:9]
	s_cbranch_execz .LBB12_118
; %bb.117:                              ;   in Loop: Header=BB12_8 Depth=1
	v_pk_mov_b32 v[2:3], s[12:13], s[12:13] op_sel:[0,1]
	ds_write_b64 v13, v[2:3] offset:5128
.LBB12_118:                             ;   in Loop: Header=BB12_8 Depth=1
	s_or_b64 exec, exec, s[0:1]
	s_waitcnt lgkmcnt(0)
	s_barrier
.LBB12_119:                             ;   in Loop: Header=BB12_8 Depth=1
	s_and_b32 s8, s82, s39
	s_or_b32 s9, s73, s46
	s_mov_b64 s[0:1], 0
	s_mov_b32 s47, 8
.LBB12_120:                             ;   in Loop: Header=BB12_8 Depth=1
	s_andn2_b64 vcc, exec, s[0:1]
	s_cbranch_vccnz .LBB12_122
; %bb.121:                              ;   in Loop: Header=BB12_8 Depth=1
	s_sub_u32 s54, s54, s12
	s_subb_u32 s55, s55, s13
	s_mov_b64 s[0:1], -1
	s_mov_b32 s47, 0
	s_mov_b32 s8, s82
	;; [unrolled: 1-line block ×3, first 2 shown]
.LBB12_122:                             ;   in Loop: Header=BB12_8 Depth=1
	s_mov_b32 s73, s9
	s_mov_b32 s82, s8
	s_mov_b64 s[12:13], -1
	s_and_b64 vcc, exec, s[0:1]
	s_cbranch_vccnz .LBB12_125
.LBB12_123:                             ;   in Loop: Header=BB12_8 Depth=1
	s_mov_b64 s[8:9], -1
                                        ; implicit-def: $sgpr16_sgpr17
                                        ; implicit-def: $sgpr20_sgpr21
                                        ; implicit-def: $sgpr18_sgpr19
	s_and_saveexec_b64 s[0:1], s[8:9]
	s_xor_b64 s[0:1], exec, s[0:1]
	s_cbranch_execz .LBB12_6
	s_branch .LBB12_271
.LBB12_124:                             ;   in Loop: Header=BB12_8 Depth=1
	s_mov_b64 s[54:55], 1
	s_mov_b64 s[12:13], -1
	s_branch .LBB12_123
.LBB12_125:                             ;   in Loop: Header=BB12_8 Depth=1
	s_cmp_eq_u64 s[24:25], 1
	s_cselect_b64 s[0:1], -1, 0
	s_cmp_eq_u64 s[54:55], 1
	s_cselect_b64 s[8:9], -1, 0
	s_and_b64 s[28:29], s[0:1], s[8:9]
	s_mov_b64 s[0:1], -1
	s_and_b64 vcc, exec, s[28:29]
	s_cbranch_vccz .LBB12_140
; %bb.126:                              ;   in Loop: Header=BB12_8 Depth=1
	ds_read_b64 v[2:3], v13 offset:5120
	s_waitcnt lgkmcnt(0)
	s_barrier
	v_readfirstlane_b32 s22, v2
	v_readfirstlane_b32 s23, v3
	s_mov_b64 s[0:1], exec
	v_readlane_b32 s8, v48, 12
	v_readlane_b32 s9, v48, 13
	s_and_b64 s[8:9], s[0:1], s[8:9]
	s_mov_b64 exec, s[8:9]
	s_cbranch_execz .LBB12_128
; %bb.127:                              ;   in Loop: Header=BB12_8 Depth=1
	ds_write_b8 v0, v13 offset:3072
.LBB12_128:                             ;   in Loop: Header=BB12_8 Depth=1
	s_or_b64 exec, exec, s[0:1]
	s_lshl_b32 s0, 1, s38
	s_and_b32 s1, s82, s39
	s_or_b32 s82, s1, s0
	v_cmp_gt_i64_e64 s[0:1], s[22:23], 0
	s_or_b32 s73, s73, s46
	s_and_b64 vcc, exec, s[0:1]
	s_waitcnt lgkmcnt(0)
	s_barrier
	s_cbranch_vccnz .LBB12_143
; %bb.129:                              ;   in Loop: Header=BB12_8 Depth=1
	s_mov_b32 s2, s71
	s_cmp_lg_u64 s[2:3], 0
	s_cbranch_scc0 .LBB12_188
; %bb.130:                              ;   in Loop: Header=BB12_8 Depth=1
	v_cvt_f32_u32_e32 v2, s33
	s_sub_u32 s0, 0, s33
	s_subb_u32 s1, 0, 0
	v_mac_f32_e32 v2, 0x4f800000, v38
	v_rcp_f32_e32 v2, v2
	v_mul_f32_e32 v2, 0x5f7ffffc, v2
	v_mul_f32_e32 v3, 0x2f800000, v2
	v_trunc_f32_e32 v3, v3
	v_mac_f32_e32 v2, 0xcf800000, v3
	v_cvt_u32_f32_e32 v3, v3
	v_cvt_u32_f32_e32 v2, v2
	v_readfirstlane_b32 s8, v3
	v_readfirstlane_b32 s9, v2
	s_mul_i32 s16, s0, s8
	s_mul_hi_u32 s18, s0, s9
	s_mul_i32 s17, s1, s9
	s_add_i32 s16, s18, s16
	s_mul_i32 s19, s0, s9
	s_add_i32 s16, s16, s17
	s_mul_hi_u32 s18, s9, s19
	s_mul_hi_u32 s17, s9, s16
	s_mul_i32 s9, s9, s16
	s_add_u32 s9, s18, s9
	s_addc_u32 s17, 0, s17
	s_mul_hi_u32 s20, s8, s19
	s_mul_i32 s19, s8, s19
	s_add_u32 s9, s9, s19
	s_mul_hi_u32 s18, s8, s16
	s_addc_u32 s9, s17, s20
	s_addc_u32 s17, s18, 0
	s_mul_i32 s16, s8, s16
	s_add_u32 s9, s9, s16
	s_addc_u32 s16, 0, s17
	v_add_co_u32_e32 v2, vcc, s9, v2
	s_cmp_lg_u64 vcc, 0
	s_addc_u32 s8, s8, s16
	v_readfirstlane_b32 s16, v2
	s_mul_i32 s9, s0, s8
	s_mul_hi_u32 s17, s0, s16
	s_add_i32 s9, s17, s9
	s_mul_i32 s1, s1, s16
	s_add_i32 s9, s9, s1
	s_mul_i32 s0, s0, s16
	s_mul_hi_u32 s17, s8, s0
	s_mul_i32 s18, s8, s0
	s_mul_i32 s20, s16, s9
	s_mul_hi_u32 s0, s16, s0
	s_mul_hi_u32 s19, s16, s9
	s_add_u32 s0, s0, s20
	s_addc_u32 s16, 0, s19
	s_add_u32 s0, s0, s18
	s_mul_hi_u32 s1, s8, s9
	s_addc_u32 s0, s16, s17
	s_addc_u32 s1, s1, 0
	s_mul_i32 s9, s8, s9
	s_add_u32 s0, s0, s9
	s_addc_u32 s1, 0, s1
	v_add_co_u32_e32 v2, vcc, s0, v2
	s_cmp_lg_u64 vcc, 0
	s_addc_u32 s16, s8, s1
	s_ashr_i32 s0, s3, 31
	s_add_u32 s8, s60, s0
	s_mov_b32 s1, s0
	s_addc_u32 s9, s3, s0
	s_xor_b64 s[8:9], s[8:9], s[0:1]
	v_readfirstlane_b32 s18, v2
	s_mul_i32 s17, s8, s16
	s_mul_hi_u32 s19, s8, s18
	s_mul_hi_u32 s1, s8, s16
	s_add_u32 s17, s19, s17
	s_addc_u32 s1, 0, s1
	s_mul_hi_u32 s20, s9, s18
	s_mul_i32 s18, s9, s18
	s_add_u32 s17, s17, s18
	s_mul_hi_u32 s19, s9, s16
	s_addc_u32 s1, s1, s20
	s_addc_u32 s17, s19, 0
	s_mul_i32 s16, s9, s16
	s_add_u32 s1, s1, s16
	s_addc_u32 s16, 0, s17
	s_mul_hi_u32 s17, s33, s1
	s_mul_i32 s1, s33, s1
	s_mul_i32 s16, s33, s16
	v_mov_b32_e32 v2, s1
	s_add_i32 s17, s17, s16
	v_sub_co_u32_e32 v2, vcc, s8, v2
	s_cmp_lg_u64 vcc, 0
	s_subb_u32 s1, s9, s17
	v_subrev_co_u32_e32 v3, vcc, s33, v2
	s_cmp_lg_u64 vcc, 0
	s_subb_u32 s8, s1, 0
	v_subrev_co_u32_e32 v4, vcc, s33, v3
	s_cmp_lg_u64 vcc, 0
	s_subb_u32 s9, s8, 0
	v_cmp_le_u32_e32 vcc, s33, v3
	s_cmp_eq_u32 s8, 0
	v_cndmask_b32_e64 v5, 0, -1, vcc
	s_cselect_b64 vcc, -1, 0
	v_cndmask_b32_e32 v5, -1, v5, vcc
	v_mov_b32_e32 v6, s8
	v_mov_b32_e32 v7, s9
	v_cmp_ne_u32_e32 vcc, 0, v5
	v_cndmask_b32_e32 v5, v6, v7, vcc
	v_cndmask_b32_e32 v3, v3, v4, vcc
	v_cmp_le_u32_e32 vcc, s33, v2
	s_cmp_eq_u32 s1, 0
	v_cndmask_b32_e64 v4, 0, -1, vcc
	s_cselect_b64 vcc, -1, 0
	v_cndmask_b32_e32 v4, -1, v4, vcc
	v_cmp_ne_u32_e32 vcc, 0, v4
	v_mov_b32_e32 v6, s1
	v_cndmask_b32_e32 v2, v2, v3, vcc
	v_cndmask_b32_e32 v4, v6, v5, vcc
	v_xor_b32_e32 v2, s0, v2
	v_xor_b32_e32 v3, s0, v4
	v_mov_b32_e32 v4, s0
	v_subrev_co_u32_e32 v2, vcc, s0, v2
	v_subb_co_u32_e32 v3, vcc, v3, v4, vcc
	s_cbranch_execnz .LBB12_132
.LBB12_131:                             ;   in Loop: Header=BB12_8 Depth=1
	v_cvt_f32_u32_e32 v2, s33
	s_sub_i32 s0, 0, s33
	v_rcp_iflag_f32_e32 v2, v2
	v_mul_f32_e32 v2, 0x4f7ffffe, v2
	v_cvt_u32_f32_e32 v2, v2
	v_mul_lo_u32 v3, s0, v2
	v_mul_hi_u32 v3, v2, v3
	v_add_u32_e32 v2, v2, v3
	v_mul_hi_u32 v2, s60, v2
	v_mul_lo_u32 v2, v2, s33
	v_sub_u32_e32 v2, s60, v2
	v_subrev_u32_e32 v3, s33, v2
	v_cmp_le_u32_e32 vcc, s33, v2
	v_cndmask_b32_e32 v2, v2, v3, vcc
	v_subrev_u32_e32 v3, s33, v2
	v_cmp_le_u32_e32 vcc, s33, v2
	v_cndmask_b32_e32 v12, v2, v3, vcc
	v_pk_mov_b32 v[2:3], v[12:13], v[12:13] op_sel:[0,1]
.LBB12_132:                             ;   in Loop: Header=BB12_8 Depth=1
	v_mov_b32_e32 v4, s3
	v_sub_co_u32_e32 v2, vcc, s60, v2
	v_subb_co_u32_e32 v3, vcc, v4, v3, vcc
	v_cmp_gt_i64_e32 vcc, v[2:3], v[0:1]
	s_mov_b64 s[0:1], 0
                                        ; implicit-def: $vgpr39
	s_and_saveexec_b64 s[8:9], vcc
	s_cbranch_execz .LBB12_145
; %bb.133:                              ;   in Loop: Header=BB12_8 Depth=1
	v_pk_mov_b32 v[4:5], v[10:11], v[10:11] op_sel:[0,1]
	v_pk_mov_b32 v[6:7], v[0:1], v[0:1] op_sel:[0,1]
                                        ; implicit-def: $sgpr16_sgpr17
	s_branch .LBB12_135
.LBB12_134:                             ;   in Loop: Header=BB12_135 Depth=2
	s_or_b64 exec, exec, s[18:19]
	s_waitcnt lgkmcnt(0)
	s_barrier
	s_waitcnt vmcnt(0)
	ds_read_u16 v8, v13 offset:3072
	v_mov_b32_e32 v9, s26
	v_add_co_u32_e32 v6, vcc, s33, v6
	v_addc_co_u32_e32 v7, vcc, v7, v9, vcc
	s_waitcnt lgkmcnt(0)
	v_cmp_ne_u16_sdwa s[18:19], v8, v13 src0_sel:BYTE_0 src1_sel:DWORD
	v_cmp_ge_i64_e32 vcc, v[6:7], v[2:3]
	s_or_b64 s[20:21], s[18:19], vcc
	s_and_b64 s[20:21], exec, s[20:21]
	s_or_b64 s[0:1], s[20:21], s[0:1]
	v_mov_b32_e32 v9, s27
	v_add_co_u32_e32 v4, vcc, s84, v4
	s_andn2_b64 s[16:17], s[16:17], exec
	s_and_b64 s[18:19], s[18:19], exec
	v_addc_co_u32_e32 v5, vcc, v5, v9, vcc
	s_or_b64 s[16:17], s[16:17], s[18:19]
	s_barrier
	s_andn2_b64 exec, exec, s[0:1]
	s_cbranch_execz .LBB12_144
.LBB12_135:                             ;   Parent Loop BB12_8 Depth=1
                                        ; =>  This Inner Loop Header: Depth=2
	v_cmp_gt_i64_e32 vcc, s[52:53], v[6:7]
	v_mov_b32_e32 v8, 0
	s_and_saveexec_b64 s[18:19], vcc
	s_cbranch_execz .LBB12_137
; %bb.136:                              ;   in Loop: Header=BB12_135 Depth=2
	global_load_ubyte v8, v[4:5], off
.LBB12_137:                             ;   in Loop: Header=BB12_135 Depth=2
	s_or_b64 exec, exec, s[18:19]
	s_and_saveexec_b64 s[18:19], vcc
	s_cbranch_execz .LBB12_134
; %bb.138:                              ;   in Loop: Header=BB12_135 Depth=2
	s_waitcnt vmcnt(0)
	v_add_u32_sdwa v9, sext(v8), s85 dst_sel:DWORD dst_unused:UNUSED_PAD src0_sel:BYTE_0 src1_sel:DWORD
	v_and_b32_e32 v9, s73, v9
	v_cmp_eq_u32_e32 vcc, s82, v9
	s_and_b64 exec, exec, vcc
	s_cbranch_execz .LBB12_134
; %bb.139:                              ;   in Loop: Header=BB12_135 Depth=2
	v_lshlrev_b16_e32 v8, 8, v8
	v_or_b32_e32 v8, 1, v8
	ds_write_b16 v13, v8 offset:3072
	s_branch .LBB12_134
.LBB12_140:                             ;   in Loop: Header=BB12_8 Depth=1
                                        ; implicit-def: $sgpr18_sgpr19
                                        ; implicit-def: $sgpr20_sgpr21
                                        ; implicit-def: $sgpr16_sgpr17
	s_branch .LBB12_159
.LBB12_141:                             ;   in Loop: Header=BB12_8 Depth=1
                                        ; implicit-def: $vgpr2_vgpr3
	s_branch .LBB12_86
.LBB12_142:                             ;   in Loop: Header=BB12_8 Depth=1
                                        ; implicit-def: $vgpr2_vgpr3
	s_branch .LBB12_101
.LBB12_143:                             ;   in Loop: Header=BB12_8 Depth=1
	s_mov_b64 s[18:19], -1
	s_mov_b64 s[0:1], 0
                                        ; implicit-def: $sgpr16_sgpr17
                                        ; implicit-def: $vgpr39
	s_mov_b64 s[20:21], s[18:19]
	s_cbranch_execnz .LBB12_146
	s_branch .LBB12_159
.LBB12_144:                             ;   in Loop: Header=BB12_8 Depth=1
	s_or_b64 exec, exec, s[0:1]
	v_lshrrev_b16_e32 v39, 8, v8
	s_and_b64 s[0:1], s[16:17], exec
.LBB12_145:                             ;   in Loop: Header=BB12_8 Depth=1
	s_or_b64 exec, exec, s[8:9]
	s_mov_b64 s[16:17], -1
	s_mov_b64 s[18:19], 0
	s_mov_b64 s[20:21], s[18:19]
	s_branch .LBB12_159
.LBB12_146:                             ;   in Loop: Header=BB12_8 Depth=1
	v_readlane_b32 s0, v48, 18
	s_add_u32 s16, s0, s22
	v_readlane_b32 s0, v48, 19
	s_addc_u32 s1, s0, s23
	s_mov_b32 s0, s71
	s_cmp_lg_u64 s[0:1], 0
	s_cbranch_scc0 .LBB12_189
; %bb.147:                              ;   in Loop: Header=BB12_8 Depth=1
	v_cvt_f32_u32_e32 v2, s33
	s_sub_u32 s0, 0, s33
	s_subb_u32 s8, 0, 0
	v_mac_f32_e32 v2, 0x4f800000, v38
	v_rcp_f32_e32 v2, v2
	v_mul_f32_e32 v2, 0x5f7ffffc, v2
	v_mul_f32_e32 v3, 0x2f800000, v2
	v_trunc_f32_e32 v3, v3
	v_mac_f32_e32 v2, 0xcf800000, v3
	v_cvt_u32_f32_e32 v3, v3
	v_cvt_u32_f32_e32 v2, v2
	v_readfirstlane_b32 s9, v3
	v_readfirstlane_b32 s17, v2
	s_mul_i32 s18, s0, s9
	s_mul_hi_u32 s20, s0, s17
	s_mul_i32 s19, s8, s17
	s_add_i32 s18, s20, s18
	s_mul_i32 s21, s0, s17
	s_add_i32 s18, s18, s19
	s_mul_hi_u32 s20, s17, s21
	s_mul_hi_u32 s19, s17, s18
	s_mul_i32 s17, s17, s18
	s_add_u32 s17, s20, s17
	s_addc_u32 s19, 0, s19
	s_mul_hi_u32 s30, s9, s21
	s_mul_i32 s21, s9, s21
	s_add_u32 s17, s17, s21
	s_mul_hi_u32 s20, s9, s18
	s_addc_u32 s17, s19, s30
	s_addc_u32 s19, s20, 0
	s_mul_i32 s18, s9, s18
	s_add_u32 s17, s17, s18
	s_addc_u32 s18, 0, s19
	v_add_co_u32_e32 v2, vcc, s17, v2
	s_cmp_lg_u64 vcc, 0
	s_addc_u32 s9, s9, s18
	v_readfirstlane_b32 s18, v2
	s_mul_i32 s17, s0, s9
	s_mul_hi_u32 s19, s0, s18
	s_add_i32 s17, s19, s17
	s_mul_i32 s8, s8, s18
	s_add_i32 s17, s17, s8
	s_mul_i32 s0, s0, s18
	s_mul_hi_u32 s19, s9, s0
	s_mul_i32 s20, s9, s0
	s_mul_i32 s30, s18, s17
	s_mul_hi_u32 s0, s18, s0
	s_mul_hi_u32 s21, s18, s17
	s_add_u32 s0, s0, s30
	s_addc_u32 s18, 0, s21
	s_add_u32 s0, s0, s20
	s_mul_hi_u32 s8, s9, s17
	s_addc_u32 s0, s18, s19
	s_addc_u32 s8, s8, 0
	s_mul_i32 s17, s9, s17
	s_add_u32 s0, s0, s17
	s_addc_u32 s8, 0, s8
	v_add_co_u32_e32 v2, vcc, s0, v2
	s_cmp_lg_u64 vcc, 0
	s_addc_u32 s0, s9, s8
	s_ashr_i32 s8, s1, 31
	s_add_u32 s18, s16, s8
	s_mov_b32 s9, s8
	s_addc_u32 s19, s1, s8
	s_xor_b64 s[18:19], s[18:19], s[8:9]
	v_readfirstlane_b32 s20, v2
	s_mul_i32 s17, s18, s0
	s_mul_hi_u32 s21, s18, s20
	s_mul_hi_u32 s9, s18, s0
	s_add_u32 s17, s21, s17
	s_addc_u32 s9, 0, s9
	s_mul_hi_u32 s30, s19, s20
	s_mul_i32 s20, s19, s20
	s_add_u32 s17, s17, s20
	s_mul_hi_u32 s21, s19, s0
	s_addc_u32 s9, s9, s30
	s_addc_u32 s17, s21, 0
	s_mul_i32 s0, s19, s0
	s_add_u32 s0, s9, s0
	s_addc_u32 s9, 0, s17
	s_mul_hi_u32 s17, s33, s0
	s_mul_i32 s0, s33, s0
	s_mul_i32 s9, s33, s9
	v_mov_b32_e32 v2, s0
	s_add_i32 s17, s17, s9
	v_sub_co_u32_e32 v2, vcc, s18, v2
	s_cmp_lg_u64 vcc, 0
	s_subb_u32 s0, s19, s17
	v_subrev_co_u32_e32 v3, vcc, s33, v2
	s_cmp_lg_u64 vcc, 0
	s_subb_u32 s9, s0, 0
	v_subrev_co_u32_e32 v4, vcc, s33, v3
	s_cmp_lg_u64 vcc, 0
	s_subb_u32 s17, s9, 0
	v_cmp_le_u32_e32 vcc, s33, v3
	s_cmp_eq_u32 s9, 0
	v_cndmask_b32_e64 v5, 0, -1, vcc
	s_cselect_b64 vcc, -1, 0
	v_cndmask_b32_e32 v5, -1, v5, vcc
	v_mov_b32_e32 v6, s9
	v_mov_b32_e32 v7, s17
	v_cmp_ne_u32_e32 vcc, 0, v5
	v_cndmask_b32_e32 v5, v6, v7, vcc
	v_cndmask_b32_e32 v3, v3, v4, vcc
	v_cmp_le_u32_e32 vcc, s33, v2
	s_cmp_eq_u32 s0, 0
	v_cndmask_b32_e64 v4, 0, -1, vcc
	s_cselect_b64 vcc, -1, 0
	v_cndmask_b32_e32 v4, -1, v4, vcc
	v_cmp_ne_u32_e32 vcc, 0, v4
	v_mov_b32_e32 v6, s0
	v_cndmask_b32_e32 v2, v2, v3, vcc
	v_cndmask_b32_e32 v4, v6, v5, vcc
	v_xor_b32_e32 v2, s8, v2
	v_xor_b32_e32 v3, s8, v4
	v_mov_b32_e32 v4, s8
	v_subrev_co_u32_e32 v2, vcc, s8, v2
	v_subb_co_u32_e32 v3, vcc, v3, v4, vcc
	s_cbranch_execnz .LBB12_149
.LBB12_148:                             ;   in Loop: Header=BB12_8 Depth=1
	v_cvt_f32_u32_e32 v2, s33
	s_sub_i32 s0, 0, s33
	v_rcp_iflag_f32_e32 v2, v2
	v_mul_f32_e32 v2, 0x4f7ffffe, v2
	v_cvt_u32_f32_e32 v2, v2
	v_mul_lo_u32 v3, s0, v2
	v_mul_hi_u32 v3, v2, v3
	v_add_u32_e32 v2, v2, v3
	v_mul_hi_u32 v2, s16, v2
	v_mul_lo_u32 v2, v2, s33
	v_sub_u32_e32 v2, s16, v2
	v_subrev_u32_e32 v3, s33, v2
	v_cmp_le_u32_e32 vcc, s33, v2
	v_cndmask_b32_e32 v2, v2, v3, vcc
	v_subrev_u32_e32 v3, s33, v2
	v_cmp_le_u32_e32 vcc, s33, v2
	v_cndmask_b32_e32 v12, v2, v3, vcc
	v_pk_mov_b32 v[2:3], v[12:13], v[12:13] op_sel:[0,1]
.LBB12_149:                             ;   in Loop: Header=BB12_8 Depth=1
	v_mov_b32_e32 v4, s1
	v_sub_co_u32_e32 v2, vcc, s16, v2
	v_subb_co_u32_e32 v3, vcc, v4, v3, vcc
	v_cmp_gt_i64_e32 vcc, v[2:3], v[0:1]
	s_mov_b64 s[0:1], 0
                                        ; implicit-def: $vgpr39
	s_and_saveexec_b64 s[8:9], vcc
	v_readlane_b32 s30, v48, 33
	v_readlane_b32 s31, v48, 34
	s_cbranch_execz .LBB12_158
; %bb.150:                              ;   in Loop: Header=BB12_8 Depth=1
	v_mov_b32_e32 v6, v0
	v_pk_mov_b32 v[4:5], v[0:1], v[0:1] op_sel:[0,1]
                                        ; implicit-def: $sgpr16_sgpr17
	s_branch .LBB12_152
.LBB12_151:                             ;   in Loop: Header=BB12_152 Depth=2
	s_or_b64 exec, exec, s[18:19]
	s_waitcnt lgkmcnt(0)
	s_barrier
	ds_read_u16 v7, v13 offset:3072
	v_mov_b32_e32 v8, s26
	v_add_co_u32_e32 v4, vcc, s33, v4
	v_addc_co_u32_e32 v5, vcc, v5, v8, vcc
	s_waitcnt lgkmcnt(0)
	v_cmp_ne_u16_sdwa s[18:19], v7, v13 src0_sel:BYTE_0 src1_sel:DWORD
	v_cmp_ge_i64_e32 vcc, v[4:5], v[2:3]
	s_or_b64 s[20:21], s[18:19], vcc
	s_and_b64 s[20:21], exec, s[20:21]
	s_or_b64 s[0:1], s[20:21], s[0:1]
	s_andn2_b64 s[16:17], s[16:17], exec
	s_and_b64 s[18:19], s[18:19], exec
	v_add_u32_e32 v6, s33, v6
	s_or_b64 s[16:17], s[16:17], s[18:19]
	s_barrier
	s_andn2_b64 exec, exec, s[0:1]
	s_cbranch_execz .LBB12_157
.LBB12_152:                             ;   Parent Loop BB12_8 Depth=1
                                        ; =>  This Inner Loop Header: Depth=2
	v_cmp_gt_i64_e32 vcc, s[22:23], v[4:5]
	v_mov_b32_e32 v7, 0
	s_and_saveexec_b64 s[18:19], vcc
	s_cbranch_execz .LBB12_154
; %bb.153:                              ;   in Loop: Header=BB12_152 Depth=2
	ds_read_u8 v7, v6
.LBB12_154:                             ;   in Loop: Header=BB12_152 Depth=2
	s_or_b64 exec, exec, s[18:19]
	s_and_saveexec_b64 s[18:19], vcc
	s_cbranch_execz .LBB12_151
; %bb.155:                              ;   in Loop: Header=BB12_152 Depth=2
	s_waitcnt lgkmcnt(0)
	v_add_u32_sdwa v8, sext(v7), s85 dst_sel:DWORD dst_unused:UNUSED_PAD src0_sel:BYTE_0 src1_sel:DWORD
	v_and_b32_e32 v8, s73, v8
	v_cmp_eq_u32_e32 vcc, s82, v8
	s_and_b64 exec, exec, vcc
	s_cbranch_execz .LBB12_151
; %bb.156:                              ;   in Loop: Header=BB12_152 Depth=2
	v_lshlrev_b16_e32 v7, 8, v7
	v_or_b32_e32 v7, 1, v7
	ds_write_b16 v13, v7 offset:3072
	s_branch .LBB12_151
.LBB12_157:                             ;   in Loop: Header=BB12_8 Depth=1
	s_or_b64 exec, exec, s[0:1]
	v_lshrrev_b16_e32 v39, 8, v7
	s_and_b64 s[0:1], s[16:17], exec
.LBB12_158:                             ;   in Loop: Header=BB12_8 Depth=1
	s_or_b64 exec, exec, s[8:9]
	s_mov_b64 s[20:21], -1
	s_mov_b64 s[18:19], 0
	s_mov_b64 s[16:17], 0
.LBB12_159:                             ;   in Loop: Header=BB12_8 Depth=1
	s_mov_b64 s[8:9], 0
                                        ; implicit-def: $sgpr47
	s_and_saveexec_b64 s[22:23], s[0:1]
	s_cbranch_execz .LBB12_270
; %bb.160:                              ;   in Loop: Header=BB12_8 Depth=1
	s_xor_b64 s[0:1], s[28:29], -1
	s_andn2_b64 vcc, exec, s[0:1]
	s_mov_b32 s47, 1
	s_cbranch_vccnz .LBB12_171
; %bb.161:                              ;   in Loop: Header=BB12_8 Depth=1
	v_pk_mov_b32 v[2:3], s[24:25], s[24:25] op_sel:[0,1]
	v_cmp_gt_i64_e32 vcc, s[54:55], v[2:3]
	s_mov_b64 s[0:1], -1
                                        ; implicit-def: $sgpr47
                                        ; implicit-def: $sgpr8
                                        ; implicit-def: $sgpr9
	s_cbranch_vccnz .LBB12_167
; %bb.162:                              ;   in Loop: Header=BB12_8 Depth=1
	ds_read_b64 v[2:3], v13 offset:5120
	s_waitcnt lgkmcnt(0)
	v_cmp_ne_u64_e32 vcc, 0, v[2:3]
	s_cbranch_vccnz .LBB12_166
; %bb.163:                              ;   in Loop: Header=BB12_8 Depth=1
	s_mov_b64 s[0:1], exec
	v_readlane_b32 s8, v48, 8
	v_readlane_b32 s9, v48, 9
	s_and_b64 s[8:9], s[0:1], s[8:9]
	s_mov_b64 exec, s[8:9]
	s_cbranch_execz .LBB12_165
; %bb.164:                              ;   in Loop: Header=BB12_8 Depth=1
	v_pk_mov_b32 v[2:3], s[24:25], s[24:25] op_sel:[0,1]
	ds_write_b64 v13, v[2:3] offset:5128
.LBB12_165:                             ;   in Loop: Header=BB12_8 Depth=1
	s_or_b64 exec, exec, s[0:1]
	s_waitcnt lgkmcnt(0)
	s_barrier
.LBB12_166:                             ;   in Loop: Header=BB12_8 Depth=1
	s_lshl_b32 s0, 1, s38
	s_and_b32 s1, s82, s39
	s_or_b32 s8, s1, s0
	s_or_b32 s9, s73, s46
	s_mov_b64 s[0:1], 0
	s_mov_b32 s47, 8
.LBB12_167:                             ;   in Loop: Header=BB12_8 Depth=1
	s_andn2_b64 vcc, exec, s[0:1]
	s_cbranch_vccnz .LBB12_169
; %bb.168:                              ;   in Loop: Header=BB12_8 Depth=1
	s_sub_u32 s54, s54, s24
	s_subb_u32 s55, s55, s25
	s_mov_b64 s[0:1], -1
	s_mov_b32 s47, 0
	s_mov_b32 s8, s82
	;; [unrolled: 1-line block ×3, first 2 shown]
.LBB12_169:                             ;   in Loop: Header=BB12_8 Depth=1
	s_mov_b32 s73, s9
	s_mov_b32 s82, s8
	s_andn2_b64 vcc, exec, s[0:1]
	s_mov_b64 s[8:9], -1
	s_cbranch_vccz .LBB12_172
.LBB12_170:                             ;   in Loop: Header=BB12_8 Depth=1
                                        ; implicit-def: $sgpr28_sgpr29
                                        ; implicit-def: $sgpr30_sgpr31
                                        ; implicit-def: $sgpr24_sgpr25
	s_branch .LBB12_269
.LBB12_171:                             ;   in Loop: Header=BB12_8 Depth=1
	s_mov_b64 s[54:55], 1
	s_mov_b64 s[8:9], -1
	s_cbranch_execnz .LBB12_170
.LBB12_172:                             ;   in Loop: Header=BB12_8 Depth=1
	s_cmp_eq_u64 s[14:15], 1
	s_cselect_b64 s[0:1], -1, 0
	s_cmp_eq_u64 s[54:55], 1
	s_cselect_b64 s[8:9], -1, 0
	s_and_b64 s[36:37], s[0:1], s[8:9]
	s_mov_b64 s[66:67], s[34:35]
	s_mov_b64 s[0:1], -1
	s_and_b64 vcc, exec, s[36:37]
	s_cbranch_vccz .LBB12_187
; %bb.173:                              ;   in Loop: Header=BB12_8 Depth=1
	ds_read_b64 v[2:3], v13 offset:5120
	s_waitcnt lgkmcnt(0)
	s_barrier
	v_readfirstlane_b32 s34, v2
	v_readfirstlane_b32 s35, v3
	s_mov_b64 s[0:1], exec
	v_readlane_b32 s8, v48, 12
	v_readlane_b32 s9, v48, 13
	s_and_b64 s[8:9], s[0:1], s[8:9]
	s_mov_b64 exec, s[8:9]
	s_cbranch_execz .LBB12_175
; %bb.174:                              ;   in Loop: Header=BB12_8 Depth=1
	ds_write_b8 v0, v13 offset:3072
.LBB12_175:                             ;   in Loop: Header=BB12_8 Depth=1
	s_or_b64 exec, exec, s[0:1]
	s_lshl_b32 s0, 2, s38
	s_and_b32 s1, s82, s39
	s_or_b32 s82, s1, s0
	v_cmp_gt_i64_e64 s[0:1], s[34:35], 0
	s_or_b32 s73, s73, s46
	s_and_b64 vcc, exec, s[0:1]
	s_waitcnt lgkmcnt(0)
	s_barrier
	s_cbranch_vccnz .LBB12_190
; %bb.176:                              ;   in Loop: Header=BB12_8 Depth=1
	s_mov_b32 s2, s71
	s_cmp_lg_u64 s[2:3], 0
	s_cbranch_scc0 .LBB12_235
; %bb.177:                              ;   in Loop: Header=BB12_8 Depth=1
	v_cvt_f32_u32_e32 v2, s33
	s_sub_u32 s0, 0, s33
	s_subb_u32 s1, 0, 0
	v_mac_f32_e32 v2, 0x4f800000, v38
	v_rcp_f32_e32 v2, v2
	v_mul_f32_e32 v2, 0x5f7ffffc, v2
	v_mul_f32_e32 v3, 0x2f800000, v2
	v_trunc_f32_e32 v3, v3
	v_mac_f32_e32 v2, 0xcf800000, v3
	v_cvt_u32_f32_e32 v3, v3
	v_cvt_u32_f32_e32 v2, v2
	v_readfirstlane_b32 s8, v3
	v_readfirstlane_b32 s9, v2
	s_mul_i32 s24, s0, s8
	s_mul_hi_u32 s28, s0, s9
	s_mul_i32 s25, s1, s9
	s_add_i32 s24, s28, s24
	s_mul_i32 s29, s0, s9
	s_add_i32 s24, s24, s25
	s_mul_hi_u32 s28, s9, s29
	s_mul_hi_u32 s25, s9, s24
	s_mul_i32 s9, s9, s24
	s_add_u32 s9, s28, s9
	s_addc_u32 s25, 0, s25
	s_mul_hi_u32 s30, s8, s29
	s_mul_i32 s29, s8, s29
	s_add_u32 s9, s9, s29
	s_mul_hi_u32 s28, s8, s24
	s_addc_u32 s9, s25, s30
	s_addc_u32 s25, s28, 0
	s_mul_i32 s24, s8, s24
	s_add_u32 s9, s9, s24
	s_addc_u32 s24, 0, s25
	v_add_co_u32_e32 v2, vcc, s9, v2
	s_cmp_lg_u64 vcc, 0
	s_addc_u32 s8, s8, s24
	v_readfirstlane_b32 s24, v2
	s_mul_i32 s9, s0, s8
	s_mul_hi_u32 s25, s0, s24
	s_add_i32 s9, s25, s9
	s_mul_i32 s1, s1, s24
	s_add_i32 s9, s9, s1
	s_mul_i32 s0, s0, s24
	s_mul_hi_u32 s25, s8, s0
	s_mul_i32 s28, s8, s0
	s_mul_i32 s30, s24, s9
	s_mul_hi_u32 s0, s24, s0
	s_mul_hi_u32 s29, s24, s9
	s_add_u32 s0, s0, s30
	s_addc_u32 s24, 0, s29
	s_add_u32 s0, s0, s28
	s_mul_hi_u32 s1, s8, s9
	s_addc_u32 s0, s24, s25
	s_addc_u32 s1, s1, 0
	s_mul_i32 s9, s8, s9
	s_add_u32 s0, s0, s9
	s_addc_u32 s1, 0, s1
	v_add_co_u32_e32 v2, vcc, s0, v2
	s_cmp_lg_u64 vcc, 0
	s_addc_u32 s24, s8, s1
	s_ashr_i32 s0, s3, 31
	s_add_u32 s8, s60, s0
	s_mov_b32 s1, s0
	s_addc_u32 s9, s3, s0
	s_xor_b64 s[8:9], s[8:9], s[0:1]
	v_readfirstlane_b32 s28, v2
	s_mul_i32 s25, s8, s24
	s_mul_hi_u32 s29, s8, s28
	s_mul_hi_u32 s1, s8, s24
	s_add_u32 s25, s29, s25
	s_addc_u32 s1, 0, s1
	s_mul_hi_u32 s30, s9, s28
	s_mul_i32 s28, s9, s28
	s_add_u32 s25, s25, s28
	s_mul_hi_u32 s29, s9, s24
	s_addc_u32 s1, s1, s30
	s_addc_u32 s25, s29, 0
	s_mul_i32 s24, s9, s24
	s_add_u32 s1, s1, s24
	s_addc_u32 s24, 0, s25
	s_mul_hi_u32 s25, s33, s1
	s_mul_i32 s1, s33, s1
	s_mul_i32 s24, s33, s24
	v_mov_b32_e32 v2, s1
	s_add_i32 s25, s25, s24
	v_sub_co_u32_e32 v2, vcc, s8, v2
	s_cmp_lg_u64 vcc, 0
	s_subb_u32 s1, s9, s25
	v_subrev_co_u32_e32 v3, vcc, s33, v2
	s_cmp_lg_u64 vcc, 0
	s_subb_u32 s8, s1, 0
	v_subrev_co_u32_e32 v4, vcc, s33, v3
	s_cmp_lg_u64 vcc, 0
	s_subb_u32 s9, s8, 0
	v_cmp_le_u32_e32 vcc, s33, v3
	s_cmp_eq_u32 s8, 0
	v_cndmask_b32_e64 v5, 0, -1, vcc
	s_cselect_b64 vcc, -1, 0
	v_cndmask_b32_e32 v5, -1, v5, vcc
	v_mov_b32_e32 v6, s8
	v_mov_b32_e32 v7, s9
	v_cmp_ne_u32_e32 vcc, 0, v5
	v_cndmask_b32_e32 v5, v6, v7, vcc
	v_cndmask_b32_e32 v3, v3, v4, vcc
	v_cmp_le_u32_e32 vcc, s33, v2
	s_cmp_eq_u32 s1, 0
	v_cndmask_b32_e64 v4, 0, -1, vcc
	s_cselect_b64 vcc, -1, 0
	v_cndmask_b32_e32 v4, -1, v4, vcc
	v_cmp_ne_u32_e32 vcc, 0, v4
	v_mov_b32_e32 v6, s1
	v_cndmask_b32_e32 v2, v2, v3, vcc
	v_cndmask_b32_e32 v4, v6, v5, vcc
	v_xor_b32_e32 v2, s0, v2
	v_xor_b32_e32 v3, s0, v4
	v_mov_b32_e32 v4, s0
	v_subrev_co_u32_e32 v2, vcc, s0, v2
	v_subb_co_u32_e32 v3, vcc, v3, v4, vcc
	s_cbranch_execnz .LBB12_179
.LBB12_178:                             ;   in Loop: Header=BB12_8 Depth=1
	v_cvt_f32_u32_e32 v2, s33
	s_sub_i32 s0, 0, s33
	v_rcp_iflag_f32_e32 v2, v2
	v_mul_f32_e32 v2, 0x4f7ffffe, v2
	v_cvt_u32_f32_e32 v2, v2
	v_mul_lo_u32 v3, s0, v2
	v_mul_hi_u32 v3, v2, v3
	v_add_u32_e32 v2, v2, v3
	v_mul_hi_u32 v2, s60, v2
	v_mul_lo_u32 v2, v2, s33
	v_sub_u32_e32 v2, s60, v2
	v_subrev_u32_e32 v3, s33, v2
	v_cmp_le_u32_e32 vcc, s33, v2
	v_cndmask_b32_e32 v2, v2, v3, vcc
	v_subrev_u32_e32 v3, s33, v2
	v_cmp_le_u32_e32 vcc, s33, v2
	v_cndmask_b32_e32 v12, v2, v3, vcc
	v_pk_mov_b32 v[2:3], v[12:13], v[12:13] op_sel:[0,1]
.LBB12_179:                             ;   in Loop: Header=BB12_8 Depth=1
	v_mov_b32_e32 v4, s3
	v_sub_co_u32_e32 v2, vcc, s60, v2
	v_subb_co_u32_e32 v3, vcc, v4, v3, vcc
	v_cmp_gt_i64_e32 vcc, v[2:3], v[0:1]
	s_mov_b64 s[0:1], 0
                                        ; implicit-def: $vgpr39
	s_and_saveexec_b64 s[8:9], vcc
	s_cbranch_execz .LBB12_192
; %bb.180:                              ;   in Loop: Header=BB12_8 Depth=1
	v_pk_mov_b32 v[4:5], v[10:11], v[10:11] op_sel:[0,1]
	v_pk_mov_b32 v[6:7], v[0:1], v[0:1] op_sel:[0,1]
                                        ; implicit-def: $sgpr24_sgpr25
	s_branch .LBB12_182
.LBB12_181:                             ;   in Loop: Header=BB12_182 Depth=2
	s_or_b64 exec, exec, s[28:29]
	s_waitcnt lgkmcnt(0)
	s_barrier
	s_waitcnt vmcnt(0)
	ds_read_u16 v8, v13 offset:3072
	v_mov_b32_e32 v9, s26
	v_add_co_u32_e32 v6, vcc, s33, v6
	v_addc_co_u32_e32 v7, vcc, v7, v9, vcc
	s_waitcnt lgkmcnt(0)
	v_cmp_ne_u16_sdwa s[28:29], v8, v13 src0_sel:BYTE_0 src1_sel:DWORD
	v_cmp_ge_i64_e32 vcc, v[6:7], v[2:3]
	s_or_b64 s[30:31], s[28:29], vcc
	s_and_b64 s[30:31], exec, s[30:31]
	s_or_b64 s[0:1], s[30:31], s[0:1]
	v_mov_b32_e32 v9, s27
	v_add_co_u32_e32 v4, vcc, s84, v4
	s_andn2_b64 s[24:25], s[24:25], exec
	s_and_b64 s[28:29], s[28:29], exec
	v_addc_co_u32_e32 v5, vcc, v5, v9, vcc
	s_or_b64 s[24:25], s[24:25], s[28:29]
	s_barrier
	s_andn2_b64 exec, exec, s[0:1]
	s_cbranch_execz .LBB12_191
.LBB12_182:                             ;   Parent Loop BB12_8 Depth=1
                                        ; =>  This Inner Loop Header: Depth=2
	v_cmp_gt_i64_e32 vcc, s[52:53], v[6:7]
	v_mov_b32_e32 v8, 0
	s_and_saveexec_b64 s[28:29], vcc
	s_cbranch_execz .LBB12_184
; %bb.183:                              ;   in Loop: Header=BB12_182 Depth=2
	global_load_ubyte v8, v[4:5], off
.LBB12_184:                             ;   in Loop: Header=BB12_182 Depth=2
	s_or_b64 exec, exec, s[28:29]
	s_and_saveexec_b64 s[28:29], vcc
	s_cbranch_execz .LBB12_181
; %bb.185:                              ;   in Loop: Header=BB12_182 Depth=2
	s_waitcnt vmcnt(0)
	v_add_u32_sdwa v9, sext(v8), s85 dst_sel:DWORD dst_unused:UNUSED_PAD src0_sel:BYTE_0 src1_sel:DWORD
	v_and_b32_e32 v9, s73, v9
	v_cmp_eq_u32_e32 vcc, s82, v9
	s_and_b64 exec, exec, vcc
	s_cbranch_execz .LBB12_181
; %bb.186:                              ;   in Loop: Header=BB12_182 Depth=2
	v_lshlrev_b16_e32 v8, 8, v8
	v_or_b32_e32 v8, 1, v8
	ds_write_b16 v13, v8 offset:3072
	s_branch .LBB12_181
.LBB12_187:                             ;   in Loop: Header=BB12_8 Depth=1
                                        ; implicit-def: $sgpr24_sgpr25
                                        ; implicit-def: $sgpr30_sgpr31
                                        ; implicit-def: $sgpr28_sgpr29
	s_branch .LBB12_206
.LBB12_188:                             ;   in Loop: Header=BB12_8 Depth=1
                                        ; implicit-def: $vgpr2_vgpr3
	s_branch .LBB12_131
.LBB12_189:                             ;   in Loop: Header=BB12_8 Depth=1
                                        ; implicit-def: $vgpr2_vgpr3
	s_branch .LBB12_148
.LBB12_190:                             ;   in Loop: Header=BB12_8 Depth=1
	s_mov_b64 s[24:25], -1
	s_mov_b64 s[0:1], 0
                                        ; implicit-def: $sgpr28_sgpr29
                                        ; implicit-def: $vgpr39
	s_mov_b64 s[30:31], s[24:25]
	s_cbranch_execnz .LBB12_193
	s_branch .LBB12_206
.LBB12_191:                             ;   in Loop: Header=BB12_8 Depth=1
	s_or_b64 exec, exec, s[0:1]
	v_lshrrev_b16_e32 v39, 8, v8
	s_and_b64 s[0:1], s[24:25], exec
.LBB12_192:                             ;   in Loop: Header=BB12_8 Depth=1
	s_or_b64 exec, exec, s[8:9]
	s_mov_b64 s[28:29], -1
	s_mov_b64 s[24:25], 0
	s_mov_b64 s[30:31], s[24:25]
	s_branch .LBB12_206
.LBB12_193:                             ;   in Loop: Header=BB12_8 Depth=1
	v_readlane_b32 s0, v48, 18
	s_add_u32 s24, s0, s34
	v_readlane_b32 s0, v48, 19
	s_addc_u32 s1, s0, s35
	s_mov_b32 s0, s71
	s_mov_b64 s[44:45], s[42:43]
	s_mov_b64 s[42:43], s[40:41]
	s_cmp_lg_u64 s[0:1], 0
	s_cbranch_scc0 .LBB12_236
; %bb.194:                              ;   in Loop: Header=BB12_8 Depth=1
	v_cvt_f32_u32_e32 v2, s33
	s_sub_u32 s0, 0, s33
	s_subb_u32 s8, 0, 0
	v_mac_f32_e32 v2, 0x4f800000, v38
	v_rcp_f32_e32 v2, v2
	v_mul_f32_e32 v2, 0x5f7ffffc, v2
	v_mul_f32_e32 v3, 0x2f800000, v2
	v_trunc_f32_e32 v3, v3
	v_mac_f32_e32 v2, 0xcf800000, v3
	v_cvt_u32_f32_e32 v3, v3
	v_cvt_u32_f32_e32 v2, v2
	v_readfirstlane_b32 s9, v3
	v_readfirstlane_b32 s25, v2
	s_mul_i32 s28, s0, s9
	s_mul_hi_u32 s30, s0, s25
	s_mul_i32 s29, s8, s25
	s_add_i32 s28, s30, s28
	s_mul_i32 s31, s0, s25
	s_add_i32 s28, s28, s29
	s_mul_hi_u32 s30, s25, s31
	s_mul_hi_u32 s29, s25, s28
	s_mul_i32 s25, s25, s28
	s_add_u32 s25, s30, s25
	s_addc_u32 s29, 0, s29
	s_mul_hi_u32 s40, s9, s31
	s_mul_i32 s31, s9, s31
	s_add_u32 s25, s25, s31
	s_mul_hi_u32 s30, s9, s28
	s_addc_u32 s25, s29, s40
	s_addc_u32 s29, s30, 0
	s_mul_i32 s28, s9, s28
	s_add_u32 s25, s25, s28
	s_addc_u32 s28, 0, s29
	v_add_co_u32_e32 v2, vcc, s25, v2
	s_cmp_lg_u64 vcc, 0
	s_addc_u32 s9, s9, s28
	v_readfirstlane_b32 s28, v2
	s_mul_i32 s25, s0, s9
	s_mul_hi_u32 s29, s0, s28
	s_add_i32 s25, s29, s25
	s_mul_i32 s8, s8, s28
	s_add_i32 s25, s25, s8
	s_mul_i32 s0, s0, s28
	s_mul_hi_u32 s29, s9, s0
	s_mul_i32 s30, s9, s0
	s_mul_i32 s40, s28, s25
	s_mul_hi_u32 s0, s28, s0
	s_mul_hi_u32 s31, s28, s25
	s_add_u32 s0, s0, s40
	s_addc_u32 s28, 0, s31
	s_add_u32 s0, s0, s30
	s_mul_hi_u32 s8, s9, s25
	s_addc_u32 s0, s28, s29
	s_addc_u32 s8, s8, 0
	s_mul_i32 s25, s9, s25
	s_add_u32 s0, s0, s25
	s_addc_u32 s8, 0, s8
	v_add_co_u32_e32 v2, vcc, s0, v2
	s_cmp_lg_u64 vcc, 0
	s_addc_u32 s0, s9, s8
	s_ashr_i32 s8, s1, 31
	s_add_u32 s28, s24, s8
	s_mov_b32 s9, s8
	s_addc_u32 s29, s1, s8
	s_xor_b64 s[28:29], s[28:29], s[8:9]
	v_readfirstlane_b32 s30, v2
	s_mul_i32 s25, s28, s0
	s_mul_hi_u32 s31, s28, s30
	s_mul_hi_u32 s9, s28, s0
	s_add_u32 s25, s31, s25
	s_addc_u32 s9, 0, s9
	s_mul_hi_u32 s40, s29, s30
	s_mul_i32 s30, s29, s30
	s_add_u32 s25, s25, s30
	s_mul_hi_u32 s31, s29, s0
	s_addc_u32 s9, s9, s40
	s_addc_u32 s25, s31, 0
	s_mul_i32 s0, s29, s0
	s_add_u32 s0, s9, s0
	s_addc_u32 s9, 0, s25
	s_mul_hi_u32 s25, s33, s0
	s_mul_i32 s0, s33, s0
	s_mul_i32 s9, s33, s9
	v_mov_b32_e32 v2, s0
	s_add_i32 s25, s25, s9
	v_sub_co_u32_e32 v2, vcc, s28, v2
	s_cmp_lg_u64 vcc, 0
	s_subb_u32 s0, s29, s25
	v_subrev_co_u32_e32 v3, vcc, s33, v2
	s_cmp_lg_u64 vcc, 0
	s_subb_u32 s9, s0, 0
	v_subrev_co_u32_e32 v4, vcc, s33, v3
	s_cmp_lg_u64 vcc, 0
	s_subb_u32 s25, s9, 0
	v_cmp_le_u32_e32 vcc, s33, v3
	s_cmp_eq_u32 s9, 0
	v_cndmask_b32_e64 v5, 0, -1, vcc
	s_cselect_b64 vcc, -1, 0
	v_cndmask_b32_e32 v5, -1, v5, vcc
	v_mov_b32_e32 v6, s9
	v_mov_b32_e32 v7, s25
	v_cmp_ne_u32_e32 vcc, 0, v5
	v_cndmask_b32_e32 v5, v6, v7, vcc
	v_cndmask_b32_e32 v3, v3, v4, vcc
	v_cmp_le_u32_e32 vcc, s33, v2
	s_cmp_eq_u32 s0, 0
	v_cndmask_b32_e64 v4, 0, -1, vcc
	s_cselect_b64 vcc, -1, 0
	v_cndmask_b32_e32 v4, -1, v4, vcc
	v_cmp_ne_u32_e32 vcc, 0, v4
	v_mov_b32_e32 v6, s0
	v_cndmask_b32_e32 v2, v2, v3, vcc
	v_cndmask_b32_e32 v4, v6, v5, vcc
	v_xor_b32_e32 v2, s8, v2
	v_xor_b32_e32 v3, s8, v4
	v_mov_b32_e32 v4, s8
	v_subrev_co_u32_e32 v2, vcc, s8, v2
	v_subb_co_u32_e32 v3, vcc, v3, v4, vcc
	s_cbranch_execnz .LBB12_196
.LBB12_195:                             ;   in Loop: Header=BB12_8 Depth=1
	v_cvt_f32_u32_e32 v2, s33
	s_sub_i32 s0, 0, s33
	v_rcp_iflag_f32_e32 v2, v2
	v_mul_f32_e32 v2, 0x4f7ffffe, v2
	v_cvt_u32_f32_e32 v2, v2
	v_mul_lo_u32 v3, s0, v2
	v_mul_hi_u32 v3, v2, v3
	v_add_u32_e32 v2, v2, v3
	v_mul_hi_u32 v2, s24, v2
	v_mul_lo_u32 v2, v2, s33
	v_sub_u32_e32 v2, s24, v2
	v_subrev_u32_e32 v3, s33, v2
	v_cmp_le_u32_e32 vcc, s33, v2
	v_cndmask_b32_e32 v2, v2, v3, vcc
	v_subrev_u32_e32 v3, s33, v2
	v_cmp_le_u32_e32 vcc, s33, v2
	v_cndmask_b32_e32 v12, v2, v3, vcc
	v_pk_mov_b32 v[2:3], v[12:13], v[12:13] op_sel:[0,1]
.LBB12_196:                             ;   in Loop: Header=BB12_8 Depth=1
	v_mov_b32_e32 v4, s1
	v_sub_co_u32_e32 v2, vcc, s24, v2
	v_subb_co_u32_e32 v3, vcc, v4, v3, vcc
	v_cmp_gt_i64_e32 vcc, v[2:3], v[0:1]
	s_mov_b64 s[0:1], 0
                                        ; implicit-def: $vgpr39
	s_and_saveexec_b64 s[8:9], vcc
	s_mov_b64 s[40:41], s[42:43]
	s_mov_b64 s[42:43], s[44:45]
	s_cbranch_execz .LBB12_205
; %bb.197:                              ;   in Loop: Header=BB12_8 Depth=1
	v_mov_b32_e32 v6, v0
	v_pk_mov_b32 v[4:5], v[0:1], v[0:1] op_sel:[0,1]
                                        ; implicit-def: $sgpr24_sgpr25
	s_branch .LBB12_199
.LBB12_198:                             ;   in Loop: Header=BB12_199 Depth=2
	s_or_b64 exec, exec, s[28:29]
	s_waitcnt lgkmcnt(0)
	s_barrier
	ds_read_u16 v7, v13 offset:3072
	v_mov_b32_e32 v8, s26
	v_add_co_u32_e32 v4, vcc, s33, v4
	v_addc_co_u32_e32 v5, vcc, v5, v8, vcc
	s_waitcnt lgkmcnt(0)
	v_cmp_ne_u16_sdwa s[28:29], v7, v13 src0_sel:BYTE_0 src1_sel:DWORD
	v_cmp_ge_i64_e32 vcc, v[4:5], v[2:3]
	s_or_b64 s[30:31], s[28:29], vcc
	s_and_b64 s[30:31], exec, s[30:31]
	s_or_b64 s[0:1], s[30:31], s[0:1]
	s_andn2_b64 s[24:25], s[24:25], exec
	s_and_b64 s[28:29], s[28:29], exec
	v_add_u32_e32 v6, s33, v6
	s_or_b64 s[24:25], s[24:25], s[28:29]
	s_barrier
	s_andn2_b64 exec, exec, s[0:1]
	s_cbranch_execz .LBB12_204
.LBB12_199:                             ;   Parent Loop BB12_8 Depth=1
                                        ; =>  This Inner Loop Header: Depth=2
	v_cmp_gt_i64_e32 vcc, s[34:35], v[4:5]
	v_mov_b32_e32 v7, 0
	s_and_saveexec_b64 s[28:29], vcc
	s_cbranch_execz .LBB12_201
; %bb.200:                              ;   in Loop: Header=BB12_199 Depth=2
	ds_read_u8 v7, v6
.LBB12_201:                             ;   in Loop: Header=BB12_199 Depth=2
	s_or_b64 exec, exec, s[28:29]
	s_and_saveexec_b64 s[28:29], vcc
	s_cbranch_execz .LBB12_198
; %bb.202:                              ;   in Loop: Header=BB12_199 Depth=2
	s_waitcnt lgkmcnt(0)
	v_add_u32_sdwa v8, sext(v7), s85 dst_sel:DWORD dst_unused:UNUSED_PAD src0_sel:BYTE_0 src1_sel:DWORD
	v_and_b32_e32 v8, s73, v8
	v_cmp_eq_u32_e32 vcc, s82, v8
	s_and_b64 exec, exec, vcc
	s_cbranch_execz .LBB12_198
; %bb.203:                              ;   in Loop: Header=BB12_199 Depth=2
	v_lshlrev_b16_e32 v7, 8, v7
	v_or_b32_e32 v7, 1, v7
	ds_write_b16 v13, v7 offset:3072
	s_branch .LBB12_198
.LBB12_204:                             ;   in Loop: Header=BB12_8 Depth=1
	s_or_b64 exec, exec, s[0:1]
	v_lshrrev_b16_e32 v39, 8, v7
	s_and_b64 s[0:1], s[24:25], exec
.LBB12_205:                             ;   in Loop: Header=BB12_8 Depth=1
	s_or_b64 exec, exec, s[8:9]
	s_mov_b64 s[30:31], -1
	s_mov_b64 s[24:25], 0
	s_mov_b64 s[28:29], 0
.LBB12_206:                             ;   in Loop: Header=BB12_8 Depth=1
	s_mov_b64 s[8:9], 0
                                        ; implicit-def: $sgpr47
	s_and_saveexec_b64 s[34:35], s[0:1]
	s_cbranch_execz .LBB12_268
; %bb.207:                              ;   in Loop: Header=BB12_8 Depth=1
	s_xor_b64 s[0:1], s[36:37], -1
	s_andn2_b64 vcc, exec, s[0:1]
	s_mov_b32 s47, 1
	s_cbranch_vccnz .LBB12_218
; %bb.208:                              ;   in Loop: Header=BB12_8 Depth=1
	v_pk_mov_b32 v[2:3], s[14:15], s[14:15] op_sel:[0,1]
	v_cmp_gt_i64_e32 vcc, s[54:55], v[2:3]
	s_mov_b64 s[0:1], -1
                                        ; implicit-def: $sgpr47
                                        ; implicit-def: $sgpr8
                                        ; implicit-def: $sgpr9
	s_cbranch_vccnz .LBB12_214
; %bb.209:                              ;   in Loop: Header=BB12_8 Depth=1
	ds_read_b64 v[2:3], v13 offset:5120
	s_waitcnt lgkmcnt(0)
	v_cmp_ne_u64_e32 vcc, 0, v[2:3]
	s_cbranch_vccnz .LBB12_213
; %bb.210:                              ;   in Loop: Header=BB12_8 Depth=1
	s_mov_b64 s[0:1], exec
	v_readlane_b32 s8, v48, 8
	v_readlane_b32 s9, v48, 9
	s_and_b64 s[8:9], s[0:1], s[8:9]
	s_mov_b64 exec, s[8:9]
	s_cbranch_execz .LBB12_212
; %bb.211:                              ;   in Loop: Header=BB12_8 Depth=1
	v_pk_mov_b32 v[2:3], s[14:15], s[14:15] op_sel:[0,1]
	ds_write_b64 v13, v[2:3] offset:5128
.LBB12_212:                             ;   in Loop: Header=BB12_8 Depth=1
	s_or_b64 exec, exec, s[0:1]
	s_waitcnt lgkmcnt(0)
	s_barrier
.LBB12_213:                             ;   in Loop: Header=BB12_8 Depth=1
	s_lshl_b32 s0, 2, s38
	s_and_b32 s1, s82, s39
	s_or_b32 s8, s1, s0
	s_or_b32 s9, s73, s46
	s_mov_b64 s[0:1], 0
	s_mov_b32 s47, 8
.LBB12_214:                             ;   in Loop: Header=BB12_8 Depth=1
	s_mov_b64 s[64:65], s[42:43]
	s_andn2_b64 vcc, exec, s[0:1]
	s_cbranch_vccnz .LBB12_216
; %bb.215:                              ;   in Loop: Header=BB12_8 Depth=1
	s_sub_u32 s54, s54, s14
	s_subb_u32 s55, s55, s15
	s_mov_b64 s[0:1], -1
	s_mov_b32 s47, 0
	s_mov_b32 s8, s82
	s_mov_b32 s9, s73
.LBB12_216:                             ;   in Loop: Header=BB12_8 Depth=1
	s_mov_b32 s73, s9
	s_mov_b32 s82, s8
	s_andn2_b64 vcc, exec, s[0:1]
	s_mov_b64 s[42:43], -1
	s_cbranch_vccz .LBB12_219
.LBB12_217:                             ;   in Loop: Header=BB12_8 Depth=1
                                        ; implicit-def: $sgpr0_sgpr1
                                        ; implicit-def: $sgpr38_sgpr39
                                        ; implicit-def: $sgpr8_sgpr9
	s_branch .LBB12_267
.LBB12_218:                             ;   in Loop: Header=BB12_8 Depth=1
	s_mov_b64 s[64:65], s[42:43]
	s_mov_b64 s[54:55], 1
	s_mov_b64 s[42:43], -1
	s_cbranch_execnz .LBB12_217
.LBB12_219:                             ;   in Loop: Header=BB12_8 Depth=1
	s_cmp_eq_u64 s[6:7], 1
	s_cselect_b64 s[0:1], -1, 0
	s_cmp_eq_u64 s[54:55], 1
	s_cselect_b64 s[8:9], -1, 0
	s_and_b64 s[14:15], s[0:1], s[8:9]
	s_mov_b64 s[62:63], s[40:41]
	s_mov_b64 s[40:41], -1
	s_and_b64 vcc, exec, s[14:15]
	s_cbranch_vccz .LBB12_234
; %bb.220:                              ;   in Loop: Header=BB12_8 Depth=1
	ds_read_b64 v[2:3], v13 offset:5120
	s_waitcnt lgkmcnt(0)
	s_barrier
	v_readfirstlane_b32 s36, v2
	v_readfirstlane_b32 s37, v3
	s_mov_b64 s[0:1], exec
	v_readlane_b32 s8, v48, 12
	v_readlane_b32 s9, v48, 13
	s_and_b64 s[8:9], s[0:1], s[8:9]
	s_mov_b64 exec, s[8:9]
	s_cbranch_execz .LBB12_222
; %bb.221:                              ;   in Loop: Header=BB12_8 Depth=1
	ds_write_b8 v0, v13 offset:3072
.LBB12_222:                             ;   in Loop: Header=BB12_8 Depth=1
	s_or_b64 exec, exec, s[0:1]
	v_cmp_gt_i64_e64 s[0:1], s[36:37], 0
	s_or_b32 s82, s82, s46
	s_or_b32 s73, s73, s46
	s_and_b64 vcc, exec, s[0:1]
	s_waitcnt lgkmcnt(0)
	s_barrier
	s_cbranch_vccnz .LBB12_237
; %bb.223:                              ;   in Loop: Header=BB12_8 Depth=1
	s_mov_b32 s2, s71
	s_cmp_lg_u64 s[2:3], 0
	s_cbranch_scc0 .LBB12_273
; %bb.224:                              ;   in Loop: Header=BB12_8 Depth=1
	v_cvt_f32_u32_e32 v2, s33
	s_sub_u32 s0, 0, s33
	s_subb_u32 s1, 0, 0
	v_mac_f32_e32 v2, 0x4f800000, v38
	v_rcp_f32_e32 v2, v2
	v_mul_f32_e32 v2, 0x5f7ffffc, v2
	v_mul_f32_e32 v3, 0x2f800000, v2
	v_trunc_f32_e32 v3, v3
	v_mac_f32_e32 v2, 0xcf800000, v3
	v_cvt_u32_f32_e32 v3, v3
	v_cvt_u32_f32_e32 v2, v2
	v_readfirstlane_b32 s8, v3
	v_readfirstlane_b32 s9, v2
	s_mul_i32 s38, s0, s8
	s_mul_hi_u32 s40, s0, s9
	s_mul_i32 s39, s1, s9
	s_add_i32 s38, s40, s38
	s_mul_i32 s41, s0, s9
	s_add_i32 s38, s38, s39
	s_mul_hi_u32 s40, s9, s41
	s_mul_hi_u32 s39, s9, s38
	s_mul_i32 s9, s9, s38
	s_add_u32 s9, s40, s9
	s_addc_u32 s39, 0, s39
	s_mul_hi_u32 s42, s8, s41
	s_mul_i32 s41, s8, s41
	s_add_u32 s9, s9, s41
	s_mul_hi_u32 s40, s8, s38
	s_addc_u32 s9, s39, s42
	s_addc_u32 s39, s40, 0
	s_mul_i32 s38, s8, s38
	s_add_u32 s9, s9, s38
	s_addc_u32 s38, 0, s39
	v_add_co_u32_e32 v2, vcc, s9, v2
	s_cmp_lg_u64 vcc, 0
	s_addc_u32 s8, s8, s38
	v_readfirstlane_b32 s38, v2
	s_mul_i32 s9, s0, s8
	s_mul_hi_u32 s39, s0, s38
	s_add_i32 s9, s39, s9
	s_mul_i32 s1, s1, s38
	s_add_i32 s9, s9, s1
	s_mul_i32 s0, s0, s38
	s_mul_hi_u32 s39, s8, s0
	s_mul_i32 s40, s8, s0
	s_mul_i32 s42, s38, s9
	s_mul_hi_u32 s0, s38, s0
	s_mul_hi_u32 s41, s38, s9
	s_add_u32 s0, s0, s42
	s_addc_u32 s38, 0, s41
	s_add_u32 s0, s0, s40
	s_mul_hi_u32 s1, s8, s9
	s_addc_u32 s0, s38, s39
	s_addc_u32 s1, s1, 0
	s_mul_i32 s9, s8, s9
	s_add_u32 s0, s0, s9
	s_addc_u32 s1, 0, s1
	v_add_co_u32_e32 v2, vcc, s0, v2
	s_cmp_lg_u64 vcc, 0
	s_addc_u32 s38, s8, s1
	s_ashr_i32 s0, s3, 31
	s_add_u32 s8, s60, s0
	s_mov_b32 s1, s0
	s_addc_u32 s9, s3, s0
	s_xor_b64 s[8:9], s[8:9], s[0:1]
	v_readfirstlane_b32 s40, v2
	s_mul_i32 s39, s8, s38
	s_mul_hi_u32 s41, s8, s40
	s_mul_hi_u32 s1, s8, s38
	s_add_u32 s39, s41, s39
	s_addc_u32 s1, 0, s1
	s_mul_hi_u32 s42, s9, s40
	s_mul_i32 s40, s9, s40
	s_add_u32 s39, s39, s40
	s_mul_hi_u32 s41, s9, s38
	s_addc_u32 s1, s1, s42
	s_addc_u32 s39, s41, 0
	s_mul_i32 s38, s9, s38
	s_add_u32 s1, s1, s38
	s_addc_u32 s38, 0, s39
	s_mul_hi_u32 s39, s33, s1
	s_mul_i32 s1, s33, s1
	s_mul_i32 s38, s33, s38
	v_mov_b32_e32 v2, s1
	s_add_i32 s39, s39, s38
	v_sub_co_u32_e32 v2, vcc, s8, v2
	s_cmp_lg_u64 vcc, 0
	s_subb_u32 s1, s9, s39
	v_subrev_co_u32_e32 v3, vcc, s33, v2
	s_cmp_lg_u64 vcc, 0
	s_subb_u32 s8, s1, 0
	v_subrev_co_u32_e32 v4, vcc, s33, v3
	s_cmp_lg_u64 vcc, 0
	s_subb_u32 s9, s8, 0
	v_cmp_le_u32_e32 vcc, s33, v3
	s_cmp_eq_u32 s8, 0
	v_cndmask_b32_e64 v5, 0, -1, vcc
	s_cselect_b64 vcc, -1, 0
	v_cndmask_b32_e32 v5, -1, v5, vcc
	v_mov_b32_e32 v6, s8
	v_mov_b32_e32 v7, s9
	v_cmp_ne_u32_e32 vcc, 0, v5
	v_cndmask_b32_e32 v5, v6, v7, vcc
	v_cndmask_b32_e32 v3, v3, v4, vcc
	v_cmp_le_u32_e32 vcc, s33, v2
	s_cmp_eq_u32 s1, 0
	v_cndmask_b32_e64 v4, 0, -1, vcc
	s_cselect_b64 vcc, -1, 0
	v_cndmask_b32_e32 v4, -1, v4, vcc
	v_cmp_ne_u32_e32 vcc, 0, v4
	v_mov_b32_e32 v6, s1
	v_cndmask_b32_e32 v2, v2, v3, vcc
	v_cndmask_b32_e32 v4, v6, v5, vcc
	v_xor_b32_e32 v2, s0, v2
	v_xor_b32_e32 v3, s0, v4
	v_mov_b32_e32 v4, s0
	v_subrev_co_u32_e32 v2, vcc, s0, v2
	v_subb_co_u32_e32 v3, vcc, v3, v4, vcc
	s_cbranch_execnz .LBB12_226
.LBB12_225:                             ;   in Loop: Header=BB12_8 Depth=1
	v_cvt_f32_u32_e32 v2, s33
	s_sub_i32 s0, 0, s33
	v_rcp_iflag_f32_e32 v2, v2
	v_mul_f32_e32 v2, 0x4f7ffffe, v2
	v_cvt_u32_f32_e32 v2, v2
	v_mul_lo_u32 v3, s0, v2
	v_mul_hi_u32 v3, v2, v3
	v_add_u32_e32 v2, v2, v3
	v_mul_hi_u32 v2, s60, v2
	v_mul_lo_u32 v2, v2, s33
	v_sub_u32_e32 v2, s60, v2
	v_subrev_u32_e32 v3, s33, v2
	v_cmp_le_u32_e32 vcc, s33, v2
	v_cndmask_b32_e32 v2, v2, v3, vcc
	v_subrev_u32_e32 v3, s33, v2
	v_cmp_le_u32_e32 vcc, s33, v2
	v_cndmask_b32_e32 v12, v2, v3, vcc
	v_pk_mov_b32 v[2:3], v[12:13], v[12:13] op_sel:[0,1]
.LBB12_226:                             ;   in Loop: Header=BB12_8 Depth=1
	v_mov_b32_e32 v4, s3
	v_sub_co_u32_e32 v2, vcc, s60, v2
	v_subb_co_u32_e32 v3, vcc, v4, v3, vcc
	v_cmp_gt_i64_e32 vcc, v[2:3], v[0:1]
	s_mov_b64 s[40:41], 0
                                        ; implicit-def: $vgpr39
	s_and_saveexec_b64 s[0:1], vcc
	s_cbranch_execz .LBB12_239
; %bb.227:                              ;   in Loop: Header=BB12_8 Depth=1
	s_mov_b64 s[8:9], 0
	v_pk_mov_b32 v[4:5], v[10:11], v[10:11] op_sel:[0,1]
	v_pk_mov_b32 v[6:7], v[0:1], v[0:1] op_sel:[0,1]
                                        ; implicit-def: $sgpr38_sgpr39
	s_branch .LBB12_229
.LBB12_228:                             ;   in Loop: Header=BB12_229 Depth=2
	s_or_b64 exec, exec, s[40:41]
	s_waitcnt lgkmcnt(0)
	s_barrier
	s_waitcnt vmcnt(0)
	ds_read_u16 v8, v13 offset:3072
	v_mov_b32_e32 v9, s26
	v_add_co_u32_e32 v6, vcc, s33, v6
	v_addc_co_u32_e32 v7, vcc, v7, v9, vcc
	s_waitcnt lgkmcnt(0)
	v_cmp_ne_u16_sdwa s[40:41], v8, v13 src0_sel:BYTE_0 src1_sel:DWORD
	v_cmp_ge_i64_e32 vcc, v[6:7], v[2:3]
	s_or_b64 s[42:43], s[40:41], vcc
	s_and_b64 s[42:43], exec, s[42:43]
	s_or_b64 s[8:9], s[42:43], s[8:9]
	v_mov_b32_e32 v9, s27
	v_add_co_u32_e32 v4, vcc, s84, v4
	s_andn2_b64 s[38:39], s[38:39], exec
	s_and_b64 s[40:41], s[40:41], exec
	v_addc_co_u32_e32 v5, vcc, v5, v9, vcc
	s_or_b64 s[38:39], s[38:39], s[40:41]
	s_barrier
	s_andn2_b64 exec, exec, s[8:9]
	s_cbranch_execz .LBB12_238
.LBB12_229:                             ;   Parent Loop BB12_8 Depth=1
                                        ; =>  This Inner Loop Header: Depth=2
	v_cmp_gt_i64_e32 vcc, s[52:53], v[6:7]
	v_mov_b32_e32 v8, 0
	s_and_saveexec_b64 s[40:41], vcc
	s_cbranch_execz .LBB12_231
; %bb.230:                              ;   in Loop: Header=BB12_229 Depth=2
	global_load_ubyte v8, v[4:5], off
.LBB12_231:                             ;   in Loop: Header=BB12_229 Depth=2
	s_or_b64 exec, exec, s[40:41]
	s_and_saveexec_b64 s[40:41], vcc
	s_cbranch_execz .LBB12_228
; %bb.232:                              ;   in Loop: Header=BB12_229 Depth=2
	s_waitcnt vmcnt(0)
	v_add_u32_sdwa v9, sext(v8), s85 dst_sel:DWORD dst_unused:UNUSED_PAD src0_sel:BYTE_0 src1_sel:DWORD
	v_and_b32_e32 v9, s73, v9
	v_cmp_eq_u32_e32 vcc, s82, v9
	s_and_b64 exec, exec, vcc
	s_cbranch_execz .LBB12_228
; %bb.233:                              ;   in Loop: Header=BB12_229 Depth=2
	v_lshlrev_b16_e32 v8, 8, v8
	v_or_b32_e32 v8, 1, v8
	ds_write_b16 v13, v8 offset:3072
	s_branch .LBB12_228
.LBB12_234:                             ;   in Loop: Header=BB12_8 Depth=1
                                        ; implicit-def: $sgpr0_sgpr1
                                        ; implicit-def: $sgpr38_sgpr39
                                        ; implicit-def: $sgpr8_sgpr9
	s_branch .LBB12_253
.LBB12_235:                             ;   in Loop: Header=BB12_8 Depth=1
                                        ; implicit-def: $vgpr2_vgpr3
	s_branch .LBB12_178
.LBB12_236:                             ;   in Loop: Header=BB12_8 Depth=1
                                        ; implicit-def: $vgpr2_vgpr3
	s_branch .LBB12_195
.LBB12_237:                             ;   in Loop: Header=BB12_8 Depth=1
	s_mov_b64 s[0:1], -1
	s_mov_b64 s[40:41], 0
                                        ; implicit-def: $sgpr8_sgpr9
                                        ; implicit-def: $vgpr39
	s_mov_b64 s[38:39], s[0:1]
	s_cbranch_execnz .LBB12_240
	s_branch .LBB12_253
.LBB12_238:                             ;   in Loop: Header=BB12_8 Depth=1
	s_or_b64 exec, exec, s[8:9]
	v_lshrrev_b16_e32 v39, 8, v8
	s_and_b64 s[40:41], s[38:39], exec
.LBB12_239:                             ;   in Loop: Header=BB12_8 Depth=1
	s_or_b64 exec, exec, s[0:1]
	s_mov_b64 s[8:9], -1
	s_mov_b64 s[0:1], 0
	s_mov_b64 s[38:39], s[0:1]
	s_branch .LBB12_253
.LBB12_240:                             ;   in Loop: Header=BB12_8 Depth=1
	v_readlane_b32 s0, v48, 18
	s_add_u32 s38, s0, s36
	v_readlane_b32 s0, v48, 19
	s_addc_u32 s1, s0, s37
	s_mov_b32 s0, s71
	s_cmp_lg_u64 s[0:1], 0
	s_cbranch_scc0 .LBB12_274
; %bb.241:                              ;   in Loop: Header=BB12_8 Depth=1
	v_cvt_f32_u32_e32 v2, s33
	s_sub_u32 s0, 0, s33
	s_subb_u32 s8, 0, 0
	v_mac_f32_e32 v2, 0x4f800000, v38
	v_rcp_f32_e32 v2, v2
	v_mul_f32_e32 v2, 0x5f7ffffc, v2
	v_mul_f32_e32 v3, 0x2f800000, v2
	v_trunc_f32_e32 v3, v3
	v_mac_f32_e32 v2, 0xcf800000, v3
	v_cvt_u32_f32_e32 v3, v3
	v_cvt_u32_f32_e32 v2, v2
	v_readfirstlane_b32 s9, v3
	v_readfirstlane_b32 s39, v2
	s_mul_i32 s40, s0, s9
	s_mul_hi_u32 s42, s0, s39
	s_mul_i32 s41, s8, s39
	s_add_i32 s40, s42, s40
	s_mul_i32 s43, s0, s39
	s_add_i32 s40, s40, s41
	s_mul_hi_u32 s42, s39, s43
	s_mul_hi_u32 s41, s39, s40
	s_mul_i32 s39, s39, s40
	s_add_u32 s39, s42, s39
	s_addc_u32 s41, 0, s41
	s_mul_hi_u32 s44, s9, s43
	s_mul_i32 s43, s9, s43
	s_add_u32 s39, s39, s43
	s_mul_hi_u32 s42, s9, s40
	s_addc_u32 s39, s41, s44
	s_addc_u32 s41, s42, 0
	s_mul_i32 s40, s9, s40
	s_add_u32 s39, s39, s40
	s_addc_u32 s40, 0, s41
	v_add_co_u32_e32 v2, vcc, s39, v2
	s_cmp_lg_u64 vcc, 0
	s_addc_u32 s9, s9, s40
	v_readfirstlane_b32 s40, v2
	s_mul_i32 s39, s0, s9
	s_mul_hi_u32 s41, s0, s40
	s_add_i32 s39, s41, s39
	s_mul_i32 s8, s8, s40
	s_add_i32 s39, s39, s8
	s_mul_i32 s0, s0, s40
	s_mul_hi_u32 s41, s9, s0
	s_mul_i32 s42, s9, s0
	s_mul_i32 s44, s40, s39
	s_mul_hi_u32 s0, s40, s0
	s_mul_hi_u32 s43, s40, s39
	s_add_u32 s0, s0, s44
	s_addc_u32 s40, 0, s43
	s_add_u32 s0, s0, s42
	s_mul_hi_u32 s8, s9, s39
	s_addc_u32 s0, s40, s41
	s_addc_u32 s8, s8, 0
	s_mul_i32 s39, s9, s39
	s_add_u32 s0, s0, s39
	s_addc_u32 s8, 0, s8
	v_add_co_u32_e32 v2, vcc, s0, v2
	s_cmp_lg_u64 vcc, 0
	s_addc_u32 s0, s9, s8
	s_ashr_i32 s8, s1, 31
	s_add_u32 s40, s38, s8
	s_mov_b32 s9, s8
	s_addc_u32 s41, s1, s8
	s_xor_b64 s[40:41], s[40:41], s[8:9]
	v_readfirstlane_b32 s42, v2
	s_mul_i32 s39, s40, s0
	s_mul_hi_u32 s43, s40, s42
	s_mul_hi_u32 s9, s40, s0
	s_add_u32 s39, s43, s39
	s_addc_u32 s9, 0, s9
	s_mul_hi_u32 s44, s41, s42
	s_mul_i32 s42, s41, s42
	s_add_u32 s39, s39, s42
	s_mul_hi_u32 s43, s41, s0
	s_addc_u32 s9, s9, s44
	s_addc_u32 s39, s43, 0
	s_mul_i32 s0, s41, s0
	s_add_u32 s0, s9, s0
	s_addc_u32 s9, 0, s39
	s_mul_hi_u32 s39, s33, s0
	s_mul_i32 s0, s33, s0
	s_mul_i32 s9, s33, s9
	v_mov_b32_e32 v2, s0
	s_add_i32 s39, s39, s9
	v_sub_co_u32_e32 v2, vcc, s40, v2
	s_cmp_lg_u64 vcc, 0
	s_subb_u32 s0, s41, s39
	v_subrev_co_u32_e32 v3, vcc, s33, v2
	s_cmp_lg_u64 vcc, 0
	s_subb_u32 s9, s0, 0
	v_subrev_co_u32_e32 v4, vcc, s33, v3
	s_cmp_lg_u64 vcc, 0
	s_subb_u32 s39, s9, 0
	v_cmp_le_u32_e32 vcc, s33, v3
	s_cmp_eq_u32 s9, 0
	v_cndmask_b32_e64 v5, 0, -1, vcc
	s_cselect_b64 vcc, -1, 0
	v_cndmask_b32_e32 v5, -1, v5, vcc
	v_mov_b32_e32 v6, s9
	v_mov_b32_e32 v7, s39
	v_cmp_ne_u32_e32 vcc, 0, v5
	v_cndmask_b32_e32 v5, v6, v7, vcc
	v_cndmask_b32_e32 v3, v3, v4, vcc
	v_cmp_le_u32_e32 vcc, s33, v2
	s_cmp_eq_u32 s0, 0
	v_cndmask_b32_e64 v4, 0, -1, vcc
	s_cselect_b64 vcc, -1, 0
	v_cndmask_b32_e32 v4, -1, v4, vcc
	v_cmp_ne_u32_e32 vcc, 0, v4
	v_mov_b32_e32 v6, s0
	v_cndmask_b32_e32 v2, v2, v3, vcc
	v_cndmask_b32_e32 v4, v6, v5, vcc
	v_xor_b32_e32 v2, s8, v2
	v_xor_b32_e32 v3, s8, v4
	v_mov_b32_e32 v4, s8
	v_subrev_co_u32_e32 v2, vcc, s8, v2
	v_subb_co_u32_e32 v3, vcc, v3, v4, vcc
	s_cbranch_execnz .LBB12_243
.LBB12_242:                             ;   in Loop: Header=BB12_8 Depth=1
	v_cvt_f32_u32_e32 v2, s33
	s_sub_i32 s0, 0, s33
	v_rcp_iflag_f32_e32 v2, v2
	v_mul_f32_e32 v2, 0x4f7ffffe, v2
	v_cvt_u32_f32_e32 v2, v2
	v_mul_lo_u32 v3, s0, v2
	v_mul_hi_u32 v3, v2, v3
	v_add_u32_e32 v2, v2, v3
	v_mul_hi_u32 v2, s38, v2
	v_mul_lo_u32 v2, v2, s33
	v_sub_u32_e32 v2, s38, v2
	v_subrev_u32_e32 v3, s33, v2
	v_cmp_le_u32_e32 vcc, s33, v2
	v_cndmask_b32_e32 v2, v2, v3, vcc
	v_subrev_u32_e32 v3, s33, v2
	v_cmp_le_u32_e32 vcc, s33, v2
	v_cndmask_b32_e32 v12, v2, v3, vcc
	v_pk_mov_b32 v[2:3], v[12:13], v[12:13] op_sel:[0,1]
.LBB12_243:                             ;   in Loop: Header=BB12_8 Depth=1
	v_mov_b32_e32 v4, s1
	v_sub_co_u32_e32 v2, vcc, s38, v2
	v_subb_co_u32_e32 v3, vcc, v4, v3, vcc
	v_cmp_gt_i64_e32 vcc, v[2:3], v[0:1]
	s_mov_b64 s[40:41], 0
                                        ; implicit-def: $vgpr39
	s_and_saveexec_b64 s[0:1], vcc
	s_cbranch_execz .LBB12_252
; %bb.244:                              ;   in Loop: Header=BB12_8 Depth=1
	s_mov_b64 s[8:9], 0
	v_mov_b32_e32 v6, v0
	v_pk_mov_b32 v[4:5], v[0:1], v[0:1] op_sel:[0,1]
                                        ; implicit-def: $sgpr38_sgpr39
	s_branch .LBB12_246
.LBB12_245:                             ;   in Loop: Header=BB12_246 Depth=2
	s_or_b64 exec, exec, s[40:41]
	s_waitcnt lgkmcnt(0)
	s_barrier
	ds_read_u16 v7, v13 offset:3072
	v_mov_b32_e32 v8, s26
	v_add_co_u32_e32 v4, vcc, s33, v4
	v_addc_co_u32_e32 v5, vcc, v5, v8, vcc
	s_waitcnt lgkmcnt(0)
	v_cmp_ne_u16_sdwa s[40:41], v7, v13 src0_sel:BYTE_0 src1_sel:DWORD
	v_cmp_ge_i64_e32 vcc, v[4:5], v[2:3]
	s_or_b64 s[42:43], s[40:41], vcc
	s_and_b64 s[42:43], exec, s[42:43]
	s_or_b64 s[8:9], s[42:43], s[8:9]
	s_andn2_b64 s[38:39], s[38:39], exec
	s_and_b64 s[40:41], s[40:41], exec
	v_add_u32_e32 v6, s33, v6
	s_or_b64 s[38:39], s[38:39], s[40:41]
	s_barrier
	s_andn2_b64 exec, exec, s[8:9]
	s_cbranch_execz .LBB12_251
.LBB12_246:                             ;   Parent Loop BB12_8 Depth=1
                                        ; =>  This Inner Loop Header: Depth=2
	v_cmp_gt_i64_e32 vcc, s[36:37], v[4:5]
	v_mov_b32_e32 v7, 0
	s_and_saveexec_b64 s[40:41], vcc
	s_cbranch_execz .LBB12_248
; %bb.247:                              ;   in Loop: Header=BB12_246 Depth=2
	ds_read_u8 v7, v6
.LBB12_248:                             ;   in Loop: Header=BB12_246 Depth=2
	s_or_b64 exec, exec, s[40:41]
	s_and_saveexec_b64 s[40:41], vcc
	s_cbranch_execz .LBB12_245
; %bb.249:                              ;   in Loop: Header=BB12_246 Depth=2
	s_waitcnt lgkmcnt(0)
	v_add_u32_sdwa v8, sext(v7), s85 dst_sel:DWORD dst_unused:UNUSED_PAD src0_sel:BYTE_0 src1_sel:DWORD
	v_and_b32_e32 v8, s73, v8
	v_cmp_eq_u32_e32 vcc, s82, v8
	s_and_b64 exec, exec, vcc
	s_cbranch_execz .LBB12_245
; %bb.250:                              ;   in Loop: Header=BB12_246 Depth=2
	v_lshlrev_b16_e32 v7, 8, v7
	v_or_b32_e32 v7, 1, v7
	ds_write_b16 v13, v7 offset:3072
	s_branch .LBB12_245
.LBB12_251:                             ;   in Loop: Header=BB12_8 Depth=1
	s_or_b64 exec, exec, s[8:9]
	v_lshrrev_b16_e32 v39, 8, v7
	s_and_b64 s[40:41], s[38:39], exec
.LBB12_252:                             ;   in Loop: Header=BB12_8 Depth=1
	s_or_b64 exec, exec, s[0:1]
	s_mov_b64 s[38:39], -1
	s_mov_b64 s[0:1], 0
	s_mov_b64 s[8:9], 0
.LBB12_253:                             ;   in Loop: Header=BB12_8 Depth=1
	s_mov_b64 s[42:43], 0
                                        ; implicit-def: $sgpr47
                                        ; implicit-def: $sgpr44_sgpr45
	s_and_saveexec_b64 s[36:37], s[40:41]
	s_cbranch_execz .LBB12_266
; %bb.254:                              ;   in Loop: Header=BB12_8 Depth=1
	s_xor_b64 s[14:15], s[14:15], -1
	s_mov_b64 s[44:45], 1
	s_andn2_b64 vcc, exec, s[14:15]
	s_mov_b32 s47, 1
	s_cbranch_vccnz .LBB12_265
; %bb.255:                              ;   in Loop: Header=BB12_8 Depth=1
	v_pk_mov_b32 v[2:3], s[6:7], s[6:7] op_sel:[0,1]
	v_cmp_gt_i64_e32 vcc, s[54:55], v[2:3]
	s_cbranch_vccnz .LBB12_261
; %bb.256:                              ;   in Loop: Header=BB12_8 Depth=1
	ds_read_b64 v[2:3], v13 offset:5120
	s_waitcnt lgkmcnt(0)
	v_cmp_ne_u64_e32 vcc, 0, v[2:3]
	s_cbranch_vccnz .LBB12_260
; %bb.257:                              ;   in Loop: Header=BB12_8 Depth=1
	s_mov_b64 s[14:15], exec
	v_readlane_b32 s40, v48, 8
	v_readlane_b32 s41, v48, 9
	s_and_b64 s[40:41], s[14:15], s[40:41]
	s_mov_b64 exec, s[40:41]
	s_cbranch_execz .LBB12_259
; %bb.258:                              ;   in Loop: Header=BB12_8 Depth=1
	v_pk_mov_b32 v[2:3], s[6:7], s[6:7] op_sel:[0,1]
	ds_write_b64 v13, v[2:3] offset:5128
.LBB12_259:                             ;   in Loop: Header=BB12_8 Depth=1
	s_or_b64 exec, exec, s[14:15]
	s_waitcnt lgkmcnt(0)
	s_barrier
.LBB12_260:                             ;   in Loop: Header=BB12_8 Depth=1
	s_or_b32 s40, s82, s46
	s_or_b32 s41, s73, s46
	s_mov_b64 s[14:15], 0
	s_mov_b32 s47, 8
	s_branch .LBB12_262
.LBB12_261:                             ;   in Loop: Header=BB12_8 Depth=1
	s_mov_b64 s[14:15], -1
                                        ; implicit-def: $sgpr47
                                        ; implicit-def: $sgpr40
                                        ; implicit-def: $sgpr41
.LBB12_262:                             ;   in Loop: Header=BB12_8 Depth=1
	s_andn2_b64 vcc, exec, s[14:15]
	s_cbranch_vccnz .LBB12_264
; %bb.263:                              ;   in Loop: Header=BB12_8 Depth=1
	s_sub_u32 s54, s54, s6
	s_subb_u32 s55, s55, s7
	s_mov_b32 s47, 8
	s_mov_b32 s40, s82
	;; [unrolled: 1-line block ×3, first 2 shown]
.LBB12_264:                             ;   in Loop: Header=BB12_8 Depth=1
	s_mov_b64 s[44:45], s[54:55]
	s_mov_b32 s82, s40
	s_mov_b32 s73, s41
.LBB12_265:                             ;   in Loop: Header=BB12_8 Depth=1
	s_mov_b64 s[42:43], exec
.LBB12_266:                             ;   in Loop: Header=BB12_8 Depth=1
	s_or_b64 exec, exec, s[36:37]
	s_mov_b64 s[54:55], s[44:45]
	s_mov_b64 s[40:41], s[62:63]
.LBB12_267:                             ;   in Loop: Header=BB12_8 Depth=1
	s_andn2_b64 s[6:7], s[24:25], exec
	s_and_b64 s[0:1], s[0:1], exec
	s_or_b64 s[24:25], s[6:7], s[0:1]
	s_andn2_b64 s[0:1], s[30:31], exec
	s_and_b64 s[6:7], s[38:39], exec
	s_or_b64 s[30:31], s[0:1], s[6:7]
	;; [unrolled: 3-line block ×3, first 2 shown]
	s_and_b64 s[8:9], s[42:43], exec
	s_mov_b64 s[42:43], s[64:65]
.LBB12_268:                             ;   in Loop: Header=BB12_8 Depth=1
	s_or_b64 exec, exec, s[34:35]
	s_mov_b64 s[34:35], s[66:67]
.LBB12_269:                             ;   in Loop: Header=BB12_8 Depth=1
	s_andn2_b64 s[0:1], s[18:19], exec
	s_and_b64 s[6:7], s[24:25], exec
	s_or_b64 s[18:19], s[0:1], s[6:7]
	s_andn2_b64 s[0:1], s[20:21], exec
	s_and_b64 s[6:7], s[30:31], exec
	s_or_b64 s[20:21], s[0:1], s[6:7]
	s_andn2_b64 s[0:1], s[16:17], exec
	s_and_b64 s[6:7], s[28:29], exec
	v_readlane_b32 s30, v48, 33
	s_or_b64 s[16:17], s[0:1], s[6:7]
	s_and_b64 s[8:9], s[8:9], exec
	v_readlane_b32 s31, v48, 34
.LBB12_270:                             ;   in Loop: Header=BB12_8 Depth=1
	s_or_b64 exec, exec, s[22:23]
	s_and_saveexec_b64 s[0:1], s[8:9]
	s_xor_b64 s[0:1], exec, s[0:1]
	s_cbranch_execz .LBB12_6
.LBB12_271:                             ;   in Loop: Header=BB12_8 Depth=1
	s_and_b32 s6, s47, -9
	s_cmp_eq_u32 s6, 0
	s_cbranch_scc1 .LBB12_4
; %bb.272:                              ;   in Loop: Header=BB12_8 Depth=1
	s_mov_b64 s[6:7], -1
                                        ; implicit-def: $sgpr73
                                        ; implicit-def: $sgpr77
                                        ; implicit-def: $sgpr4
	s_mov_b64 s[8:9], -1
	s_branch .LBB12_5
.LBB12_273:                             ;   in Loop: Header=BB12_8 Depth=1
                                        ; implicit-def: $vgpr2_vgpr3
	s_branch .LBB12_225
.LBB12_274:                             ;   in Loop: Header=BB12_8 Depth=1
                                        ; implicit-def: $vgpr2_vgpr3
	s_branch .LBB12_242
.LBB12_275:
	s_or_b64 exec, exec, s[86:87]
	s_xor_b64 s[8:9], s[78:79], -1
	s_xor_b64 s[0:1], s[34:35], -1
	;; [unrolled: 1-line block ×3, first 2 shown]
	s_mov_b64 s[4:5], 0
	s_and_saveexec_b64 s[2:3], s[0:1]
	s_xor_b64 s[0:1], exec, s[2:3]
	s_cbranch_execnz .LBB12_280
; %bb.276:
	s_andn2_saveexec_b64 s[0:1], s[0:1]
	s_cbranch_execnz .LBB12_302
.LBB12_277:
	s_or_b64 exec, exec, s[0:1]
	s_and_saveexec_b64 s[0:1], s[4:5]
.LBB12_278:
	; divergent unreachable
.LBB12_279:
	s_endpgm
.LBB12_280:
	s_and_saveexec_b64 s[2:3], s[8:9]
	s_xor_b64 s[4:5], exec, s[2:3]
	s_cbranch_execz .LBB12_300
; %bb.281:
	s_and_saveexec_b64 s[2:3], s[6:7]
	s_xor_b64 s[6:7], exec, s[2:3]
; %bb.282:
	v_xor_b32_e32 v39, 0xffffff80, v2
; %bb.283:
	s_or_b64 exec, exec, s[6:7]
	s_mov_b64 s[6:7], exec
	v_readlane_b32 s2, v48, 8
	v_readlane_b32 s3, v48, 9
	s_and_b64 s[2:3], s[6:7], s[2:3]
	v_readlane_b32 s24, v48, 10
	v_readlane_b32 s25, v48, 11
	s_mov_b64 exec, s[2:3]
	s_cbranch_execz .LBB12_285
; %bb.284:
	v_mov_b32_e32 v2, 0
	v_mov_b32_e32 v3, s52
	ds_write_b32 v2, v3 offset:5140
.LBB12_285:
	s_or_b64 exec, exec, s[6:7]
	s_waitcnt lgkmcnt(0)
	s_barrier
	s_and_saveexec_b64 s[6:7], s[92:93]
	s_cbranch_execz .LBB12_297
; %bb.286:
	v_mov_b32_e32 v2, 0
	ds_read_b32 v4, v2 offset:5140
	s_mov_b64 s[2:3], 0
                                        ; implicit-def: $sgpr8_sgpr9
                                        ; implicit-def: $sgpr10_sgpr11
                                        ; implicit-def: $sgpr12_sgpr13
	s_waitcnt lgkmcnt(0)
	v_ashrrev_i32_e32 v5, 31, v4
	s_branch .LBB12_289
.LBB12_287:                             ;   in Loop: Header=BB12_289 Depth=1
	s_or_b64 exec, exec, s[18:19]
	s_andn2_b64 s[12:13], s[12:13], exec
	s_and_b64 s[16:17], s[16:17], exec
	s_or_b64 s[12:13], s[12:13], s[16:17]
	s_andn2_b64 s[10:11], s[10:11], exec
	s_and_b64 s[16:17], s[20:21], exec
	s_or_b64 s[10:11], s[10:11], s[16:17]
.LBB12_288:                             ;   in Loop: Header=BB12_289 Depth=1
	s_or_b64 exec, exec, s[14:15]
	s_and_b64 s[14:15], exec, s[10:11]
	s_or_b64 s[2:3], s[14:15], s[2:3]
	s_andn2_b64 s[8:9], s[8:9], exec
	s_and_b64 s[14:15], s[12:13], exec
	s_or_b64 s[8:9], s[8:9], s[14:15]
	s_andn2_b64 exec, exec, s[2:3]
	s_cbranch_execz .LBB12_292
.LBB12_289:                             ; =>This Inner Loop Header: Depth=1
	v_pk_mov_b32 v[2:3], v[0:1], v[0:1] op_sel:[0,1]
	v_cmp_lt_i64_e32 vcc, v[2:3], v[4:5]
	s_or_b64 s[12:13], s[12:13], exec
	s_or_b64 s[10:11], s[10:11], exec
                                        ; implicit-def: $vgpr0_vgpr1
	s_and_saveexec_b64 s[14:15], vcc
	s_cbranch_execz .LBB12_288
; %bb.290:                              ;   in Loop: Header=BB12_289 Depth=1
	global_load_ubyte v0, v[10:11], off
	s_mov_b64 s[20:21], -1
	s_mov_b64 s[16:17], 0
	s_waitcnt vmcnt(0)
	v_cmp_ne_u16_sdwa s[22:23], v0, v39 src0_sel:DWORD src1_sel:BYTE_0
                                        ; implicit-def: $vgpr0_vgpr1
	s_and_saveexec_b64 s[18:19], s[22:23]
	s_cbranch_execz .LBB12_287
; %bb.291:                              ;   in Loop: Header=BB12_289 Depth=1
	v_mov_b32_e32 v1, s26
	v_add_co_u32_e32 v0, vcc, s33, v2
	v_addc_co_u32_e32 v1, vcc, v3, v1, vcc
	v_mov_b32_e32 v3, s27
	v_add_co_u32_e32 v10, vcc, s84, v10
	v_addc_co_u32_e32 v11, vcc, v11, v3, vcc
	v_cmp_le_i64_e32 vcc, s[52:53], v[0:1]
	s_mov_b64 s[16:17], exec
	s_orn2_b64 s[20:21], vcc, exec
	s_branch .LBB12_287
.LBB12_292:
	s_or_b64 exec, exec, s[2:3]
	s_xor_b64 s[2:3], s[8:9], -1
	s_and_saveexec_b64 s[8:9], s[2:3]
	s_xor_b64 s[8:9], exec, s[8:9]
	s_cbranch_execz .LBB12_297
; %bb.293:
	s_mov_b64 s[2:3], exec
	s_brev_b32 s8, -2
.LBB12_294:                             ; =>This Inner Loop Header: Depth=1
	s_ff1_i32_b64 s9, s[2:3]
	v_readlane_b32 s12, v2, s9
	s_lshl_b64 s[10:11], 1, s9
	s_min_i32 s8, s8, s12
	s_andn2_b64 s[2:3], s[2:3], s[10:11]
	s_cmp_lg_u64 s[2:3], 0
	s_cbranch_scc1 .LBB12_294
; %bb.295:
	v_mbcnt_lo_u32_b32 v0, exec_lo, 0
	v_mbcnt_hi_u32_b32 v0, exec_hi, v0
	v_cmp_eq_u32_e32 vcc, 0, v0
	s_and_saveexec_b64 s[2:3], vcc
	s_xor_b64 s[2:3], exec, s[2:3]
	s_cbranch_execz .LBB12_297
; %bb.296:
	v_mov_b32_e32 v0, 0
	v_mov_b32_e32 v1, s8
	ds_min_i32 v0, v1 offset:5140
.LBB12_297:
	s_or_b64 exec, exec, s[6:7]
	s_waitcnt lgkmcnt(0)
	s_barrier
	s_mov_b64 s[2:3], exec
	v_readlane_b32 s6, v48, 8
	v_readlane_b32 s7, v48, 9
	s_and_b64 s[6:7], s[2:3], s[6:7]
	s_mov_b64 exec, s[6:7]
	s_cbranch_execz .LBB12_299
; %bb.298:
	v_readlane_b32 s8, v48, 4
	v_readlane_b32 s9, v48, 5
	v_readlane_b32 s10, v48, 0
	s_mul_i32 s6, s9, s24
	s_mul_hi_u32 s7, s8, s24
	v_readlane_b32 s11, v48, 1
	v_mov_b32_e32 v2, 0
	s_add_i32 s9, s7, s6
	s_mul_i32 s6, s11, s24
	s_mul_hi_u32 s7, s10, s24
	ds_read_b32 v0, v2 offset:5140
	s_mul_i32 s8, s8, s24
	s_add_i32 s7, s7, s6
	s_mul_i32 s6, s10, s24
	v_readlane_b32 s10, v48, 6
	v_readlane_b32 s11, v48, 7
	s_add_u32 s8, s10, s8
	s_addc_u32 s9, s11, s9
	s_lshl_b64 s[6:7], s[6:7], 3
	v_readlane_b32 s10, v48, 2
	v_readlane_b32 s11, v48, 3
	s_add_u32 s6, s10, s6
	s_addc_u32 s7, s11, s7
	s_waitcnt lgkmcnt(0)
	v_ashrrev_i32_e32 v1, 31, v0
	global_store_dwordx2 v2, v[0:1], s[6:7]
	global_store_byte v2, v39, s[8:9]
.LBB12_299:
	s_or_b64 exec, exec, s[2:3]
.LBB12_300:
	s_or_saveexec_b64 s[2:3], s[4:5]
	s_mov_b64 s[4:5], 0
	s_xor_b64 exec, exec, s[2:3]
	s_cbranch_execnz .LBB12_303
.LBB12_301:
	s_or_b64 exec, exec, s[2:3]
	s_and_b64 s[4:5], s[4:5], exec
	s_andn2_saveexec_b64 s[0:1], s[0:1]
	s_cbranch_execz .LBB12_277
.LBB12_302:
	s_or_b64 s[4:5], s[4:5], exec
	s_trap 2
	s_or_b64 exec, exec, s[0:1]
	s_and_saveexec_b64 s[0:1], s[4:5]
	s_cbranch_execnz .LBB12_278
	s_branch .LBB12_279
.LBB12_303:
	s_mov_b64 s[4:5], exec
	s_trap 2
	s_branch .LBB12_301
	.section	.rodata,"a",@progbits
	.p2align	6, 0x0
	.amdhsa_kernel _ZN2at6native12_GLOBAL__N_114gatherKthValueIalLi1EEEvNS_4cuda6detail10TensorInfoIKT_T0_EES8_S8_S8_S8_NS5_IS6_S8_EENS5_IlS8_EE
		.amdhsa_group_segment_fixed_size 5144
		.amdhsa_private_segment_fixed_size 0
		.amdhsa_kernarg_size 1536
		.amdhsa_user_sgpr_count 6
		.amdhsa_user_sgpr_private_segment_buffer 1
		.amdhsa_user_sgpr_dispatch_ptr 0
		.amdhsa_user_sgpr_queue_ptr 0
		.amdhsa_user_sgpr_kernarg_segment_ptr 1
		.amdhsa_user_sgpr_dispatch_id 0
		.amdhsa_user_sgpr_flat_scratch_init 0
		.amdhsa_user_sgpr_kernarg_preload_length 0
		.amdhsa_user_sgpr_kernarg_preload_offset 0
		.amdhsa_user_sgpr_private_segment_size 0
		.amdhsa_uses_dynamic_stack 0
		.amdhsa_system_sgpr_private_segment_wavefront_offset 0
		.amdhsa_system_sgpr_workgroup_id_x 1
		.amdhsa_system_sgpr_workgroup_id_y 1
		.amdhsa_system_sgpr_workgroup_id_z 1
		.amdhsa_system_sgpr_workgroup_info 0
		.amdhsa_system_vgpr_workitem_id 0
		.amdhsa_next_free_vgpr 49
		.amdhsa_next_free_sgpr 96
		.amdhsa_accum_offset 52
		.amdhsa_reserve_vcc 1
		.amdhsa_reserve_flat_scratch 0
		.amdhsa_float_round_mode_32 0
		.amdhsa_float_round_mode_16_64 0
		.amdhsa_float_denorm_mode_32 3
		.amdhsa_float_denorm_mode_16_64 3
		.amdhsa_dx10_clamp 1
		.amdhsa_ieee_mode 1
		.amdhsa_fp16_overflow 0
		.amdhsa_tg_split 0
		.amdhsa_exception_fp_ieee_invalid_op 0
		.amdhsa_exception_fp_denorm_src 0
		.amdhsa_exception_fp_ieee_div_zero 0
		.amdhsa_exception_fp_ieee_overflow 0
		.amdhsa_exception_fp_ieee_underflow 0
		.amdhsa_exception_fp_ieee_inexact 0
		.amdhsa_exception_int_div_zero 0
	.end_amdhsa_kernel
	.section	.text._ZN2at6native12_GLOBAL__N_114gatherKthValueIalLi1EEEvNS_4cuda6detail10TensorInfoIKT_T0_EES8_S8_S8_S8_NS5_IS6_S8_EENS5_IlS8_EE,"axG",@progbits,_ZN2at6native12_GLOBAL__N_114gatherKthValueIalLi1EEEvNS_4cuda6detail10TensorInfoIKT_T0_EES8_S8_S8_S8_NS5_IS6_S8_EENS5_IlS8_EE,comdat
.Lfunc_end12:
	.size	_ZN2at6native12_GLOBAL__N_114gatherKthValueIalLi1EEEvNS_4cuda6detail10TensorInfoIKT_T0_EES8_S8_S8_S8_NS5_IS6_S8_EENS5_IlS8_EE, .Lfunc_end12-_ZN2at6native12_GLOBAL__N_114gatherKthValueIalLi1EEEvNS_4cuda6detail10TensorInfoIKT_T0_EES8_S8_S8_S8_NS5_IS6_S8_EENS5_IlS8_EE
                                        ; -- End function
	.section	.AMDGPU.csdata,"",@progbits
; Kernel info:
; codeLenInByte = 15856
; NumSgprs: 100
; NumVgprs: 49
; NumAgprs: 0
; TotalNumVgprs: 49
; ScratchSize: 0
; MemoryBound: 0
; FloatMode: 240
; IeeeMode: 1
; LDSByteSize: 5144 bytes/workgroup (compile time only)
; SGPRBlocks: 12
; VGPRBlocks: 6
; NumSGPRsForWavesPerEU: 100
; NumVGPRsForWavesPerEU: 49
; AccumOffset: 52
; Occupancy: 8
; WaveLimiterHint : 1
; COMPUTE_PGM_RSRC2:SCRATCH_EN: 0
; COMPUTE_PGM_RSRC2:USER_SGPR: 6
; COMPUTE_PGM_RSRC2:TRAP_HANDLER: 0
; COMPUTE_PGM_RSRC2:TGID_X_EN: 1
; COMPUTE_PGM_RSRC2:TGID_Y_EN: 1
; COMPUTE_PGM_RSRC2:TGID_Z_EN: 1
; COMPUTE_PGM_RSRC2:TIDIG_COMP_CNT: 0
; COMPUTE_PGM_RSRC3_GFX90A:ACCUM_OFFSET: 12
; COMPUTE_PGM_RSRC3_GFX90A:TG_SPLIT: 0
	.section	.text._ZN2at6native12_GLOBAL__N_114gatherKthValueIalLi2EEEvNS_4cuda6detail10TensorInfoIKT_T0_EES8_S8_S8_S8_NS5_IS6_S8_EENS5_IlS8_EE,"axG",@progbits,_ZN2at6native12_GLOBAL__N_114gatherKthValueIalLi2EEEvNS_4cuda6detail10TensorInfoIKT_T0_EES8_S8_S8_S8_NS5_IS6_S8_EENS5_IlS8_EE,comdat
	.globl	_ZN2at6native12_GLOBAL__N_114gatherKthValueIalLi2EEEvNS_4cuda6detail10TensorInfoIKT_T0_EES8_S8_S8_S8_NS5_IS6_S8_EENS5_IlS8_EE ; -- Begin function _ZN2at6native12_GLOBAL__N_114gatherKthValueIalLi2EEEvNS_4cuda6detail10TensorInfoIKT_T0_EES8_S8_S8_S8_NS5_IS6_S8_EENS5_IlS8_EE
	.p2align	8
	.type	_ZN2at6native12_GLOBAL__N_114gatherKthValueIalLi2EEEvNS_4cuda6detail10TensorInfoIKT_T0_EES8_S8_S8_S8_NS5_IS6_S8_EENS5_IlS8_EE,@function
_ZN2at6native12_GLOBAL__N_114gatherKthValueIalLi2EEEvNS_4cuda6detail10TensorInfoIKT_T0_EES8_S8_S8_S8_NS5_IS6_S8_EENS5_IlS8_EE: ; @_ZN2at6native12_GLOBAL__N_114gatherKthValueIalLi2EEEvNS_4cuda6detail10TensorInfoIKT_T0_EES8_S8_S8_S8_NS5_IS6_S8_EENS5_IlS8_EE
; %bb.0:
	s_load_dwordx8 s[52:59], s[4:5], 0x1a0
	s_load_dwordx2 s[14:15], s[4:5], 0x500
	s_add_u32 s12, s4, 0x500
	s_addc_u32 s13, s5, 0
	s_mov_b32 s29, 0
	s_waitcnt lgkmcnt(0)
	v_mov_b32_e32 v2, s56
	s_mul_i32 s0, s15, s8
	s_add_i32 s0, s0, s7
	s_mul_i32 s0, s0, s14
	v_mov_b32_e32 v3, s57
	s_add_i32 s28, s0, s6
	v_cmp_ge_i64_e32 vcc, s[28:29], v[2:3]
	s_cbranch_vccnz .LBB13_288
; %bb.1:
	s_load_dwordx2 s[2:3], s[4:5], 0x10
	s_load_dwordx2 s[24:25], s[4:5], 0x1d0
	s_mov_b32 s0, s29
                                        ; implicit-def: $vgpr46 : SGPR spill to VGPR lane
	s_waitcnt lgkmcnt(0)
	s_mov_b32 s1, s3
	s_cmp_lg_u64 s[0:1], 0
	v_writelane_b32 v46, s24, 0
	v_writelane_b32 v46, s25, 1
	s_cbranch_scc0 .LBB13_301
; %bb.2:
	s_ashr_i32 s8, s3, 31
	s_add_u32 s0, s2, s8
	s_mov_b32 s9, s8
	s_addc_u32 s1, s3, s8
	s_xor_b64 s[16:17], s[0:1], s[8:9]
	v_cvt_f32_u32_e32 v1, s16
	v_cvt_f32_u32_e32 v2, s17
	s_sub_u32 s0, 0, s16
	s_subb_u32 s1, 0, s17
	v_madmk_f32 v1, v2, 0x4f800000, v1
	v_rcp_f32_e32 v1, v1
	v_mul_f32_e32 v1, 0x5f7ffffc, v1
	v_mul_f32_e32 v2, 0x2f800000, v1
	v_trunc_f32_e32 v2, v2
	v_madmk_f32 v1, v2, 0xcf800000, v1
	v_cvt_u32_f32_e32 v2, v2
	v_cvt_u32_f32_e32 v1, v1
	v_readfirstlane_b32 s7, v2
	v_readfirstlane_b32 s15, v1
	s_mul_i32 s18, s0, s7
	s_mul_hi_u32 s20, s0, s15
	s_mul_i32 s19, s1, s15
	s_add_i32 s18, s20, s18
	s_add_i32 s18, s18, s19
	s_mul_i32 s21, s0, s15
	s_mul_hi_u32 s19, s15, s18
	s_mul_i32 s20, s15, s18
	s_mul_hi_u32 s15, s15, s21
	s_add_u32 s15, s15, s20
	s_addc_u32 s19, 0, s19
	s_mul_hi_u32 s22, s7, s21
	s_mul_i32 s21, s7, s21
	s_add_u32 s15, s15, s21
	s_mul_hi_u32 s20, s7, s18
	s_addc_u32 s15, s19, s22
	s_addc_u32 s19, s20, 0
	s_mul_i32 s18, s7, s18
	s_add_u32 s15, s15, s18
	s_addc_u32 s18, 0, s19
	v_add_co_u32_e32 v1, vcc, s15, v1
	s_cmp_lg_u64 vcc, 0
	s_addc_u32 s7, s7, s18
	v_readfirstlane_b32 s18, v1
	s_mul_i32 s15, s0, s7
	s_mul_hi_u32 s19, s0, s18
	s_add_i32 s15, s19, s15
	s_mul_i32 s1, s1, s18
	s_add_i32 s15, s15, s1
	s_mul_i32 s0, s0, s18
	s_mul_hi_u32 s19, s7, s0
	s_mul_i32 s20, s7, s0
	s_mul_i32 s22, s18, s15
	s_mul_hi_u32 s0, s18, s0
	s_mul_hi_u32 s21, s18, s15
	s_add_u32 s0, s0, s22
	s_addc_u32 s18, 0, s21
	s_add_u32 s0, s0, s20
	s_mul_hi_u32 s1, s7, s15
	s_addc_u32 s0, s18, s19
	s_addc_u32 s1, s1, 0
	s_mul_i32 s15, s7, s15
	s_add_u32 s0, s0, s15
	s_addc_u32 s1, 0, s1
	v_add_co_u32_e32 v1, vcc, s0, v1
	s_cmp_lg_u64 vcc, 0
	s_addc_u32 s7, s7, s1
	s_ashr_i32 s18, 0, 31
	s_add_u32 s0, s28, s18
	s_mov_b32 s19, s18
	s_addc_u32 s1, 0, s18
	s_xor_b64 s[20:21], s[0:1], s[18:19]
	v_readfirstlane_b32 s15, v1
	s_mul_i32 s1, s20, s7
	s_mul_hi_u32 s22, s20, s15
	s_mul_hi_u32 s0, s20, s7
	s_add_u32 s1, s22, s1
	s_addc_u32 s0, 0, s0
	s_mul_hi_u32 s23, s21, s15
	s_mul_i32 s15, s21, s15
	s_add_u32 s1, s1, s15
	s_mul_hi_u32 s22, s21, s7
	s_addc_u32 s0, s0, s23
	s_addc_u32 s1, s22, 0
	s_mul_i32 s7, s21, s7
	s_add_u32 s7, s0, s7
	s_addc_u32 s15, 0, s1
	s_mul_i32 s0, s16, s15
	s_mul_hi_u32 s1, s16, s7
	s_add_i32 s0, s1, s0
	s_mul_i32 s1, s17, s7
	s_add_i32 s22, s0, s1
	s_mul_i32 s1, s16, s7
	v_mov_b32_e32 v1, s1
	s_sub_i32 s0, s21, s22
	v_sub_co_u32_e32 v1, vcc, s20, v1
	s_cmp_lg_u64 vcc, 0
	s_subb_u32 s20, s0, s17
	v_subrev_co_u32_e64 v2, s[0:1], s16, v1
	s_cmp_lg_u64 s[0:1], 0
	s_subb_u32 s0, s20, 0
	s_cmp_ge_u32 s0, s17
	v_readfirstlane_b32 s20, v2
	s_cselect_b32 s1, -1, 0
	s_cmp_ge_u32 s20, s16
	s_cselect_b32 s20, -1, 0
	s_cmp_eq_u32 s0, s17
	s_cselect_b32 s0, s20, s1
	s_add_u32 s1, s7, 1
	s_addc_u32 s20, s15, 0
	s_add_u32 s23, s7, 2
	s_addc_u32 s24, s15, 0
	s_cmp_lg_u32 s0, 0
	s_cselect_b32 s0, s23, s1
	s_cselect_b32 s1, s24, s20
	s_cmp_lg_u64 vcc, 0
	s_subb_u32 s20, s21, s22
	s_cmp_ge_u32 s20, s17
	v_readfirstlane_b32 s22, v1
	s_cselect_b32 s21, -1, 0
	s_cmp_ge_u32 s22, s16
	s_cselect_b32 s16, -1, 0
	s_cmp_eq_u32 s20, s17
	s_cselect_b32 s16, s16, s21
	s_load_dwordx2 s[24:25], s[4:5], 0x1d0
	s_cmp_lg_u32 s16, 0
	s_cselect_b32 s1, s1, s15
	s_cselect_b32 s0, s0, s7
	s_xor_b64 s[8:9], s[18:19], s[8:9]
	s_xor_b64 s[0:1], s[0:1], s[8:9]
	s_sub_u32 s16, s0, s8
	s_subb_u32 s17, s1, s9
	s_cbranch_execnz .LBB13_4
.LBB13_3:
	v_cvt_f32_u32_e32 v1, s2
	s_sub_i32 s0, 0, s2
	s_mov_b32 s17, 0
	v_rcp_iflag_f32_e32 v1, v1
	v_mul_f32_e32 v1, 0x4f7ffffe, v1
	v_cvt_u32_f32_e32 v1, v1
	v_readfirstlane_b32 s1, v1
	s_mul_i32 s0, s0, s1
	s_mul_hi_u32 s0, s1, s0
	s_add_i32 s1, s1, s0
	s_mul_hi_u32 s0, s28, s1
	s_mul_i32 s7, s0, s2
	s_sub_i32 s7, s28, s7
	s_add_i32 s1, s0, 1
	s_sub_i32 s8, s7, s2
	s_cmp_ge_u32 s7, s2
	s_cselect_b32 s0, s1, s0
	s_cselect_b32 s7, s8, s7
	s_add_i32 s1, s0, 1
	s_cmp_ge_u32 s7, s2
	s_cselect_b32 s16, s1, s0
.LBB13_4:
	s_load_dwordx2 s[30:31], s[4:5], 0x370
	s_mov_b32 s0, 0
	s_waitcnt lgkmcnt(0)
	s_mov_b32 s1, s25
	s_cmp_lg_u64 s[0:1], 0
	s_cbranch_scc0 .LBB13_302
; %bb.5:
	s_ashr_i32 s8, s25, 31
	s_add_u32 s0, s24, s8
	s_mov_b32 s9, s8
	s_addc_u32 s1, s25, s8
	s_xor_b64 s[18:19], s[0:1], s[8:9]
	v_cvt_f32_u32_e32 v1, s18
	v_cvt_f32_u32_e32 v2, s19
	s_sub_u32 s0, 0, s18
	s_subb_u32 s1, 0, s19
	v_madmk_f32 v1, v2, 0x4f800000, v1
	v_rcp_f32_e32 v1, v1
	v_mul_f32_e32 v1, 0x5f7ffffc, v1
	v_mul_f32_e32 v2, 0x2f800000, v1
	v_trunc_f32_e32 v2, v2
	v_madmk_f32 v1, v2, 0xcf800000, v1
	v_cvt_u32_f32_e32 v2, v2
	v_cvt_u32_f32_e32 v1, v1
	v_readfirstlane_b32 s7, v2
	v_readfirstlane_b32 s15, v1
	s_mul_i32 s20, s0, s7
	s_mul_hi_u32 s22, s0, s15
	s_mul_i32 s21, s1, s15
	s_add_i32 s20, s22, s20
	s_add_i32 s20, s20, s21
	s_mul_i32 s23, s0, s15
	s_mul_hi_u32 s21, s15, s20
	s_mul_i32 s22, s15, s20
	s_mul_hi_u32 s15, s15, s23
	s_add_u32 s15, s15, s22
	s_addc_u32 s21, 0, s21
	s_mul_hi_u32 s24, s7, s23
	s_mul_i32 s23, s7, s23
	s_add_u32 s15, s15, s23
	s_mul_hi_u32 s22, s7, s20
	s_addc_u32 s15, s21, s24
	s_addc_u32 s21, s22, 0
	s_mul_i32 s20, s7, s20
	s_add_u32 s15, s15, s20
	s_addc_u32 s20, 0, s21
	v_add_co_u32_e32 v1, vcc, s15, v1
	s_cmp_lg_u64 vcc, 0
	s_addc_u32 s7, s7, s20
	v_readfirstlane_b32 s20, v1
	s_mul_i32 s15, s0, s7
	s_mul_hi_u32 s21, s0, s20
	s_add_i32 s15, s21, s15
	s_mul_i32 s1, s1, s20
	s_add_i32 s15, s15, s1
	s_mul_i32 s0, s0, s20
	s_mul_hi_u32 s21, s7, s0
	s_mul_i32 s22, s7, s0
	s_mul_i32 s24, s20, s15
	s_mul_hi_u32 s0, s20, s0
	s_mul_hi_u32 s23, s20, s15
	s_add_u32 s0, s0, s24
	s_addc_u32 s20, 0, s23
	s_add_u32 s0, s0, s22
	s_mul_hi_u32 s1, s7, s15
	s_addc_u32 s0, s20, s21
	s_addc_u32 s1, s1, 0
	s_mul_i32 s15, s7, s15
	s_add_u32 s0, s0, s15
	s_addc_u32 s1, 0, s1
	v_add_co_u32_e32 v1, vcc, s0, v1
	s_cmp_lg_u64 vcc, 0
	s_addc_u32 s7, s7, s1
	s_ashr_i32 s20, 0, 31
	s_add_u32 s0, s28, s20
	s_mov_b32 s21, s20
	s_addc_u32 s1, 0, s20
	s_xor_b64 s[22:23], s[0:1], s[20:21]
	v_readfirstlane_b32 s15, v1
	s_mul_i32 s1, s22, s7
	s_mul_hi_u32 s24, s22, s15
	s_mul_hi_u32 s0, s22, s7
	s_add_u32 s1, s24, s1
	s_addc_u32 s0, 0, s0
	s_mul_hi_u32 s25, s23, s15
	s_mul_i32 s15, s23, s15
	s_add_u32 s1, s1, s15
	s_mul_hi_u32 s24, s23, s7
	s_addc_u32 s0, s0, s25
	s_addc_u32 s1, s24, 0
	s_mul_i32 s7, s23, s7
	s_add_u32 s7, s0, s7
	s_addc_u32 s15, 0, s1
	s_mul_i32 s0, s18, s15
	s_mul_hi_u32 s1, s18, s7
	s_add_i32 s0, s1, s0
	s_mul_i32 s1, s19, s7
	s_add_i32 s24, s0, s1
	s_mul_i32 s1, s18, s7
	v_mov_b32_e32 v1, s1
	s_sub_i32 s0, s23, s24
	v_sub_co_u32_e32 v1, vcc, s22, v1
	s_cmp_lg_u64 vcc, 0
	s_subb_u32 s22, s0, s19
	v_subrev_co_u32_e64 v2, s[0:1], s18, v1
	s_cmp_lg_u64 s[0:1], 0
	s_subb_u32 s0, s22, 0
	s_cmp_ge_u32 s0, s19
	v_readfirstlane_b32 s22, v2
	s_cselect_b32 s1, -1, 0
	s_cmp_ge_u32 s22, s18
	s_cselect_b32 s22, -1, 0
	s_cmp_eq_u32 s0, s19
	s_cselect_b32 s0, s22, s1
	s_add_u32 s1, s7, 1
	s_addc_u32 s22, s15, 0
	s_add_u32 s25, s7, 2
	s_addc_u32 s26, s15, 0
	s_cmp_lg_u32 s0, 0
	s_cselect_b32 s0, s25, s1
	s_cselect_b32 s1, s26, s22
	s_cmp_lg_u64 vcc, 0
	s_subb_u32 s22, s23, s24
	s_cmp_ge_u32 s22, s19
	v_readfirstlane_b32 s24, v1
	s_cselect_b32 s23, -1, 0
	s_cmp_ge_u32 s24, s18
	s_cselect_b32 s18, -1, 0
	s_cmp_eq_u32 s22, s19
	s_cselect_b32 s18, s18, s23
	s_cmp_lg_u32 s18, 0
	s_cselect_b32 s1, s1, s15
	s_cselect_b32 s0, s0, s7
	s_xor_b64 s[8:9], s[20:21], s[8:9]
	s_load_dwordx2 s[24:25], s[4:5], 0x1d0
	s_xor_b64 s[0:1], s[0:1], s[8:9]
	s_sub_u32 s0, s0, s8
	s_subb_u32 s1, s1, s9
	v_writelane_b32 v46, s0, 2
	v_writelane_b32 v46, s1, 3
	s_cbranch_execnz .LBB13_7
.LBB13_6:
	s_waitcnt lgkmcnt(0)
	v_cvt_f32_u32_e32 v1, s24
	s_sub_i32 s0, 0, s24
	s_mov_b32 s9, 0
	v_rcp_iflag_f32_e32 v1, v1
	v_mul_f32_e32 v1, 0x4f7ffffe, v1
	v_cvt_u32_f32_e32 v1, v1
	v_readfirstlane_b32 s1, v1
	s_mul_i32 s0, s0, s1
	s_mul_hi_u32 s0, s1, s0
	s_add_i32 s1, s1, s0
	s_mul_hi_u32 s0, s28, s1
	s_mul_i32 s7, s0, s24
	s_sub_i32 s7, s28, s7
	s_add_i32 s1, s0, 1
	s_sub_i32 s8, s7, s24
	s_cmp_ge_u32 s7, s24
	s_cselect_b32 s0, s1, s0
	s_cselect_b32 s7, s8, s7
	s_add_i32 s1, s0, 1
	s_cmp_ge_u32 s7, s24
	s_cselect_b32 s8, s1, s0
	v_writelane_b32 v46, s8, 2
	v_writelane_b32 v46, s9, 3
.LBB13_7:
	s_mov_b32 s0, 0
	s_mov_b32 s1, s31
	s_cmp_lg_u64 s[0:1], 0
	s_cbranch_scc0 .LBB13_303
; %bb.8:
	s_ashr_i32 s10, s31, 31
	s_add_u32 s0, s30, s10
	s_mov_b32 s11, s10
	s_addc_u32 s1, s31, s10
	s_xor_b64 s[18:19], s[0:1], s[10:11]
	v_cvt_f32_u32_e32 v1, s18
	v_cvt_f32_u32_e32 v2, s19
	s_sub_u32 s0, 0, s18
	s_subb_u32 s1, 0, s19
	v_madmk_f32 v1, v2, 0x4f800000, v1
	v_rcp_f32_e32 v1, v1
	v_mul_f32_e32 v1, 0x5f7ffffc, v1
	v_mul_f32_e32 v2, 0x2f800000, v1
	v_trunc_f32_e32 v2, v2
	v_madmk_f32 v1, v2, 0xcf800000, v1
	v_cvt_u32_f32_e32 v2, v2
	v_cvt_u32_f32_e32 v1, v1
	v_readfirstlane_b32 s7, v2
	v_readfirstlane_b32 s15, v1
	s_mul_i32 s20, s0, s7
	s_mul_hi_u32 s22, s0, s15
	s_mul_i32 s21, s1, s15
	s_add_i32 s20, s22, s20
	s_add_i32 s20, s20, s21
	s_mul_i32 s23, s0, s15
	s_mul_hi_u32 s21, s15, s20
	s_mul_i32 s22, s15, s20
	s_mul_hi_u32 s15, s15, s23
	s_add_u32 s15, s15, s22
	s_addc_u32 s21, 0, s21
	s_waitcnt lgkmcnt(0)
	s_mul_hi_u32 s24, s7, s23
	s_mul_i32 s23, s7, s23
	s_add_u32 s15, s15, s23
	s_mul_hi_u32 s22, s7, s20
	s_addc_u32 s15, s21, s24
	s_addc_u32 s21, s22, 0
	s_mul_i32 s20, s7, s20
	s_add_u32 s15, s15, s20
	s_addc_u32 s20, 0, s21
	v_add_co_u32_e32 v1, vcc, s15, v1
	s_cmp_lg_u64 vcc, 0
	s_addc_u32 s7, s7, s20
	v_readfirstlane_b32 s20, v1
	s_mul_i32 s15, s0, s7
	s_mul_hi_u32 s21, s0, s20
	s_add_i32 s15, s21, s15
	s_mul_i32 s1, s1, s20
	s_add_i32 s15, s15, s1
	s_mul_i32 s0, s0, s20
	s_mul_hi_u32 s21, s7, s0
	s_mul_i32 s22, s7, s0
	s_mul_i32 s24, s20, s15
	s_mul_hi_u32 s0, s20, s0
	s_mul_hi_u32 s23, s20, s15
	s_add_u32 s0, s0, s24
	s_addc_u32 s20, 0, s23
	s_add_u32 s0, s0, s22
	s_mul_hi_u32 s1, s7, s15
	s_addc_u32 s0, s20, s21
	s_addc_u32 s1, s1, 0
	s_mul_i32 s15, s7, s15
	s_add_u32 s0, s0, s15
	s_addc_u32 s1, 0, s1
	v_add_co_u32_e32 v1, vcc, s0, v1
	s_cmp_lg_u64 vcc, 0
	s_addc_u32 s7, s7, s1
	s_ashr_i32 s20, 0, 31
	s_add_u32 s0, s28, s20
	s_mov_b32 s21, s20
	s_addc_u32 s1, 0, s20
	s_xor_b64 s[22:23], s[0:1], s[20:21]
	v_readfirstlane_b32 s15, v1
	s_mul_i32 s1, s22, s7
	s_mul_hi_u32 s24, s22, s15
	s_mul_hi_u32 s0, s22, s7
	s_add_u32 s1, s24, s1
	s_addc_u32 s0, 0, s0
	s_mul_hi_u32 s25, s23, s15
	s_mul_i32 s15, s23, s15
	s_add_u32 s1, s1, s15
	s_mul_hi_u32 s24, s23, s7
	s_addc_u32 s0, s0, s25
	s_addc_u32 s1, s24, 0
	s_mul_i32 s7, s23, s7
	s_add_u32 s7, s0, s7
	s_addc_u32 s15, 0, s1
	s_mul_i32 s0, s18, s15
	s_mul_hi_u32 s1, s18, s7
	s_add_i32 s0, s1, s0
	s_mul_i32 s1, s19, s7
	s_add_i32 s24, s0, s1
	s_mul_i32 s1, s18, s7
	v_mov_b32_e32 v1, s1
	s_sub_i32 s0, s23, s24
	v_sub_co_u32_e32 v1, vcc, s22, v1
	s_cmp_lg_u64 vcc, 0
	s_subb_u32 s22, s0, s19
	v_subrev_co_u32_e64 v2, s[0:1], s18, v1
	s_cmp_lg_u64 s[0:1], 0
	s_subb_u32 s0, s22, 0
	s_cmp_ge_u32 s0, s19
	v_readfirstlane_b32 s22, v2
	s_cselect_b32 s1, -1, 0
	s_cmp_ge_u32 s22, s18
	s_cselect_b32 s22, -1, 0
	s_cmp_eq_u32 s0, s19
	s_cselect_b32 s0, s22, s1
	s_add_u32 s1, s7, 1
	s_addc_u32 s22, s15, 0
	s_add_u32 s25, s7, 2
	s_addc_u32 s26, s15, 0
	s_cmp_lg_u32 s0, 0
	s_cselect_b32 s0, s25, s1
	s_cselect_b32 s1, s26, s22
	s_cmp_lg_u64 vcc, 0
	s_subb_u32 s22, s23, s24
	s_cmp_ge_u32 s22, s19
	v_readfirstlane_b32 s24, v1
	s_cselect_b32 s23, -1, 0
	s_cmp_ge_u32 s24, s18
	s_cselect_b32 s18, -1, 0
	s_cmp_eq_u32 s22, s19
	s_cselect_b32 s18, s18, s23
	s_cmp_lg_u32 s18, 0
	s_cselect_b32 s1, s1, s15
	s_cselect_b32 s0, s0, s7
	s_xor_b64 s[10:11], s[20:21], s[10:11]
	s_xor_b64 s[0:1], s[0:1], s[10:11]
	s_sub_u32 s0, s0, s10
	s_subb_u32 s1, s1, s11
	v_writelane_b32 v46, s0, 4
	v_writelane_b32 v46, s1, 5
	s_load_dwordx2 s[0:1], s[4:5], 0x0
	s_cbranch_execnz .LBB13_10
.LBB13_9:
	v_cvt_f32_u32_e32 v1, s30
	s_sub_i32 s7, 0, s30
	s_mov_b32 s11, 0
	v_rcp_iflag_f32_e32 v1, v1
	v_mul_f32_e32 v1, 0x4f7ffffe, v1
	v_cvt_u32_f32_e32 v1, v1
	v_readfirstlane_b32 s8, v1
	s_mul_i32 s7, s7, s8
	s_mul_hi_u32 s7, s8, s7
	s_add_i32 s8, s8, s7
	s_mul_hi_u32 s7, s28, s8
	s_mul_i32 s9, s7, s30
	s_sub_i32 s9, s28, s9
	s_add_i32 s8, s7, 1
	s_sub_i32 s10, s9, s30
	s_cmp_ge_u32 s9, s30
	s_cselect_b32 s7, s8, s7
	s_cselect_b32 s9, s10, s9
	s_add_i32 s8, s7, 1
	s_cmp_ge_u32 s9, s30
	s_cselect_b32 s10, s8, s7
	v_writelane_b32 v46, s10, 4
	v_writelane_b32 v46, s11, 5
.LBB13_10:
	s_load_dwordx2 s[8:9], s[4:5], 0x360
	v_writelane_b32 v46, s30, 6
	v_writelane_b32 v46, s31, 7
	s_mov_b32 s81, 0
	v_cmp_eq_u32_e64 s[20:21], 0, v0
	s_waitcnt lgkmcnt(0)
	v_writelane_b32 v46, s8, 8
	v_writelane_b32 v46, s9, 9
	s_load_dwordx2 s[8:9], s[4:5], 0x1c0
	s_waitcnt lgkmcnt(0)
	v_writelane_b32 v46, s8, 10
	v_writelane_b32 v46, s9, 11
	s_load_dwordx4 s[8:11], s[4:5], 0xd0
	s_mov_b64 s[18:19], exec
	v_writelane_b32 v46, s20, 12
	v_writelane_b32 v46, s21, 13
	s_and_b64 s[20:21], s[18:19], s[20:21]
	s_mov_b64 exec, s[20:21]
	s_cbranch_execz .LBB13_12
; %bb.11:
	v_mov_b32_e32 v2, 0
	v_mov_b32_e32 v4, s52
	;; [unrolled: 1-line block ×4, first 2 shown]
	ds_write_b32 v2, v2 offset:5136
	ds_write_b128 v2, v[2:5] offset:5120
.LBB13_12:
	s_or_b64 exec, exec, s[18:19]
	s_load_dwordx4 s[20:23], s[4:5], 0x430
                                        ; kill: killed $sgpr4 killed $sgpr5
	s_mul_i32 s3, s16, s3
	v_mov_b32_e32 v2, 0xc00
	v_mov_b32_e32 v3, 0
	;; [unrolled: 1-line block ×3, first 2 shown]
	s_waitcnt lgkmcnt(0)
	v_writelane_b32 v46, s20, 14
	v_writelane_b32 v46, s21, 15
	;; [unrolled: 1-line block ×4, first 2 shown]
	s_load_dwordx4 s[20:23], s[4:5], 0x290
	s_mul_hi_u32 s4, s16, s2
	s_add_i32 s3, s4, s3
	s_mul_i32 s4, s17, s2
	s_add_i32 s3, s3, s4
	s_waitcnt lgkmcnt(0)
	v_writelane_b32 v46, s20, 18
	v_writelane_b32 v46, s21, 19
	;; [unrolled: 1-line block ×4, first 2 shown]
	s_mul_i32 s2, s16, s2
	s_mov_b32 s4, s28
	v_writelane_b32 v46, s4, 22
	s_sub_u32 s2, s28, s2
	v_writelane_b32 v46, s5, 23
	s_subb_u32 s3, 0, s3
	s_mul_i32 s4, s2, s11
	s_mul_hi_u32 s5, s2, s10
	s_add_i32 s4, s5, s4
	s_mul_i32 s3, s3, s10
	s_add_i32 s4, s4, s3
	s_mul_i32 s3, s16, s9
	s_mul_hi_u32 s5, s16, s8
	s_add_i32 s3, s5, s3
	s_mul_i32 s5, s17, s8
	s_mul_i32 s2, s2, s10
	s_add_i32 s3, s3, s5
	s_mul_i32 s5, s16, s8
	s_add_u32 s2, s5, s2
	s_addc_u32 s3, s3, s4
	s_add_u32 s82, s0, s2
	s_addc_u32 s83, s1, s3
	v_cmp_gt_u32_e64 s[0:1], 2, v0
	v_writelane_b32 v46, s0, 24
	v_writelane_b32 v46, s1, 25
	v_cmp_gt_i64_e64 s[0:1], s[52:53], v[2:3]
	v_mbcnt_lo_u32_b32 v1, -1, 0
	v_writelane_b32 v46, s0, 26
	v_pk_mov_b32 v[4:5], s[82:83], s[82:83] op_sel:[0,1]
	v_mbcnt_hi_u32_b32 v34, -1, v1
	v_mov_b32_e32 v1, v13
	v_writelane_b32 v46, s1, 27
	v_mad_u64_u32 v[2:3], s[0:1], v0, s58, 0
	v_mad_u64_u32 v[10:11], s[0:1], v0, s58, v[4:5]
	v_cmp_gt_i64_e64 s[0:1], s[52:53], v[0:1]
	v_writelane_b32 v46, s0, 28
	s_barrier
	v_writelane_b32 v46, s1, 29
	s_load_dword s0, s[12:13], 0xc
	v_cmp_gt_u32_e32 vcc, 64, v0
	v_cmp_gt_i32_e64 s[2:3], 4, v34
	s_and_b64 s[48:49], vcc, s[2:3]
	v_lshrrev_b32_e32 v4, 4, v0
	s_waitcnt lgkmcnt(0)
	s_and_b32 s33, s0, 0xffff
	s_bfe_u32 s1, s0, 0xa0006
	v_cmp_gt_u16_e64 s[2:3], s0, 63
	v_writelane_b32 v46, s2, 30
	s_add_u32 s0, s33, -1
	v_writelane_b32 v46, s3, 31
	s_addc_u32 s2, 0, -1
	s_add_u32 s85, s0, s52
	s_addc_u32 s89, s2, s53
	s_cmp_lt_u32 s6, s14
	v_writelane_b32 v46, s0, 32
	s_cselect_b32 s0, 12, 18
	s_add_u32 s90, s12, s0
	s_addc_u32 s91, s13, 0
	s_add_i32 s0, s1, -1
	s_bfe_u32 s6, s33, 0x30006
	s_cmp_gt_u32 s0, 6
	v_writelane_b32 v46, s2, 33
	s_cselect_b64 s[8:9], -1, 0
	v_writelane_b32 v46, s8, 34
	s_and_b32 s2, s1, 0x3f8
	v_and_b32_e32 v35, 60, v4
	v_lshlrev_b32_e32 v4, 2, v34
	v_writelane_b32 v46, s9, 35
	s_cmp_lg_u32 s6, 0
	v_lshlrev_b32_e32 v14, 2, v0
	v_and_b32_e32 v36, 0x100, v4
	v_lshlrev_b64 v[4:5], v34, -1
	v_writelane_b32 v46, s6, 36
	s_cselect_b64 s[0:1], -1, 0
	v_not_b32_e32 v17, v5
	v_writelane_b32 v46, s0, 37
	v_or_b32_e32 v5, 3, v14
	v_writelane_b32 v46, s1, 38
	v_mad_u64_u32 v[18:19], s[0:1], s58, v5, 0
	v_not_b32_e32 v16, v4
	v_mov_b32_e32 v4, v19
	v_mad_u64_u32 v[4:5], s[0:1], s59, v5, v[4:5]
	s_lshl_b64 s[0:1], s[58:59], 2
	v_writelane_b32 v46, s0, 39
	v_or_b32_e32 v5, 2, v14
	v_writelane_b32 v46, s1, 40
	v_mad_u64_u32 v[20:21], s[0:1], s58, v5, 0
	v_mov_b32_e32 v19, v4
	v_mov_b32_e32 v4, v21
	v_mad_u64_u32 v[4:5], s[0:1], s59, v5, v[4:5]
	v_mov_b32_e32 v21, v4
	v_pk_mov_b32 v[4:5], s[58:59], s[58:59] op_sel:[0,1]
	v_mul_lo_u32 v6, v0, s59
	v_mad_u64_u32 v[22:23], s[0:1], s58, v14, v[4:5]
	v_add_u32_e32 v3, v3, v6
	v_mov_b32_e32 v4, v23
	v_mad_u64_u32 v[4:5], s[0:1], s59, v14, v[4:5]
	v_lshlrev_b64 v[24:25], 2, v[2:3]
	v_mov_b32_e32 v2, s53
	v_add_co_u32_e32 v37, vcc, s52, v0
	v_addc_co_u32_e32 v38, vcc, 0, v2, vcc
	v_mov_b32_e32 v2, 0xc00
	s_mul_i32 s0, s59, s33
	s_mul_hi_u32 s1, s58, s33
	v_cmp_eq_u32_e64 s[4:5], 0, v34
	v_add_u32_e32 v11, v6, v11
	v_mov_b32_e32 v15, v13
	s_mov_b32 s86, s81
	s_mov_b32 s3, 6
	v_mov_b32_e32 v23, v4
	v_lshl_or_b32 v39, v34, 3, v2
	s_add_i32 s87, s1, s0
	s_mul_i32 s26, s58, s33
	s_mov_b64 s[78:79], 0
	s_movk_i32 s76, 0x80
	v_cvt_f32_ubyte0_e32 v40, 0
	v_mov_b32_e32 v41, 0
	s_mov_b32 s77, 0
	s_mov_b32 s84, 0
	;; [unrolled: 1-line block ×3, first 2 shown]
	v_writelane_b32 v46, s48, 41
                                        ; implicit-def: $sgpr62_sgpr63
                                        ; implicit-def: $sgpr66_sgpr67
                                        ; implicit-def: $sgpr64_sgpr65
                                        ; implicit-def: $sgpr68_sgpr69
                                        ; implicit-def: $sgpr70_sgpr71
                                        ; implicit-def: $sgpr72_sgpr73
	v_writelane_b32 v46, s49, 42
	s_branch .LBB13_17
.LBB13_13:                              ;   in Loop: Header=BB13_17 Depth=1
	s_xor_b32 s77, s77, 1
	s_add_i32 s12, s3, -2
	s_cmp_eq_u32 s3, 0
	s_mov_b64 s[6:7], 0
	s_cselect_b64 s[8:9], -1, 0
	s_mov_b32 s3, s12
.LBB13_14:                              ;   in Loop: Header=BB13_17 Depth=1
	s_andn2_b64 s[12:13], s[18:19], exec
	s_and_b64 s[6:7], s[6:7], exec
	s_or_b64 s[18:19], s[12:13], s[6:7]
	s_andn2_b64 s[20:21], s[20:21], exec
	s_andn2_b64 s[16:17], s[16:17], exec
	s_orn2_b64 s[12:13], s[8:9], exec
.LBB13_15:                              ;   in Loop: Header=BB13_17 Depth=1
	s_or_b64 exec, exec, s[0:1]
	s_andn2_b64 s[0:1], s[72:73], exec
	s_and_b64 s[6:7], s[18:19], exec
	s_or_b64 s[72:73], s[0:1], s[6:7]
	s_andn2_b64 s[0:1], s[70:71], exec
	s_and_b64 s[6:7], s[20:21], exec
	s_or_b64 s[70:71], s[0:1], s[6:7]
	;; [unrolled: 3-line block ×3, first 2 shown]
	s_orn2_b64 s[16:17], s[12:13], exec
.LBB13_16:                              ;   in Loop: Header=BB13_17 Depth=1
	s_or_b64 exec, exec, s[10:11]
	s_and_b64 s[0:1], exec, s[16:17]
	s_or_b64 s[78:79], s[0:1], s[78:79]
	s_andn2_b64 s[0:1], s[64:65], exec
	s_and_b64 s[6:7], s[72:73], exec
	s_or_b64 s[64:65], s[0:1], s[6:7]
	s_andn2_b64 s[0:1], s[66:67], exec
	s_and_b64 s[6:7], s[70:71], exec
	s_or_b64 s[66:67], s[0:1], s[6:7]
	s_andn2_b64 s[0:1], s[62:63], exec
	s_and_b64 s[6:7], s[68:69], exec
	v_mov_b32_e32 v2, s84
	s_or_b64 s[62:63], s[0:1], s[6:7]
	s_andn2_b64 exec, exec, s[78:79]
	s_cbranch_execz .LBB13_284
.LBB13_17:                              ; =>This Loop Header: Depth=1
                                        ;     Child Loop BB13_22 Depth 2
                                        ;     Child Loop BB13_41 Depth 2
	;; [unrolled: 1-line block ×16, first 2 shown]
	ds_read_b128 v[2:5], v13 offset:5120
	s_waitcnt lgkmcnt(0)
	v_readfirstlane_b32 s75, v3
	v_readfirstlane_b32 s74, v2
	v_cmp_gt_i64_e64 s[0:1], s[74:75], 0
	s_and_b64 vcc, exec, s[0:1]
	s_cbranch_vccnz .LBB13_48
; %bb.18:                               ;   in Loop: Header=BB13_17 Depth=1
	v_readlane_b32 s0, v46, 26
	v_readlane_b32 s1, v46, 27
	s_and_b64 vcc, exec, s[0:1]
	s_cbranch_vccz .LBB13_30
; %bb.19:                               ;   in Loop: Header=BB13_17 Depth=1
	s_mov_b64 s[0:1], 0xc01
	v_cmp_gt_i64_e32 vcc, s[0:1], v[4:5]
	s_mov_b64 s[0:1], 0
	s_mov_b64 s[6:7], 0
	s_cbranch_vccz .LBB13_35
; %bb.20:                               ;   in Loop: Header=BB13_17 Depth=1
	global_load_ushort v6, v13, s[90:91]
	global_load_ubyte v7, v[10:11], off
	v_pk_mov_b32 v[2:3], s[82:83], s[82:83] op_sel:[0,1]
	s_mov_b64 s[8:9], 0
	s_waitcnt vmcnt(1)
	v_readfirstlane_b32 s6, v6
	s_and_b32 s6, 0xffff, s6
	v_add_u32_e32 v5, s6, v0
	s_mul_i32 s10, s59, s6
	s_mul_hi_u32 s11, s58, s6
	s_mul_i32 s18, s58, s6
	v_mad_u64_u32 v[2:3], s[6:7], s58, v5, v[2:3]
	v_mov_b32_e32 v4, v3
	v_mad_u64_u32 v[4:5], s[6:7], s59, v5, v[4:5]
	s_add_i32 s19, s11, s10
	v_mov_b32_e32 v3, v4
	v_pk_mov_b32 v[4:5], v[0:1], v[0:1] op_sel:[0,1]
	s_branch .LBB13_22
.LBB13_21:                              ;   in Loop: Header=BB13_22 Depth=2
	s_or_b64 exec, exec, s[6:7]
	v_mov_b32_e32 v7, s19
	v_add_co_u32_e32 v2, vcc, s18, v2
	v_addc_co_u32_e32 v3, vcc, v3, v7, vcc
	v_mov_b32_e32 v7, v8
	s_andn2_b64 exec, exec, s[8:9]
	s_cbranch_execz .LBB13_31
.LBB13_22:                              ;   Parent Loop BB13_17 Depth=1
                                        ; =>  This Inner Loop Header: Depth=2
	v_add_co_u32_sdwa v4, vcc, v4, v6 dst_sel:DWORD dst_unused:UNUSED_PAD src0_sel:DWORD src1_sel:WORD_0
	v_addc_co_u32_e32 v5, vcc, 0, v5, vcc
	v_cmp_gt_i64_e64 s[6:7], s[52:53], v[4:5]
	v_cmp_le_i64_e32 vcc, s[52:53], v[4:5]
	s_waitcnt lgkmcnt(0)
	v_mov_b32_e32 v9, 0
	v_mov_b32_e32 v8, 0
	s_and_saveexec_b64 s[10:11], s[6:7]
	s_cbranch_execz .LBB13_24
; %bb.23:                               ;   in Loop: Header=BB13_22 Depth=2
	global_load_ubyte v8, v[2:3], off
.LBB13_24:                              ;   in Loop: Header=BB13_22 Depth=2
	s_or_b64 exec, exec, s[10:11]
	s_waitcnt vmcnt(0)
	v_add_u32_sdwa v12, sext(v7), s76 dst_sel:DWORD dst_unused:UNUSED_PAD src0_sel:BYTE_0 src1_sel:DWORD
	v_and_b32_e32 v12, s27, v12
	v_cmp_eq_u32_e64 s[10:11], s84, v12
	s_cmp_lg_u64 s[10:11], 0
	s_cselect_b64 s[6:7], -1, 0
	s_and_b64 s[6:7], s[4:5], s[6:7]
	s_and_saveexec_b64 s[12:13], s[6:7]
	s_cbranch_execz .LBB13_28
; %bb.25:                               ;   in Loop: Header=BB13_22 Depth=2
	s_mov_b64 s[16:17], exec
	v_mbcnt_lo_u32_b32 v9, s16, 0
	v_mbcnt_hi_u32_b32 v9, s17, v9
	s_bcnt1_i32_b64 s20, s[10:11]
	v_cmp_eq_u32_e64 s[6:7], 0, v9
                                        ; implicit-def: $vgpr12
	s_and_saveexec_b64 s[14:15], s[6:7]
	s_cbranch_execz .LBB13_27
; %bb.26:                               ;   in Loop: Header=BB13_22 Depth=2
	s_bcnt1_i32_b64 s6, s[16:17]
	s_mul_i32 s6, s20, s6
	v_mov_b32_e32 v12, s6
	ds_add_rtn_u32 v12, v13, v12 offset:5136
.LBB13_27:                              ;   in Loop: Header=BB13_22 Depth=2
	s_or_b64 exec, exec, s[14:15]
	s_waitcnt lgkmcnt(0)
	v_readfirstlane_b32 s6, v12
	v_mov_b32_e32 v12, s6
	v_mad_u32_u24 v9, s20, v9, v12
.LBB13_28:                              ;   in Loop: Header=BB13_22 Depth=2
	s_or_b64 exec, exec, s[12:13]
	ds_bpermute_b32 v9, v36, v9
	s_and_b64 s[6:7], exec, vcc
	s_or_b64 s[8:9], s[6:7], s[8:9]
	s_and_saveexec_b64 s[6:7], s[10:11]
	s_cbranch_execz .LBB13_21
; %bb.29:                               ;   in Loop: Header=BB13_22 Depth=2
	v_and_b32_e32 v26, s10, v16
	v_and_b32_e32 v12, s11, v17
	v_bcnt_u32_b32 v26, v26, 0
	v_bcnt_u32_b32 v12, v12, v26
	s_waitcnt lgkmcnt(0)
	v_add_u32_e32 v9, v9, v12
	ds_write_b8 v9, v7
	s_branch .LBB13_21
.LBB13_30:                              ;   in Loop: Header=BB13_17 Depth=1
	s_mov_b64 s[0:1], -1
	s_mov_b64 s[6:7], 0
	s_branch .LBB13_34
.LBB13_31:                              ;   in Loop: Header=BB13_17 Depth=1
	s_or_b64 exec, exec, s[8:9]
	s_waitcnt lgkmcnt(0)
	s_barrier
	s_mov_b64 s[6:7], exec
	v_readlane_b32 s8, v46, 12
	v_readlane_b32 s9, v46, 13
	s_and_b64 s[8:9], s[6:7], s[8:9]
	s_mov_b64 exec, s[8:9]
	s_cbranch_execz .LBB13_33
; %bb.32:                               ;   in Loop: Header=BB13_17 Depth=1
	ds_read_b32 v2, v13 offset:5136
	s_waitcnt lgkmcnt(0)
	v_ashrrev_i32_e32 v3, 31, v2
	ds_write_b64 v13, v[2:3] offset:5120
.LBB13_33:                              ;   in Loop: Header=BB13_17 Depth=1
	s_or_b64 exec, exec, s[6:7]
	s_waitcnt lgkmcnt(0)
	s_barrier
	s_mov_b64 s[6:7], -1
.LBB13_34:                              ;   in Loop: Header=BB13_17 Depth=1
                                        ; implicit-def: $sgpr74_sgpr75
.LBB13_35:                              ;   in Loop: Header=BB13_17 Depth=1
	s_and_b64 vcc, exec, s[0:1]
	s_cbranch_vccz .LBB13_46
; %bb.36:                               ;   in Loop: Header=BB13_17 Depth=1
	v_mov_b32_e32 v6, 0
	s_mov_b64 s[0:1], exec
	v_readlane_b32 s6, v46, 28
	v_readlane_b32 s7, v46, 29
	s_and_b64 s[6:7], s[0:1], s[6:7]
	s_mov_b64 exec, s[6:7]
	s_cbranch_execz .LBB13_38
; %bb.37:                               ;   in Loop: Header=BB13_17 Depth=1
	global_load_ubyte v6, v[10:11], off
.LBB13_38:                              ;   in Loop: Header=BB13_17 Depth=1
	s_or_b64 exec, exec, s[0:1]
	s_mov_b64 s[0:1], exec
	v_readlane_b32 s6, v46, 28
	v_readlane_b32 s7, v46, 29
	s_and_b64 s[6:7], s[0:1], s[6:7]
	s_mov_b64 exec, s[6:7]
	s_cbranch_execz .LBB13_43
; %bb.39:                               ;   in Loop: Header=BB13_17 Depth=1
	global_load_ushort v7, v13, s[90:91]
	v_pk_mov_b32 v[2:3], s[82:83], s[82:83] op_sel:[0,1]
	s_mov_b64 s[8:9], 0
	v_mov_b32_e32 v8, v0
	s_waitcnt vmcnt(0)
	v_readfirstlane_b32 s6, v7
	s_and_b32 s12, 0xffff, s6
	v_add_u32_e32 v5, s12, v0
	v_mad_u64_u32 v[2:3], s[6:7], s58, v5, v[2:3]
	v_mov_b32_e32 v4, v3
	s_mul_i32 s10, s59, s12
	s_mul_hi_u32 s11, s58, s12
	v_mad_u64_u32 v[4:5], s[6:7], s59, v5, v[4:5]
	s_mul_i32 s13, s58, s12
	s_add_i32 s14, s11, s10
	v_mov_b32_e32 v3, v4
	v_pk_mov_b32 v[4:5], v[0:1], v[0:1] op_sel:[0,1]
	s_branch .LBB13_41
.LBB13_40:                              ;   in Loop: Header=BB13_41 Depth=2
	s_or_b64 exec, exec, s[10:11]
	s_and_b64 s[6:7], exec, vcc
	ds_write_b8 v8, v6
	v_mov_b32_e32 v6, s14
	v_add_co_u32_e32 v2, vcc, s13, v2
	s_or_b64 s[8:9], s[6:7], s[8:9]
	v_add_u32_e32 v8, s12, v8
	v_addc_co_u32_e32 v3, vcc, v3, v6, vcc
	s_waitcnt vmcnt(0)
	v_mov_b32_e32 v6, v9
	s_andn2_b64 exec, exec, s[8:9]
	s_cbranch_execz .LBB13_43
.LBB13_41:                              ;   Parent Loop BB13_17 Depth=1
                                        ; =>  This Inner Loop Header: Depth=2
	v_add_co_u32_sdwa v4, vcc, v4, v7 dst_sel:DWORD dst_unused:UNUSED_PAD src0_sel:DWORD src1_sel:WORD_0
	v_addc_co_u32_e32 v5, vcc, 0, v5, vcc
	v_cmp_gt_i64_e64 s[6:7], s[52:53], v[4:5]
	v_cmp_le_i64_e32 vcc, s[52:53], v[4:5]
	v_mov_b32_e32 v9, 0
	s_and_saveexec_b64 s[10:11], s[6:7]
	s_cbranch_execz .LBB13_40
; %bb.42:                               ;   in Loop: Header=BB13_41 Depth=2
	global_load_ubyte v9, v[2:3], off
	s_branch .LBB13_40
.LBB13_43:                              ;   in Loop: Header=BB13_17 Depth=1
	s_or_b64 exec, exec, s[0:1]
	s_waitcnt lgkmcnt(0)
	s_barrier
	s_mov_b64 s[0:1], exec
	v_readlane_b32 s6, v46, 12
	v_readlane_b32 s7, v46, 13
	s_and_b64 s[6:7], s[0:1], s[6:7]
	s_mov_b64 exec, s[6:7]
	s_cbranch_execz .LBB13_45
; %bb.44:                               ;   in Loop: Header=BB13_17 Depth=1
	v_pk_mov_b32 v[2:3], s[52:53], s[52:53] op_sel:[0,1]
	ds_write_b64 v13, v[2:3] offset:5120
.LBB13_45:                              ;   in Loop: Header=BB13_17 Depth=1
	s_or_b64 exec, exec, s[0:1]
	s_mov_b64 s[6:7], -1
	s_waitcnt lgkmcnt(0)
	s_barrier
                                        ; implicit-def: $sgpr74_sgpr75
.LBB13_46:                              ;   in Loop: Header=BB13_17 Depth=1
	s_and_b64 vcc, exec, s[6:7]
	s_cbranch_vccz .LBB13_48
; %bb.47:                               ;   in Loop: Header=BB13_17 Depth=1
	ds_read_b64 v[2:3], v13 offset:5120
	s_waitcnt lgkmcnt(0)
	v_readfirstlane_b32 s74, v2
.LBB13_48:                              ;   in Loop: Header=BB13_17 Depth=1
	s_cmp_lt_i32 s74, 1
	s_cbranch_scc0 .LBB13_63
; %bb.49:                               ;   in Loop: Header=BB13_17 Depth=1
	global_load_ushort v2, v13, s[90:91]
	s_mov_b32 s0, s81
	s_waitcnt vmcnt(0)
	v_readfirstlane_b32 s1, v2
	s_and_b32 s1, 0xffff, s1
	s_lshl_b32 s75, s1, 2
	s_mov_b32 s1, s53
	s_cmp_lg_u64 s[0:1], 0
	s_cbranch_scc0 .LBB13_83
; %bb.50:                               ;   in Loop: Header=BB13_17 Depth=1
	v_cvt_f32_u32_e32 v3, s75
	s_sub_u32 s0, 0, s75
	s_subb_u32 s1, 0, 0
	v_mac_f32_e32 v3, 0x4f800000, v40
	v_rcp_f32_e32 v3, v3
	v_mul_f32_e32 v3, 0x5f7ffffc, v3
	v_mul_f32_e32 v4, 0x2f800000, v3
	v_trunc_f32_e32 v4, v4
	v_mac_f32_e32 v3, 0xcf800000, v4
	v_cvt_u32_f32_e32 v4, v4
	v_cvt_u32_f32_e32 v3, v3
	v_readfirstlane_b32 s6, v4
	v_readfirstlane_b32 s7, v3
	s_mul_i32 s8, s0, s6
	s_mul_hi_u32 s10, s0, s7
	s_mul_i32 s9, s1, s7
	s_add_i32 s8, s10, s8
	s_mul_i32 s11, s0, s7
	s_add_i32 s8, s8, s9
	s_mul_hi_u32 s10, s7, s11
	s_mul_hi_u32 s9, s7, s8
	s_mul_i32 s7, s7, s8
	s_add_u32 s7, s10, s7
	s_addc_u32 s9, 0, s9
	s_mul_hi_u32 s12, s6, s11
	s_mul_i32 s11, s6, s11
	s_add_u32 s7, s7, s11
	s_mul_hi_u32 s10, s6, s8
	s_addc_u32 s7, s9, s12
	s_addc_u32 s9, s10, 0
	s_mul_i32 s8, s6, s8
	s_add_u32 s7, s7, s8
	s_addc_u32 s8, 0, s9
	v_add_co_u32_e32 v3, vcc, s7, v3
	s_cmp_lg_u64 vcc, 0
	s_addc_u32 s6, s6, s8
	v_readfirstlane_b32 s8, v3
	s_mul_i32 s7, s0, s6
	s_mul_hi_u32 s9, s0, s8
	s_add_i32 s7, s9, s7
	s_mul_i32 s1, s1, s8
	s_add_i32 s7, s7, s1
	s_mul_i32 s0, s0, s8
	s_mul_hi_u32 s9, s6, s0
	s_mul_i32 s10, s6, s0
	s_mul_i32 s12, s8, s7
	s_mul_hi_u32 s0, s8, s0
	s_mul_hi_u32 s11, s8, s7
	s_add_u32 s0, s0, s12
	s_addc_u32 s8, 0, s11
	s_add_u32 s0, s0, s10
	s_mul_hi_u32 s1, s6, s7
	s_addc_u32 s0, s8, s9
	s_addc_u32 s1, s1, 0
	s_mul_i32 s7, s6, s7
	s_add_u32 s0, s0, s7
	s_addc_u32 s1, 0, s1
	v_add_co_u32_e32 v3, vcc, s0, v3
	s_cmp_lg_u64 vcc, 0
	s_addc_u32 s8, s6, s1
	s_ashr_i32 s0, s53, 31
	s_add_u32 s6, s52, s0
	s_mov_b32 s1, s0
	s_addc_u32 s7, s53, s0
	s_xor_b64 s[6:7], s[6:7], s[0:1]
	v_readfirstlane_b32 s10, v3
	s_mul_i32 s9, s6, s8
	s_mul_hi_u32 s11, s6, s10
	s_mul_hi_u32 s1, s6, s8
	s_add_u32 s9, s11, s9
	s_addc_u32 s1, 0, s1
	s_mul_hi_u32 s12, s7, s10
	s_mul_i32 s10, s7, s10
	s_add_u32 s9, s9, s10
	s_mul_hi_u32 s11, s7, s8
	s_addc_u32 s1, s1, s12
	s_addc_u32 s9, s11, 0
	s_mul_i32 s8, s7, s8
	s_add_u32 s1, s1, s8
	s_addc_u32 s8, 0, s9
	s_mul_hi_u32 s9, s75, s1
	s_mul_i32 s1, s75, s1
	s_mul_i32 s8, s75, s8
	v_mov_b32_e32 v3, s1
	s_add_i32 s9, s9, s8
	v_sub_co_u32_e32 v3, vcc, s6, v3
	s_cmp_lg_u64 vcc, 0
	s_subb_u32 s1, s7, s9
	v_subrev_co_u32_e32 v4, vcc, s75, v3
	s_cmp_lg_u64 vcc, 0
	s_subb_u32 s6, s1, 0
	v_subrev_co_u32_e32 v5, vcc, s75, v4
	s_cmp_lg_u64 vcc, 0
	s_subb_u32 s7, s6, 0
	v_cmp_le_u32_e32 vcc, s75, v4
	s_cmp_eq_u32 s6, 0
	v_cndmask_b32_e64 v6, 0, -1, vcc
	s_cselect_b64 vcc, -1, 0
	v_cndmask_b32_e32 v6, -1, v6, vcc
	v_mov_b32_e32 v7, s6
	v_mov_b32_e32 v8, s7
	v_cmp_ne_u32_e32 vcc, 0, v6
	v_cndmask_b32_e32 v6, v7, v8, vcc
	v_cndmask_b32_e32 v4, v4, v5, vcc
	v_cmp_le_u32_e32 vcc, s75, v3
	s_cmp_eq_u32 s1, 0
	v_cndmask_b32_e64 v5, 0, -1, vcc
	s_cselect_b64 vcc, -1, 0
	v_cndmask_b32_e32 v5, -1, v5, vcc
	v_cmp_ne_u32_e32 vcc, 0, v5
	v_mov_b32_e32 v7, s1
	v_cndmask_b32_e32 v3, v3, v4, vcc
	v_cndmask_b32_e32 v5, v7, v6, vcc
	v_xor_b32_e32 v3, s0, v3
	v_xor_b32_e32 v4, s0, v5
	v_mov_b32_e32 v5, s0
	v_subrev_co_u32_e32 v26, vcc, s0, v3
	v_subb_co_u32_e32 v27, vcc, v4, v5, vcc
	s_cbranch_execnz .LBB13_52
.LBB13_51:                              ;   in Loop: Header=BB13_17 Depth=1
	v_cvt_f32_u32_e32 v3, s75
	s_sub_i32 s0, 0, s75
	v_rcp_iflag_f32_e32 v3, v3
	v_mul_f32_e32 v3, 0x4f7ffffe, v3
	v_cvt_u32_f32_e32 v3, v3
	v_mul_lo_u32 v4, s0, v3
	v_mul_hi_u32 v4, v3, v4
	v_add_u32_e32 v3, v3, v4
	v_mul_hi_u32 v3, s52, v3
	v_mul_lo_u32 v3, v3, s75
	v_sub_u32_e32 v3, s52, v3
	v_subrev_u32_e32 v4, s75, v3
	v_cmp_le_u32_e32 vcc, s75, v3
	v_cndmask_b32_e32 v3, v3, v4, vcc
	v_subrev_u32_e32 v4, s75, v3
	v_cmp_le_u32_e32 vcc, s75, v3
	v_cndmask_b32_e32 v12, v3, v4, vcc
	v_pk_mov_b32 v[26:27], v[12:13], v[12:13] op_sel:[0,1]
.LBB13_52:                              ;   in Loop: Header=BB13_17 Depth=1
	v_and_b32_e32 v12, 0xffff, v2
	v_mov_b32_e32 v2, s53
	v_sub_co_u32_e32 v28, vcc, s52, v26
	v_subb_co_u32_e32 v29, vcc, v2, v27, vcc
	v_pk_mov_b32 v[2:3], 0, 0
	v_cmp_gt_i64_e32 vcc, v[28:29], v[14:15]
	s_mov_b64 s[92:93], 0
	v_pk_mov_b32 v[4:5], v[2:3], v[2:3] op_sel:[0,1]
	v_pk_mov_b32 v[6:7], v[2:3], v[2:3] op_sel:[0,1]
	;; [unrolled: 1-line block ×3, first 2 shown]
	s_and_saveexec_b64 s[60:61], vcc
	s_cbranch_execz .LBB13_56
; %bb.53:                               ;   in Loop: Header=BB13_17 Depth=1
	v_readlane_b32 s0, v46, 39
	v_readlane_b32 s1, v46, 40
	v_mul_lo_u32 v2, s1, v12
	v_mul_hi_u32 v3, s0, v12
	s_and_b32 s80, s3, 0xfe
	v_add_u32_e32 v42, v3, v2
	v_mul_lo_u32 v43, s0, v12
	v_pk_mov_b32 v[30:31], s[82:83], s[82:83] op_sel:[0,1]
	s_mov_b64 s[94:95], 0
	s_mov_b64 s[56:57], 0
	;; [unrolled: 1-line block ×4, first 2 shown]
	v_pk_mov_b32 v[32:33], v[14:15], v[14:15] op_sel:[0,1]
.LBB13_54:                              ;   Parent Loop BB13_17 Depth=1
                                        ; =>  This Inner Loop Header: Depth=2
	v_add_co_u32_e32 v2, vcc, v30, v24
	v_addc_co_u32_e32 v3, vcc, v31, v25, vcc
	v_add_co_u32_e32 v4, vcc, v30, v22
	v_addc_co_u32_e32 v5, vcc, v31, v23, vcc
	;; [unrolled: 2-line block ×4, first 2 shown]
	global_load_sbyte v2, v[2:3], off
	s_nop 0
	global_load_sbyte v3, v[4:5], off
	s_nop 0
	global_load_sbyte v4, v[6:7], off
	global_load_sbyte v5, v[8:9], off
	v_add_co_u32_e32 v32, vcc, s75, v32
	v_addc_co_u32_e32 v33, vcc, 0, v33, vcc
	v_add_co_u32_e32 v30, vcc, v30, v43
	v_addc_co_u32_e32 v31, vcc, v31, v42, vcc
	v_cmp_ge_i64_e32 vcc, v[32:33], v[28:29]
	s_waitcnt vmcnt(3)
	v_add_u32_e32 v2, 0x80, v2
	s_waitcnt vmcnt(2)
	v_add_u32_e32 v3, 0x80, v3
	v_and_b32_e32 v6, s27, v2
	v_bfe_u32 v2, v2, s80, 2
	s_waitcnt vmcnt(1)
	v_add_u32_e32 v4, 0x80, v4
	v_and_b32_e32 v7, s27, v3
	v_bfe_u32 v3, v3, s80, 2
	v_cmp_eq_u32_e64 s[16:17], s84, v6
	v_cmp_eq_u32_e64 s[6:7], 0, v2
	s_waitcnt vmcnt(0)
	v_add_u32_e32 v5, 0x80, v5
	v_and_b32_e32 v8, s27, v4
	v_bfe_u32 v4, v4, s80, 2
	v_cmp_eq_u32_e64 s[14:15], s84, v7
	v_cmp_eq_u32_e64 s[28:29], 0, v3
	s_and_b64 s[6:7], s[16:17], s[6:7]
	v_and_b32_e32 v9, s27, v5
	v_bfe_u32 v5, v5, s80, 2
	v_cmp_eq_u32_e64 s[12:13], s84, v8
	v_cmp_eq_u32_e64 s[30:31], 0, v4
	;; [unrolled: 1-line block ×5, first 2 shown]
	v_cndmask_b32_e64 v2, 0, 1, s[6:7]
	s_and_b64 s[6:7], s[14:15], s[28:29]
	v_cmp_eq_u32_e64 s[10:11], s84, v9
	v_cmp_eq_u32_e64 s[34:35], 0, v5
	;; [unrolled: 1-line block ×5, first 2 shown]
	v_cndmask_b32_e64 v3, 0, 1, s[6:7]
	s_and_b64 s[6:7], s[12:13], s[30:31]
	v_cmp_eq_u32_e64 s[40:41], 1, v4
	v_cmp_eq_u32_e64 s[48:49], 2, v4
	v_cmp_eq_u32_e64 s[20:21], 3, v4
	v_cndmask_b32_e64 v4, 0, 1, s[6:7]
	s_and_b64 s[6:7], s[10:11], s[34:35]
	v_cmp_eq_u32_e64 s[42:43], 1, v5
	v_cmp_eq_u32_e64 s[50:51], 2, v5
	;; [unrolled: 1-line block ×3, first 2 shown]
	v_cndmask_b32_e64 v5, 0, 1, s[6:7]
	v_cmp_ne_u32_e64 s[6:7], 0, v2
	v_cmp_ne_u32_e64 s[28:29], 0, v3
	v_cmp_ne_u32_e64 s[30:31], 0, v4
	v_cmp_ne_u32_e64 s[34:35], 0, v5
	s_bcnt1_i32_b64 s6, s[6:7]
	s_bcnt1_i32_b64 s7, s[28:29]
	s_bcnt1_i32_b64 s28, s[30:31]
	s_bcnt1_i32_b64 s29, s[34:35]
	s_add_u32 s6, s6, s8
	s_addc_u32 s8, 0, s9
	s_add_u32 s6, s6, s7
	s_addc_u32 s7, s8, 0
	s_add_u32 s6, s6, s28
	s_addc_u32 s7, s7, 0
	s_add_u32 s8, s6, s29
	s_addc_u32 s9, s7, 0
	s_and_b64 s[6:7], s[16:17], s[36:37]
	v_cndmask_b32_e64 v4, 0, 1, s[6:7]
	s_and_b64 s[6:7], s[14:15], s[38:39]
	v_cndmask_b32_e64 v5, 0, 1, s[6:7]
	s_and_b64 s[6:7], s[12:13], s[40:41]
	v_cndmask_b32_e64 v6, 0, 1, s[6:7]
	s_and_b64 s[6:7], s[10:11], s[42:43]
	v_cndmask_b32_e64 v7, 0, 1, s[6:7]
	v_cmp_ne_u32_e64 s[6:7], 0, v4
	v_cmp_ne_u32_e64 s[28:29], 0, v5
	v_cmp_ne_u32_e64 s[30:31], 0, v6
	v_cmp_ne_u32_e64 s[34:35], 0, v7
	s_bcnt1_i32_b64 s6, s[6:7]
	s_bcnt1_i32_b64 s7, s[28:29]
	s_bcnt1_i32_b64 s28, s[30:31]
	s_bcnt1_i32_b64 s29, s[34:35]
	s_add_u32 s0, s6, s0
	s_addc_u32 s1, 0, s1
	s_add_u32 s0, s0, s7
	s_addc_u32 s1, s1, 0
	s_add_u32 s0, s0, s28
	s_addc_u32 s1, s1, 0
	s_add_u32 s0, s0, s29
	s_addc_u32 s1, s1, 0
	s_and_b64 s[6:7], s[16:17], s[44:45]
	v_cndmask_b32_e64 v6, 0, 1, s[6:7]
	s_and_b64 s[6:7], s[14:15], s[46:47]
	v_cndmask_b32_e64 v7, 0, 1, s[6:7]
	s_and_b64 s[6:7], s[12:13], s[48:49]
	v_cndmask_b32_e64 v8, 0, 1, s[6:7]
	s_and_b64 s[6:7], s[10:11], s[50:51]
	;; [unrolled: 24-line block ×3, first 2 shown]
	v_cndmask_b32_e64 v45, 0, 1, s[6:7]
	v_cmp_ne_u32_e64 s[6:7], 0, v8
	v_cmp_ne_u32_e64 s[10:11], 0, v9
	;; [unrolled: 1-line block ×4, first 2 shown]
	s_bcnt1_i32_b64 s6, s[6:7]
	s_bcnt1_i32_b64 s7, s[10:11]
	;; [unrolled: 1-line block ×4, first 2 shown]
	s_add_u32 s6, s6, s94
	s_addc_u32 s12, 0, s95
	s_add_u32 s6, s6, s7
	s_addc_u32 s7, s12, 0
	;; [unrolled: 2-line block ×4, first 2 shown]
	v_pk_mov_b32 v[2:3], s[8:9], s[8:9] op_sel:[0,1]
	v_pk_mov_b32 v[4:5], s[0:1], s[0:1] op_sel:[0,1]
	;; [unrolled: 1-line block ×3, first 2 shown]
	s_or_b64 s[92:93], vcc, s[92:93]
	v_pk_mov_b32 v[8:9], s[94:95], s[94:95] op_sel:[0,1]
	s_andn2_b64 exec, exec, s[92:93]
	s_cbranch_execnz .LBB13_54
; %bb.55:                               ;   in Loop: Header=BB13_17 Depth=1
	s_or_b64 exec, exec, s[92:93]
	v_readlane_b32 s48, v46, 41
	v_readlane_b32 s49, v46, 42
.LBB13_56:                              ;   in Loop: Header=BB13_17 Depth=1
	s_or_b64 exec, exec, s[60:61]
	v_add_co_u32_e32 v28, vcc, v28, v0
	v_addc_co_u32_e32 v29, vcc, 0, v29, vcc
	v_cmp_gt_i64_e32 vcc, s[52:53], v[28:29]
	v_mov_b32_e32 v32, 0
	s_and_saveexec_b64 s[0:1], vcc
	s_cbranch_execz .LBB13_58
; %bb.57:                               ;   in Loop: Header=BB13_17 Depth=1
	v_pk_mov_b32 v[30:31], s[82:83], s[82:83] op_sel:[0,1]
	v_mad_u64_u32 v[30:31], s[6:7], v28, s58, v[30:31]
	v_mul_lo_u32 v32, v28, s59
	v_mul_lo_u32 v33, v29, s58
	v_add3_u32 v31, v33, v31, v32
	global_load_ubyte v32, v[30:31], off
.LBB13_58:                              ;   in Loop: Header=BB13_17 Depth=1
	s_or_b64 exec, exec, s[0:1]
	s_and_saveexec_b64 s[0:1], vcc
	s_cbranch_execz .LBB13_65
; %bb.59:                               ;   in Loop: Header=BB13_17 Depth=1
	v_add_co_u32_e32 v30, vcc, v37, v12
	v_addc_co_u32_e32 v31, vcc, 0, v38, vcc
	v_sub_co_u32_e32 v30, vcc, v30, v26
	v_subb_co_u32_e32 v26, vcc, v31, v27, vcc
	v_mul_lo_u32 v31, s58, v26
	v_pk_mov_b32 v[26:27], s[82:83], s[82:83] op_sel:[0,1]
	v_mul_lo_u32 v33, s59, v30
	v_mad_u64_u32 v[26:27], s[6:7], s58, v30, v[26:27]
	v_add3_u32 v27, v33, v27, v31
	v_mul_lo_u32 v30, s59, v12
	v_mul_hi_u32 v31, s58, v12
	s_and_b32 s12, s3, 0xfe
	v_add_u32_e32 v30, v31, v30
	v_mul_lo_u32 v31, s58, v12
	s_mov_b64 s[8:9], 0
	s_branch .LBB13_61
.LBB13_60:                              ;   in Loop: Header=BB13_61 Depth=2
	s_or_b64 exec, exec, s[10:11]
	s_waitcnt vmcnt(0)
	v_add_u32_sdwa v32, sext(v32), s76 dst_sel:DWORD dst_unused:UNUSED_PAD src0_sel:BYTE_0 src1_sel:DWORD
	s_and_b64 s[6:7], exec, vcc
	v_and_b32_e32 v42, s27, v32
	v_bfe_u32 v32, v32, s12, 2
	s_or_b64 s[8:9], s[6:7], s[8:9]
	v_cmp_eq_u32_e32 vcc, s84, v42
	v_cmp_eq_u32_e64 s[6:7], 0, v32
	s_and_b64 s[6:7], vcc, s[6:7]
	v_cndmask_b32_e64 v42, 0, 1, s[6:7]
	v_cmp_ne_u32_e64 s[6:7], 0, v42
	s_bcnt1_i32_b64 s6, s[6:7]
	v_add_co_u32_e64 v2, s[6:7], s6, v2
	v_addc_co_u32_e64 v3, s[6:7], 0, v3, s[6:7]
	v_cmp_eq_u32_e64 s[6:7], 1, v32
	s_and_b64 s[6:7], vcc, s[6:7]
	v_cndmask_b32_e64 v42, 0, 1, s[6:7]
	v_cmp_ne_u32_e64 s[6:7], 0, v42
	s_bcnt1_i32_b64 s6, s[6:7]
	v_add_co_u32_e64 v4, s[6:7], s6, v4
	v_addc_co_u32_e64 v5, s[6:7], 0, v5, s[6:7]
	;; [unrolled: 7-line block ×3, first 2 shown]
	v_cmp_eq_u32_e64 s[6:7], 3, v32
	s_and_b64 s[6:7], vcc, s[6:7]
	v_cndmask_b32_e64 v32, 0, 1, s[6:7]
	v_cmp_ne_u32_e32 vcc, 0, v32
	s_bcnt1_i32_b64 s6, vcc
	v_add_co_u32_e32 v8, vcc, s6, v8
	v_addc_co_u32_e32 v9, vcc, 0, v9, vcc
	v_add_co_u32_e32 v26, vcc, v26, v31
	v_addc_co_u32_e32 v27, vcc, v27, v30, vcc
	v_mov_b32_e32 v32, v33
	s_andn2_b64 exec, exec, s[8:9]
	s_cbranch_execz .LBB13_64
.LBB13_61:                              ;   Parent Loop BB13_17 Depth=1
                                        ; =>  This Inner Loop Header: Depth=2
	v_add_co_u32_e32 v28, vcc, v28, v12
	v_addc_co_u32_e32 v29, vcc, 0, v29, vcc
	v_cmp_gt_i64_e64 s[6:7], s[52:53], v[28:29]
	v_cmp_le_i64_e32 vcc, s[52:53], v[28:29]
	v_mov_b32_e32 v33, 0
	s_and_saveexec_b64 s[10:11], s[6:7]
	s_cbranch_execz .LBB13_60
; %bb.62:                               ;   in Loop: Header=BB13_61 Depth=2
	global_load_ubyte v33, v[26:27], off
	s_branch .LBB13_60
.LBB13_63:                              ;   in Loop: Header=BB13_17 Depth=1
                                        ; implicit-def: $vgpr8_vgpr9
                                        ; implicit-def: $vgpr4_vgpr5
	s_cbranch_execnz .LBB13_66
	s_branch .LBB13_75
.LBB13_64:                              ;   in Loop: Header=BB13_17 Depth=1
	s_or_b64 exec, exec, s[8:9]
.LBB13_65:                              ;   in Loop: Header=BB13_17 Depth=1
	s_or_b64 exec, exec, s[0:1]
	s_branch .LBB13_75
.LBB13_66:                              ;   in Loop: Header=BB13_17 Depth=1
	global_load_ushort v12, v13, s[90:91]
	s_mov_b64 s[60:61], 0
	s_waitcnt vmcnt(0)
	v_readfirstlane_b32 s0, v12
	s_and_b32 s0, 0xffff, s0
	s_lshl_b32 s75, s0, 2
	v_cvt_f32_u32_e32 v2, s75
	s_sub_i32 s0, 0, s75
	v_rcp_iflag_f32_e32 v4, v2
	v_pk_mov_b32 v[2:3], 0, 0
	v_pk_mov_b32 v[6:7], v[2:3], v[2:3] op_sel:[0,1]
	v_mul_f32_e32 v4, 0x4f7ffffe, v4
	v_cvt_u32_f32_e32 v8, v4
	v_pk_mov_b32 v[4:5], v[2:3], v[2:3] op_sel:[0,1]
	v_readfirstlane_b32 s1, v8
	s_mul_i32 s0, s0, s1
	s_mul_hi_u32 s0, s1, s0
	s_add_i32 s1, s1, s0
	s_mul_hi_u32 s0, s74, s1
	s_mul_i32 s0, s0, s75
	s_sub_i32 s0, s74, s0
	s_sub_i32 s1, s0, s75
	s_cmp_ge_u32 s0, s75
	s_cselect_b32 s0, s1, s0
	s_sub_i32 s1, s0, s75
	s_cmp_ge_u32 s0, s75
	s_cselect_b32 s0, s1, s0
	s_sub_i32 s80, s74, s0
	v_cmp_gt_u32_e32 vcc, s80, v14
	v_pk_mov_b32 v[8:9], v[2:3], v[2:3] op_sel:[0,1]
	s_and_saveexec_b64 s[0:1], vcc
	s_cbranch_execz .LBB13_70
; %bb.67:                               ;   in Loop: Header=BB13_17 Depth=1
	s_mov_b32 s88, s85
	s_and_b32 s85, s3, 0xfe
	v_mov_b32_e32 v28, v14
	s_mov_b64 s[8:9], 0
	s_mov_b64 s[56:57], 0
	s_mov_b64 s[92:93], 0
	s_mov_b64 s[94:95], 0
	v_pk_mov_b32 v[26:27], v[14:15], v[14:15] op_sel:[0,1]
.LBB13_68:                              ;   Parent Loop BB13_17 Depth=1
                                        ; =>  This Inner Loop Header: Depth=2
	ds_read_b32 v2, v28
	v_add_co_u32_e32 v26, vcc, s75, v26
	v_addc_co_u32_e32 v27, vcc, 0, v27, vcc
	s_waitcnt lgkmcnt(0)
	v_add_u32_sdwa v3, sext(v2), s76 dst_sel:DWORD dst_unused:UNUSED_PAD src0_sel:BYTE_0 src1_sel:DWORD
	v_add_u32_sdwa v4, sext(v2), s76 dst_sel:DWORD dst_unused:UNUSED_PAD src0_sel:BYTE_1 src1_sel:DWORD
	v_and_b32_e32 v6, s27, v3
	v_bfe_u32 v3, v3, s85, 2
	v_add_u32_sdwa v5, sext(v2), s76 dst_sel:DWORD dst_unused:UNUSED_PAD src0_sel:BYTE_2 src1_sel:DWORD
	v_add_u32_sdwa v2, sext(v2), s76 dst_sel:DWORD dst_unused:UNUSED_PAD src0_sel:BYTE_3 src1_sel:DWORD
	v_and_b32_e32 v7, s27, v4
	v_bfe_u32 v4, v4, s85, 2
	v_cmp_eq_u32_e64 s[16:17], s84, v6
	v_cmp_eq_u32_e64 s[6:7], 0, v3
	v_and_b32_e32 v8, s27, v5
	v_and_b32_e32 v9, s27, v2
	v_bfe_u32 v5, v5, s85, 2
	v_bfe_u32 v2, v2, s85, 2
	v_cmp_eq_u32_e64 s[14:15], s84, v7
	v_cmp_eq_u32_e64 s[28:29], 0, v4
	s_and_b64 s[6:7], s[16:17], s[6:7]
	v_cmp_eq_u32_e64 s[12:13], s84, v8
	v_cmp_eq_u32_e64 s[30:31], 0, v5
	v_cmp_eq_u32_e64 s[34:35], 0, v2
	v_cmp_eq_u32_e64 s[42:43], 1, v2
	v_cmp_eq_u32_e64 s[50:51], 2, v2
	v_cmp_eq_u32_e64 s[18:19], 3, v2
	v_cndmask_b32_e64 v2, 0, 1, s[6:7]
	s_and_b64 s[6:7], s[14:15], s[28:29]
	v_cmp_eq_u32_e64 s[10:11], s84, v9
	v_cmp_eq_u32_e64 s[36:37], 1, v3
	;; [unrolled: 1-line block ×4, first 2 shown]
	v_cndmask_b32_e64 v3, 0, 1, s[6:7]
	s_and_b64 s[6:7], s[12:13], s[30:31]
	v_cmp_eq_u32_e64 s[38:39], 1, v4
	v_cmp_eq_u32_e64 s[46:47], 2, v4
	;; [unrolled: 1-line block ×3, first 2 shown]
	v_cndmask_b32_e64 v4, 0, 1, s[6:7]
	s_and_b64 s[6:7], s[10:11], s[34:35]
	v_cmp_eq_u32_e64 s[40:41], 1, v5
	v_cmp_eq_u32_e64 s[48:49], 2, v5
	;; [unrolled: 1-line block ×3, first 2 shown]
	v_cndmask_b32_e64 v5, 0, 1, s[6:7]
	v_cmp_ne_u32_e64 s[6:7], 0, v2
	v_cmp_ne_u32_e64 s[28:29], 0, v3
	v_cmp_ne_u32_e64 s[30:31], 0, v4
	v_cmp_ne_u32_e64 s[34:35], 0, v5
	s_bcnt1_i32_b64 s6, s[6:7]
	s_bcnt1_i32_b64 s7, s[28:29]
	s_bcnt1_i32_b64 s28, s[30:31]
	s_bcnt1_i32_b64 s29, s[34:35]
	s_add_u32 s6, s6, s94
	s_addc_u32 s30, 0, s95
	s_add_u32 s6, s6, s7
	s_addc_u32 s7, s30, 0
	s_add_u32 s6, s6, s28
	s_addc_u32 s7, s7, 0
	s_add_u32 s94, s6, s29
	s_addc_u32 s95, s7, 0
	s_and_b64 s[6:7], s[16:17], s[36:37]
	v_cndmask_b32_e64 v4, 0, 1, s[6:7]
	s_and_b64 s[6:7], s[14:15], s[38:39]
	v_cndmask_b32_e64 v5, 0, 1, s[6:7]
	s_and_b64 s[6:7], s[12:13], s[40:41]
	v_cndmask_b32_e64 v6, 0, 1, s[6:7]
	s_and_b64 s[6:7], s[10:11], s[42:43]
	v_cndmask_b32_e64 v7, 0, 1, s[6:7]
	v_cmp_ne_u32_e64 s[6:7], 0, v4
	v_cmp_ne_u32_e64 s[28:29], 0, v5
	v_cmp_ne_u32_e64 s[30:31], 0, v6
	v_cmp_ne_u32_e64 s[34:35], 0, v7
	s_bcnt1_i32_b64 s6, s[6:7]
	s_bcnt1_i32_b64 s7, s[28:29]
	s_bcnt1_i32_b64 s28, s[30:31]
	s_bcnt1_i32_b64 s29, s[34:35]
	s_add_u32 s6, s6, s92
	s_addc_u32 s30, 0, s93
	s_add_u32 s6, s6, s7
	s_addc_u32 s7, s30, 0
	s_add_u32 s6, s6, s28
	s_addc_u32 s7, s7, 0
	s_add_u32 s92, s6, s29
	s_addc_u32 s93, s7, 0
	s_and_b64 s[6:7], s[16:17], s[44:45]
	v_cndmask_b32_e64 v6, 0, 1, s[6:7]
	s_and_b64 s[6:7], s[14:15], s[46:47]
	v_cndmask_b32_e64 v7, 0, 1, s[6:7]
	s_and_b64 s[6:7], s[12:13], s[48:49]
	v_cndmask_b32_e64 v8, 0, 1, s[6:7]
	s_and_b64 s[6:7], s[10:11], s[50:51]
	;; [unrolled: 24-line block ×3, first 2 shown]
	v_cndmask_b32_e64 v30, 0, 1, s[6:7]
	v_cmp_ne_u32_e64 s[6:7], 0, v8
	v_cmp_ne_u32_e64 s[10:11], 0, v9
	;; [unrolled: 1-line block ×4, first 2 shown]
	s_bcnt1_i32_b64 s6, s[6:7]
	s_bcnt1_i32_b64 s7, s[10:11]
	;; [unrolled: 1-line block ×4, first 2 shown]
	s_add_u32 s6, s6, s8
	s_addc_u32 s8, 0, s9
	s_add_u32 s6, s6, s7
	s_addc_u32 s7, s8, 0
	;; [unrolled: 2-line block ×3, first 2 shown]
	s_add_u32 s8, s6, s11
	v_cmp_le_u64_e32 vcc, s[80:81], v[26:27]
	s_addc_u32 s9, s7, 0
	v_add_u32_e32 v28, s75, v28
	v_pk_mov_b32 v[2:3], s[94:95], s[94:95] op_sel:[0,1]
	v_pk_mov_b32 v[4:5], s[92:93], s[92:93] op_sel:[0,1]
	;; [unrolled: 1-line block ×3, first 2 shown]
	s_or_b64 s[60:61], vcc, s[60:61]
	v_pk_mov_b32 v[8:9], s[8:9], s[8:9] op_sel:[0,1]
	s_andn2_b64 exec, exec, s[60:61]
	s_cbranch_execnz .LBB13_68
; %bb.69:                               ;   in Loop: Header=BB13_17 Depth=1
	s_or_b64 exec, exec, s[60:61]
	v_readlane_b32 s48, v46, 41
	v_readlane_b32 s49, v46, 42
	s_mov_b32 s85, s88
.LBB13_70:                              ;   in Loop: Header=BB13_17 Depth=1
	s_or_b64 exec, exec, s[0:1]
	v_and_b32_e32 v28, 0xffff, v12
	v_add_u32_e32 v12, s80, v0
	v_cmp_gt_u32_e32 vcc, s74, v12
	s_and_saveexec_b64 s[0:1], vcc
	s_cbranch_execz .LBB13_74
; %bb.71:                               ;   in Loop: Header=BB13_17 Depth=1
	s_and_b32 s80, s74, 0x7fffffff
	s_and_b32 s18, s3, 0xfe
	s_mov_b64 s[8:9], 0
	v_pk_mov_b32 v[26:27], v[12:13], v[12:13] op_sel:[0,1]
.LBB13_72:                              ;   Parent Loop BB13_17 Depth=1
                                        ; =>  This Inner Loop Header: Depth=2
	ds_read_i8 v29, v12
	v_add_co_u32_e32 v26, vcc, v26, v28
	v_addc_co_u32_e32 v27, vcc, 0, v27, vcc
	s_waitcnt lgkmcnt(0)
	v_add_u32_e32 v29, 0x80, v29
	v_and_b32_e32 v30, s27, v29
	v_bfe_u32 v29, v29, s18, 2
	v_cmp_eq_u32_e64 s[6:7], s84, v30
	v_cmp_eq_u32_e64 s[10:11], 0, v29
	;; [unrolled: 1-line block ×3, first 2 shown]
	s_and_b64 s[10:11], s[6:7], s[10:11]
	v_cmp_eq_u32_e64 s[14:15], 2, v29
	v_cmp_eq_u32_e64 s[16:17], 3, v29
	v_cndmask_b32_e64 v29, 0, 1, s[10:11]
	s_and_b64 s[10:11], s[6:7], s[12:13]
	v_cndmask_b32_e64 v30, 0, 1, s[10:11]
	s_and_b64 s[10:11], s[6:7], s[14:15]
	s_and_b64 s[6:7], s[6:7], s[16:17]
	v_cndmask_b32_e64 v31, 0, 1, s[10:11]
	v_cndmask_b32_e64 v32, 0, 1, s[6:7]
	v_cmp_ne_u32_e64 s[6:7], 0, v29
	v_cmp_ne_u32_e64 s[10:11], 0, v30
	;; [unrolled: 1-line block ×4, first 2 shown]
	v_cmp_le_u64_e32 vcc, s[80:81], v[26:27]
	s_bcnt1_i32_b64 s6, s[6:7]
	s_bcnt1_i32_b64 s7, s[10:11]
	;; [unrolled: 1-line block ×4, first 2 shown]
	s_or_b64 s[8:9], vcc, s[8:9]
	v_add_co_u32_e32 v2, vcc, s6, v2
	v_addc_co_u32_e32 v3, vcc, 0, v3, vcc
	v_add_co_u32_e32 v4, vcc, s7, v4
	v_addc_co_u32_e32 v5, vcc, 0, v5, vcc
	;; [unrolled: 2-line block ×3, first 2 shown]
	v_add_co_u32_e32 v8, vcc, s11, v8
	v_add_u32_e32 v12, v12, v28
	v_addc_co_u32_e32 v9, vcc, 0, v9, vcc
	s_andn2_b64 exec, exec, s[8:9]
	s_cbranch_execnz .LBB13_72
; %bb.73:                               ;   in Loop: Header=BB13_17 Depth=1
	s_or_b64 exec, exec, s[8:9]
.LBB13_74:                              ;   in Loop: Header=BB13_17 Depth=1
	s_or_b64 exec, exec, s[0:1]
.LBB13_75:                              ;   in Loop: Header=BB13_17 Depth=1
	s_lshl_b32 s6, s77, 6
	s_and_saveexec_b64 s[0:1], s[4:5]
	s_cbranch_execz .LBB13_77
; %bb.76:                               ;   in Loop: Header=BB13_17 Depth=1
	v_or_b32_e32 v12, s6, v35
	v_lshlrev_b32_e32 v12, 3, v12
	ds_write_b128 v12, v[2:5] offset:3072
	s_waitcnt vmcnt(0)
	ds_write_b128 v12, v[6:9] offset:3088
.LBB13_77:                              ;   in Loop: Header=BB13_17 Depth=1
	s_or_b64 exec, exec, s[0:1]
	s_waitcnt lgkmcnt(0)
	s_barrier
	s_and_saveexec_b64 s[0:1], s[48:49]
	s_cbranch_execz .LBB13_89
; %bb.78:                               ;   in Loop: Header=BB13_17 Depth=1
	v_readlane_b32 s8, v46, 30
	v_readlane_b32 s9, v46, 31
	s_andn2_b64 vcc, exec, s[8:9]
	v_pk_mov_b32 v[2:3], 0, 0
	s_cbranch_vccnz .LBB13_88
; %bb.79:                               ;   in Loop: Header=BB13_17 Depth=1
	v_readlane_b32 s8, v46, 34
	v_readlane_b32 s9, v46, 35
	s_andn2_b64 vcc, exec, s[8:9]
	s_cbranch_vccnz .LBB13_84
; %bb.80:                               ;   in Loop: Header=BB13_17 Depth=1
	v_lshl_add_u32 v4, s77, 9, v39
	s_mov_b32 s7, 0
	v_pk_mov_b32 v[2:3], 0, 0
.LBB13_81:                              ;   Parent Loop BB13_17 Depth=1
                                        ; =>  This Inner Loop Header: Depth=2
	s_waitcnt vmcnt(0)
	ds_read2_b64 v[6:9], v4 offset1:4
	ds_read2_b64 v[26:29], v4 offset0:8 offset1:12
	ds_read2_b64 v[30:33], v4 offset0:16 offset1:20
	;; [unrolled: 1-line block ×3, first 2 shown]
	s_add_i32 s7, s7, 8
	s_waitcnt lgkmcnt(3)
	v_add_co_u32_e32 v2, vcc, v6, v2
	v_addc_co_u32_e32 v3, vcc, v7, v3, vcc
	v_add_co_u32_e32 v2, vcc, v8, v2
	v_addc_co_u32_e32 v3, vcc, v9, v3, vcc
	s_waitcnt lgkmcnt(2)
	v_add_co_u32_e32 v2, vcc, v26, v2
	v_addc_co_u32_e32 v3, vcc, v27, v3, vcc
	v_add_co_u32_e32 v2, vcc, v28, v2
	v_addc_co_u32_e32 v3, vcc, v29, v3, vcc
	;; [unrolled: 5-line block ×3, first 2 shown]
	s_waitcnt lgkmcnt(0)
	v_add_co_u32_e32 v2, vcc, v42, v2
	v_addc_co_u32_e32 v3, vcc, v43, v3, vcc
	v_add_co_u32_e32 v2, vcc, v44, v2
	v_add_u32_e32 v4, 0x100, v4
	s_cmp_eq_u32 s2, s7
	v_addc_co_u32_e32 v3, vcc, v45, v3, vcc
	s_cbranch_scc0 .LBB13_81
; %bb.82:                               ;   in Loop: Header=BB13_17 Depth=1
	s_mov_b32 s7, s2
	s_branch .LBB13_85
.LBB13_83:                              ;   in Loop: Header=BB13_17 Depth=1
                                        ; implicit-def: $vgpr26_vgpr27
	s_branch .LBB13_51
.LBB13_84:                              ;   in Loop: Header=BB13_17 Depth=1
	s_mov_b32 s7, 0
	v_pk_mov_b32 v[2:3], 0, 0
.LBB13_85:                              ;   in Loop: Header=BB13_17 Depth=1
	v_readlane_b32 s8, v46, 37
	v_readlane_b32 s9, v46, 38
	s_andn2_b64 vcc, exec, s[8:9]
	s_cbranch_vccnz .LBB13_88
; %bb.86:                               ;   in Loop: Header=BB13_17 Depth=1
	s_lshl_b32 s8, s77, 9
	s_lshl_b32 s7, s7, 5
	s_add_i32 s8, s8, s7
	v_add_u32_e32 v4, s8, v39
	v_readlane_b32 s7, v46, 36
.LBB13_87:                              ;   Parent Loop BB13_17 Depth=1
                                        ; =>  This Inner Loop Header: Depth=2
	s_waitcnt vmcnt(0)
	ds_read_b64 v[6:7], v4
	s_add_i32 s7, s7, -1
	v_add_u32_e32 v4, 32, v4
	s_cmp_lg_u32 s7, 0
	s_waitcnt lgkmcnt(0)
	v_add_co_u32_e32 v2, vcc, v6, v2
	v_addc_co_u32_e32 v3, vcc, v7, v3, vcc
	s_cbranch_scc1 .LBB13_87
.LBB13_88:                              ;   in Loop: Header=BB13_17 Depth=1
	v_add_lshl_u32 v4, s6, v34, 3
	ds_write_b64 v4, v[2:3] offset:3072
.LBB13_89:                              ;   in Loop: Header=BB13_17 Depth=1
	s_or_b64 exec, exec, s[0:1]
	s_lshl_b32 s0, s6, 3
	s_waitcnt vmcnt(0)
	v_mov_b32_e32 v6, s0
	s_waitcnt lgkmcnt(0)
	s_barrier
	ds_read_b128 v[2:5], v6 offset:3072
	ds_read_b128 v[6:9], v6 offset:3088
	s_and_b32 s38, s3, 0xfe
	s_lshl_b32 s46, 3, s38
	s_not_b32 s39, s46
	s_waitcnt lgkmcnt(1)
	v_readfirstlane_b32 s13, v3
	v_readfirstlane_b32 s12, v2
	s_cmp_eq_u64 s[12:13], 1
	s_cselect_b64 s[0:1], -1, 0
	s_cmp_eq_u64 s[54:55], 1
	s_cselect_b64 s[8:9], -1, 0
	s_and_b64 s[18:19], s[0:1], s[8:9]
	v_readfirstlane_b32 s24, v4
	v_readfirstlane_b32 s25, v5
	s_waitcnt lgkmcnt(0)
	v_readfirstlane_b32 s14, v6
	v_readfirstlane_b32 s15, v7
	;; [unrolled: 1-line block ×4, first 2 shown]
	s_mov_b64 s[16:17], -1
	s_and_b64 vcc, exec, s[18:19]
	s_cbranch_vccz .LBB13_104
; %bb.90:                               ;   in Loop: Header=BB13_17 Depth=1
	ds_read_b64 v[2:3], v13 offset:5120
	s_waitcnt lgkmcnt(0)
	s_barrier
	v_readfirstlane_b32 s10, v2
	v_readfirstlane_b32 s11, v3
	s_mov_b64 s[0:1], exec
	v_readlane_b32 s8, v46, 24
	v_readlane_b32 s9, v46, 25
	s_and_b64 s[8:9], s[0:1], s[8:9]
	s_mov_b64 exec, s[8:9]
	s_cbranch_execz .LBB13_92
; %bb.91:                               ;   in Loop: Header=BB13_17 Depth=1
	ds_write_b8 v0, v13 offset:3072
.LBB13_92:                              ;   in Loop: Header=BB13_17 Depth=1
	s_or_b64 exec, exec, s[0:1]
	v_cmp_lt_i64_e64 s[0:1], s[10:11], 1
	s_and_b32 s84, s84, s39
	s_or_b32 s27, s27, s46
	s_and_b64 vcc, exec, s[0:1]
	s_waitcnt lgkmcnt(0)
	s_barrier
	s_cbranch_vccz .LBB13_105
; %bb.93:                               ;   in Loop: Header=BB13_17 Depth=1
	s_mov_b32 s88, s81
	s_cmp_lg_u64 s[88:89], 0
	s_cbranch_scc0 .LBB13_150
; %bb.94:                               ;   in Loop: Header=BB13_17 Depth=1
	v_cvt_f32_u32_e32 v2, s33
	s_sub_u32 s0, 0, s33
	s_subb_u32 s1, 0, 0
	v_mac_f32_e32 v2, 0x4f800000, v40
	v_rcp_f32_e32 v2, v2
	v_mul_f32_e32 v2, 0x5f7ffffc, v2
	v_mul_f32_e32 v3, 0x2f800000, v2
	v_trunc_f32_e32 v3, v3
	v_mac_f32_e32 v2, 0xcf800000, v3
	v_cvt_u32_f32_e32 v3, v3
	v_cvt_u32_f32_e32 v2, v2
	v_readfirstlane_b32 s8, v3
	v_readfirstlane_b32 s9, v2
	s_mul_i32 s20, s0, s8
	s_mul_hi_u32 s22, s0, s9
	s_mul_i32 s21, s1, s9
	s_add_i32 s20, s22, s20
	s_mul_i32 s23, s0, s9
	s_add_i32 s20, s20, s21
	s_mul_hi_u32 s22, s9, s23
	s_mul_hi_u32 s21, s9, s20
	s_mul_i32 s9, s9, s20
	s_add_u32 s9, s22, s9
	s_addc_u32 s21, 0, s21
	s_mul_hi_u32 s28, s8, s23
	s_mul_i32 s23, s8, s23
	s_add_u32 s9, s9, s23
	s_mul_hi_u32 s22, s8, s20
	s_addc_u32 s9, s21, s28
	s_addc_u32 s21, s22, 0
	s_mul_i32 s20, s8, s20
	s_add_u32 s9, s9, s20
	s_addc_u32 s20, 0, s21
	v_add_co_u32_e32 v2, vcc, s9, v2
	s_cmp_lg_u64 vcc, 0
	s_addc_u32 s8, s8, s20
	v_readfirstlane_b32 s20, v2
	s_mul_i32 s9, s0, s8
	s_mul_hi_u32 s21, s0, s20
	s_add_i32 s9, s21, s9
	s_mul_i32 s1, s1, s20
	s_add_i32 s9, s9, s1
	s_mul_i32 s0, s0, s20
	s_mul_hi_u32 s21, s8, s0
	s_mul_i32 s22, s8, s0
	s_mul_i32 s28, s20, s9
	s_mul_hi_u32 s0, s20, s0
	s_mul_hi_u32 s23, s20, s9
	s_add_u32 s0, s0, s28
	s_addc_u32 s20, 0, s23
	s_add_u32 s0, s0, s22
	s_mul_hi_u32 s1, s8, s9
	s_addc_u32 s0, s20, s21
	s_addc_u32 s1, s1, 0
	s_mul_i32 s9, s8, s9
	s_add_u32 s0, s0, s9
	s_addc_u32 s1, 0, s1
	v_add_co_u32_e32 v2, vcc, s0, v2
	s_cmp_lg_u64 vcc, 0
	s_addc_u32 s20, s8, s1
	s_ashr_i32 s0, s89, 31
	s_add_u32 s8, s85, s0
	s_mov_b32 s1, s0
	s_addc_u32 s9, s89, s0
	s_xor_b64 s[8:9], s[8:9], s[0:1]
	v_readfirstlane_b32 s22, v2
	s_mul_i32 s21, s8, s20
	s_mul_hi_u32 s23, s8, s22
	s_mul_hi_u32 s1, s8, s20
	s_add_u32 s21, s23, s21
	s_addc_u32 s1, 0, s1
	s_mul_hi_u32 s28, s9, s22
	s_mul_i32 s22, s9, s22
	s_add_u32 s21, s21, s22
	s_mul_hi_u32 s23, s9, s20
	s_addc_u32 s1, s1, s28
	s_addc_u32 s21, s23, 0
	s_mul_i32 s20, s9, s20
	s_add_u32 s1, s1, s20
	s_addc_u32 s20, 0, s21
	s_mul_hi_u32 s21, s33, s1
	s_mul_i32 s1, s33, s1
	s_mul_i32 s20, s33, s20
	v_mov_b32_e32 v2, s1
	s_add_i32 s21, s21, s20
	v_sub_co_u32_e32 v2, vcc, s8, v2
	s_cmp_lg_u64 vcc, 0
	s_subb_u32 s1, s9, s21
	v_subrev_co_u32_e32 v3, vcc, s33, v2
	s_cmp_lg_u64 vcc, 0
	s_subb_u32 s8, s1, 0
	v_subrev_co_u32_e32 v4, vcc, s33, v3
	s_cmp_lg_u64 vcc, 0
	s_subb_u32 s9, s8, 0
	v_cmp_le_u32_e32 vcc, s33, v3
	s_cmp_eq_u32 s8, 0
	v_cndmask_b32_e64 v5, 0, -1, vcc
	s_cselect_b64 vcc, -1, 0
	v_cndmask_b32_e32 v5, -1, v5, vcc
	v_mov_b32_e32 v6, s8
	v_mov_b32_e32 v7, s9
	v_cmp_ne_u32_e32 vcc, 0, v5
	v_cndmask_b32_e32 v5, v6, v7, vcc
	v_cndmask_b32_e32 v3, v3, v4, vcc
	v_cmp_le_u32_e32 vcc, s33, v2
	s_cmp_eq_u32 s1, 0
	v_cndmask_b32_e64 v4, 0, -1, vcc
	s_cselect_b64 vcc, -1, 0
	v_cndmask_b32_e32 v4, -1, v4, vcc
	v_cmp_ne_u32_e32 vcc, 0, v4
	v_mov_b32_e32 v6, s1
	v_cndmask_b32_e32 v2, v2, v3, vcc
	v_cndmask_b32_e32 v4, v6, v5, vcc
	v_xor_b32_e32 v2, s0, v2
	v_xor_b32_e32 v3, s0, v4
	v_mov_b32_e32 v4, s0
	v_subrev_co_u32_e32 v2, vcc, s0, v2
	v_subb_co_u32_e32 v3, vcc, v3, v4, vcc
	s_cbranch_execnz .LBB13_96
.LBB13_95:                              ;   in Loop: Header=BB13_17 Depth=1
	v_cvt_f32_u32_e32 v2, s33
	s_sub_i32 s0, 0, s33
	v_rcp_iflag_f32_e32 v2, v2
	v_mul_f32_e32 v2, 0x4f7ffffe, v2
	v_cvt_u32_f32_e32 v2, v2
	v_mul_lo_u32 v3, s0, v2
	v_mul_hi_u32 v3, v2, v3
	v_add_u32_e32 v2, v2, v3
	v_mul_hi_u32 v2, s85, v2
	v_mul_lo_u32 v2, v2, s33
	v_sub_u32_e32 v2, s85, v2
	v_subrev_u32_e32 v3, s33, v2
	v_cmp_le_u32_e32 vcc, s33, v2
	v_cndmask_b32_e32 v2, v2, v3, vcc
	v_subrev_u32_e32 v3, s33, v2
	v_cmp_le_u32_e32 vcc, s33, v2
	v_cndmask_b32_e32 v12, v2, v3, vcc
	v_pk_mov_b32 v[2:3], v[12:13], v[12:13] op_sel:[0,1]
.LBB13_96:                              ;   in Loop: Header=BB13_17 Depth=1
	v_mov_b32_e32 v4, s89
	v_sub_co_u32_e32 v2, vcc, s85, v2
	v_subb_co_u32_e32 v3, vcc, v4, v3, vcc
	v_cmp_gt_i64_e32 vcc, v[2:3], v[0:1]
	s_mov_b64 s[0:1], 0
                                        ; implicit-def: $vgpr41
	s_and_saveexec_b64 s[8:9], vcc
	s_cbranch_execz .LBB13_107
; %bb.97:                               ;   in Loop: Header=BB13_17 Depth=1
	v_pk_mov_b32 v[4:5], v[10:11], v[10:11] op_sel:[0,1]
	v_pk_mov_b32 v[6:7], v[0:1], v[0:1] op_sel:[0,1]
                                        ; implicit-def: $sgpr20_sgpr21
	s_branch .LBB13_99
.LBB13_98:                              ;   in Loop: Header=BB13_99 Depth=2
	s_or_b64 exec, exec, s[22:23]
	s_waitcnt lgkmcnt(0)
	s_barrier
	s_waitcnt vmcnt(0)
	ds_read_u16 v8, v13 offset:3072
	v_mov_b32_e32 v9, s86
	v_add_co_u32_e32 v6, vcc, s33, v6
	v_addc_co_u32_e32 v7, vcc, v7, v9, vcc
	s_waitcnt lgkmcnt(0)
	v_cmp_ne_u16_sdwa s[22:23], v8, v13 src0_sel:BYTE_0 src1_sel:DWORD
	v_cmp_ge_i64_e32 vcc, v[6:7], v[2:3]
	s_or_b64 s[28:29], s[22:23], vcc
	s_and_b64 s[28:29], exec, s[28:29]
	s_or_b64 s[0:1], s[28:29], s[0:1]
	v_mov_b32_e32 v9, s87
	v_add_co_u32_e32 v4, vcc, s26, v4
	s_andn2_b64 s[20:21], s[20:21], exec
	s_and_b64 s[22:23], s[22:23], exec
	v_addc_co_u32_e32 v5, vcc, v5, v9, vcc
	s_or_b64 s[20:21], s[20:21], s[22:23]
	s_barrier
	s_andn2_b64 exec, exec, s[0:1]
	s_cbranch_execz .LBB13_106
.LBB13_99:                              ;   Parent Loop BB13_17 Depth=1
                                        ; =>  This Inner Loop Header: Depth=2
	v_cmp_gt_i64_e32 vcc, s[52:53], v[6:7]
	v_mov_b32_e32 v8, 0
	s_and_saveexec_b64 s[22:23], vcc
	s_cbranch_execz .LBB13_101
; %bb.100:                              ;   in Loop: Header=BB13_99 Depth=2
	global_load_ubyte v8, v[4:5], off
.LBB13_101:                             ;   in Loop: Header=BB13_99 Depth=2
	s_or_b64 exec, exec, s[22:23]
	s_and_saveexec_b64 s[22:23], vcc
	s_cbranch_execz .LBB13_98
; %bb.102:                              ;   in Loop: Header=BB13_99 Depth=2
	s_waitcnt vmcnt(0)
	v_add_u32_sdwa v9, sext(v8), s76 dst_sel:DWORD dst_unused:UNUSED_PAD src0_sel:BYTE_0 src1_sel:DWORD
	v_and_b32_e32 v9, s27, v9
	v_cmp_eq_u32_e32 vcc, s84, v9
	s_and_b64 exec, exec, vcc
	s_cbranch_execz .LBB13_98
; %bb.103:                              ;   in Loop: Header=BB13_99 Depth=2
	v_lshlrev_b16_e32 v8, 8, v8
	v_or_b32_e32 v8, 1, v8
	ds_write_b16 v13, v8 offset:3072
	s_branch .LBB13_98
.LBB13_104:                             ;   in Loop: Header=BB13_17 Depth=1
	s_mov_b64 s[0:1], -1
                                        ; implicit-def: $sgpr8_sgpr9
                                        ; implicit-def: $sgpr22_sgpr23
                                        ; implicit-def: $sgpr20_sgpr21
	s_branch .LBB13_121
.LBB13_105:                             ;   in Loop: Header=BB13_17 Depth=1
	s_mov_b64 s[8:9], -1
	s_mov_b64 s[0:1], 0
                                        ; implicit-def: $sgpr20_sgpr21
                                        ; implicit-def: $vgpr41
	s_mov_b64 s[22:23], s[8:9]
	s_cbranch_execnz .LBB13_108
	s_branch .LBB13_121
.LBB13_106:                             ;   in Loop: Header=BB13_17 Depth=1
	s_or_b64 exec, exec, s[0:1]
	v_lshrrev_b16_e32 v41, 8, v8
	s_and_b64 s[0:1], s[20:21], exec
.LBB13_107:                             ;   in Loop: Header=BB13_17 Depth=1
	s_or_b64 exec, exec, s[8:9]
	s_mov_b64 s[20:21], -1
	s_mov_b64 s[8:9], 0
	s_mov_b64 s[22:23], s[8:9]
	s_branch .LBB13_121
.LBB13_108:                             ;   in Loop: Header=BB13_17 Depth=1
	v_readlane_b32 s0, v46, 32
	s_add_u32 s20, s0, s10
	v_readlane_b32 s0, v46, 33
	s_addc_u32 s1, s0, s11
	s_mov_b32 s0, s81
	s_cmp_lg_u64 s[0:1], 0
	s_cbranch_scc0 .LBB13_151
; %bb.109:                              ;   in Loop: Header=BB13_17 Depth=1
	v_cvt_f32_u32_e32 v2, s33
	s_sub_u32 s0, 0, s33
	s_subb_u32 s8, 0, 0
	v_mac_f32_e32 v2, 0x4f800000, v40
	v_rcp_f32_e32 v2, v2
	v_mul_f32_e32 v2, 0x5f7ffffc, v2
	v_mul_f32_e32 v3, 0x2f800000, v2
	v_trunc_f32_e32 v3, v3
	v_mac_f32_e32 v2, 0xcf800000, v3
	v_cvt_u32_f32_e32 v3, v3
	v_cvt_u32_f32_e32 v2, v2
	v_readfirstlane_b32 s9, v3
	v_readfirstlane_b32 s21, v2
	s_mul_i32 s22, s0, s9
	s_mul_hi_u32 s28, s0, s21
	s_mul_i32 s23, s8, s21
	s_add_i32 s22, s28, s22
	s_mul_i32 s29, s0, s21
	s_add_i32 s22, s22, s23
	s_mul_hi_u32 s28, s21, s29
	s_mul_hi_u32 s23, s21, s22
	s_mul_i32 s21, s21, s22
	s_add_u32 s21, s28, s21
	s_addc_u32 s23, 0, s23
	s_mul_hi_u32 s30, s9, s29
	s_mul_i32 s29, s9, s29
	s_add_u32 s21, s21, s29
	s_mul_hi_u32 s28, s9, s22
	s_addc_u32 s21, s23, s30
	s_addc_u32 s23, s28, 0
	s_mul_i32 s22, s9, s22
	s_add_u32 s21, s21, s22
	s_addc_u32 s22, 0, s23
	v_add_co_u32_e32 v2, vcc, s21, v2
	s_cmp_lg_u64 vcc, 0
	s_addc_u32 s9, s9, s22
	v_readfirstlane_b32 s22, v2
	s_mul_i32 s21, s0, s9
	s_mul_hi_u32 s23, s0, s22
	s_add_i32 s21, s23, s21
	s_mul_i32 s8, s8, s22
	s_add_i32 s21, s21, s8
	s_mul_i32 s0, s0, s22
	s_mul_hi_u32 s23, s9, s0
	s_mul_i32 s28, s9, s0
	s_mul_i32 s30, s22, s21
	s_mul_hi_u32 s0, s22, s0
	s_mul_hi_u32 s29, s22, s21
	s_add_u32 s0, s0, s30
	s_addc_u32 s22, 0, s29
	s_add_u32 s0, s0, s28
	s_mul_hi_u32 s8, s9, s21
	s_addc_u32 s0, s22, s23
	s_addc_u32 s8, s8, 0
	s_mul_i32 s21, s9, s21
	s_add_u32 s0, s0, s21
	s_addc_u32 s8, 0, s8
	v_add_co_u32_e32 v2, vcc, s0, v2
	s_cmp_lg_u64 vcc, 0
	s_addc_u32 s0, s9, s8
	s_ashr_i32 s8, s1, 31
	s_add_u32 s22, s20, s8
	s_mov_b32 s9, s8
	s_addc_u32 s23, s1, s8
	s_xor_b64 s[22:23], s[22:23], s[8:9]
	v_readfirstlane_b32 s28, v2
	s_mul_i32 s21, s22, s0
	s_mul_hi_u32 s29, s22, s28
	s_mul_hi_u32 s9, s22, s0
	s_add_u32 s21, s29, s21
	s_addc_u32 s9, 0, s9
	s_mul_hi_u32 s30, s23, s28
	s_mul_i32 s28, s23, s28
	s_add_u32 s21, s21, s28
	s_mul_hi_u32 s29, s23, s0
	s_addc_u32 s9, s9, s30
	s_addc_u32 s21, s29, 0
	s_mul_i32 s0, s23, s0
	s_add_u32 s0, s9, s0
	s_addc_u32 s9, 0, s21
	s_mul_hi_u32 s21, s33, s0
	s_mul_i32 s0, s33, s0
	s_mul_i32 s9, s33, s9
	v_mov_b32_e32 v2, s0
	s_add_i32 s21, s21, s9
	v_sub_co_u32_e32 v2, vcc, s22, v2
	s_cmp_lg_u64 vcc, 0
	s_subb_u32 s0, s23, s21
	v_subrev_co_u32_e32 v3, vcc, s33, v2
	s_cmp_lg_u64 vcc, 0
	s_subb_u32 s9, s0, 0
	v_subrev_co_u32_e32 v4, vcc, s33, v3
	s_cmp_lg_u64 vcc, 0
	s_subb_u32 s21, s9, 0
	v_cmp_le_u32_e32 vcc, s33, v3
	s_cmp_eq_u32 s9, 0
	v_cndmask_b32_e64 v5, 0, -1, vcc
	s_cselect_b64 vcc, -1, 0
	v_cndmask_b32_e32 v5, -1, v5, vcc
	v_mov_b32_e32 v6, s9
	v_mov_b32_e32 v7, s21
	v_cmp_ne_u32_e32 vcc, 0, v5
	v_cndmask_b32_e32 v5, v6, v7, vcc
	v_cndmask_b32_e32 v3, v3, v4, vcc
	v_cmp_le_u32_e32 vcc, s33, v2
	s_cmp_eq_u32 s0, 0
	v_cndmask_b32_e64 v4, 0, -1, vcc
	s_cselect_b64 vcc, -1, 0
	v_cndmask_b32_e32 v4, -1, v4, vcc
	v_cmp_ne_u32_e32 vcc, 0, v4
	v_mov_b32_e32 v6, s0
	v_cndmask_b32_e32 v2, v2, v3, vcc
	v_cndmask_b32_e32 v4, v6, v5, vcc
	v_xor_b32_e32 v2, s8, v2
	v_xor_b32_e32 v3, s8, v4
	v_mov_b32_e32 v4, s8
	v_subrev_co_u32_e32 v2, vcc, s8, v2
	v_subb_co_u32_e32 v3, vcc, v3, v4, vcc
	s_cbranch_execnz .LBB13_111
.LBB13_110:                             ;   in Loop: Header=BB13_17 Depth=1
	v_cvt_f32_u32_e32 v2, s33
	s_sub_i32 s0, 0, s33
	v_rcp_iflag_f32_e32 v2, v2
	v_mul_f32_e32 v2, 0x4f7ffffe, v2
	v_cvt_u32_f32_e32 v2, v2
	v_mul_lo_u32 v3, s0, v2
	v_mul_hi_u32 v3, v2, v3
	v_add_u32_e32 v2, v2, v3
	v_mul_hi_u32 v2, s20, v2
	v_mul_lo_u32 v2, v2, s33
	v_sub_u32_e32 v2, s20, v2
	v_subrev_u32_e32 v3, s33, v2
	v_cmp_le_u32_e32 vcc, s33, v2
	v_cndmask_b32_e32 v2, v2, v3, vcc
	v_subrev_u32_e32 v3, s33, v2
	v_cmp_le_u32_e32 vcc, s33, v2
	v_cndmask_b32_e32 v12, v2, v3, vcc
	v_pk_mov_b32 v[2:3], v[12:13], v[12:13] op_sel:[0,1]
.LBB13_111:                             ;   in Loop: Header=BB13_17 Depth=1
	v_mov_b32_e32 v4, s1
	v_sub_co_u32_e32 v2, vcc, s20, v2
	v_subb_co_u32_e32 v3, vcc, v4, v3, vcc
	v_cmp_gt_i64_e32 vcc, v[2:3], v[0:1]
	s_mov_b64 s[0:1], 0
                                        ; implicit-def: $vgpr41
	s_and_saveexec_b64 s[8:9], vcc
	s_cbranch_execz .LBB13_120
; %bb.112:                              ;   in Loop: Header=BB13_17 Depth=1
	v_mov_b32_e32 v6, v0
	v_pk_mov_b32 v[4:5], v[0:1], v[0:1] op_sel:[0,1]
                                        ; implicit-def: $sgpr20_sgpr21
	s_branch .LBB13_114
.LBB13_113:                             ;   in Loop: Header=BB13_114 Depth=2
	s_or_b64 exec, exec, s[22:23]
	s_waitcnt lgkmcnt(0)
	s_barrier
	ds_read_u16 v7, v13 offset:3072
	v_mov_b32_e32 v8, s86
	v_add_co_u32_e32 v4, vcc, s33, v4
	v_addc_co_u32_e32 v5, vcc, v5, v8, vcc
	s_waitcnt lgkmcnt(0)
	v_cmp_ne_u16_sdwa s[22:23], v7, v13 src0_sel:BYTE_0 src1_sel:DWORD
	v_cmp_ge_i64_e32 vcc, v[4:5], v[2:3]
	s_or_b64 s[28:29], s[22:23], vcc
	s_and_b64 s[28:29], exec, s[28:29]
	s_or_b64 s[0:1], s[28:29], s[0:1]
	s_andn2_b64 s[20:21], s[20:21], exec
	s_and_b64 s[22:23], s[22:23], exec
	v_add_u32_e32 v6, s33, v6
	s_or_b64 s[20:21], s[20:21], s[22:23]
	s_barrier
	s_andn2_b64 exec, exec, s[0:1]
	s_cbranch_execz .LBB13_119
.LBB13_114:                             ;   Parent Loop BB13_17 Depth=1
                                        ; =>  This Inner Loop Header: Depth=2
	v_cmp_gt_i64_e32 vcc, s[10:11], v[4:5]
	v_mov_b32_e32 v7, 0
	s_and_saveexec_b64 s[22:23], vcc
	s_cbranch_execz .LBB13_116
; %bb.115:                              ;   in Loop: Header=BB13_114 Depth=2
	ds_read_u8 v7, v6
.LBB13_116:                             ;   in Loop: Header=BB13_114 Depth=2
	s_or_b64 exec, exec, s[22:23]
	s_and_saveexec_b64 s[22:23], vcc
	s_cbranch_execz .LBB13_113
; %bb.117:                              ;   in Loop: Header=BB13_114 Depth=2
	s_waitcnt lgkmcnt(0)
	v_add_u32_sdwa v8, sext(v7), s76 dst_sel:DWORD dst_unused:UNUSED_PAD src0_sel:BYTE_0 src1_sel:DWORD
	v_and_b32_e32 v8, s27, v8
	v_cmp_eq_u32_e32 vcc, s84, v8
	s_and_b64 exec, exec, vcc
	s_cbranch_execz .LBB13_113
; %bb.118:                              ;   in Loop: Header=BB13_114 Depth=2
	v_lshlrev_b16_e32 v7, 8, v7
	v_or_b32_e32 v7, 1, v7
	ds_write_b16 v13, v7 offset:3072
	s_branch .LBB13_113
.LBB13_119:                             ;   in Loop: Header=BB13_17 Depth=1
	s_or_b64 exec, exec, s[0:1]
	v_lshrrev_b16_e32 v41, 8, v7
	s_and_b64 s[0:1], s[20:21], exec
.LBB13_120:                             ;   in Loop: Header=BB13_17 Depth=1
	s_or_b64 exec, exec, s[8:9]
	s_mov_b64 s[22:23], -1
	s_mov_b64 s[8:9], 0
	s_mov_b64 s[20:21], 0
.LBB13_121:                             ;   in Loop: Header=BB13_17 Depth=1
	s_andn2_b64 s[10:11], s[72:73], exec
	s_and_b64 s[8:9], s[8:9], exec
	s_or_b64 s[72:73], s[10:11], s[8:9]
	s_andn2_b64 s[8:9], s[70:71], exec
	s_and_b64 s[10:11], s[22:23], exec
	s_or_b64 s[70:71], s[8:9], s[10:11]
	;; [unrolled: 3-line block ×3, first 2 shown]
	s_and_saveexec_b64 s[10:11], s[0:1]
	s_cbranch_execz .LBB13_16
; %bb.122:                              ;   in Loop: Header=BB13_17 Depth=1
	s_xor_b64 s[0:1], s[18:19], -1
	s_andn2_b64 vcc, exec, s[0:1]
	s_mov_b32 s47, 1
	s_cbranch_vccnz .LBB13_133
; %bb.123:                              ;   in Loop: Header=BB13_17 Depth=1
	v_pk_mov_b32 v[2:3], s[12:13], s[12:13] op_sel:[0,1]
	v_cmp_gt_i64_e32 vcc, s[54:55], v[2:3]
	s_mov_b64 s[0:1], -1
                                        ; implicit-def: $sgpr47
                                        ; implicit-def: $sgpr8
                                        ; implicit-def: $sgpr9
	s_cbranch_vccnz .LBB13_129
; %bb.124:                              ;   in Loop: Header=BB13_17 Depth=1
	ds_read_b64 v[2:3], v13 offset:5120
	s_waitcnt lgkmcnt(0)
	v_cmp_ne_u64_e32 vcc, 0, v[2:3]
	s_cbranch_vccnz .LBB13_128
; %bb.125:                              ;   in Loop: Header=BB13_17 Depth=1
	s_mov_b64 s[0:1], exec
	v_readlane_b32 s8, v46, 12
	v_readlane_b32 s9, v46, 13
	s_and_b64 s[8:9], s[0:1], s[8:9]
	s_mov_b64 exec, s[8:9]
	s_cbranch_execz .LBB13_127
; %bb.126:                              ;   in Loop: Header=BB13_17 Depth=1
	v_pk_mov_b32 v[2:3], s[12:13], s[12:13] op_sel:[0,1]
	ds_write_b64 v13, v[2:3] offset:5128
.LBB13_127:                             ;   in Loop: Header=BB13_17 Depth=1
	s_or_b64 exec, exec, s[0:1]
	s_waitcnt lgkmcnt(0)
	s_barrier
.LBB13_128:                             ;   in Loop: Header=BB13_17 Depth=1
	s_and_b32 s8, s84, s39
	s_or_b32 s9, s27, s46
	s_mov_b64 s[0:1], 0
	s_mov_b32 s47, 8
.LBB13_129:                             ;   in Loop: Header=BB13_17 Depth=1
	s_andn2_b64 vcc, exec, s[0:1]
	s_cbranch_vccnz .LBB13_131
; %bb.130:                              ;   in Loop: Header=BB13_17 Depth=1
	s_sub_u32 s54, s54, s12
	s_subb_u32 s55, s55, s13
	s_mov_b64 s[0:1], -1
	s_mov_b32 s47, 0
	s_mov_b32 s8, s84
	;; [unrolled: 1-line block ×3, first 2 shown]
.LBB13_131:                             ;   in Loop: Header=BB13_17 Depth=1
	s_mov_b32 s27, s9
	s_mov_b32 s84, s8
	s_mov_b64 s[12:13], -1
	s_and_b64 vcc, exec, s[0:1]
	s_cbranch_vccnz .LBB13_134
.LBB13_132:                             ;   in Loop: Header=BB13_17 Depth=1
	s_mov_b64 s[8:9], -1
                                        ; implicit-def: $sgpr16_sgpr17
                                        ; implicit-def: $sgpr20_sgpr21
                                        ; implicit-def: $sgpr18_sgpr19
	s_and_saveexec_b64 s[0:1], s[8:9]
	s_xor_b64 s[0:1], exec, s[0:1]
	s_cbranch_execz .LBB13_15
	s_branch .LBB13_280
.LBB13_133:                             ;   in Loop: Header=BB13_17 Depth=1
	s_mov_b64 s[54:55], 1
	s_mov_b64 s[12:13], -1
	s_branch .LBB13_132
.LBB13_134:                             ;   in Loop: Header=BB13_17 Depth=1
	s_cmp_eq_u64 s[24:25], 1
	s_cselect_b64 s[0:1], -1, 0
	s_cmp_eq_u64 s[54:55], 1
	s_cselect_b64 s[8:9], -1, 0
	s_and_b64 s[28:29], s[0:1], s[8:9]
	s_mov_b64 s[0:1], -1
	s_and_b64 vcc, exec, s[28:29]
	s_cbranch_vccz .LBB13_149
; %bb.135:                              ;   in Loop: Header=BB13_17 Depth=1
	ds_read_b64 v[2:3], v13 offset:5120
	s_waitcnt lgkmcnt(0)
	s_barrier
	v_readfirstlane_b32 s22, v2
	v_readfirstlane_b32 s23, v3
	s_mov_b64 s[0:1], exec
	v_readlane_b32 s8, v46, 24
	v_readlane_b32 s9, v46, 25
	s_and_b64 s[8:9], s[0:1], s[8:9]
	s_mov_b64 exec, s[8:9]
	s_cbranch_execz .LBB13_137
; %bb.136:                              ;   in Loop: Header=BB13_17 Depth=1
	ds_write_b8 v0, v13 offset:3072
.LBB13_137:                             ;   in Loop: Header=BB13_17 Depth=1
	s_or_b64 exec, exec, s[0:1]
	s_lshl_b32 s0, 1, s38
	s_and_b32 s1, s84, s39
	s_or_b32 s84, s1, s0
	v_cmp_gt_i64_e64 s[0:1], s[22:23], 0
	s_or_b32 s27, s27, s46
	s_and_b64 vcc, exec, s[0:1]
	s_waitcnt lgkmcnt(0)
	s_barrier
	s_cbranch_vccnz .LBB13_152
; %bb.138:                              ;   in Loop: Header=BB13_17 Depth=1
	s_mov_b32 s88, s81
	s_cmp_lg_u64 s[88:89], 0
	s_cbranch_scc0 .LBB13_197
; %bb.139:                              ;   in Loop: Header=BB13_17 Depth=1
	v_cvt_f32_u32_e32 v2, s33
	s_sub_u32 s0, 0, s33
	s_subb_u32 s1, 0, 0
	v_mac_f32_e32 v2, 0x4f800000, v40
	v_rcp_f32_e32 v2, v2
	v_mul_f32_e32 v2, 0x5f7ffffc, v2
	v_mul_f32_e32 v3, 0x2f800000, v2
	v_trunc_f32_e32 v3, v3
	v_mac_f32_e32 v2, 0xcf800000, v3
	v_cvt_u32_f32_e32 v3, v3
	v_cvt_u32_f32_e32 v2, v2
	v_readfirstlane_b32 s8, v3
	v_readfirstlane_b32 s9, v2
	s_mul_i32 s16, s0, s8
	s_mul_hi_u32 s18, s0, s9
	s_mul_i32 s17, s1, s9
	s_add_i32 s16, s18, s16
	s_mul_i32 s19, s0, s9
	s_add_i32 s16, s16, s17
	s_mul_hi_u32 s18, s9, s19
	s_mul_hi_u32 s17, s9, s16
	s_mul_i32 s9, s9, s16
	s_add_u32 s9, s18, s9
	s_addc_u32 s17, 0, s17
	s_mul_hi_u32 s20, s8, s19
	s_mul_i32 s19, s8, s19
	s_add_u32 s9, s9, s19
	s_mul_hi_u32 s18, s8, s16
	s_addc_u32 s9, s17, s20
	s_addc_u32 s17, s18, 0
	s_mul_i32 s16, s8, s16
	s_add_u32 s9, s9, s16
	s_addc_u32 s16, 0, s17
	v_add_co_u32_e32 v2, vcc, s9, v2
	s_cmp_lg_u64 vcc, 0
	s_addc_u32 s8, s8, s16
	v_readfirstlane_b32 s16, v2
	s_mul_i32 s9, s0, s8
	s_mul_hi_u32 s17, s0, s16
	s_add_i32 s9, s17, s9
	s_mul_i32 s1, s1, s16
	s_add_i32 s9, s9, s1
	s_mul_i32 s0, s0, s16
	s_mul_hi_u32 s17, s8, s0
	s_mul_i32 s18, s8, s0
	s_mul_i32 s20, s16, s9
	s_mul_hi_u32 s0, s16, s0
	s_mul_hi_u32 s19, s16, s9
	s_add_u32 s0, s0, s20
	s_addc_u32 s16, 0, s19
	s_add_u32 s0, s0, s18
	s_mul_hi_u32 s1, s8, s9
	s_addc_u32 s0, s16, s17
	s_addc_u32 s1, s1, 0
	s_mul_i32 s9, s8, s9
	s_add_u32 s0, s0, s9
	s_addc_u32 s1, 0, s1
	v_add_co_u32_e32 v2, vcc, s0, v2
	s_cmp_lg_u64 vcc, 0
	s_addc_u32 s16, s8, s1
	s_ashr_i32 s0, s89, 31
	s_add_u32 s8, s85, s0
	s_mov_b32 s1, s0
	s_addc_u32 s9, s89, s0
	s_xor_b64 s[8:9], s[8:9], s[0:1]
	v_readfirstlane_b32 s18, v2
	s_mul_i32 s17, s8, s16
	s_mul_hi_u32 s19, s8, s18
	s_mul_hi_u32 s1, s8, s16
	s_add_u32 s17, s19, s17
	s_addc_u32 s1, 0, s1
	s_mul_hi_u32 s20, s9, s18
	s_mul_i32 s18, s9, s18
	s_add_u32 s17, s17, s18
	s_mul_hi_u32 s19, s9, s16
	s_addc_u32 s1, s1, s20
	s_addc_u32 s17, s19, 0
	s_mul_i32 s16, s9, s16
	s_add_u32 s1, s1, s16
	s_addc_u32 s16, 0, s17
	s_mul_hi_u32 s17, s33, s1
	s_mul_i32 s1, s33, s1
	s_mul_i32 s16, s33, s16
	v_mov_b32_e32 v2, s1
	s_add_i32 s17, s17, s16
	v_sub_co_u32_e32 v2, vcc, s8, v2
	s_cmp_lg_u64 vcc, 0
	s_subb_u32 s1, s9, s17
	v_subrev_co_u32_e32 v3, vcc, s33, v2
	s_cmp_lg_u64 vcc, 0
	s_subb_u32 s8, s1, 0
	v_subrev_co_u32_e32 v4, vcc, s33, v3
	s_cmp_lg_u64 vcc, 0
	s_subb_u32 s9, s8, 0
	v_cmp_le_u32_e32 vcc, s33, v3
	s_cmp_eq_u32 s8, 0
	v_cndmask_b32_e64 v5, 0, -1, vcc
	s_cselect_b64 vcc, -1, 0
	v_cndmask_b32_e32 v5, -1, v5, vcc
	v_mov_b32_e32 v6, s8
	v_mov_b32_e32 v7, s9
	v_cmp_ne_u32_e32 vcc, 0, v5
	v_cndmask_b32_e32 v5, v6, v7, vcc
	v_cndmask_b32_e32 v3, v3, v4, vcc
	v_cmp_le_u32_e32 vcc, s33, v2
	s_cmp_eq_u32 s1, 0
	v_cndmask_b32_e64 v4, 0, -1, vcc
	s_cselect_b64 vcc, -1, 0
	v_cndmask_b32_e32 v4, -1, v4, vcc
	v_cmp_ne_u32_e32 vcc, 0, v4
	v_mov_b32_e32 v6, s1
	v_cndmask_b32_e32 v2, v2, v3, vcc
	v_cndmask_b32_e32 v4, v6, v5, vcc
	v_xor_b32_e32 v2, s0, v2
	v_xor_b32_e32 v3, s0, v4
	v_mov_b32_e32 v4, s0
	v_subrev_co_u32_e32 v2, vcc, s0, v2
	v_subb_co_u32_e32 v3, vcc, v3, v4, vcc
	s_cbranch_execnz .LBB13_141
.LBB13_140:                             ;   in Loop: Header=BB13_17 Depth=1
	v_cvt_f32_u32_e32 v2, s33
	s_sub_i32 s0, 0, s33
	v_rcp_iflag_f32_e32 v2, v2
	v_mul_f32_e32 v2, 0x4f7ffffe, v2
	v_cvt_u32_f32_e32 v2, v2
	v_mul_lo_u32 v3, s0, v2
	v_mul_hi_u32 v3, v2, v3
	v_add_u32_e32 v2, v2, v3
	v_mul_hi_u32 v2, s85, v2
	v_mul_lo_u32 v2, v2, s33
	v_sub_u32_e32 v2, s85, v2
	v_subrev_u32_e32 v3, s33, v2
	v_cmp_le_u32_e32 vcc, s33, v2
	v_cndmask_b32_e32 v2, v2, v3, vcc
	v_subrev_u32_e32 v3, s33, v2
	v_cmp_le_u32_e32 vcc, s33, v2
	v_cndmask_b32_e32 v12, v2, v3, vcc
	v_pk_mov_b32 v[2:3], v[12:13], v[12:13] op_sel:[0,1]
.LBB13_141:                             ;   in Loop: Header=BB13_17 Depth=1
	v_mov_b32_e32 v4, s89
	v_sub_co_u32_e32 v2, vcc, s85, v2
	v_subb_co_u32_e32 v3, vcc, v4, v3, vcc
	v_cmp_gt_i64_e32 vcc, v[2:3], v[0:1]
	s_mov_b64 s[0:1], 0
                                        ; implicit-def: $vgpr41
	s_and_saveexec_b64 s[8:9], vcc
	s_cbranch_execz .LBB13_154
; %bb.142:                              ;   in Loop: Header=BB13_17 Depth=1
	v_pk_mov_b32 v[4:5], v[10:11], v[10:11] op_sel:[0,1]
	v_pk_mov_b32 v[6:7], v[0:1], v[0:1] op_sel:[0,1]
                                        ; implicit-def: $sgpr16_sgpr17
	s_branch .LBB13_144
.LBB13_143:                             ;   in Loop: Header=BB13_144 Depth=2
	s_or_b64 exec, exec, s[18:19]
	s_waitcnt lgkmcnt(0)
	s_barrier
	s_waitcnt vmcnt(0)
	ds_read_u16 v8, v13 offset:3072
	v_mov_b32_e32 v9, s86
	v_add_co_u32_e32 v6, vcc, s33, v6
	v_addc_co_u32_e32 v7, vcc, v7, v9, vcc
	s_waitcnt lgkmcnt(0)
	v_cmp_ne_u16_sdwa s[18:19], v8, v13 src0_sel:BYTE_0 src1_sel:DWORD
	v_cmp_ge_i64_e32 vcc, v[6:7], v[2:3]
	s_or_b64 s[20:21], s[18:19], vcc
	s_and_b64 s[20:21], exec, s[20:21]
	s_or_b64 s[0:1], s[20:21], s[0:1]
	v_mov_b32_e32 v9, s87
	v_add_co_u32_e32 v4, vcc, s26, v4
	s_andn2_b64 s[16:17], s[16:17], exec
	s_and_b64 s[18:19], s[18:19], exec
	v_addc_co_u32_e32 v5, vcc, v5, v9, vcc
	s_or_b64 s[16:17], s[16:17], s[18:19]
	s_barrier
	s_andn2_b64 exec, exec, s[0:1]
	s_cbranch_execz .LBB13_153
.LBB13_144:                             ;   Parent Loop BB13_17 Depth=1
                                        ; =>  This Inner Loop Header: Depth=2
	v_cmp_gt_i64_e32 vcc, s[52:53], v[6:7]
	v_mov_b32_e32 v8, 0
	s_and_saveexec_b64 s[18:19], vcc
	s_cbranch_execz .LBB13_146
; %bb.145:                              ;   in Loop: Header=BB13_144 Depth=2
	global_load_ubyte v8, v[4:5], off
.LBB13_146:                             ;   in Loop: Header=BB13_144 Depth=2
	s_or_b64 exec, exec, s[18:19]
	s_and_saveexec_b64 s[18:19], vcc
	s_cbranch_execz .LBB13_143
; %bb.147:                              ;   in Loop: Header=BB13_144 Depth=2
	s_waitcnt vmcnt(0)
	v_add_u32_sdwa v9, sext(v8), s76 dst_sel:DWORD dst_unused:UNUSED_PAD src0_sel:BYTE_0 src1_sel:DWORD
	v_and_b32_e32 v9, s27, v9
	v_cmp_eq_u32_e32 vcc, s84, v9
	s_and_b64 exec, exec, vcc
	s_cbranch_execz .LBB13_143
; %bb.148:                              ;   in Loop: Header=BB13_144 Depth=2
	v_lshlrev_b16_e32 v8, 8, v8
	v_or_b32_e32 v8, 1, v8
	ds_write_b16 v13, v8 offset:3072
	s_branch .LBB13_143
.LBB13_149:                             ;   in Loop: Header=BB13_17 Depth=1
                                        ; implicit-def: $sgpr18_sgpr19
                                        ; implicit-def: $sgpr20_sgpr21
                                        ; implicit-def: $sgpr16_sgpr17
	s_branch .LBB13_168
.LBB13_150:                             ;   in Loop: Header=BB13_17 Depth=1
                                        ; implicit-def: $vgpr2_vgpr3
	s_branch .LBB13_95
.LBB13_151:                             ;   in Loop: Header=BB13_17 Depth=1
                                        ; implicit-def: $vgpr2_vgpr3
	s_branch .LBB13_110
.LBB13_152:                             ;   in Loop: Header=BB13_17 Depth=1
	s_mov_b64 s[18:19], -1
	s_mov_b64 s[0:1], 0
                                        ; implicit-def: $sgpr16_sgpr17
                                        ; implicit-def: $vgpr41
	s_mov_b64 s[20:21], s[18:19]
	s_cbranch_execnz .LBB13_155
	s_branch .LBB13_168
.LBB13_153:                             ;   in Loop: Header=BB13_17 Depth=1
	s_or_b64 exec, exec, s[0:1]
	v_lshrrev_b16_e32 v41, 8, v8
	s_and_b64 s[0:1], s[16:17], exec
.LBB13_154:                             ;   in Loop: Header=BB13_17 Depth=1
	s_or_b64 exec, exec, s[8:9]
	s_mov_b64 s[16:17], -1
	s_mov_b64 s[18:19], 0
	s_mov_b64 s[20:21], s[18:19]
	s_branch .LBB13_168
.LBB13_155:                             ;   in Loop: Header=BB13_17 Depth=1
	v_readlane_b32 s0, v46, 32
	s_add_u32 s16, s0, s22
	v_readlane_b32 s0, v46, 33
	s_addc_u32 s1, s0, s23
	s_mov_b32 s0, s81
	s_cmp_lg_u64 s[0:1], 0
	s_cbranch_scc0 .LBB13_198
; %bb.156:                              ;   in Loop: Header=BB13_17 Depth=1
	v_cvt_f32_u32_e32 v2, s33
	s_sub_u32 s0, 0, s33
	s_subb_u32 s8, 0, 0
	v_mac_f32_e32 v2, 0x4f800000, v40
	v_rcp_f32_e32 v2, v2
	v_mul_f32_e32 v2, 0x5f7ffffc, v2
	v_mul_f32_e32 v3, 0x2f800000, v2
	v_trunc_f32_e32 v3, v3
	v_mac_f32_e32 v2, 0xcf800000, v3
	v_cvt_u32_f32_e32 v3, v3
	v_cvt_u32_f32_e32 v2, v2
	v_readfirstlane_b32 s9, v3
	v_readfirstlane_b32 s17, v2
	s_mul_i32 s18, s0, s9
	s_mul_hi_u32 s20, s0, s17
	s_mul_i32 s19, s8, s17
	s_add_i32 s18, s20, s18
	s_mul_i32 s21, s0, s17
	s_add_i32 s18, s18, s19
	s_mul_hi_u32 s20, s17, s21
	s_mul_hi_u32 s19, s17, s18
	s_mul_i32 s17, s17, s18
	s_add_u32 s17, s20, s17
	s_addc_u32 s19, 0, s19
	s_mul_hi_u32 s30, s9, s21
	s_mul_i32 s21, s9, s21
	s_add_u32 s17, s17, s21
	s_mul_hi_u32 s20, s9, s18
	s_addc_u32 s17, s19, s30
	s_addc_u32 s19, s20, 0
	s_mul_i32 s18, s9, s18
	s_add_u32 s17, s17, s18
	s_addc_u32 s18, 0, s19
	v_add_co_u32_e32 v2, vcc, s17, v2
	s_cmp_lg_u64 vcc, 0
	s_addc_u32 s9, s9, s18
	v_readfirstlane_b32 s18, v2
	s_mul_i32 s17, s0, s9
	s_mul_hi_u32 s19, s0, s18
	s_add_i32 s17, s19, s17
	s_mul_i32 s8, s8, s18
	s_add_i32 s17, s17, s8
	s_mul_i32 s0, s0, s18
	s_mul_hi_u32 s19, s9, s0
	s_mul_i32 s20, s9, s0
	s_mul_i32 s30, s18, s17
	s_mul_hi_u32 s0, s18, s0
	s_mul_hi_u32 s21, s18, s17
	s_add_u32 s0, s0, s30
	s_addc_u32 s18, 0, s21
	s_add_u32 s0, s0, s20
	s_mul_hi_u32 s8, s9, s17
	s_addc_u32 s0, s18, s19
	s_addc_u32 s8, s8, 0
	s_mul_i32 s17, s9, s17
	s_add_u32 s0, s0, s17
	s_addc_u32 s8, 0, s8
	v_add_co_u32_e32 v2, vcc, s0, v2
	s_cmp_lg_u64 vcc, 0
	s_addc_u32 s0, s9, s8
	s_ashr_i32 s8, s1, 31
	s_add_u32 s18, s16, s8
	s_mov_b32 s9, s8
	s_addc_u32 s19, s1, s8
	s_xor_b64 s[18:19], s[18:19], s[8:9]
	v_readfirstlane_b32 s20, v2
	s_mul_i32 s17, s18, s0
	s_mul_hi_u32 s21, s18, s20
	s_mul_hi_u32 s9, s18, s0
	s_add_u32 s17, s21, s17
	s_addc_u32 s9, 0, s9
	s_mul_hi_u32 s30, s19, s20
	s_mul_i32 s20, s19, s20
	s_add_u32 s17, s17, s20
	s_mul_hi_u32 s21, s19, s0
	s_addc_u32 s9, s9, s30
	s_addc_u32 s17, s21, 0
	s_mul_i32 s0, s19, s0
	s_add_u32 s0, s9, s0
	s_addc_u32 s9, 0, s17
	s_mul_hi_u32 s17, s33, s0
	s_mul_i32 s0, s33, s0
	s_mul_i32 s9, s33, s9
	v_mov_b32_e32 v2, s0
	s_add_i32 s17, s17, s9
	v_sub_co_u32_e32 v2, vcc, s18, v2
	s_cmp_lg_u64 vcc, 0
	s_subb_u32 s0, s19, s17
	v_subrev_co_u32_e32 v3, vcc, s33, v2
	s_cmp_lg_u64 vcc, 0
	s_subb_u32 s9, s0, 0
	v_subrev_co_u32_e32 v4, vcc, s33, v3
	s_cmp_lg_u64 vcc, 0
	s_subb_u32 s17, s9, 0
	v_cmp_le_u32_e32 vcc, s33, v3
	s_cmp_eq_u32 s9, 0
	v_cndmask_b32_e64 v5, 0, -1, vcc
	s_cselect_b64 vcc, -1, 0
	v_cndmask_b32_e32 v5, -1, v5, vcc
	v_mov_b32_e32 v6, s9
	v_mov_b32_e32 v7, s17
	v_cmp_ne_u32_e32 vcc, 0, v5
	v_cndmask_b32_e32 v5, v6, v7, vcc
	v_cndmask_b32_e32 v3, v3, v4, vcc
	v_cmp_le_u32_e32 vcc, s33, v2
	s_cmp_eq_u32 s0, 0
	v_cndmask_b32_e64 v4, 0, -1, vcc
	s_cselect_b64 vcc, -1, 0
	v_cndmask_b32_e32 v4, -1, v4, vcc
	v_cmp_ne_u32_e32 vcc, 0, v4
	v_mov_b32_e32 v6, s0
	v_cndmask_b32_e32 v2, v2, v3, vcc
	v_cndmask_b32_e32 v4, v6, v5, vcc
	v_xor_b32_e32 v2, s8, v2
	v_xor_b32_e32 v3, s8, v4
	v_mov_b32_e32 v4, s8
	v_subrev_co_u32_e32 v2, vcc, s8, v2
	v_subb_co_u32_e32 v3, vcc, v3, v4, vcc
	s_cbranch_execnz .LBB13_158
.LBB13_157:                             ;   in Loop: Header=BB13_17 Depth=1
	v_cvt_f32_u32_e32 v2, s33
	s_sub_i32 s0, 0, s33
	v_rcp_iflag_f32_e32 v2, v2
	v_mul_f32_e32 v2, 0x4f7ffffe, v2
	v_cvt_u32_f32_e32 v2, v2
	v_mul_lo_u32 v3, s0, v2
	v_mul_hi_u32 v3, v2, v3
	v_add_u32_e32 v2, v2, v3
	v_mul_hi_u32 v2, s16, v2
	v_mul_lo_u32 v2, v2, s33
	v_sub_u32_e32 v2, s16, v2
	v_subrev_u32_e32 v3, s33, v2
	v_cmp_le_u32_e32 vcc, s33, v2
	v_cndmask_b32_e32 v2, v2, v3, vcc
	v_subrev_u32_e32 v3, s33, v2
	v_cmp_le_u32_e32 vcc, s33, v2
	v_cndmask_b32_e32 v12, v2, v3, vcc
	v_pk_mov_b32 v[2:3], v[12:13], v[12:13] op_sel:[0,1]
.LBB13_158:                             ;   in Loop: Header=BB13_17 Depth=1
	v_mov_b32_e32 v4, s1
	v_sub_co_u32_e32 v2, vcc, s16, v2
	v_subb_co_u32_e32 v3, vcc, v4, v3, vcc
	v_cmp_gt_i64_e32 vcc, v[2:3], v[0:1]
	s_mov_b64 s[0:1], 0
                                        ; implicit-def: $vgpr41
	s_and_saveexec_b64 s[8:9], vcc
	s_cbranch_execz .LBB13_167
; %bb.159:                              ;   in Loop: Header=BB13_17 Depth=1
	v_mov_b32_e32 v6, v0
	v_pk_mov_b32 v[4:5], v[0:1], v[0:1] op_sel:[0,1]
                                        ; implicit-def: $sgpr16_sgpr17
	s_branch .LBB13_161
.LBB13_160:                             ;   in Loop: Header=BB13_161 Depth=2
	s_or_b64 exec, exec, s[18:19]
	s_waitcnt lgkmcnt(0)
	s_barrier
	ds_read_u16 v7, v13 offset:3072
	v_mov_b32_e32 v8, s86
	v_add_co_u32_e32 v4, vcc, s33, v4
	v_addc_co_u32_e32 v5, vcc, v5, v8, vcc
	s_waitcnt lgkmcnt(0)
	v_cmp_ne_u16_sdwa s[18:19], v7, v13 src0_sel:BYTE_0 src1_sel:DWORD
	v_cmp_ge_i64_e32 vcc, v[4:5], v[2:3]
	s_or_b64 s[20:21], s[18:19], vcc
	s_and_b64 s[20:21], exec, s[20:21]
	s_or_b64 s[0:1], s[20:21], s[0:1]
	s_andn2_b64 s[16:17], s[16:17], exec
	s_and_b64 s[18:19], s[18:19], exec
	v_add_u32_e32 v6, s33, v6
	s_or_b64 s[16:17], s[16:17], s[18:19]
	s_barrier
	s_andn2_b64 exec, exec, s[0:1]
	s_cbranch_execz .LBB13_166
.LBB13_161:                             ;   Parent Loop BB13_17 Depth=1
                                        ; =>  This Inner Loop Header: Depth=2
	v_cmp_gt_i64_e32 vcc, s[22:23], v[4:5]
	v_mov_b32_e32 v7, 0
	s_and_saveexec_b64 s[18:19], vcc
	s_cbranch_execz .LBB13_163
; %bb.162:                              ;   in Loop: Header=BB13_161 Depth=2
	ds_read_u8 v7, v6
.LBB13_163:                             ;   in Loop: Header=BB13_161 Depth=2
	s_or_b64 exec, exec, s[18:19]
	s_and_saveexec_b64 s[18:19], vcc
	s_cbranch_execz .LBB13_160
; %bb.164:                              ;   in Loop: Header=BB13_161 Depth=2
	s_waitcnt lgkmcnt(0)
	v_add_u32_sdwa v8, sext(v7), s76 dst_sel:DWORD dst_unused:UNUSED_PAD src0_sel:BYTE_0 src1_sel:DWORD
	v_and_b32_e32 v8, s27, v8
	v_cmp_eq_u32_e32 vcc, s84, v8
	s_and_b64 exec, exec, vcc
	s_cbranch_execz .LBB13_160
; %bb.165:                              ;   in Loop: Header=BB13_161 Depth=2
	v_lshlrev_b16_e32 v7, 8, v7
	v_or_b32_e32 v7, 1, v7
	ds_write_b16 v13, v7 offset:3072
	s_branch .LBB13_160
.LBB13_166:                             ;   in Loop: Header=BB13_17 Depth=1
	s_or_b64 exec, exec, s[0:1]
	v_lshrrev_b16_e32 v41, 8, v7
	s_and_b64 s[0:1], s[16:17], exec
.LBB13_167:                             ;   in Loop: Header=BB13_17 Depth=1
	s_or_b64 exec, exec, s[8:9]
	s_mov_b64 s[20:21], -1
	s_mov_b64 s[18:19], 0
	s_mov_b64 s[16:17], 0
.LBB13_168:                             ;   in Loop: Header=BB13_17 Depth=1
	s_mov_b64 s[8:9], 0
                                        ; implicit-def: $sgpr47
	s_and_saveexec_b64 s[22:23], s[0:1]
	s_cbranch_execz .LBB13_279
; %bb.169:                              ;   in Loop: Header=BB13_17 Depth=1
	s_xor_b64 s[0:1], s[28:29], -1
	s_andn2_b64 vcc, exec, s[0:1]
	s_mov_b32 s47, 1
	s_cbranch_vccnz .LBB13_180
; %bb.170:                              ;   in Loop: Header=BB13_17 Depth=1
	v_pk_mov_b32 v[2:3], s[24:25], s[24:25] op_sel:[0,1]
	v_cmp_gt_i64_e32 vcc, s[54:55], v[2:3]
	s_mov_b64 s[0:1], -1
                                        ; implicit-def: $sgpr47
                                        ; implicit-def: $sgpr8
                                        ; implicit-def: $sgpr9
	s_cbranch_vccnz .LBB13_176
; %bb.171:                              ;   in Loop: Header=BB13_17 Depth=1
	ds_read_b64 v[2:3], v13 offset:5120
	s_waitcnt lgkmcnt(0)
	v_cmp_ne_u64_e32 vcc, 0, v[2:3]
	s_cbranch_vccnz .LBB13_175
; %bb.172:                              ;   in Loop: Header=BB13_17 Depth=1
	s_mov_b64 s[0:1], exec
	v_readlane_b32 s8, v46, 12
	v_readlane_b32 s9, v46, 13
	s_and_b64 s[8:9], s[0:1], s[8:9]
	s_mov_b64 exec, s[8:9]
	s_cbranch_execz .LBB13_174
; %bb.173:                              ;   in Loop: Header=BB13_17 Depth=1
	v_pk_mov_b32 v[2:3], s[24:25], s[24:25] op_sel:[0,1]
	ds_write_b64 v13, v[2:3] offset:5128
.LBB13_174:                             ;   in Loop: Header=BB13_17 Depth=1
	s_or_b64 exec, exec, s[0:1]
	s_waitcnt lgkmcnt(0)
	s_barrier
.LBB13_175:                             ;   in Loop: Header=BB13_17 Depth=1
	s_lshl_b32 s0, 1, s38
	s_and_b32 s1, s84, s39
	s_or_b32 s8, s1, s0
	s_or_b32 s9, s27, s46
	s_mov_b64 s[0:1], 0
	s_mov_b32 s47, 8
.LBB13_176:                             ;   in Loop: Header=BB13_17 Depth=1
	s_andn2_b64 vcc, exec, s[0:1]
	s_cbranch_vccnz .LBB13_178
; %bb.177:                              ;   in Loop: Header=BB13_17 Depth=1
	s_sub_u32 s54, s54, s24
	s_subb_u32 s55, s55, s25
	s_mov_b64 s[0:1], -1
	s_mov_b32 s47, 0
	s_mov_b32 s8, s84
	;; [unrolled: 1-line block ×3, first 2 shown]
.LBB13_178:                             ;   in Loop: Header=BB13_17 Depth=1
	s_mov_b32 s27, s9
	s_mov_b32 s84, s8
	s_andn2_b64 vcc, exec, s[0:1]
	s_mov_b64 s[8:9], -1
	s_cbranch_vccz .LBB13_181
.LBB13_179:                             ;   in Loop: Header=BB13_17 Depth=1
                                        ; implicit-def: $sgpr28_sgpr29
                                        ; implicit-def: $sgpr30_sgpr31
                                        ; implicit-def: $sgpr24_sgpr25
	s_branch .LBB13_278
.LBB13_180:                             ;   in Loop: Header=BB13_17 Depth=1
	s_mov_b64 s[54:55], 1
	s_mov_b64 s[8:9], -1
	s_cbranch_execnz .LBB13_179
.LBB13_181:                             ;   in Loop: Header=BB13_17 Depth=1
	s_cmp_eq_u64 s[14:15], 1
	s_cselect_b64 s[0:1], -1, 0
	s_cmp_eq_u64 s[54:55], 1
	s_cselect_b64 s[8:9], -1, 0
	s_and_b64 s[36:37], s[0:1], s[8:9]
	s_mov_b64 s[0:1], -1
	s_and_b64 vcc, exec, s[36:37]
	s_cbranch_vccz .LBB13_196
; %bb.182:                              ;   in Loop: Header=BB13_17 Depth=1
	ds_read_b64 v[2:3], v13 offset:5120
	s_waitcnt lgkmcnt(0)
	s_barrier
	v_readfirstlane_b32 s34, v2
	v_readfirstlane_b32 s35, v3
	s_mov_b64 s[0:1], exec
	v_readlane_b32 s8, v46, 24
	v_readlane_b32 s9, v46, 25
	s_and_b64 s[8:9], s[0:1], s[8:9]
	s_mov_b64 exec, s[8:9]
	s_cbranch_execz .LBB13_184
; %bb.183:                              ;   in Loop: Header=BB13_17 Depth=1
	ds_write_b8 v0, v13 offset:3072
.LBB13_184:                             ;   in Loop: Header=BB13_17 Depth=1
	s_or_b64 exec, exec, s[0:1]
	s_lshl_b32 s0, 2, s38
	s_and_b32 s1, s84, s39
	s_or_b32 s84, s1, s0
	v_cmp_gt_i64_e64 s[0:1], s[34:35], 0
	s_or_b32 s27, s27, s46
	s_and_b64 vcc, exec, s[0:1]
	s_waitcnt lgkmcnt(0)
	s_barrier
	s_cbranch_vccnz .LBB13_199
; %bb.185:                              ;   in Loop: Header=BB13_17 Depth=1
	s_mov_b32 s88, s81
	s_cmp_lg_u64 s[88:89], 0
	s_cbranch_scc0 .LBB13_244
; %bb.186:                              ;   in Loop: Header=BB13_17 Depth=1
	v_cvt_f32_u32_e32 v2, s33
	s_sub_u32 s0, 0, s33
	s_subb_u32 s1, 0, 0
	v_mac_f32_e32 v2, 0x4f800000, v40
	v_rcp_f32_e32 v2, v2
	v_mul_f32_e32 v2, 0x5f7ffffc, v2
	v_mul_f32_e32 v3, 0x2f800000, v2
	v_trunc_f32_e32 v3, v3
	v_mac_f32_e32 v2, 0xcf800000, v3
	v_cvt_u32_f32_e32 v3, v3
	v_cvt_u32_f32_e32 v2, v2
	v_readfirstlane_b32 s8, v3
	v_readfirstlane_b32 s9, v2
	s_mul_i32 s24, s0, s8
	s_mul_hi_u32 s28, s0, s9
	s_mul_i32 s25, s1, s9
	s_add_i32 s24, s28, s24
	s_mul_i32 s29, s0, s9
	s_add_i32 s24, s24, s25
	s_mul_hi_u32 s28, s9, s29
	s_mul_hi_u32 s25, s9, s24
	s_mul_i32 s9, s9, s24
	s_add_u32 s9, s28, s9
	s_addc_u32 s25, 0, s25
	s_mul_hi_u32 s30, s8, s29
	s_mul_i32 s29, s8, s29
	s_add_u32 s9, s9, s29
	s_mul_hi_u32 s28, s8, s24
	s_addc_u32 s9, s25, s30
	s_addc_u32 s25, s28, 0
	s_mul_i32 s24, s8, s24
	s_add_u32 s9, s9, s24
	s_addc_u32 s24, 0, s25
	v_add_co_u32_e32 v2, vcc, s9, v2
	s_cmp_lg_u64 vcc, 0
	s_addc_u32 s8, s8, s24
	v_readfirstlane_b32 s24, v2
	s_mul_i32 s9, s0, s8
	s_mul_hi_u32 s25, s0, s24
	s_add_i32 s9, s25, s9
	s_mul_i32 s1, s1, s24
	s_add_i32 s9, s9, s1
	s_mul_i32 s0, s0, s24
	s_mul_hi_u32 s25, s8, s0
	s_mul_i32 s28, s8, s0
	s_mul_i32 s30, s24, s9
	s_mul_hi_u32 s0, s24, s0
	s_mul_hi_u32 s29, s24, s9
	s_add_u32 s0, s0, s30
	s_addc_u32 s24, 0, s29
	s_add_u32 s0, s0, s28
	s_mul_hi_u32 s1, s8, s9
	s_addc_u32 s0, s24, s25
	s_addc_u32 s1, s1, 0
	s_mul_i32 s9, s8, s9
	s_add_u32 s0, s0, s9
	s_addc_u32 s1, 0, s1
	v_add_co_u32_e32 v2, vcc, s0, v2
	s_cmp_lg_u64 vcc, 0
	s_addc_u32 s24, s8, s1
	s_ashr_i32 s0, s89, 31
	s_add_u32 s8, s85, s0
	s_mov_b32 s1, s0
	s_addc_u32 s9, s89, s0
	s_xor_b64 s[8:9], s[8:9], s[0:1]
	v_readfirstlane_b32 s28, v2
	s_mul_i32 s25, s8, s24
	s_mul_hi_u32 s29, s8, s28
	s_mul_hi_u32 s1, s8, s24
	s_add_u32 s25, s29, s25
	s_addc_u32 s1, 0, s1
	s_mul_hi_u32 s30, s9, s28
	s_mul_i32 s28, s9, s28
	s_add_u32 s25, s25, s28
	s_mul_hi_u32 s29, s9, s24
	s_addc_u32 s1, s1, s30
	s_addc_u32 s25, s29, 0
	s_mul_i32 s24, s9, s24
	s_add_u32 s1, s1, s24
	s_addc_u32 s24, 0, s25
	s_mul_hi_u32 s25, s33, s1
	s_mul_i32 s1, s33, s1
	s_mul_i32 s24, s33, s24
	v_mov_b32_e32 v2, s1
	s_add_i32 s25, s25, s24
	v_sub_co_u32_e32 v2, vcc, s8, v2
	s_cmp_lg_u64 vcc, 0
	s_subb_u32 s1, s9, s25
	v_subrev_co_u32_e32 v3, vcc, s33, v2
	s_cmp_lg_u64 vcc, 0
	s_subb_u32 s8, s1, 0
	v_subrev_co_u32_e32 v4, vcc, s33, v3
	s_cmp_lg_u64 vcc, 0
	s_subb_u32 s9, s8, 0
	v_cmp_le_u32_e32 vcc, s33, v3
	s_cmp_eq_u32 s8, 0
	v_cndmask_b32_e64 v5, 0, -1, vcc
	s_cselect_b64 vcc, -1, 0
	v_cndmask_b32_e32 v5, -1, v5, vcc
	v_mov_b32_e32 v6, s8
	v_mov_b32_e32 v7, s9
	v_cmp_ne_u32_e32 vcc, 0, v5
	v_cndmask_b32_e32 v5, v6, v7, vcc
	v_cndmask_b32_e32 v3, v3, v4, vcc
	v_cmp_le_u32_e32 vcc, s33, v2
	s_cmp_eq_u32 s1, 0
	v_cndmask_b32_e64 v4, 0, -1, vcc
	s_cselect_b64 vcc, -1, 0
	v_cndmask_b32_e32 v4, -1, v4, vcc
	v_cmp_ne_u32_e32 vcc, 0, v4
	v_mov_b32_e32 v6, s1
	v_cndmask_b32_e32 v2, v2, v3, vcc
	v_cndmask_b32_e32 v4, v6, v5, vcc
	v_xor_b32_e32 v2, s0, v2
	v_xor_b32_e32 v3, s0, v4
	v_mov_b32_e32 v4, s0
	v_subrev_co_u32_e32 v2, vcc, s0, v2
	v_subb_co_u32_e32 v3, vcc, v3, v4, vcc
	s_cbranch_execnz .LBB13_188
.LBB13_187:                             ;   in Loop: Header=BB13_17 Depth=1
	v_cvt_f32_u32_e32 v2, s33
	s_sub_i32 s0, 0, s33
	v_rcp_iflag_f32_e32 v2, v2
	v_mul_f32_e32 v2, 0x4f7ffffe, v2
	v_cvt_u32_f32_e32 v2, v2
	v_mul_lo_u32 v3, s0, v2
	v_mul_hi_u32 v3, v2, v3
	v_add_u32_e32 v2, v2, v3
	v_mul_hi_u32 v2, s85, v2
	v_mul_lo_u32 v2, v2, s33
	v_sub_u32_e32 v2, s85, v2
	v_subrev_u32_e32 v3, s33, v2
	v_cmp_le_u32_e32 vcc, s33, v2
	v_cndmask_b32_e32 v2, v2, v3, vcc
	v_subrev_u32_e32 v3, s33, v2
	v_cmp_le_u32_e32 vcc, s33, v2
	v_cndmask_b32_e32 v12, v2, v3, vcc
	v_pk_mov_b32 v[2:3], v[12:13], v[12:13] op_sel:[0,1]
.LBB13_188:                             ;   in Loop: Header=BB13_17 Depth=1
	v_mov_b32_e32 v4, s89
	v_sub_co_u32_e32 v2, vcc, s85, v2
	v_subb_co_u32_e32 v3, vcc, v4, v3, vcc
	v_cmp_gt_i64_e32 vcc, v[2:3], v[0:1]
	s_mov_b64 s[0:1], 0
                                        ; implicit-def: $vgpr41
	s_and_saveexec_b64 s[8:9], vcc
	s_cbranch_execz .LBB13_201
; %bb.189:                              ;   in Loop: Header=BB13_17 Depth=1
	v_pk_mov_b32 v[4:5], v[10:11], v[10:11] op_sel:[0,1]
	v_pk_mov_b32 v[6:7], v[0:1], v[0:1] op_sel:[0,1]
                                        ; implicit-def: $sgpr24_sgpr25
	s_branch .LBB13_191
.LBB13_190:                             ;   in Loop: Header=BB13_191 Depth=2
	s_or_b64 exec, exec, s[28:29]
	s_waitcnt lgkmcnt(0)
	s_barrier
	s_waitcnt vmcnt(0)
	ds_read_u16 v8, v13 offset:3072
	v_mov_b32_e32 v9, s86
	v_add_co_u32_e32 v6, vcc, s33, v6
	v_addc_co_u32_e32 v7, vcc, v7, v9, vcc
	s_waitcnt lgkmcnt(0)
	v_cmp_ne_u16_sdwa s[28:29], v8, v13 src0_sel:BYTE_0 src1_sel:DWORD
	v_cmp_ge_i64_e32 vcc, v[6:7], v[2:3]
	s_or_b64 s[30:31], s[28:29], vcc
	s_and_b64 s[30:31], exec, s[30:31]
	s_or_b64 s[0:1], s[30:31], s[0:1]
	v_mov_b32_e32 v9, s87
	v_add_co_u32_e32 v4, vcc, s26, v4
	s_andn2_b64 s[24:25], s[24:25], exec
	s_and_b64 s[28:29], s[28:29], exec
	v_addc_co_u32_e32 v5, vcc, v5, v9, vcc
	s_or_b64 s[24:25], s[24:25], s[28:29]
	s_barrier
	s_andn2_b64 exec, exec, s[0:1]
	s_cbranch_execz .LBB13_200
.LBB13_191:                             ;   Parent Loop BB13_17 Depth=1
                                        ; =>  This Inner Loop Header: Depth=2
	v_cmp_gt_i64_e32 vcc, s[52:53], v[6:7]
	v_mov_b32_e32 v8, 0
	s_and_saveexec_b64 s[28:29], vcc
	s_cbranch_execz .LBB13_193
; %bb.192:                              ;   in Loop: Header=BB13_191 Depth=2
	global_load_ubyte v8, v[4:5], off
.LBB13_193:                             ;   in Loop: Header=BB13_191 Depth=2
	s_or_b64 exec, exec, s[28:29]
	s_and_saveexec_b64 s[28:29], vcc
	s_cbranch_execz .LBB13_190
; %bb.194:                              ;   in Loop: Header=BB13_191 Depth=2
	s_waitcnt vmcnt(0)
	v_add_u32_sdwa v9, sext(v8), s76 dst_sel:DWORD dst_unused:UNUSED_PAD src0_sel:BYTE_0 src1_sel:DWORD
	v_and_b32_e32 v9, s27, v9
	v_cmp_eq_u32_e32 vcc, s84, v9
	s_and_b64 exec, exec, vcc
	s_cbranch_execz .LBB13_190
; %bb.195:                              ;   in Loop: Header=BB13_191 Depth=2
	v_lshlrev_b16_e32 v8, 8, v8
	v_or_b32_e32 v8, 1, v8
	ds_write_b16 v13, v8 offset:3072
	s_branch .LBB13_190
.LBB13_196:                             ;   in Loop: Header=BB13_17 Depth=1
                                        ; implicit-def: $sgpr24_sgpr25
                                        ; implicit-def: $sgpr30_sgpr31
                                        ; implicit-def: $sgpr28_sgpr29
	s_branch .LBB13_215
.LBB13_197:                             ;   in Loop: Header=BB13_17 Depth=1
                                        ; implicit-def: $vgpr2_vgpr3
	s_branch .LBB13_140
.LBB13_198:                             ;   in Loop: Header=BB13_17 Depth=1
                                        ; implicit-def: $vgpr2_vgpr3
	s_branch .LBB13_157
.LBB13_199:                             ;   in Loop: Header=BB13_17 Depth=1
	s_mov_b64 s[24:25], -1
	s_mov_b64 s[0:1], 0
                                        ; implicit-def: $sgpr28_sgpr29
                                        ; implicit-def: $vgpr41
	s_mov_b64 s[30:31], s[24:25]
	s_cbranch_execnz .LBB13_202
	s_branch .LBB13_215
.LBB13_200:                             ;   in Loop: Header=BB13_17 Depth=1
	s_or_b64 exec, exec, s[0:1]
	v_lshrrev_b16_e32 v41, 8, v8
	s_and_b64 s[0:1], s[24:25], exec
.LBB13_201:                             ;   in Loop: Header=BB13_17 Depth=1
	s_or_b64 exec, exec, s[8:9]
	s_mov_b64 s[28:29], -1
	s_mov_b64 s[24:25], 0
	s_mov_b64 s[30:31], s[24:25]
	s_branch .LBB13_215
.LBB13_202:                             ;   in Loop: Header=BB13_17 Depth=1
	v_readlane_b32 s0, v46, 32
	s_add_u32 s24, s0, s34
	v_readlane_b32 s0, v46, 33
	s_addc_u32 s1, s0, s35
	s_mov_b32 s0, s81
	s_cmp_lg_u64 s[0:1], 0
	s_cbranch_scc0 .LBB13_245
; %bb.203:                              ;   in Loop: Header=BB13_17 Depth=1
	v_cvt_f32_u32_e32 v2, s33
	s_sub_u32 s0, 0, s33
	s_subb_u32 s8, 0, 0
	v_mac_f32_e32 v2, 0x4f800000, v40
	v_rcp_f32_e32 v2, v2
	v_mul_f32_e32 v2, 0x5f7ffffc, v2
	v_mul_f32_e32 v3, 0x2f800000, v2
	v_trunc_f32_e32 v3, v3
	v_mac_f32_e32 v2, 0xcf800000, v3
	v_cvt_u32_f32_e32 v3, v3
	v_cvt_u32_f32_e32 v2, v2
	v_readfirstlane_b32 s9, v3
	v_readfirstlane_b32 s25, v2
	s_mul_i32 s28, s0, s9
	s_mul_hi_u32 s30, s0, s25
	s_mul_i32 s29, s8, s25
	s_add_i32 s28, s30, s28
	s_mul_i32 s31, s0, s25
	s_add_i32 s28, s28, s29
	s_mul_hi_u32 s30, s25, s31
	s_mul_hi_u32 s29, s25, s28
	s_mul_i32 s25, s25, s28
	s_add_u32 s25, s30, s25
	s_addc_u32 s29, 0, s29
	s_mul_hi_u32 s40, s9, s31
	s_mul_i32 s31, s9, s31
	s_add_u32 s25, s25, s31
	s_mul_hi_u32 s30, s9, s28
	s_addc_u32 s25, s29, s40
	s_addc_u32 s29, s30, 0
	s_mul_i32 s28, s9, s28
	s_add_u32 s25, s25, s28
	s_addc_u32 s28, 0, s29
	v_add_co_u32_e32 v2, vcc, s25, v2
	s_cmp_lg_u64 vcc, 0
	s_addc_u32 s9, s9, s28
	v_readfirstlane_b32 s28, v2
	s_mul_i32 s25, s0, s9
	s_mul_hi_u32 s29, s0, s28
	s_add_i32 s25, s29, s25
	s_mul_i32 s8, s8, s28
	s_add_i32 s25, s25, s8
	s_mul_i32 s0, s0, s28
	s_mul_hi_u32 s29, s9, s0
	s_mul_i32 s30, s9, s0
	s_mul_i32 s40, s28, s25
	s_mul_hi_u32 s0, s28, s0
	s_mul_hi_u32 s31, s28, s25
	s_add_u32 s0, s0, s40
	s_addc_u32 s28, 0, s31
	s_add_u32 s0, s0, s30
	s_mul_hi_u32 s8, s9, s25
	s_addc_u32 s0, s28, s29
	s_addc_u32 s8, s8, 0
	s_mul_i32 s25, s9, s25
	s_add_u32 s0, s0, s25
	s_addc_u32 s8, 0, s8
	v_add_co_u32_e32 v2, vcc, s0, v2
	s_cmp_lg_u64 vcc, 0
	s_addc_u32 s0, s9, s8
	s_ashr_i32 s8, s1, 31
	s_add_u32 s28, s24, s8
	s_mov_b32 s9, s8
	s_addc_u32 s29, s1, s8
	s_xor_b64 s[28:29], s[28:29], s[8:9]
	v_readfirstlane_b32 s30, v2
	s_mul_i32 s25, s28, s0
	s_mul_hi_u32 s31, s28, s30
	s_mul_hi_u32 s9, s28, s0
	s_add_u32 s25, s31, s25
	s_addc_u32 s9, 0, s9
	s_mul_hi_u32 s40, s29, s30
	s_mul_i32 s30, s29, s30
	s_add_u32 s25, s25, s30
	s_mul_hi_u32 s31, s29, s0
	s_addc_u32 s9, s9, s40
	s_addc_u32 s25, s31, 0
	s_mul_i32 s0, s29, s0
	s_add_u32 s0, s9, s0
	s_addc_u32 s9, 0, s25
	s_mul_hi_u32 s25, s33, s0
	s_mul_i32 s0, s33, s0
	s_mul_i32 s9, s33, s9
	v_mov_b32_e32 v2, s0
	s_add_i32 s25, s25, s9
	v_sub_co_u32_e32 v2, vcc, s28, v2
	s_cmp_lg_u64 vcc, 0
	s_subb_u32 s0, s29, s25
	v_subrev_co_u32_e32 v3, vcc, s33, v2
	s_cmp_lg_u64 vcc, 0
	s_subb_u32 s9, s0, 0
	v_subrev_co_u32_e32 v4, vcc, s33, v3
	s_cmp_lg_u64 vcc, 0
	s_subb_u32 s25, s9, 0
	v_cmp_le_u32_e32 vcc, s33, v3
	s_cmp_eq_u32 s9, 0
	v_cndmask_b32_e64 v5, 0, -1, vcc
	s_cselect_b64 vcc, -1, 0
	v_cndmask_b32_e32 v5, -1, v5, vcc
	v_mov_b32_e32 v6, s9
	v_mov_b32_e32 v7, s25
	v_cmp_ne_u32_e32 vcc, 0, v5
	v_cndmask_b32_e32 v5, v6, v7, vcc
	v_cndmask_b32_e32 v3, v3, v4, vcc
	v_cmp_le_u32_e32 vcc, s33, v2
	s_cmp_eq_u32 s0, 0
	v_cndmask_b32_e64 v4, 0, -1, vcc
	s_cselect_b64 vcc, -1, 0
	v_cndmask_b32_e32 v4, -1, v4, vcc
	v_cmp_ne_u32_e32 vcc, 0, v4
	v_mov_b32_e32 v6, s0
	v_cndmask_b32_e32 v2, v2, v3, vcc
	v_cndmask_b32_e32 v4, v6, v5, vcc
	v_xor_b32_e32 v2, s8, v2
	v_xor_b32_e32 v3, s8, v4
	v_mov_b32_e32 v4, s8
	v_subrev_co_u32_e32 v2, vcc, s8, v2
	v_subb_co_u32_e32 v3, vcc, v3, v4, vcc
	s_cbranch_execnz .LBB13_205
.LBB13_204:                             ;   in Loop: Header=BB13_17 Depth=1
	v_cvt_f32_u32_e32 v2, s33
	s_sub_i32 s0, 0, s33
	v_rcp_iflag_f32_e32 v2, v2
	v_mul_f32_e32 v2, 0x4f7ffffe, v2
	v_cvt_u32_f32_e32 v2, v2
	v_mul_lo_u32 v3, s0, v2
	v_mul_hi_u32 v3, v2, v3
	v_add_u32_e32 v2, v2, v3
	v_mul_hi_u32 v2, s24, v2
	v_mul_lo_u32 v2, v2, s33
	v_sub_u32_e32 v2, s24, v2
	v_subrev_u32_e32 v3, s33, v2
	v_cmp_le_u32_e32 vcc, s33, v2
	v_cndmask_b32_e32 v2, v2, v3, vcc
	v_subrev_u32_e32 v3, s33, v2
	v_cmp_le_u32_e32 vcc, s33, v2
	v_cndmask_b32_e32 v12, v2, v3, vcc
	v_pk_mov_b32 v[2:3], v[12:13], v[12:13] op_sel:[0,1]
.LBB13_205:                             ;   in Loop: Header=BB13_17 Depth=1
	v_mov_b32_e32 v4, s1
	v_sub_co_u32_e32 v2, vcc, s24, v2
	v_subb_co_u32_e32 v3, vcc, v4, v3, vcc
	v_cmp_gt_i64_e32 vcc, v[2:3], v[0:1]
	s_mov_b64 s[0:1], 0
                                        ; implicit-def: $vgpr41
	s_and_saveexec_b64 s[8:9], vcc
	s_cbranch_execz .LBB13_214
; %bb.206:                              ;   in Loop: Header=BB13_17 Depth=1
	v_mov_b32_e32 v6, v0
	v_pk_mov_b32 v[4:5], v[0:1], v[0:1] op_sel:[0,1]
                                        ; implicit-def: $sgpr24_sgpr25
	s_branch .LBB13_208
.LBB13_207:                             ;   in Loop: Header=BB13_208 Depth=2
	s_or_b64 exec, exec, s[28:29]
	s_waitcnt lgkmcnt(0)
	s_barrier
	ds_read_u16 v7, v13 offset:3072
	v_mov_b32_e32 v8, s86
	v_add_co_u32_e32 v4, vcc, s33, v4
	v_addc_co_u32_e32 v5, vcc, v5, v8, vcc
	s_waitcnt lgkmcnt(0)
	v_cmp_ne_u16_sdwa s[28:29], v7, v13 src0_sel:BYTE_0 src1_sel:DWORD
	v_cmp_ge_i64_e32 vcc, v[4:5], v[2:3]
	s_or_b64 s[30:31], s[28:29], vcc
	s_and_b64 s[30:31], exec, s[30:31]
	s_or_b64 s[0:1], s[30:31], s[0:1]
	s_andn2_b64 s[24:25], s[24:25], exec
	s_and_b64 s[28:29], s[28:29], exec
	v_add_u32_e32 v6, s33, v6
	s_or_b64 s[24:25], s[24:25], s[28:29]
	s_barrier
	s_andn2_b64 exec, exec, s[0:1]
	s_cbranch_execz .LBB13_213
.LBB13_208:                             ;   Parent Loop BB13_17 Depth=1
                                        ; =>  This Inner Loop Header: Depth=2
	v_cmp_gt_i64_e32 vcc, s[34:35], v[4:5]
	v_mov_b32_e32 v7, 0
	s_and_saveexec_b64 s[28:29], vcc
	s_cbranch_execz .LBB13_210
; %bb.209:                              ;   in Loop: Header=BB13_208 Depth=2
	ds_read_u8 v7, v6
.LBB13_210:                             ;   in Loop: Header=BB13_208 Depth=2
	s_or_b64 exec, exec, s[28:29]
	s_and_saveexec_b64 s[28:29], vcc
	s_cbranch_execz .LBB13_207
; %bb.211:                              ;   in Loop: Header=BB13_208 Depth=2
	s_waitcnt lgkmcnt(0)
	v_add_u32_sdwa v8, sext(v7), s76 dst_sel:DWORD dst_unused:UNUSED_PAD src0_sel:BYTE_0 src1_sel:DWORD
	v_and_b32_e32 v8, s27, v8
	v_cmp_eq_u32_e32 vcc, s84, v8
	s_and_b64 exec, exec, vcc
	s_cbranch_execz .LBB13_207
; %bb.212:                              ;   in Loop: Header=BB13_208 Depth=2
	v_lshlrev_b16_e32 v7, 8, v7
	v_or_b32_e32 v7, 1, v7
	ds_write_b16 v13, v7 offset:3072
	s_branch .LBB13_207
.LBB13_213:                             ;   in Loop: Header=BB13_17 Depth=1
	s_or_b64 exec, exec, s[0:1]
	v_lshrrev_b16_e32 v41, 8, v7
	s_and_b64 s[0:1], s[24:25], exec
.LBB13_214:                             ;   in Loop: Header=BB13_17 Depth=1
	s_or_b64 exec, exec, s[8:9]
	s_mov_b64 s[30:31], -1
	s_mov_b64 s[24:25], 0
	s_mov_b64 s[28:29], 0
.LBB13_215:                             ;   in Loop: Header=BB13_17 Depth=1
	s_mov_b64 s[8:9], 0
                                        ; implicit-def: $sgpr47
	s_and_saveexec_b64 s[34:35], s[0:1]
	s_cbranch_execz .LBB13_277
; %bb.216:                              ;   in Loop: Header=BB13_17 Depth=1
	s_xor_b64 s[0:1], s[36:37], -1
	s_andn2_b64 vcc, exec, s[0:1]
	s_mov_b32 s47, 1
	s_cbranch_vccnz .LBB13_227
; %bb.217:                              ;   in Loop: Header=BB13_17 Depth=1
	v_pk_mov_b32 v[2:3], s[14:15], s[14:15] op_sel:[0,1]
	v_cmp_gt_i64_e32 vcc, s[54:55], v[2:3]
	s_mov_b64 s[0:1], -1
                                        ; implicit-def: $sgpr47
                                        ; implicit-def: $sgpr8
                                        ; implicit-def: $sgpr9
	s_cbranch_vccnz .LBB13_223
; %bb.218:                              ;   in Loop: Header=BB13_17 Depth=1
	ds_read_b64 v[2:3], v13 offset:5120
	s_waitcnt lgkmcnt(0)
	v_cmp_ne_u64_e32 vcc, 0, v[2:3]
	s_cbranch_vccnz .LBB13_222
; %bb.219:                              ;   in Loop: Header=BB13_17 Depth=1
	s_mov_b64 s[0:1], exec
	v_readlane_b32 s8, v46, 12
	v_readlane_b32 s9, v46, 13
	s_and_b64 s[8:9], s[0:1], s[8:9]
	s_mov_b64 exec, s[8:9]
	s_cbranch_execz .LBB13_221
; %bb.220:                              ;   in Loop: Header=BB13_17 Depth=1
	v_pk_mov_b32 v[2:3], s[14:15], s[14:15] op_sel:[0,1]
	ds_write_b64 v13, v[2:3] offset:5128
.LBB13_221:                             ;   in Loop: Header=BB13_17 Depth=1
	s_or_b64 exec, exec, s[0:1]
	s_waitcnt lgkmcnt(0)
	s_barrier
.LBB13_222:                             ;   in Loop: Header=BB13_17 Depth=1
	s_lshl_b32 s0, 2, s38
	s_and_b32 s1, s84, s39
	s_or_b32 s8, s1, s0
	s_or_b32 s9, s27, s46
	s_mov_b64 s[0:1], 0
	s_mov_b32 s47, 8
.LBB13_223:                             ;   in Loop: Header=BB13_17 Depth=1
	s_andn2_b64 vcc, exec, s[0:1]
	s_cbranch_vccnz .LBB13_225
; %bb.224:                              ;   in Loop: Header=BB13_17 Depth=1
	s_sub_u32 s54, s54, s14
	s_subb_u32 s55, s55, s15
	s_mov_b64 s[0:1], -1
	s_mov_b32 s47, 0
	s_mov_b32 s8, s84
	;; [unrolled: 1-line block ×3, first 2 shown]
.LBB13_225:                             ;   in Loop: Header=BB13_17 Depth=1
	s_mov_b32 s27, s9
	s_mov_b32 s84, s8
	s_andn2_b64 vcc, exec, s[0:1]
	s_mov_b64 s[42:43], -1
	s_cbranch_vccz .LBB13_228
.LBB13_226:                             ;   in Loop: Header=BB13_17 Depth=1
                                        ; implicit-def: $sgpr0_sgpr1
                                        ; implicit-def: $sgpr38_sgpr39
                                        ; implicit-def: $sgpr8_sgpr9
	s_branch .LBB13_276
.LBB13_227:                             ;   in Loop: Header=BB13_17 Depth=1
	s_mov_b64 s[54:55], 1
	s_mov_b64 s[42:43], -1
	s_cbranch_execnz .LBB13_226
.LBB13_228:                             ;   in Loop: Header=BB13_17 Depth=1
	s_cmp_eq_u64 s[6:7], 1
	s_cselect_b64 s[0:1], -1, 0
	s_cmp_eq_u64 s[54:55], 1
	s_cselect_b64 s[8:9], -1, 0
	s_and_b64 s[14:15], s[0:1], s[8:9]
	s_mov_b64 s[40:41], -1
	s_and_b64 vcc, exec, s[14:15]
	s_cbranch_vccz .LBB13_243
; %bb.229:                              ;   in Loop: Header=BB13_17 Depth=1
	ds_read_b64 v[2:3], v13 offset:5120
	s_waitcnt lgkmcnt(0)
	s_barrier
	v_readfirstlane_b32 s36, v2
	v_readfirstlane_b32 s37, v3
	s_mov_b64 s[0:1], exec
	v_readlane_b32 s8, v46, 24
	v_readlane_b32 s9, v46, 25
	s_and_b64 s[8:9], s[0:1], s[8:9]
	s_mov_b64 exec, s[8:9]
	s_cbranch_execz .LBB13_231
; %bb.230:                              ;   in Loop: Header=BB13_17 Depth=1
	ds_write_b8 v0, v13 offset:3072
.LBB13_231:                             ;   in Loop: Header=BB13_17 Depth=1
	s_or_b64 exec, exec, s[0:1]
	v_cmp_gt_i64_e64 s[0:1], s[36:37], 0
	s_or_b32 s84, s84, s46
	s_or_b32 s27, s27, s46
	s_and_b64 vcc, exec, s[0:1]
	s_waitcnt lgkmcnt(0)
	s_barrier
	s_cbranch_vccnz .LBB13_246
; %bb.232:                              ;   in Loop: Header=BB13_17 Depth=1
	s_mov_b32 s88, s81
	s_cmp_lg_u64 s[88:89], 0
	s_cbranch_scc0 .LBB13_282
; %bb.233:                              ;   in Loop: Header=BB13_17 Depth=1
	v_cvt_f32_u32_e32 v2, s33
	s_sub_u32 s0, 0, s33
	s_subb_u32 s1, 0, 0
	v_mac_f32_e32 v2, 0x4f800000, v40
	v_rcp_f32_e32 v2, v2
	v_mul_f32_e32 v2, 0x5f7ffffc, v2
	v_mul_f32_e32 v3, 0x2f800000, v2
	v_trunc_f32_e32 v3, v3
	v_mac_f32_e32 v2, 0xcf800000, v3
	v_cvt_u32_f32_e32 v3, v3
	v_cvt_u32_f32_e32 v2, v2
	v_readfirstlane_b32 s8, v3
	v_readfirstlane_b32 s9, v2
	s_mul_i32 s38, s0, s8
	s_mul_hi_u32 s40, s0, s9
	s_mul_i32 s39, s1, s9
	s_add_i32 s38, s40, s38
	s_mul_i32 s41, s0, s9
	s_add_i32 s38, s38, s39
	s_mul_hi_u32 s40, s9, s41
	s_mul_hi_u32 s39, s9, s38
	s_mul_i32 s9, s9, s38
	s_add_u32 s9, s40, s9
	s_addc_u32 s39, 0, s39
	s_mul_hi_u32 s42, s8, s41
	s_mul_i32 s41, s8, s41
	s_add_u32 s9, s9, s41
	s_mul_hi_u32 s40, s8, s38
	s_addc_u32 s9, s39, s42
	s_addc_u32 s39, s40, 0
	s_mul_i32 s38, s8, s38
	s_add_u32 s9, s9, s38
	s_addc_u32 s38, 0, s39
	v_add_co_u32_e32 v2, vcc, s9, v2
	s_cmp_lg_u64 vcc, 0
	s_addc_u32 s8, s8, s38
	v_readfirstlane_b32 s38, v2
	s_mul_i32 s9, s0, s8
	s_mul_hi_u32 s39, s0, s38
	s_add_i32 s9, s39, s9
	s_mul_i32 s1, s1, s38
	s_add_i32 s9, s9, s1
	s_mul_i32 s0, s0, s38
	s_mul_hi_u32 s39, s8, s0
	s_mul_i32 s40, s8, s0
	s_mul_i32 s42, s38, s9
	s_mul_hi_u32 s0, s38, s0
	s_mul_hi_u32 s41, s38, s9
	s_add_u32 s0, s0, s42
	s_addc_u32 s38, 0, s41
	s_add_u32 s0, s0, s40
	s_mul_hi_u32 s1, s8, s9
	s_addc_u32 s0, s38, s39
	s_addc_u32 s1, s1, 0
	s_mul_i32 s9, s8, s9
	s_add_u32 s0, s0, s9
	s_addc_u32 s1, 0, s1
	v_add_co_u32_e32 v2, vcc, s0, v2
	s_cmp_lg_u64 vcc, 0
	s_addc_u32 s38, s8, s1
	s_ashr_i32 s0, s89, 31
	s_add_u32 s8, s85, s0
	s_mov_b32 s1, s0
	s_addc_u32 s9, s89, s0
	s_xor_b64 s[8:9], s[8:9], s[0:1]
	v_readfirstlane_b32 s40, v2
	s_mul_i32 s39, s8, s38
	s_mul_hi_u32 s41, s8, s40
	s_mul_hi_u32 s1, s8, s38
	s_add_u32 s39, s41, s39
	s_addc_u32 s1, 0, s1
	s_mul_hi_u32 s42, s9, s40
	s_mul_i32 s40, s9, s40
	s_add_u32 s39, s39, s40
	s_mul_hi_u32 s41, s9, s38
	s_addc_u32 s1, s1, s42
	s_addc_u32 s39, s41, 0
	s_mul_i32 s38, s9, s38
	s_add_u32 s1, s1, s38
	s_addc_u32 s38, 0, s39
	s_mul_hi_u32 s39, s33, s1
	s_mul_i32 s1, s33, s1
	s_mul_i32 s38, s33, s38
	v_mov_b32_e32 v2, s1
	s_add_i32 s39, s39, s38
	v_sub_co_u32_e32 v2, vcc, s8, v2
	s_cmp_lg_u64 vcc, 0
	s_subb_u32 s1, s9, s39
	v_subrev_co_u32_e32 v3, vcc, s33, v2
	s_cmp_lg_u64 vcc, 0
	s_subb_u32 s8, s1, 0
	v_subrev_co_u32_e32 v4, vcc, s33, v3
	s_cmp_lg_u64 vcc, 0
	s_subb_u32 s9, s8, 0
	v_cmp_le_u32_e32 vcc, s33, v3
	s_cmp_eq_u32 s8, 0
	v_cndmask_b32_e64 v5, 0, -1, vcc
	s_cselect_b64 vcc, -1, 0
	v_cndmask_b32_e32 v5, -1, v5, vcc
	v_mov_b32_e32 v6, s8
	v_mov_b32_e32 v7, s9
	v_cmp_ne_u32_e32 vcc, 0, v5
	v_cndmask_b32_e32 v5, v6, v7, vcc
	v_cndmask_b32_e32 v3, v3, v4, vcc
	v_cmp_le_u32_e32 vcc, s33, v2
	s_cmp_eq_u32 s1, 0
	v_cndmask_b32_e64 v4, 0, -1, vcc
	s_cselect_b64 vcc, -1, 0
	v_cndmask_b32_e32 v4, -1, v4, vcc
	v_cmp_ne_u32_e32 vcc, 0, v4
	v_mov_b32_e32 v6, s1
	v_cndmask_b32_e32 v2, v2, v3, vcc
	v_cndmask_b32_e32 v4, v6, v5, vcc
	v_xor_b32_e32 v2, s0, v2
	v_xor_b32_e32 v3, s0, v4
	v_mov_b32_e32 v4, s0
	v_subrev_co_u32_e32 v2, vcc, s0, v2
	v_subb_co_u32_e32 v3, vcc, v3, v4, vcc
	s_cbranch_execnz .LBB13_235
.LBB13_234:                             ;   in Loop: Header=BB13_17 Depth=1
	v_cvt_f32_u32_e32 v2, s33
	s_sub_i32 s0, 0, s33
	v_rcp_iflag_f32_e32 v2, v2
	v_mul_f32_e32 v2, 0x4f7ffffe, v2
	v_cvt_u32_f32_e32 v2, v2
	v_mul_lo_u32 v3, s0, v2
	v_mul_hi_u32 v3, v2, v3
	v_add_u32_e32 v2, v2, v3
	v_mul_hi_u32 v2, s85, v2
	v_mul_lo_u32 v2, v2, s33
	v_sub_u32_e32 v2, s85, v2
	v_subrev_u32_e32 v3, s33, v2
	v_cmp_le_u32_e32 vcc, s33, v2
	v_cndmask_b32_e32 v2, v2, v3, vcc
	v_subrev_u32_e32 v3, s33, v2
	v_cmp_le_u32_e32 vcc, s33, v2
	v_cndmask_b32_e32 v12, v2, v3, vcc
	v_pk_mov_b32 v[2:3], v[12:13], v[12:13] op_sel:[0,1]
.LBB13_235:                             ;   in Loop: Header=BB13_17 Depth=1
	v_mov_b32_e32 v4, s89
	v_sub_co_u32_e32 v2, vcc, s85, v2
	v_subb_co_u32_e32 v3, vcc, v4, v3, vcc
	v_cmp_gt_i64_e32 vcc, v[2:3], v[0:1]
	s_mov_b64 s[40:41], 0
                                        ; implicit-def: $vgpr41
	s_and_saveexec_b64 s[0:1], vcc
	s_cbranch_execz .LBB13_248
; %bb.236:                              ;   in Loop: Header=BB13_17 Depth=1
	s_mov_b64 s[8:9], 0
	v_pk_mov_b32 v[4:5], v[10:11], v[10:11] op_sel:[0,1]
	v_pk_mov_b32 v[6:7], v[0:1], v[0:1] op_sel:[0,1]
                                        ; implicit-def: $sgpr38_sgpr39
	s_branch .LBB13_238
.LBB13_237:                             ;   in Loop: Header=BB13_238 Depth=2
	s_or_b64 exec, exec, s[40:41]
	s_waitcnt lgkmcnt(0)
	s_barrier
	s_waitcnt vmcnt(0)
	ds_read_u16 v8, v13 offset:3072
	v_mov_b32_e32 v9, s86
	v_add_co_u32_e32 v6, vcc, s33, v6
	v_addc_co_u32_e32 v7, vcc, v7, v9, vcc
	s_waitcnt lgkmcnt(0)
	v_cmp_ne_u16_sdwa s[40:41], v8, v13 src0_sel:BYTE_0 src1_sel:DWORD
	v_cmp_ge_i64_e32 vcc, v[6:7], v[2:3]
	s_or_b64 s[42:43], s[40:41], vcc
	s_and_b64 s[42:43], exec, s[42:43]
	s_or_b64 s[8:9], s[42:43], s[8:9]
	v_mov_b32_e32 v9, s87
	v_add_co_u32_e32 v4, vcc, s26, v4
	s_andn2_b64 s[38:39], s[38:39], exec
	s_and_b64 s[40:41], s[40:41], exec
	v_addc_co_u32_e32 v5, vcc, v5, v9, vcc
	s_or_b64 s[38:39], s[38:39], s[40:41]
	s_barrier
	s_andn2_b64 exec, exec, s[8:9]
	s_cbranch_execz .LBB13_247
.LBB13_238:                             ;   Parent Loop BB13_17 Depth=1
                                        ; =>  This Inner Loop Header: Depth=2
	v_cmp_gt_i64_e32 vcc, s[52:53], v[6:7]
	v_mov_b32_e32 v8, 0
	s_and_saveexec_b64 s[40:41], vcc
	s_cbranch_execz .LBB13_240
; %bb.239:                              ;   in Loop: Header=BB13_238 Depth=2
	global_load_ubyte v8, v[4:5], off
.LBB13_240:                             ;   in Loop: Header=BB13_238 Depth=2
	s_or_b64 exec, exec, s[40:41]
	s_and_saveexec_b64 s[40:41], vcc
	s_cbranch_execz .LBB13_237
; %bb.241:                              ;   in Loop: Header=BB13_238 Depth=2
	s_waitcnt vmcnt(0)
	v_add_u32_sdwa v9, sext(v8), s76 dst_sel:DWORD dst_unused:UNUSED_PAD src0_sel:BYTE_0 src1_sel:DWORD
	v_and_b32_e32 v9, s27, v9
	v_cmp_eq_u32_e32 vcc, s84, v9
	s_and_b64 exec, exec, vcc
	s_cbranch_execz .LBB13_237
; %bb.242:                              ;   in Loop: Header=BB13_238 Depth=2
	v_lshlrev_b16_e32 v8, 8, v8
	v_or_b32_e32 v8, 1, v8
	ds_write_b16 v13, v8 offset:3072
	s_branch .LBB13_237
.LBB13_243:                             ;   in Loop: Header=BB13_17 Depth=1
                                        ; implicit-def: $sgpr0_sgpr1
                                        ; implicit-def: $sgpr38_sgpr39
                                        ; implicit-def: $sgpr8_sgpr9
	s_branch .LBB13_262
.LBB13_244:                             ;   in Loop: Header=BB13_17 Depth=1
                                        ; implicit-def: $vgpr2_vgpr3
	s_branch .LBB13_187
.LBB13_245:                             ;   in Loop: Header=BB13_17 Depth=1
                                        ; implicit-def: $vgpr2_vgpr3
	s_branch .LBB13_204
.LBB13_246:                             ;   in Loop: Header=BB13_17 Depth=1
	s_mov_b64 s[0:1], -1
	s_mov_b64 s[40:41], 0
                                        ; implicit-def: $sgpr8_sgpr9
                                        ; implicit-def: $vgpr41
	s_mov_b64 s[38:39], s[0:1]
	s_cbranch_execnz .LBB13_249
	s_branch .LBB13_262
.LBB13_247:                             ;   in Loop: Header=BB13_17 Depth=1
	s_or_b64 exec, exec, s[8:9]
	v_lshrrev_b16_e32 v41, 8, v8
	s_and_b64 s[40:41], s[38:39], exec
.LBB13_248:                             ;   in Loop: Header=BB13_17 Depth=1
	s_or_b64 exec, exec, s[0:1]
	s_mov_b64 s[8:9], -1
	s_mov_b64 s[0:1], 0
	s_mov_b64 s[38:39], s[0:1]
	s_branch .LBB13_262
.LBB13_249:                             ;   in Loop: Header=BB13_17 Depth=1
	v_readlane_b32 s0, v46, 32
	s_add_u32 s38, s0, s36
	v_readlane_b32 s0, v46, 33
	s_addc_u32 s1, s0, s37
	s_mov_b32 s0, s81
	s_cmp_lg_u64 s[0:1], 0
	s_cbranch_scc0 .LBB13_283
; %bb.250:                              ;   in Loop: Header=BB13_17 Depth=1
	v_cvt_f32_u32_e32 v2, s33
	s_sub_u32 s0, 0, s33
	s_subb_u32 s8, 0, 0
	v_mac_f32_e32 v2, 0x4f800000, v40
	v_rcp_f32_e32 v2, v2
	v_mul_f32_e32 v2, 0x5f7ffffc, v2
	v_mul_f32_e32 v3, 0x2f800000, v2
	v_trunc_f32_e32 v3, v3
	v_mac_f32_e32 v2, 0xcf800000, v3
	v_cvt_u32_f32_e32 v3, v3
	v_cvt_u32_f32_e32 v2, v2
	v_readfirstlane_b32 s9, v3
	v_readfirstlane_b32 s39, v2
	s_mul_i32 s40, s0, s9
	s_mul_hi_u32 s42, s0, s39
	s_mul_i32 s41, s8, s39
	s_add_i32 s40, s42, s40
	s_mul_i32 s43, s0, s39
	s_add_i32 s40, s40, s41
	s_mul_hi_u32 s42, s39, s43
	s_mul_hi_u32 s41, s39, s40
	s_mul_i32 s39, s39, s40
	s_add_u32 s39, s42, s39
	s_addc_u32 s41, 0, s41
	s_mul_hi_u32 s44, s9, s43
	s_mul_i32 s43, s9, s43
	s_add_u32 s39, s39, s43
	s_mul_hi_u32 s42, s9, s40
	s_addc_u32 s39, s41, s44
	s_addc_u32 s41, s42, 0
	s_mul_i32 s40, s9, s40
	s_add_u32 s39, s39, s40
	s_addc_u32 s40, 0, s41
	v_add_co_u32_e32 v2, vcc, s39, v2
	s_cmp_lg_u64 vcc, 0
	s_addc_u32 s9, s9, s40
	v_readfirstlane_b32 s40, v2
	s_mul_i32 s39, s0, s9
	s_mul_hi_u32 s41, s0, s40
	s_add_i32 s39, s41, s39
	s_mul_i32 s8, s8, s40
	s_add_i32 s39, s39, s8
	s_mul_i32 s0, s0, s40
	s_mul_hi_u32 s41, s9, s0
	s_mul_i32 s42, s9, s0
	s_mul_i32 s44, s40, s39
	s_mul_hi_u32 s0, s40, s0
	s_mul_hi_u32 s43, s40, s39
	s_add_u32 s0, s0, s44
	s_addc_u32 s40, 0, s43
	s_add_u32 s0, s0, s42
	s_mul_hi_u32 s8, s9, s39
	s_addc_u32 s0, s40, s41
	s_addc_u32 s8, s8, 0
	s_mul_i32 s39, s9, s39
	s_add_u32 s0, s0, s39
	s_addc_u32 s8, 0, s8
	v_add_co_u32_e32 v2, vcc, s0, v2
	s_cmp_lg_u64 vcc, 0
	s_addc_u32 s0, s9, s8
	s_ashr_i32 s8, s1, 31
	s_add_u32 s40, s38, s8
	s_mov_b32 s9, s8
	s_addc_u32 s41, s1, s8
	s_xor_b64 s[40:41], s[40:41], s[8:9]
	v_readfirstlane_b32 s42, v2
	s_mul_i32 s39, s40, s0
	s_mul_hi_u32 s43, s40, s42
	s_mul_hi_u32 s9, s40, s0
	s_add_u32 s39, s43, s39
	s_addc_u32 s9, 0, s9
	s_mul_hi_u32 s44, s41, s42
	s_mul_i32 s42, s41, s42
	s_add_u32 s39, s39, s42
	s_mul_hi_u32 s43, s41, s0
	s_addc_u32 s9, s9, s44
	s_addc_u32 s39, s43, 0
	s_mul_i32 s0, s41, s0
	s_add_u32 s0, s9, s0
	s_addc_u32 s9, 0, s39
	s_mul_hi_u32 s39, s33, s0
	s_mul_i32 s0, s33, s0
	s_mul_i32 s9, s33, s9
	v_mov_b32_e32 v2, s0
	s_add_i32 s39, s39, s9
	v_sub_co_u32_e32 v2, vcc, s40, v2
	s_cmp_lg_u64 vcc, 0
	s_subb_u32 s0, s41, s39
	v_subrev_co_u32_e32 v3, vcc, s33, v2
	s_cmp_lg_u64 vcc, 0
	s_subb_u32 s9, s0, 0
	v_subrev_co_u32_e32 v4, vcc, s33, v3
	s_cmp_lg_u64 vcc, 0
	s_subb_u32 s39, s9, 0
	v_cmp_le_u32_e32 vcc, s33, v3
	s_cmp_eq_u32 s9, 0
	v_cndmask_b32_e64 v5, 0, -1, vcc
	s_cselect_b64 vcc, -1, 0
	v_cndmask_b32_e32 v5, -1, v5, vcc
	v_mov_b32_e32 v6, s9
	v_mov_b32_e32 v7, s39
	v_cmp_ne_u32_e32 vcc, 0, v5
	v_cndmask_b32_e32 v5, v6, v7, vcc
	v_cndmask_b32_e32 v3, v3, v4, vcc
	v_cmp_le_u32_e32 vcc, s33, v2
	s_cmp_eq_u32 s0, 0
	v_cndmask_b32_e64 v4, 0, -1, vcc
	s_cselect_b64 vcc, -1, 0
	v_cndmask_b32_e32 v4, -1, v4, vcc
	v_cmp_ne_u32_e32 vcc, 0, v4
	v_mov_b32_e32 v6, s0
	v_cndmask_b32_e32 v2, v2, v3, vcc
	v_cndmask_b32_e32 v4, v6, v5, vcc
	v_xor_b32_e32 v2, s8, v2
	v_xor_b32_e32 v3, s8, v4
	v_mov_b32_e32 v4, s8
	v_subrev_co_u32_e32 v2, vcc, s8, v2
	v_subb_co_u32_e32 v3, vcc, v3, v4, vcc
	s_cbranch_execnz .LBB13_252
.LBB13_251:                             ;   in Loop: Header=BB13_17 Depth=1
	v_cvt_f32_u32_e32 v2, s33
	s_sub_i32 s0, 0, s33
	v_rcp_iflag_f32_e32 v2, v2
	v_mul_f32_e32 v2, 0x4f7ffffe, v2
	v_cvt_u32_f32_e32 v2, v2
	v_mul_lo_u32 v3, s0, v2
	v_mul_hi_u32 v3, v2, v3
	v_add_u32_e32 v2, v2, v3
	v_mul_hi_u32 v2, s38, v2
	v_mul_lo_u32 v2, v2, s33
	v_sub_u32_e32 v2, s38, v2
	v_subrev_u32_e32 v3, s33, v2
	v_cmp_le_u32_e32 vcc, s33, v2
	v_cndmask_b32_e32 v2, v2, v3, vcc
	v_subrev_u32_e32 v3, s33, v2
	v_cmp_le_u32_e32 vcc, s33, v2
	v_cndmask_b32_e32 v12, v2, v3, vcc
	v_pk_mov_b32 v[2:3], v[12:13], v[12:13] op_sel:[0,1]
.LBB13_252:                             ;   in Loop: Header=BB13_17 Depth=1
	v_mov_b32_e32 v4, s1
	v_sub_co_u32_e32 v2, vcc, s38, v2
	v_subb_co_u32_e32 v3, vcc, v4, v3, vcc
	v_cmp_gt_i64_e32 vcc, v[2:3], v[0:1]
	s_mov_b64 s[40:41], 0
                                        ; implicit-def: $vgpr41
	s_and_saveexec_b64 s[0:1], vcc
	s_cbranch_execz .LBB13_261
; %bb.253:                              ;   in Loop: Header=BB13_17 Depth=1
	s_mov_b64 s[8:9], 0
	v_mov_b32_e32 v6, v0
	v_pk_mov_b32 v[4:5], v[0:1], v[0:1] op_sel:[0,1]
                                        ; implicit-def: $sgpr38_sgpr39
	s_branch .LBB13_255
.LBB13_254:                             ;   in Loop: Header=BB13_255 Depth=2
	s_or_b64 exec, exec, s[40:41]
	s_waitcnt lgkmcnt(0)
	s_barrier
	ds_read_u16 v7, v13 offset:3072
	v_mov_b32_e32 v8, s86
	v_add_co_u32_e32 v4, vcc, s33, v4
	v_addc_co_u32_e32 v5, vcc, v5, v8, vcc
	s_waitcnt lgkmcnt(0)
	v_cmp_ne_u16_sdwa s[40:41], v7, v13 src0_sel:BYTE_0 src1_sel:DWORD
	v_cmp_ge_i64_e32 vcc, v[4:5], v[2:3]
	s_or_b64 s[42:43], s[40:41], vcc
	s_and_b64 s[42:43], exec, s[42:43]
	s_or_b64 s[8:9], s[42:43], s[8:9]
	s_andn2_b64 s[38:39], s[38:39], exec
	s_and_b64 s[40:41], s[40:41], exec
	v_add_u32_e32 v6, s33, v6
	s_or_b64 s[38:39], s[38:39], s[40:41]
	s_barrier
	s_andn2_b64 exec, exec, s[8:9]
	s_cbranch_execz .LBB13_260
.LBB13_255:                             ;   Parent Loop BB13_17 Depth=1
                                        ; =>  This Inner Loop Header: Depth=2
	v_cmp_gt_i64_e32 vcc, s[36:37], v[4:5]
	v_mov_b32_e32 v7, 0
	s_and_saveexec_b64 s[40:41], vcc
	s_cbranch_execz .LBB13_257
; %bb.256:                              ;   in Loop: Header=BB13_255 Depth=2
	ds_read_u8 v7, v6
.LBB13_257:                             ;   in Loop: Header=BB13_255 Depth=2
	s_or_b64 exec, exec, s[40:41]
	s_and_saveexec_b64 s[40:41], vcc
	s_cbranch_execz .LBB13_254
; %bb.258:                              ;   in Loop: Header=BB13_255 Depth=2
	s_waitcnt lgkmcnt(0)
	v_add_u32_sdwa v8, sext(v7), s76 dst_sel:DWORD dst_unused:UNUSED_PAD src0_sel:BYTE_0 src1_sel:DWORD
	v_and_b32_e32 v8, s27, v8
	v_cmp_eq_u32_e32 vcc, s84, v8
	s_and_b64 exec, exec, vcc
	s_cbranch_execz .LBB13_254
; %bb.259:                              ;   in Loop: Header=BB13_255 Depth=2
	v_lshlrev_b16_e32 v7, 8, v7
	v_or_b32_e32 v7, 1, v7
	ds_write_b16 v13, v7 offset:3072
	s_branch .LBB13_254
.LBB13_260:                             ;   in Loop: Header=BB13_17 Depth=1
	s_or_b64 exec, exec, s[8:9]
	v_lshrrev_b16_e32 v41, 8, v7
	s_and_b64 s[40:41], s[38:39], exec
.LBB13_261:                             ;   in Loop: Header=BB13_17 Depth=1
	s_or_b64 exec, exec, s[0:1]
	s_mov_b64 s[38:39], -1
	s_mov_b64 s[0:1], 0
	s_mov_b64 s[8:9], 0
.LBB13_262:                             ;   in Loop: Header=BB13_17 Depth=1
	s_mov_b64 s[42:43], 0
                                        ; implicit-def: $sgpr47
                                        ; implicit-def: $sgpr44_sgpr45
	s_and_saveexec_b64 s[36:37], s[40:41]
	s_cbranch_execz .LBB13_275
; %bb.263:                              ;   in Loop: Header=BB13_17 Depth=1
	s_xor_b64 s[14:15], s[14:15], -1
	s_mov_b64 s[44:45], 1
	s_andn2_b64 vcc, exec, s[14:15]
	s_mov_b32 s47, 1
	s_cbranch_vccnz .LBB13_274
; %bb.264:                              ;   in Loop: Header=BB13_17 Depth=1
	v_pk_mov_b32 v[2:3], s[6:7], s[6:7] op_sel:[0,1]
	v_cmp_gt_i64_e32 vcc, s[54:55], v[2:3]
	s_cbranch_vccnz .LBB13_270
; %bb.265:                              ;   in Loop: Header=BB13_17 Depth=1
	ds_read_b64 v[2:3], v13 offset:5120
	s_waitcnt lgkmcnt(0)
	v_cmp_ne_u64_e32 vcc, 0, v[2:3]
	s_cbranch_vccnz .LBB13_269
; %bb.266:                              ;   in Loop: Header=BB13_17 Depth=1
	s_mov_b64 s[14:15], exec
	v_readlane_b32 s40, v46, 12
	v_readlane_b32 s41, v46, 13
	s_and_b64 s[40:41], s[14:15], s[40:41]
	s_mov_b64 exec, s[40:41]
	s_cbranch_execz .LBB13_268
; %bb.267:                              ;   in Loop: Header=BB13_17 Depth=1
	v_pk_mov_b32 v[2:3], s[6:7], s[6:7] op_sel:[0,1]
	ds_write_b64 v13, v[2:3] offset:5128
.LBB13_268:                             ;   in Loop: Header=BB13_17 Depth=1
	s_or_b64 exec, exec, s[14:15]
	s_waitcnt lgkmcnt(0)
	s_barrier
.LBB13_269:                             ;   in Loop: Header=BB13_17 Depth=1
	s_or_b32 s40, s84, s46
	s_or_b32 s41, s27, s46
	s_mov_b64 s[14:15], 0
	s_mov_b32 s47, 8
	s_branch .LBB13_271
.LBB13_270:                             ;   in Loop: Header=BB13_17 Depth=1
	s_mov_b64 s[14:15], -1
                                        ; implicit-def: $sgpr47
                                        ; implicit-def: $sgpr40
                                        ; implicit-def: $sgpr41
.LBB13_271:                             ;   in Loop: Header=BB13_17 Depth=1
	s_andn2_b64 vcc, exec, s[14:15]
	s_cbranch_vccnz .LBB13_273
; %bb.272:                              ;   in Loop: Header=BB13_17 Depth=1
	s_sub_u32 s54, s54, s6
	s_subb_u32 s55, s55, s7
	s_mov_b32 s47, 8
	s_mov_b32 s40, s84
	;; [unrolled: 1-line block ×3, first 2 shown]
.LBB13_273:                             ;   in Loop: Header=BB13_17 Depth=1
	s_mov_b64 s[44:45], s[54:55]
	s_mov_b32 s84, s40
	s_mov_b32 s27, s41
.LBB13_274:                             ;   in Loop: Header=BB13_17 Depth=1
	s_mov_b64 s[42:43], exec
.LBB13_275:                             ;   in Loop: Header=BB13_17 Depth=1
	s_or_b64 exec, exec, s[36:37]
	s_mov_b64 s[54:55], s[44:45]
.LBB13_276:                             ;   in Loop: Header=BB13_17 Depth=1
	s_andn2_b64 s[6:7], s[24:25], exec
	s_and_b64 s[0:1], s[0:1], exec
	s_or_b64 s[24:25], s[6:7], s[0:1]
	s_andn2_b64 s[0:1], s[30:31], exec
	s_and_b64 s[6:7], s[38:39], exec
	s_or_b64 s[30:31], s[0:1], s[6:7]
	;; [unrolled: 3-line block ×3, first 2 shown]
	s_and_b64 s[8:9], s[42:43], exec
.LBB13_277:                             ;   in Loop: Header=BB13_17 Depth=1
	s_or_b64 exec, exec, s[34:35]
.LBB13_278:                             ;   in Loop: Header=BB13_17 Depth=1
	s_andn2_b64 s[0:1], s[18:19], exec
	s_and_b64 s[6:7], s[24:25], exec
	s_or_b64 s[18:19], s[0:1], s[6:7]
	s_andn2_b64 s[0:1], s[20:21], exec
	s_and_b64 s[6:7], s[30:31], exec
	s_or_b64 s[20:21], s[0:1], s[6:7]
	s_andn2_b64 s[0:1], s[16:17], exec
	s_and_b64 s[6:7], s[28:29], exec
	s_or_b64 s[16:17], s[0:1], s[6:7]
	s_and_b64 s[8:9], s[8:9], exec
.LBB13_279:                             ;   in Loop: Header=BB13_17 Depth=1
	s_or_b64 exec, exec, s[22:23]
	s_and_saveexec_b64 s[0:1], s[8:9]
	s_xor_b64 s[0:1], exec, s[0:1]
	s_cbranch_execz .LBB13_15
.LBB13_280:                             ;   in Loop: Header=BB13_17 Depth=1
	s_and_b32 s6, s47, -9
	s_cmp_eq_u32 s6, 0
	s_cbranch_scc1 .LBB13_13
; %bb.281:                              ;   in Loop: Header=BB13_17 Depth=1
	s_mov_b64 s[6:7], -1
                                        ; implicit-def: $sgpr27
                                        ; implicit-def: $sgpr3
                                        ; implicit-def: $sgpr77
	s_mov_b64 s[8:9], -1
	s_branch .LBB13_14
.LBB13_282:                             ;   in Loop: Header=BB13_17 Depth=1
                                        ; implicit-def: $vgpr2_vgpr3
	s_branch .LBB13_234
.LBB13_283:                             ;   in Loop: Header=BB13_17 Depth=1
                                        ; implicit-def: $vgpr2_vgpr3
	s_branch .LBB13_251
.LBB13_284:
	s_or_b64 exec, exec, s[78:79]
	s_xor_b64 s[8:9], s[66:67], -1
	s_xor_b64 s[0:1], s[62:63], -1
	;; [unrolled: 1-line block ×3, first 2 shown]
	s_mov_b64 s[4:5], 0
	s_and_saveexec_b64 s[2:3], s[0:1]
	s_xor_b64 s[0:1], exec, s[2:3]
	s_cbranch_execnz .LBB13_289
; %bb.285:
	s_andn2_saveexec_b64 s[0:1], s[0:1]
	s_cbranch_execnz .LBB13_314
.LBB13_286:
	s_or_b64 exec, exec, s[0:1]
	s_and_saveexec_b64 s[0:1], s[4:5]
.LBB13_287:
	; divergent unreachable
.LBB13_288:
	s_endpgm
.LBB13_289:
	s_and_saveexec_b64 s[2:3], s[8:9]
	s_xor_b64 s[4:5], exec, s[2:3]
	s_cbranch_execz .LBB13_312
; %bb.290:
	s_and_saveexec_b64 s[2:3], s[6:7]
	s_xor_b64 s[6:7], exec, s[2:3]
; %bb.291:
	v_xor_b32_e32 v41, 0xffffff80, v2
; %bb.292:
	s_or_b64 exec, exec, s[6:7]
	s_mov_b64 s[6:7], exec
	v_readlane_b32 s2, v46, 12
	v_readlane_b32 s3, v46, 13
	;; [unrolled: 1-line block ×3, first 2 shown]
	s_and_b64 s[2:3], s[6:7], s[2:3]
	v_readlane_b32 s24, v46, 22
	v_readlane_b32 s29, v46, 7
	;; [unrolled: 1-line block ×3, first 2 shown]
	s_mov_b64 exec, s[2:3]
	s_cbranch_execz .LBB13_294
; %bb.293:
	v_mov_b32_e32 v2, 0
	v_mov_b32_e32 v3, s52
	ds_write_b32 v2, v3 offset:5140
.LBB13_294:
	s_or_b64 exec, exec, s[6:7]
	s_waitcnt lgkmcnt(0)
	s_barrier
	s_mov_b64 s[6:7], exec
	v_readlane_b32 s2, v46, 28
	v_readlane_b32 s3, v46, 29
	s_and_b64 s[2:3], s[6:7], s[2:3]
	s_mov_b64 exec, s[2:3]
	s_cbranch_execz .LBB13_309
; %bb.295:
	v_mov_b32_e32 v2, 0
	ds_read_b32 v4, v2 offset:5140
	s_mov_b64 s[2:3], 0
                                        ; implicit-def: $sgpr8_sgpr9
                                        ; implicit-def: $sgpr10_sgpr11
                                        ; implicit-def: $sgpr12_sgpr13
	s_waitcnt lgkmcnt(0)
	v_ashrrev_i32_e32 v5, 31, v4
	s_branch .LBB13_298
.LBB13_296:                             ;   in Loop: Header=BB13_298 Depth=1
	s_or_b64 exec, exec, s[18:19]
	s_andn2_b64 s[12:13], s[12:13], exec
	s_and_b64 s[16:17], s[16:17], exec
	s_or_b64 s[12:13], s[12:13], s[16:17]
	s_andn2_b64 s[10:11], s[10:11], exec
	s_and_b64 s[16:17], s[20:21], exec
	s_or_b64 s[10:11], s[10:11], s[16:17]
.LBB13_297:                             ;   in Loop: Header=BB13_298 Depth=1
	s_or_b64 exec, exec, s[14:15]
	s_and_b64 s[14:15], exec, s[10:11]
	s_or_b64 s[2:3], s[14:15], s[2:3]
	s_andn2_b64 s[8:9], s[8:9], exec
	s_and_b64 s[14:15], s[12:13], exec
	s_or_b64 s[8:9], s[8:9], s[14:15]
	s_andn2_b64 exec, exec, s[2:3]
	s_cbranch_execz .LBB13_304
.LBB13_298:                             ; =>This Inner Loop Header: Depth=1
	v_pk_mov_b32 v[2:3], v[0:1], v[0:1] op_sel:[0,1]
	v_cmp_lt_i64_e32 vcc, v[2:3], v[4:5]
	s_or_b64 s[12:13], s[12:13], exec
	s_or_b64 s[10:11], s[10:11], exec
                                        ; implicit-def: $vgpr0_vgpr1
	s_and_saveexec_b64 s[14:15], vcc
	s_cbranch_execz .LBB13_297
; %bb.299:                              ;   in Loop: Header=BB13_298 Depth=1
	global_load_ubyte v0, v[10:11], off
	s_mov_b64 s[20:21], -1
	s_mov_b64 s[16:17], 0
	s_waitcnt vmcnt(0)
	v_cmp_ne_u16_sdwa s[22:23], v0, v41 src0_sel:DWORD src1_sel:BYTE_0
                                        ; implicit-def: $vgpr0_vgpr1
	s_and_saveexec_b64 s[18:19], s[22:23]
	s_cbranch_execz .LBB13_296
; %bb.300:                              ;   in Loop: Header=BB13_298 Depth=1
	v_mov_b32_e32 v1, s86
	v_add_co_u32_e32 v0, vcc, s33, v2
	v_addc_co_u32_e32 v1, vcc, v3, v1, vcc
	v_mov_b32_e32 v3, s87
	v_add_co_u32_e32 v10, vcc, s26, v10
	v_addc_co_u32_e32 v11, vcc, v11, v3, vcc
	v_cmp_le_i64_e32 vcc, s[52:53], v[0:1]
	s_mov_b64 s[16:17], exec
	s_orn2_b64 s[20:21], vcc, exec
	s_branch .LBB13_296
.LBB13_301:
                                        ; implicit-def: $sgpr16_sgpr17
	s_branch .LBB13_3
.LBB13_302:
                                        ; implicit-def: $sgpr0_sgpr1
                                        ; kill: killed $sgpr0_sgpr1
	s_branch .LBB13_6
.LBB13_303:
                                        ; implicit-def: $sgpr0_sgpr1
                                        ; kill: killed $sgpr0_sgpr1
	s_load_dwordx2 s[0:1], s[4:5], 0x0
	s_branch .LBB13_9
.LBB13_304:
	s_or_b64 exec, exec, s[2:3]
	s_xor_b64 s[2:3], s[8:9], -1
	s_and_saveexec_b64 s[8:9], s[2:3]
	s_xor_b64 s[8:9], exec, s[8:9]
	s_cbranch_execz .LBB13_309
; %bb.305:
	s_mov_b64 s[2:3], exec
	s_brev_b32 s8, -2
.LBB13_306:                             ; =>This Inner Loop Header: Depth=1
	s_ff1_i32_b64 s9, s[2:3]
	v_readlane_b32 s12, v2, s9
	s_lshl_b64 s[10:11], 1, s9
	s_min_i32 s8, s8, s12
	s_andn2_b64 s[2:3], s[2:3], s[10:11]
	s_cmp_lg_u64 s[2:3], 0
	s_cbranch_scc1 .LBB13_306
; %bb.307:
	v_mbcnt_lo_u32_b32 v0, exec_lo, 0
	v_mbcnt_hi_u32_b32 v0, exec_hi, v0
	v_cmp_eq_u32_e32 vcc, 0, v0
	s_and_saveexec_b64 s[2:3], vcc
	s_xor_b64 s[2:3], exec, s[2:3]
	s_cbranch_execz .LBB13_309
; %bb.308:
	v_mov_b32_e32 v0, 0
	v_mov_b32_e32 v1, s8
	ds_min_i32 v0, v1 offset:5140
.LBB13_309:
	s_or_b64 exec, exec, s[6:7]
	s_waitcnt lgkmcnt(0)
	s_barrier
	s_mov_b64 s[2:3], exec
	v_readlane_b32 s6, v46, 12
	v_readlane_b32 s7, v46, 13
	s_and_b64 s[6:7], s[2:3], s[6:7]
	s_mov_b64 exec, s[6:7]
	s_cbranch_execz .LBB13_311
; %bb.310:
	v_readlane_b32 s8, v46, 0
	v_readlane_b32 s9, v46, 1
	;; [unrolled: 1-line block ×4, first 2 shown]
	s_mul_i32 s6, s14, s9
	s_mul_hi_u32 s7, s14, s8
	s_add_i32 s6, s7, s6
	s_mul_i32 s7, s15, s8
	s_add_i32 s6, s6, s7
	s_mul_i32 s7, s14, s8
	v_readlane_b32 s16, v46, 18
	s_sub_u32 s7, s24, s7
	v_readlane_b32 s18, v46, 20
	v_readlane_b32 s19, v46, 21
	s_subb_u32 s6, 0, s6
	s_mul_i32 s8, s7, s19
	s_mul_hi_u32 s9, s7, s18
	v_readlane_b32 s17, v46, 19
	s_add_i32 s8, s9, s8
	s_mul_i32 s6, s6, s18
	s_add_i32 s11, s8, s6
	s_mul_i32 s10, s7, s18
	s_mul_i32 s6, s14, s17
	s_mul_hi_u32 s7, s14, s16
	s_add_i32 s6, s7, s6
	s_mul_i32 s7, s15, s16
	s_mul_i32 s13, s14, s16
	v_readlane_b32 s14, v46, 4
	s_add_i32 s12, s6, s7
	v_readlane_b32 s15, v46, 5
	s_mul_i32 s6, s14, s29
	s_mul_hi_u32 s7, s14, s28
	s_add_i32 s6, s7, s6
	s_mul_i32 s7, s15, s28
	s_add_i32 s6, s6, s7
	s_mul_i32 s7, s14, s28
	v_readlane_b32 s16, v46, 14
	s_sub_u32 s8, s24, s7
	v_readlane_b32 s18, v46, 16
	v_readlane_b32 s19, v46, 17
	s_subb_u32 s6, 0, s6
	s_mul_i32 s7, s8, s19
	s_mul_hi_u32 s9, s8, s18
	v_readlane_b32 s17, v46, 15
	s_add_i32 s7, s9, s7
	s_mul_i32 s6, s6, s18
	s_add_i32 s7, s7, s6
	s_mul_i32 s6, s8, s18
	s_mul_i32 s8, s14, s17
	s_mul_hi_u32 s9, s14, s16
	s_add_i32 s8, s9, s8
	s_mul_i32 s9, s15, s16
	s_add_i32 s9, s8, s9
	s_mul_i32 s8, s14, s16
	v_readlane_b32 s14, v46, 10
	v_readlane_b32 s15, v46, 11
	s_add_u32 s13, s14, s13
	s_addc_u32 s12, s15, s12
	v_mov_b32_e32 v2, 0
	s_add_u32 s10, s13, s10
	ds_read_b32 v0, v2 offset:5140
	s_addc_u32 s11, s12, s11
	s_lshl_b64 s[8:9], s[8:9], 3
	v_readlane_b32 s12, v46, 8
	v_readlane_b32 s13, v46, 9
	s_add_u32 s8, s12, s8
	s_addc_u32 s9, s13, s9
	s_lshl_b64 s[6:7], s[6:7], 3
	s_add_u32 s6, s8, s6
	s_addc_u32 s7, s9, s7
	s_waitcnt lgkmcnt(0)
	v_ashrrev_i32_e32 v1, 31, v0
	global_store_dwordx2 v2, v[0:1], s[6:7]
	global_store_byte v2, v41, s[10:11]
.LBB13_311:
	s_or_b64 exec, exec, s[2:3]
.LBB13_312:
	s_or_saveexec_b64 s[2:3], s[4:5]
	s_mov_b64 s[4:5], 0
	s_xor_b64 exec, exec, s[2:3]
	s_cbranch_execnz .LBB13_315
.LBB13_313:
	s_or_b64 exec, exec, s[2:3]
	s_and_b64 s[4:5], s[4:5], exec
	s_andn2_saveexec_b64 s[0:1], s[0:1]
	s_cbranch_execz .LBB13_286
.LBB13_314:
	s_or_b64 s[4:5], s[4:5], exec
	s_trap 2
	s_or_b64 exec, exec, s[0:1]
	s_and_saveexec_b64 s[0:1], s[4:5]
	s_cbranch_execnz .LBB13_287
	s_branch .LBB13_288
.LBB13_315:
	s_mov_b64 s[4:5], exec
	s_trap 2
	s_branch .LBB13_313
	.section	.rodata,"a",@progbits
	.p2align	6, 0x0
	.amdhsa_kernel _ZN2at6native12_GLOBAL__N_114gatherKthValueIalLi2EEEvNS_4cuda6detail10TensorInfoIKT_T0_EES8_S8_S8_S8_NS5_IS6_S8_EENS5_IlS8_EE
		.amdhsa_group_segment_fixed_size 5144
		.amdhsa_private_segment_fixed_size 0
		.amdhsa_kernarg_size 1536
		.amdhsa_user_sgpr_count 6
		.amdhsa_user_sgpr_private_segment_buffer 1
		.amdhsa_user_sgpr_dispatch_ptr 0
		.amdhsa_user_sgpr_queue_ptr 0
		.amdhsa_user_sgpr_kernarg_segment_ptr 1
		.amdhsa_user_sgpr_dispatch_id 0
		.amdhsa_user_sgpr_flat_scratch_init 0
		.amdhsa_user_sgpr_kernarg_preload_length 0
		.amdhsa_user_sgpr_kernarg_preload_offset 0
		.amdhsa_user_sgpr_private_segment_size 0
		.amdhsa_uses_dynamic_stack 0
		.amdhsa_system_sgpr_private_segment_wavefront_offset 0
		.amdhsa_system_sgpr_workgroup_id_x 1
		.amdhsa_system_sgpr_workgroup_id_y 1
		.amdhsa_system_sgpr_workgroup_id_z 1
		.amdhsa_system_sgpr_workgroup_info 0
		.amdhsa_system_vgpr_workitem_id 0
		.amdhsa_next_free_vgpr 47
		.amdhsa_next_free_sgpr 96
		.amdhsa_accum_offset 48
		.amdhsa_reserve_vcc 1
		.amdhsa_reserve_flat_scratch 0
		.amdhsa_float_round_mode_32 0
		.amdhsa_float_round_mode_16_64 0
		.amdhsa_float_denorm_mode_32 3
		.amdhsa_float_denorm_mode_16_64 3
		.amdhsa_dx10_clamp 1
		.amdhsa_ieee_mode 1
		.amdhsa_fp16_overflow 0
		.amdhsa_tg_split 0
		.amdhsa_exception_fp_ieee_invalid_op 0
		.amdhsa_exception_fp_denorm_src 0
		.amdhsa_exception_fp_ieee_div_zero 0
		.amdhsa_exception_fp_ieee_overflow 0
		.amdhsa_exception_fp_ieee_underflow 0
		.amdhsa_exception_fp_ieee_inexact 0
		.amdhsa_exception_int_div_zero 0
	.end_amdhsa_kernel
	.section	.text._ZN2at6native12_GLOBAL__N_114gatherKthValueIalLi2EEEvNS_4cuda6detail10TensorInfoIKT_T0_EES8_S8_S8_S8_NS5_IS6_S8_EENS5_IlS8_EE,"axG",@progbits,_ZN2at6native12_GLOBAL__N_114gatherKthValueIalLi2EEEvNS_4cuda6detail10TensorInfoIKT_T0_EES8_S8_S8_S8_NS5_IS6_S8_EENS5_IlS8_EE,comdat
.Lfunc_end13:
	.size	_ZN2at6native12_GLOBAL__N_114gatherKthValueIalLi2EEEvNS_4cuda6detail10TensorInfoIKT_T0_EES8_S8_S8_S8_NS5_IS6_S8_EENS5_IlS8_EE, .Lfunc_end13-_ZN2at6native12_GLOBAL__N_114gatherKthValueIalLi2EEEvNS_4cuda6detail10TensorInfoIKT_T0_EES8_S8_S8_S8_NS5_IS6_S8_EENS5_IlS8_EE
                                        ; -- End function
	.section	.AMDGPU.csdata,"",@progbits
; Kernel info:
; codeLenInByte = 18032
; NumSgprs: 100
; NumVgprs: 47
; NumAgprs: 0
; TotalNumVgprs: 47
; ScratchSize: 0
; MemoryBound: 0
; FloatMode: 240
; IeeeMode: 1
; LDSByteSize: 5144 bytes/workgroup (compile time only)
; SGPRBlocks: 12
; VGPRBlocks: 5
; NumSGPRsForWavesPerEU: 100
; NumVGPRsForWavesPerEU: 47
; AccumOffset: 48
; Occupancy: 8
; WaveLimiterHint : 1
; COMPUTE_PGM_RSRC2:SCRATCH_EN: 0
; COMPUTE_PGM_RSRC2:USER_SGPR: 6
; COMPUTE_PGM_RSRC2:TRAP_HANDLER: 0
; COMPUTE_PGM_RSRC2:TGID_X_EN: 1
; COMPUTE_PGM_RSRC2:TGID_Y_EN: 1
; COMPUTE_PGM_RSRC2:TGID_Z_EN: 1
; COMPUTE_PGM_RSRC2:TIDIG_COMP_CNT: 0
; COMPUTE_PGM_RSRC3_GFX90A:ACCUM_OFFSET: 11
; COMPUTE_PGM_RSRC3_GFX90A:TG_SPLIT: 0
	.section	.text._ZN2at6native12_GLOBAL__N_114gatherKthValueIalLi3EEEvNS_4cuda6detail10TensorInfoIKT_T0_EES8_S8_S8_S8_NS5_IS6_S8_EENS5_IlS8_EE,"axG",@progbits,_ZN2at6native12_GLOBAL__N_114gatherKthValueIalLi3EEEvNS_4cuda6detail10TensorInfoIKT_T0_EES8_S8_S8_S8_NS5_IS6_S8_EENS5_IlS8_EE,comdat
	.globl	_ZN2at6native12_GLOBAL__N_114gatherKthValueIalLi3EEEvNS_4cuda6detail10TensorInfoIKT_T0_EES8_S8_S8_S8_NS5_IS6_S8_EENS5_IlS8_EE ; -- Begin function _ZN2at6native12_GLOBAL__N_114gatherKthValueIalLi3EEEvNS_4cuda6detail10TensorInfoIKT_T0_EES8_S8_S8_S8_NS5_IS6_S8_EENS5_IlS8_EE
	.p2align	8
	.type	_ZN2at6native12_GLOBAL__N_114gatherKthValueIalLi3EEEvNS_4cuda6detail10TensorInfoIKT_T0_EES8_S8_S8_S8_NS5_IS6_S8_EENS5_IlS8_EE,@function
_ZN2at6native12_GLOBAL__N_114gatherKthValueIalLi3EEEvNS_4cuda6detail10TensorInfoIKT_T0_EES8_S8_S8_S8_NS5_IS6_S8_EENS5_IlS8_EE: ; @_ZN2at6native12_GLOBAL__N_114gatherKthValueIalLi3EEEvNS_4cuda6detail10TensorInfoIKT_T0_EES8_S8_S8_S8_NS5_IS6_S8_EENS5_IlS8_EE
; %bb.0:
	s_load_dwordx8 s[52:59], s[4:5], 0x1a0
	s_load_dwordx2 s[18:19], s[4:5], 0x500
	s_add_u32 s16, s4, 0x500
	s_addc_u32 s17, s5, 0
	s_mov_b32 s39, 0
	s_waitcnt lgkmcnt(0)
	v_mov_b32_e32 v2, s56
	s_mul_i32 s0, s19, s8
	s_add_i32 s0, s0, s7
	s_mul_i32 s0, s0, s18
	v_mov_b32_e32 v3, s57
	s_add_i32 s38, s0, s6
	v_cmp_ge_i64_e32 vcc, s[38:39], v[2:3]
	s_cbranch_vccnz .LBB14_305
; %bb.1:
	s_load_dwordx4 s[8:11], s[4:5], 0x10
	s_mov_b32 s0, s39
	s_waitcnt lgkmcnt(0)
	s_mov_b32 s1, s11
	s_cmp_lg_u64 s[0:1], 0
	s_cbranch_scc0 .LBB14_12
; %bb.2:
	s_ashr_i32 s2, s11, 31
	s_add_u32 s0, s10, s2
	s_mov_b32 s3, s2
	s_addc_u32 s1, s11, s2
	s_xor_b64 s[14:15], s[0:1], s[2:3]
	v_cvt_f32_u32_e32 v1, s14
	v_cvt_f32_u32_e32 v2, s15
	s_sub_u32 s0, 0, s14
	s_subb_u32 s1, 0, s15
	v_madmk_f32 v1, v2, 0x4f800000, v1
	v_rcp_f32_e32 v1, v1
	v_mul_f32_e32 v1, 0x5f7ffffc, v1
	v_mul_f32_e32 v2, 0x2f800000, v1
	v_trunc_f32_e32 v2, v2
	v_madmk_f32 v1, v2, 0xcf800000, v1
	v_cvt_u32_f32_e32 v2, v2
	v_cvt_u32_f32_e32 v1, v1
	v_readfirstlane_b32 s7, v2
	v_readfirstlane_b32 s19, v1
	s_mul_i32 s20, s0, s7
	s_mul_hi_u32 s22, s0, s19
	s_mul_i32 s21, s1, s19
	s_add_i32 s20, s22, s20
	s_add_i32 s20, s20, s21
	s_mul_i32 s23, s0, s19
	s_mul_hi_u32 s21, s19, s20
	s_mul_i32 s22, s19, s20
	s_mul_hi_u32 s19, s19, s23
	s_add_u32 s19, s19, s22
	s_addc_u32 s21, 0, s21
	s_mul_hi_u32 s24, s7, s23
	s_mul_i32 s23, s7, s23
	s_add_u32 s19, s19, s23
	s_mul_hi_u32 s22, s7, s20
	s_addc_u32 s19, s21, s24
	s_addc_u32 s21, s22, 0
	s_mul_i32 s20, s7, s20
	s_add_u32 s19, s19, s20
	s_addc_u32 s20, 0, s21
	v_add_co_u32_e32 v1, vcc, s19, v1
	s_cmp_lg_u64 vcc, 0
	s_addc_u32 s7, s7, s20
	v_readfirstlane_b32 s20, v1
	s_mul_i32 s19, s0, s7
	s_mul_hi_u32 s21, s0, s20
	s_add_i32 s19, s21, s19
	s_mul_i32 s1, s1, s20
	s_add_i32 s19, s19, s1
	s_mul_i32 s0, s0, s20
	s_mul_hi_u32 s21, s7, s0
	s_mul_i32 s22, s7, s0
	s_mul_i32 s24, s20, s19
	s_mul_hi_u32 s0, s20, s0
	s_mul_hi_u32 s23, s20, s19
	s_add_u32 s0, s0, s24
	s_addc_u32 s20, 0, s23
	s_add_u32 s0, s0, s22
	s_mul_hi_u32 s1, s7, s19
	s_addc_u32 s0, s20, s21
	s_addc_u32 s1, s1, 0
	s_mul_i32 s19, s7, s19
	s_add_u32 s0, s0, s19
	s_addc_u32 s1, 0, s1
	v_add_co_u32_e32 v1, vcc, s0, v1
	s_cmp_lg_u64 vcc, 0
	s_addc_u32 s7, s7, s1
	s_ashr_i32 s20, 0, 31
	s_add_u32 s0, s38, s20
	s_mov_b32 s21, s20
	s_addc_u32 s1, 0, s20
	s_xor_b64 s[22:23], s[0:1], s[20:21]
	v_readfirstlane_b32 s19, v1
	s_mul_i32 s1, s22, s7
	s_mul_hi_u32 s24, s22, s19
	s_mul_hi_u32 s0, s22, s7
	s_add_u32 s1, s24, s1
	s_addc_u32 s0, 0, s0
	s_mul_hi_u32 s25, s23, s19
	s_mul_i32 s19, s23, s19
	s_add_u32 s1, s1, s19
	s_mul_hi_u32 s24, s23, s7
	s_addc_u32 s0, s0, s25
	s_addc_u32 s1, s24, 0
	s_mul_i32 s7, s23, s7
	s_add_u32 s7, s0, s7
	s_addc_u32 s19, 0, s1
	s_mul_i32 s0, s14, s19
	s_mul_hi_u32 s1, s14, s7
	s_add_i32 s0, s1, s0
	s_mul_i32 s1, s15, s7
	s_add_i32 s24, s0, s1
	s_mul_i32 s1, s14, s7
	v_mov_b32_e32 v1, s1
	s_sub_i32 s0, s23, s24
	v_sub_co_u32_e32 v1, vcc, s22, v1
	s_cmp_lg_u64 vcc, 0
	s_subb_u32 s22, s0, s15
	v_subrev_co_u32_e64 v2, s[0:1], s14, v1
	s_cmp_lg_u64 s[0:1], 0
	s_subb_u32 s0, s22, 0
	s_cmp_ge_u32 s0, s15
	v_readfirstlane_b32 s22, v2
	s_cselect_b32 s1, -1, 0
	s_cmp_ge_u32 s22, s14
	s_cselect_b32 s22, -1, 0
	s_cmp_eq_u32 s0, s15
	s_cselect_b32 s0, s22, s1
	s_add_u32 s1, s7, 1
	s_addc_u32 s22, s19, 0
	s_add_u32 s25, s7, 2
	s_addc_u32 s26, s19, 0
	s_cmp_lg_u32 s0, 0
	s_cselect_b32 s0, s25, s1
	s_cselect_b32 s1, s26, s22
	s_cmp_lg_u64 vcc, 0
	s_subb_u32 s22, s23, s24
	s_cmp_ge_u32 s22, s15
	v_readfirstlane_b32 s24, v1
	s_cselect_b32 s23, -1, 0
	s_cmp_ge_u32 s24, s14
	s_cselect_b32 s14, -1, 0
	s_cmp_eq_u32 s22, s15
	s_cselect_b32 s14, s14, s23
	s_cmp_lg_u32 s14, 0
	s_cselect_b32 s1, s1, s19
	s_cselect_b32 s0, s0, s7
	s_xor_b64 s[2:3], s[20:21], s[2:3]
	s_xor_b64 s[0:1], s[0:1], s[2:3]
	s_sub_u32 s2, s0, s2
	s_subb_u32 s3, s1, s3
	s_cbranch_execnz .LBB14_4
.LBB14_3:
	v_cvt_f32_u32_e32 v1, s10
	s_sub_i32 s0, 0, s10
	s_mov_b32 s3, 0
	v_rcp_iflag_f32_e32 v1, v1
	v_mul_f32_e32 v1, 0x4f7ffffe, v1
	v_cvt_u32_f32_e32 v1, v1
	v_readfirstlane_b32 s1, v1
	s_mul_i32 s0, s0, s1
	s_mul_hi_u32 s0, s1, s0
	s_add_i32 s1, s1, s0
	s_mul_hi_u32 s0, s38, s1
	s_mul_i32 s2, s0, s10
	s_sub_i32 s2, s38, s2
	s_add_i32 s1, s0, 1
	s_sub_i32 s7, s2, s10
	s_cmp_ge_u32 s2, s10
	s_cselect_b32 s0, s1, s0
	s_cselect_b32 s2, s7, s2
	s_add_i32 s1, s0, 1
	s_cmp_ge_u32 s2, s10
	s_cselect_b32 s2, s1, s0
.LBB14_4:
	s_or_b64 s[0:1], s[2:3], s[8:9]
	s_mov_b32 s0, 0
	s_cmp_lg_u64 s[0:1], 0
	s_cbranch_scc0 .LBB14_13
; %bb.5:
	s_ashr_i32 s14, s9, 31
	s_add_u32 s0, s8, s14
	s_mov_b32 s15, s14
	s_addc_u32 s1, s9, s14
	s_xor_b64 s[20:21], s[0:1], s[14:15]
	v_cvt_f32_u32_e32 v1, s20
	v_cvt_f32_u32_e32 v2, s21
	s_sub_u32 s0, 0, s20
	s_subb_u32 s1, 0, s21
	v_madmk_f32 v1, v2, 0x4f800000, v1
	v_rcp_f32_e32 v1, v1
	v_mul_f32_e32 v1, 0x5f7ffffc, v1
	v_mul_f32_e32 v2, 0x2f800000, v1
	v_trunc_f32_e32 v2, v2
	v_madmk_f32 v1, v2, 0xcf800000, v1
	v_cvt_u32_f32_e32 v2, v2
	v_cvt_u32_f32_e32 v1, v1
	v_readfirstlane_b32 s7, v2
	v_readfirstlane_b32 s19, v1
	s_mul_i32 s22, s0, s7
	s_mul_hi_u32 s24, s0, s19
	s_mul_i32 s23, s1, s19
	s_add_i32 s22, s24, s22
	s_add_i32 s22, s22, s23
	s_mul_i32 s25, s0, s19
	s_mul_hi_u32 s23, s19, s22
	s_mul_i32 s24, s19, s22
	s_mul_hi_u32 s19, s19, s25
	s_add_u32 s19, s19, s24
	s_addc_u32 s23, 0, s23
	s_mul_hi_u32 s26, s7, s25
	s_mul_i32 s25, s7, s25
	s_add_u32 s19, s19, s25
	s_mul_hi_u32 s24, s7, s22
	s_addc_u32 s19, s23, s26
	s_addc_u32 s23, s24, 0
	s_mul_i32 s22, s7, s22
	s_add_u32 s19, s19, s22
	s_addc_u32 s22, 0, s23
	v_add_co_u32_e32 v1, vcc, s19, v1
	s_cmp_lg_u64 vcc, 0
	s_addc_u32 s7, s7, s22
	v_readfirstlane_b32 s22, v1
	s_mul_i32 s19, s0, s7
	s_mul_hi_u32 s23, s0, s22
	s_add_i32 s19, s23, s19
	s_mul_i32 s1, s1, s22
	s_add_i32 s19, s19, s1
	s_mul_i32 s0, s0, s22
	s_mul_hi_u32 s23, s7, s0
	s_mul_i32 s24, s7, s0
	s_mul_i32 s26, s22, s19
	s_mul_hi_u32 s0, s22, s0
	s_mul_hi_u32 s25, s22, s19
	s_add_u32 s0, s0, s26
	s_addc_u32 s22, 0, s25
	s_add_u32 s0, s0, s24
	s_mul_hi_u32 s1, s7, s19
	s_addc_u32 s0, s22, s23
	s_addc_u32 s1, s1, 0
	s_mul_i32 s19, s7, s19
	s_add_u32 s0, s0, s19
	s_addc_u32 s1, 0, s1
	v_add_co_u32_e32 v1, vcc, s0, v1
	s_cmp_lg_u64 vcc, 0
	s_addc_u32 s7, s7, s1
	s_ashr_i32 s22, s3, 31
	s_add_u32 s0, s2, s22
	s_mov_b32 s23, s22
	s_addc_u32 s1, s3, s22
	s_xor_b64 s[24:25], s[0:1], s[22:23]
	v_readfirstlane_b32 s19, v1
	s_mul_i32 s1, s24, s7
	s_mul_hi_u32 s26, s24, s19
	s_mul_hi_u32 s0, s24, s7
	s_add_u32 s1, s26, s1
	s_addc_u32 s0, 0, s0
	s_mul_hi_u32 s27, s25, s19
	s_mul_i32 s19, s25, s19
	s_add_u32 s1, s1, s19
	s_mul_hi_u32 s26, s25, s7
	s_addc_u32 s0, s0, s27
	s_addc_u32 s1, s26, 0
	s_mul_i32 s7, s25, s7
	s_add_u32 s7, s0, s7
	s_addc_u32 s19, 0, s1
	s_mul_i32 s0, s20, s19
	s_mul_hi_u32 s1, s20, s7
	s_add_i32 s0, s1, s0
	s_mul_i32 s1, s21, s7
	s_add_i32 s26, s0, s1
	s_mul_i32 s1, s20, s7
	v_mov_b32_e32 v1, s1
	s_sub_i32 s0, s25, s26
	v_sub_co_u32_e32 v1, vcc, s24, v1
	s_cmp_lg_u64 vcc, 0
	s_subb_u32 s24, s0, s21
	v_subrev_co_u32_e64 v2, s[0:1], s20, v1
	s_cmp_lg_u64 s[0:1], 0
	s_subb_u32 s0, s24, 0
	s_cmp_ge_u32 s0, s21
	v_readfirstlane_b32 s24, v2
	s_cselect_b32 s1, -1, 0
	s_cmp_ge_u32 s24, s20
	s_cselect_b32 s24, -1, 0
	s_cmp_eq_u32 s0, s21
	s_cselect_b32 s0, s24, s1
	s_add_u32 s1, s7, 1
	s_addc_u32 s24, s19, 0
	s_add_u32 s27, s7, 2
	s_addc_u32 s28, s19, 0
	s_cmp_lg_u32 s0, 0
	s_cselect_b32 s0, s27, s1
	s_cselect_b32 s1, s28, s24
	s_cmp_lg_u64 vcc, 0
	s_subb_u32 s24, s25, s26
	s_cmp_ge_u32 s24, s21
	v_readfirstlane_b32 s26, v1
	s_cselect_b32 s25, -1, 0
	s_cmp_ge_u32 s26, s20
	s_cselect_b32 s20, -1, 0
	s_cmp_eq_u32 s24, s21
	s_cselect_b32 s20, s20, s25
	s_cmp_lg_u32 s20, 0
	s_cselect_b32 s1, s1, s19
	s_cselect_b32 s0, s0, s7
	s_xor_b64 s[14:15], s[22:23], s[14:15]
	s_xor_b64 s[0:1], s[0:1], s[14:15]
	s_sub_u32 s20, s0, s14
	s_subb_u32 s21, s1, s15
	s_load_dwordx4 s[24:27], s[4:5], 0x1d0
	s_cbranch_execnz .LBB14_7
.LBB14_6:
	v_cvt_f32_u32_e32 v1, s8
	s_sub_i32 s0, 0, s8
	s_mov_b32 s21, 0
	v_rcp_iflag_f32_e32 v1, v1
	v_mul_f32_e32 v1, 0x4f7ffffe, v1
	v_cvt_u32_f32_e32 v1, v1
	v_readfirstlane_b32 s1, v1
	s_mul_i32 s0, s0, s1
	s_mul_hi_u32 s0, s1, s0
	s_add_i32 s1, s1, s0
	s_mul_hi_u32 s0, s2, s1
	s_mul_i32 s7, s0, s8
	s_sub_i32 s7, s2, s7
	s_add_i32 s1, s0, 1
	s_sub_i32 s12, s7, s8
	s_cmp_ge_u32 s7, s8
	s_cselect_b32 s0, s1, s0
	s_cselect_b32 s7, s12, s7
	s_add_i32 s1, s0, 1
	s_cmp_ge_u32 s7, s8
	s_cselect_b32 s20, s1, s0
.LBB14_7:
                                        ; implicit-def: $vgpr48 : SGPR spill to VGPR lane
	s_waitcnt lgkmcnt(0)
	s_mov_b32 s1, s27
	v_writelane_b32 v48, s24, 0
	s_mov_b32 s0, 0
	v_writelane_b32 v48, s25, 1
	s_cmp_lg_u64 s[0:1], 0
	v_writelane_b32 v48, s26, 2
	v_writelane_b32 v48, s27, 3
	s_cbranch_scc0 .LBB14_14
; %bb.8:
	s_ashr_i32 s12, s27, 31
	s_add_u32 s0, s26, s12
	s_mov_b32 s13, s12
	s_addc_u32 s1, s27, s12
	s_xor_b64 s[22:23], s[0:1], s[12:13]
	v_cvt_f32_u32_e32 v1, s22
	v_cvt_f32_u32_e32 v2, s23
	s_sub_u32 s0, 0, s22
	s_subb_u32 s1, 0, s23
	v_madmk_f32 v1, v2, 0x4f800000, v1
	v_rcp_f32_e32 v1, v1
	v_mul_f32_e32 v1, 0x5f7ffffc, v1
	v_mul_f32_e32 v2, 0x2f800000, v1
	v_trunc_f32_e32 v2, v2
	v_madmk_f32 v1, v2, 0xcf800000, v1
	v_cvt_u32_f32_e32 v2, v2
	v_cvt_u32_f32_e32 v1, v1
	v_readfirstlane_b32 s7, v2
	v_readfirstlane_b32 s19, v1
	s_mul_i32 s24, s0, s7
	s_mul_hi_u32 s26, s0, s19
	s_mul_i32 s25, s1, s19
	s_add_i32 s24, s26, s24
	s_add_i32 s24, s24, s25
	s_mul_i32 s27, s0, s19
	s_mul_hi_u32 s25, s19, s24
	s_mul_i32 s26, s19, s24
	s_mul_hi_u32 s19, s19, s27
	s_add_u32 s19, s19, s26
	s_addc_u32 s25, 0, s25
	s_mul_hi_u32 s28, s7, s27
	s_mul_i32 s27, s7, s27
	s_add_u32 s19, s19, s27
	s_mul_hi_u32 s26, s7, s24
	s_addc_u32 s19, s25, s28
	s_addc_u32 s25, s26, 0
	s_mul_i32 s24, s7, s24
	s_add_u32 s19, s19, s24
	s_addc_u32 s24, 0, s25
	v_add_co_u32_e32 v1, vcc, s19, v1
	s_cmp_lg_u64 vcc, 0
	s_addc_u32 s7, s7, s24
	v_readfirstlane_b32 s24, v1
	s_mul_i32 s19, s0, s7
	s_mul_hi_u32 s25, s0, s24
	s_add_i32 s19, s25, s19
	s_mul_i32 s1, s1, s24
	s_add_i32 s19, s19, s1
	s_mul_i32 s0, s0, s24
	s_mul_hi_u32 s25, s7, s0
	s_mul_i32 s26, s7, s0
	s_mul_i32 s28, s24, s19
	s_mul_hi_u32 s0, s24, s0
	s_mul_hi_u32 s27, s24, s19
	s_add_u32 s0, s0, s28
	s_addc_u32 s24, 0, s27
	s_add_u32 s0, s0, s26
	s_mul_hi_u32 s1, s7, s19
	s_addc_u32 s0, s24, s25
	s_addc_u32 s1, s1, 0
	s_mul_i32 s19, s7, s19
	s_add_u32 s0, s0, s19
	s_addc_u32 s1, 0, s1
	v_add_co_u32_e32 v1, vcc, s0, v1
	s_cmp_lg_u64 vcc, 0
	s_addc_u32 s7, s7, s1
	s_ashr_i32 s24, 0, 31
	s_add_u32 s0, s38, s24
	s_mov_b32 s25, s24
	s_addc_u32 s1, 0, s24
	s_xor_b64 s[26:27], s[0:1], s[24:25]
	v_readfirstlane_b32 s19, v1
	s_mul_i32 s1, s26, s7
	s_mul_hi_u32 s28, s26, s19
	s_mul_hi_u32 s0, s26, s7
	s_add_u32 s1, s28, s1
	s_addc_u32 s0, 0, s0
	s_mul_hi_u32 s29, s27, s19
	s_mul_i32 s19, s27, s19
	s_add_u32 s1, s1, s19
	s_mul_hi_u32 s28, s27, s7
	s_addc_u32 s0, s0, s29
	s_addc_u32 s1, s28, 0
	s_mul_i32 s7, s27, s7
	s_add_u32 s7, s0, s7
	s_addc_u32 s19, 0, s1
	s_mul_i32 s0, s22, s19
	s_mul_hi_u32 s1, s22, s7
	s_add_i32 s0, s1, s0
	s_mul_i32 s1, s23, s7
	s_add_i32 s28, s0, s1
	s_mul_i32 s1, s22, s7
	v_mov_b32_e32 v1, s1
	s_sub_i32 s0, s27, s28
	v_sub_co_u32_e32 v1, vcc, s26, v1
	s_cmp_lg_u64 vcc, 0
	s_subb_u32 s26, s0, s23
	v_subrev_co_u32_e64 v2, s[0:1], s22, v1
	s_cmp_lg_u64 s[0:1], 0
	s_subb_u32 s0, s26, 0
	s_cmp_ge_u32 s0, s23
	v_readfirstlane_b32 s26, v2
	s_cselect_b32 s1, -1, 0
	s_cmp_ge_u32 s26, s22
	s_cselect_b32 s26, -1, 0
	s_cmp_eq_u32 s0, s23
	s_cselect_b32 s0, s26, s1
	s_add_u32 s1, s7, 1
	s_addc_u32 s26, s19, 0
	s_add_u32 s29, s7, 2
	s_addc_u32 s30, s19, 0
	s_cmp_lg_u32 s0, 0
	s_cselect_b32 s0, s29, s1
	s_cselect_b32 s1, s30, s26
	s_cmp_lg_u64 vcc, 0
	s_subb_u32 s26, s27, s28
	s_cmp_ge_u32 s26, s23
	v_readfirstlane_b32 s28, v1
	s_cselect_b32 s27, -1, 0
	s_cmp_ge_u32 s28, s22
	s_cselect_b32 s22, -1, 0
	s_cmp_eq_u32 s26, s23
	s_cselect_b32 s22, s22, s27
	s_cmp_lg_u32 s22, 0
	s_cselect_b32 s1, s1, s19
	s_cselect_b32 s0, s0, s7
	s_xor_b64 s[12:13], s[24:25], s[12:13]
	s_load_dwordx4 s[24:27], s[4:5], 0x1d0
	s_xor_b64 s[0:1], s[0:1], s[12:13]
	s_sub_u32 s30, s0, s12
	s_subb_u32 s31, s1, s13
	s_cbranch_execnz .LBB14_10
.LBB14_9:
	s_waitcnt lgkmcnt(0)
	v_cvt_f32_u32_e32 v1, s26
	s_sub_i32 s0, 0, s26
	s_mov_b32 s31, 0
	v_rcp_iflag_f32_e32 v1, v1
	v_mul_f32_e32 v1, 0x4f7ffffe, v1
	v_cvt_u32_f32_e32 v1, v1
	v_readfirstlane_b32 s1, v1
	s_mul_i32 s0, s0, s1
	s_mul_hi_u32 s0, s1, s0
	s_add_i32 s1, s1, s0
	s_mul_hi_u32 s0, s38, s1
	s_mul_i32 s7, s0, s26
	s_sub_i32 s7, s38, s7
	s_add_i32 s1, s0, 1
	s_sub_i32 s12, s7, s26
	s_cmp_ge_u32 s7, s26
	s_cselect_b32 s0, s1, s0
	s_cselect_b32 s7, s12, s7
	s_add_i32 s1, s0, 1
	s_cmp_ge_u32 s7, s26
	s_cselect_b32 s30, s1, s0
.LBB14_10:
	s_waitcnt lgkmcnt(0)
	s_or_b64 s[0:1], s[30:31], s[24:25]
	s_mov_b32 s0, 0
	s_cmp_lg_u64 s[0:1], 0
	v_writelane_b32 v48, s30, 4
	v_writelane_b32 v48, s31, 5
	s_cbranch_scc0 .LBB14_15
; %bb.11:
	s_ashr_i32 s14, s25, 31
	s_add_u32 s0, s24, s14
	s_mov_b32 s15, s14
	s_addc_u32 s1, s25, s14
	s_xor_b64 s[22:23], s[0:1], s[14:15]
	v_cvt_f32_u32_e32 v1, s22
	v_cvt_f32_u32_e32 v2, s23
	s_sub_u32 s0, 0, s22
	s_subb_u32 s1, 0, s23
	s_mov_b64 s[12:13], 0
	v_madmk_f32 v1, v2, 0x4f800000, v1
	v_rcp_f32_e32 v1, v1
	v_mul_f32_e32 v1, 0x5f7ffffc, v1
	v_mul_f32_e32 v2, 0x2f800000, v1
	v_trunc_f32_e32 v2, v2
	v_madmk_f32 v1, v2, 0xcf800000, v1
	v_cvt_u32_f32_e32 v2, v2
	v_cvt_u32_f32_e32 v1, v1
	v_readfirstlane_b32 s7, v2
	v_readfirstlane_b32 s19, v1
	s_mul_i32 s24, s0, s7
	s_mul_hi_u32 s26, s0, s19
	s_mul_i32 s25, s1, s19
	s_add_i32 s24, s26, s24
	s_add_i32 s24, s24, s25
	s_mul_i32 s27, s0, s19
	s_mul_hi_u32 s25, s19, s24
	s_mul_i32 s26, s19, s24
	s_mul_hi_u32 s19, s19, s27
	s_add_u32 s19, s19, s26
	s_addc_u32 s25, 0, s25
	s_mul_hi_u32 s28, s7, s27
	s_mul_i32 s27, s7, s27
	s_add_u32 s19, s19, s27
	s_mul_hi_u32 s26, s7, s24
	s_addc_u32 s19, s25, s28
	s_addc_u32 s25, s26, 0
	s_mul_i32 s24, s7, s24
	s_add_u32 s19, s19, s24
	s_addc_u32 s24, 0, s25
	v_add_co_u32_e32 v1, vcc, s19, v1
	s_cmp_lg_u64 vcc, 0
	s_addc_u32 s7, s7, s24
	v_readfirstlane_b32 s24, v1
	s_mul_i32 s19, s0, s7
	s_mul_hi_u32 s25, s0, s24
	s_add_i32 s19, s25, s19
	s_mul_i32 s1, s1, s24
	s_add_i32 s19, s19, s1
	s_mul_i32 s0, s0, s24
	s_mul_hi_u32 s25, s7, s0
	s_mul_i32 s26, s7, s0
	s_mul_i32 s28, s24, s19
	s_mul_hi_u32 s0, s24, s0
	s_mul_hi_u32 s27, s24, s19
	s_add_u32 s0, s0, s28
	s_addc_u32 s24, 0, s27
	s_add_u32 s0, s0, s26
	s_mul_hi_u32 s1, s7, s19
	s_addc_u32 s0, s24, s25
	s_addc_u32 s1, s1, 0
	s_mul_i32 s19, s7, s19
	s_add_u32 s0, s0, s19
	s_addc_u32 s1, 0, s1
	v_add_co_u32_e32 v1, vcc, s0, v1
	s_cmp_lg_u64 vcc, 0
	s_addc_u32 s7, s7, s1
	s_ashr_i32 s24, s31, 31
	s_add_u32 s0, s30, s24
	s_mov_b32 s25, s24
	s_addc_u32 s1, s31, s24
	s_xor_b64 s[26:27], s[0:1], s[24:25]
	v_readfirstlane_b32 s19, v1
	s_mul_i32 s1, s26, s7
	s_mul_hi_u32 s28, s26, s19
	s_mul_hi_u32 s0, s26, s7
	s_add_u32 s1, s28, s1
	s_addc_u32 s0, 0, s0
	s_mul_hi_u32 s29, s27, s19
	s_mul_i32 s19, s27, s19
	s_add_u32 s1, s1, s19
	s_mul_hi_u32 s28, s27, s7
	s_addc_u32 s0, s0, s29
	s_addc_u32 s1, s28, 0
	s_mul_i32 s7, s27, s7
	s_add_u32 s7, s0, s7
	s_addc_u32 s19, 0, s1
	s_mul_i32 s0, s22, s19
	s_mul_hi_u32 s1, s22, s7
	s_add_i32 s0, s1, s0
	s_mul_i32 s1, s23, s7
	s_add_i32 s28, s0, s1
	s_mul_i32 s1, s22, s7
	v_mov_b32_e32 v1, s1
	s_sub_i32 s0, s27, s28
	v_sub_co_u32_e32 v1, vcc, s26, v1
	s_cmp_lg_u64 vcc, 0
	s_subb_u32 s26, s0, s23
	v_subrev_co_u32_e64 v2, s[0:1], s22, v1
	s_cmp_lg_u64 s[0:1], 0
	s_subb_u32 s0, s26, 0
	s_cmp_ge_u32 s0, s23
	v_readfirstlane_b32 s26, v2
	s_cselect_b32 s1, -1, 0
	s_cmp_ge_u32 s26, s22
	s_cselect_b32 s26, -1, 0
	s_cmp_eq_u32 s0, s23
	s_cselect_b32 s0, s26, s1
	s_add_u32 s1, s7, 1
	s_addc_u32 s26, s19, 0
	s_add_u32 s29, s7, 2
	s_addc_u32 s30, s19, 0
	s_cmp_lg_u32 s0, 0
	s_cselect_b32 s0, s29, s1
	s_cselect_b32 s1, s30, s26
	s_cmp_lg_u64 vcc, 0
	s_subb_u32 s26, s27, s28
	s_cmp_ge_u32 s26, s23
	v_readfirstlane_b32 s28, v1
	s_cselect_b32 s27, -1, 0
	s_cmp_ge_u32 s28, s22
	s_cselect_b32 s22, -1, 0
	s_cmp_eq_u32 s26, s23
	s_cselect_b32 s22, s22, s27
	s_cmp_lg_u32 s22, 0
	s_cselect_b32 s1, s1, s19
	s_cselect_b32 s0, s0, s7
	s_xor_b64 s[14:15], s[24:25], s[14:15]
	s_load_dwordx4 s[24:27], s[4:5], 0x1d0
	s_xor_b64 s[0:1], s[0:1], s[14:15]
	s_sub_u32 s14, s0, s14
	s_subb_u32 s15, s1, s15
	s_branch .LBB14_16
.LBB14_12:
                                        ; implicit-def: $sgpr2_sgpr3
	s_branch .LBB14_3
.LBB14_13:
                                        ; implicit-def: $sgpr20_sgpr21
	s_load_dwordx4 s[24:27], s[4:5], 0x1d0
	s_branch .LBB14_6
.LBB14_14:
                                        ; implicit-def: $sgpr30_sgpr31
	s_branch .LBB14_9
.LBB14_15:
	s_mov_b64 s[12:13], -1
                                        ; implicit-def: $sgpr14_sgpr15
.LBB14_16:
	s_load_dwordx4 s[28:31], s[4:5], 0x370
	s_andn2_b64 vcc, exec, s[12:13]
	s_waitcnt lgkmcnt(0)
	v_writelane_b32 v48, s28, 6
	v_writelane_b32 v48, s29, 7
	;; [unrolled: 1-line block ×4, first 2 shown]
	s_cbranch_vccnz .LBB14_18
; %bb.17:
	v_cvt_f32_u32_e32 v1, s24
	s_sub_i32 s0, 0, s24
	v_readlane_b32 s12, v48, 4
	s_mov_b32 s15, 0
	v_rcp_iflag_f32_e32 v1, v1
	v_readlane_b32 s13, v48, 5
	v_mul_f32_e32 v1, 0x4f7ffffe, v1
	v_cvt_u32_f32_e32 v1, v1
	v_readfirstlane_b32 s1, v1
	s_mul_i32 s0, s0, s1
	s_mul_hi_u32 s0, s1, s0
	s_add_i32 s1, s1, s0
	s_mul_hi_u32 s0, s12, s1
	s_mul_i32 s7, s0, s24
	s_sub_i32 s7, s12, s7
	s_add_i32 s1, s0, 1
	s_sub_i32 s12, s7, s24
	s_cmp_ge_u32 s7, s24
	s_cselect_b32 s0, s1, s0
	s_cselect_b32 s7, s12, s7
	s_add_i32 s1, s0, 1
	s_cmp_ge_u32 s7, s24
	s_cselect_b32 s14, s1, s0
.LBB14_18:
	s_load_dwordx4 s[24:27], s[4:5], 0x370
	s_mov_b32 s0, 0
	v_writelane_b32 v48, s14, 10
	v_writelane_b32 v48, s15, 11
	s_waitcnt lgkmcnt(0)
	s_mov_b32 s1, s27
	s_cmp_lg_u64 s[0:1], 0
	s_cbranch_scc0 .LBB14_23
; %bb.19:
	s_ashr_i32 s12, s27, 31
	s_add_u32 s0, s26, s12
	s_mov_b32 s13, s12
	s_addc_u32 s1, s27, s12
	s_xor_b64 s[22:23], s[0:1], s[12:13]
	v_cvt_f32_u32_e32 v1, s22
	v_cvt_f32_u32_e32 v2, s23
	s_sub_u32 s0, 0, s22
	s_subb_u32 s1, 0, s23
	v_madmk_f32 v1, v2, 0x4f800000, v1
	v_rcp_f32_e32 v1, v1
	v_mul_f32_e32 v1, 0x5f7ffffc, v1
	v_mul_f32_e32 v2, 0x2f800000, v1
	v_trunc_f32_e32 v2, v2
	v_madmk_f32 v1, v2, 0xcf800000, v1
	v_cvt_u32_f32_e32 v2, v2
	v_cvt_u32_f32_e32 v1, v1
	v_readfirstlane_b32 s7, v2
	v_readfirstlane_b32 s19, v1
	s_mul_i32 s24, s0, s7
	s_mul_hi_u32 s26, s0, s19
	s_mul_i32 s25, s1, s19
	s_add_i32 s24, s26, s24
	s_add_i32 s24, s24, s25
	s_mul_i32 s27, s0, s19
	s_mul_hi_u32 s25, s19, s24
	s_mul_i32 s26, s19, s24
	s_mul_hi_u32 s19, s19, s27
	s_add_u32 s19, s19, s26
	s_addc_u32 s25, 0, s25
	s_mul_hi_u32 s28, s7, s27
	s_mul_i32 s27, s7, s27
	s_add_u32 s19, s19, s27
	s_mul_hi_u32 s26, s7, s24
	s_addc_u32 s19, s25, s28
	s_addc_u32 s25, s26, 0
	s_mul_i32 s24, s7, s24
	s_add_u32 s19, s19, s24
	s_addc_u32 s24, 0, s25
	v_add_co_u32_e32 v1, vcc, s19, v1
	s_cmp_lg_u64 vcc, 0
	s_addc_u32 s7, s7, s24
	v_readfirstlane_b32 s24, v1
	s_mul_i32 s19, s0, s7
	s_mul_hi_u32 s25, s0, s24
	s_add_i32 s19, s25, s19
	s_mul_i32 s1, s1, s24
	s_add_i32 s19, s19, s1
	s_mul_i32 s0, s0, s24
	s_mul_hi_u32 s25, s7, s0
	s_mul_i32 s26, s7, s0
	s_mul_i32 s28, s24, s19
	s_mul_hi_u32 s0, s24, s0
	s_mul_hi_u32 s27, s24, s19
	s_add_u32 s0, s0, s28
	s_addc_u32 s24, 0, s27
	s_add_u32 s0, s0, s26
	s_mul_hi_u32 s1, s7, s19
	s_addc_u32 s0, s24, s25
	s_addc_u32 s1, s1, 0
	s_mul_i32 s19, s7, s19
	s_add_u32 s0, s0, s19
	s_addc_u32 s1, 0, s1
	v_add_co_u32_e32 v1, vcc, s0, v1
	s_cmp_lg_u64 vcc, 0
	s_addc_u32 s7, s7, s1
	s_ashr_i32 s24, 0, 31
	s_add_u32 s0, s38, s24
	s_mov_b32 s25, s24
	s_addc_u32 s1, 0, s24
	s_xor_b64 s[26:27], s[0:1], s[24:25]
	v_readfirstlane_b32 s19, v1
	s_mul_i32 s1, s26, s7
	s_mul_hi_u32 s28, s26, s19
	s_mul_hi_u32 s0, s26, s7
	s_add_u32 s1, s28, s1
	s_addc_u32 s0, 0, s0
	s_mul_hi_u32 s29, s27, s19
	s_mul_i32 s19, s27, s19
	s_add_u32 s1, s1, s19
	s_mul_hi_u32 s28, s27, s7
	s_addc_u32 s0, s0, s29
	s_addc_u32 s1, s28, 0
	s_mul_i32 s7, s27, s7
	s_add_u32 s7, s0, s7
	s_addc_u32 s19, 0, s1
	s_mul_i32 s0, s22, s19
	s_mul_hi_u32 s1, s22, s7
	s_add_i32 s0, s1, s0
	s_mul_i32 s1, s23, s7
	s_add_i32 s28, s0, s1
	s_mul_i32 s1, s22, s7
	v_mov_b32_e32 v1, s1
	s_sub_i32 s0, s27, s28
	v_sub_co_u32_e32 v1, vcc, s26, v1
	s_cmp_lg_u64 vcc, 0
	s_subb_u32 s26, s0, s23
	v_subrev_co_u32_e64 v2, s[0:1], s22, v1
	s_cmp_lg_u64 s[0:1], 0
	s_subb_u32 s0, s26, 0
	s_cmp_ge_u32 s0, s23
	v_readfirstlane_b32 s26, v2
	s_cselect_b32 s1, -1, 0
	s_cmp_ge_u32 s26, s22
	s_cselect_b32 s26, -1, 0
	s_cmp_eq_u32 s0, s23
	s_cselect_b32 s0, s26, s1
	s_add_u32 s1, s7, 1
	s_addc_u32 s26, s19, 0
	s_add_u32 s29, s7, 2
	s_addc_u32 s30, s19, 0
	s_cmp_lg_u32 s0, 0
	s_cselect_b32 s0, s29, s1
	s_cselect_b32 s1, s30, s26
	s_cmp_lg_u64 vcc, 0
	s_subb_u32 s26, s27, s28
	s_cmp_ge_u32 s26, s23
	v_readfirstlane_b32 s28, v1
	s_cselect_b32 s27, -1, 0
	s_cmp_ge_u32 s28, s22
	s_cselect_b32 s22, -1, 0
	s_cmp_eq_u32 s26, s23
	s_cselect_b32 s22, s22, s27
	s_cmp_lg_u32 s22, 0
	s_cselect_b32 s1, s1, s19
	s_cselect_b32 s0, s0, s7
	s_xor_b64 s[12:13], s[24:25], s[12:13]
	s_load_dwordx4 s[24:27], s[4:5], 0x370
	s_xor_b64 s[0:1], s[0:1], s[12:13]
	s_sub_u32 s40, s0, s12
	s_subb_u32 s41, s1, s13
	s_cbranch_execnz .LBB14_21
.LBB14_20:
	s_waitcnt lgkmcnt(0)
	v_cvt_f32_u32_e32 v1, s26
	s_sub_i32 s0, 0, s26
	s_mov_b32 s41, 0
	v_rcp_iflag_f32_e32 v1, v1
	v_mul_f32_e32 v1, 0x4f7ffffe, v1
	v_cvt_u32_f32_e32 v1, v1
	v_readfirstlane_b32 s1, v1
	s_mul_i32 s0, s0, s1
	s_mul_hi_u32 s0, s1, s0
	s_add_i32 s1, s1, s0
	s_mul_hi_u32 s0, s38, s1
	s_mul_i32 s7, s0, s26
	s_sub_i32 s7, s38, s7
	s_add_i32 s1, s0, 1
	s_sub_i32 s12, s7, s26
	s_cmp_ge_u32 s7, s26
	s_cselect_b32 s0, s1, s0
	s_cselect_b32 s7, s12, s7
	s_add_i32 s1, s0, 1
	s_cmp_ge_u32 s7, s26
	s_cselect_b32 s40, s1, s0
.LBB14_21:
	s_load_dwordx2 s[22:23], s[4:5], 0xe0
	s_load_dwordx4 s[12:15], s[4:5], 0xd0
	s_waitcnt lgkmcnt(0)
	s_or_b64 s[0:1], s[40:41], s[24:25]
	s_mov_b32 s0, 0
	s_cmp_lg_u64 s[0:1], 0
	s_cbranch_scc0 .LBB14_24
; %bb.22:
	s_ashr_i32 s26, s25, 31
	s_add_u32 s0, s24, s26
	s_mov_b32 s27, s26
	s_addc_u32 s1, s25, s26
	s_xor_b64 s[28:29], s[0:1], s[26:27]
	v_cvt_f32_u32_e32 v1, s28
	v_cvt_f32_u32_e32 v2, s29
	s_sub_u32 s0, 0, s28
	s_subb_u32 s1, 0, s29
	s_mov_b64 s[24:25], 0
	v_madmk_f32 v1, v2, 0x4f800000, v1
	v_rcp_f32_e32 v1, v1
	v_mul_f32_e32 v1, 0x5f7ffffc, v1
	v_mul_f32_e32 v2, 0x2f800000, v1
	v_trunc_f32_e32 v2, v2
	v_madmk_f32 v1, v2, 0xcf800000, v1
	v_cvt_u32_f32_e32 v2, v2
	v_cvt_u32_f32_e32 v1, v1
	v_readfirstlane_b32 s7, v2
	v_readfirstlane_b32 s19, v1
	s_mul_i32 s30, s0, s7
	s_mul_hi_u32 s33, s0, s19
	s_mul_i32 s31, s1, s19
	s_add_i32 s30, s33, s30
	s_add_i32 s30, s30, s31
	s_mul_i32 s34, s0, s19
	s_mul_hi_u32 s31, s19, s30
	s_mul_i32 s33, s19, s30
	s_mul_hi_u32 s19, s19, s34
	s_add_u32 s19, s19, s33
	s_addc_u32 s31, 0, s31
	s_mul_hi_u32 s35, s7, s34
	s_mul_i32 s34, s7, s34
	s_add_u32 s19, s19, s34
	s_mul_hi_u32 s33, s7, s30
	s_addc_u32 s19, s31, s35
	s_addc_u32 s31, s33, 0
	s_mul_i32 s30, s7, s30
	s_add_u32 s19, s19, s30
	s_addc_u32 s30, 0, s31
	v_add_co_u32_e32 v1, vcc, s19, v1
	s_cmp_lg_u64 vcc, 0
	s_addc_u32 s7, s7, s30
	v_readfirstlane_b32 s30, v1
	s_mul_i32 s19, s0, s7
	s_mul_hi_u32 s31, s0, s30
	s_add_i32 s19, s31, s19
	s_mul_i32 s1, s1, s30
	s_add_i32 s19, s19, s1
	s_mul_i32 s0, s0, s30
	s_mul_hi_u32 s31, s7, s0
	s_mul_i32 s33, s7, s0
	s_mul_i32 s35, s30, s19
	s_mul_hi_u32 s0, s30, s0
	s_mul_hi_u32 s34, s30, s19
	s_add_u32 s0, s0, s35
	s_addc_u32 s30, 0, s34
	s_add_u32 s0, s0, s33
	s_mul_hi_u32 s1, s7, s19
	s_addc_u32 s0, s30, s31
	s_addc_u32 s1, s1, 0
	s_mul_i32 s19, s7, s19
	s_add_u32 s0, s0, s19
	s_addc_u32 s1, 0, s1
	v_add_co_u32_e32 v1, vcc, s0, v1
	s_cmp_lg_u64 vcc, 0
	s_addc_u32 s7, s7, s1
	s_ashr_i32 s30, s41, 31
	s_add_u32 s0, s40, s30
	s_mov_b32 s31, s30
	s_addc_u32 s1, s41, s30
	s_xor_b64 s[34:35], s[0:1], s[30:31]
	v_readfirstlane_b32 s19, v1
	s_mul_i32 s1, s34, s7
	s_mul_hi_u32 s33, s34, s19
	s_mul_hi_u32 s0, s34, s7
	s_add_u32 s1, s33, s1
	s_addc_u32 s0, 0, s0
	s_mul_hi_u32 s36, s35, s19
	s_mul_i32 s19, s35, s19
	s_add_u32 s1, s1, s19
	s_mul_hi_u32 s33, s35, s7
	s_addc_u32 s0, s0, s36
	s_addc_u32 s1, s33, 0
	s_mul_i32 s7, s35, s7
	s_add_u32 s7, s0, s7
	s_addc_u32 s19, 0, s1
	s_mul_i32 s0, s28, s19
	s_mul_hi_u32 s1, s28, s7
	s_add_i32 s0, s1, s0
	s_mul_i32 s1, s29, s7
	s_add_i32 s33, s0, s1
	s_mul_i32 s1, s28, s7
	v_mov_b32_e32 v1, s1
	s_sub_i32 s0, s35, s33
	v_sub_co_u32_e32 v1, vcc, s34, v1
	s_cmp_lg_u64 vcc, 0
	s_subb_u32 s34, s0, s29
	v_subrev_co_u32_e64 v2, s[0:1], s28, v1
	s_cmp_lg_u64 s[0:1], 0
	s_subb_u32 s0, s34, 0
	s_cmp_ge_u32 s0, s29
	v_readfirstlane_b32 s34, v2
	s_cselect_b32 s1, -1, 0
	s_cmp_ge_u32 s34, s28
	s_cselect_b32 s34, -1, 0
	s_cmp_eq_u32 s0, s29
	s_cselect_b32 s0, s34, s1
	s_add_u32 s1, s7, 1
	s_addc_u32 s34, s19, 0
	s_add_u32 s36, s7, 2
	s_addc_u32 s37, s19, 0
	s_cmp_lg_u32 s0, 0
	s_cselect_b32 s0, s36, s1
	s_cselect_b32 s1, s37, s34
	s_cmp_lg_u64 vcc, 0
	s_subb_u32 s33, s35, s33
	s_cmp_ge_u32 s33, s29
	v_readfirstlane_b32 s35, v1
	s_cselect_b32 s34, -1, 0
	s_cmp_ge_u32 s35, s28
	s_cselect_b32 s28, -1, 0
	s_cmp_eq_u32 s33, s29
	s_cselect_b32 s28, s28, s34
	s_cmp_lg_u32 s28, 0
	s_cselect_b32 s1, s1, s19
	s_cselect_b32 s0, s0, s7
	s_xor_b64 s[26:27], s[30:31], s[26:27]
	s_xor_b64 s[0:1], s[0:1], s[26:27]
	s_sub_u32 s0, s0, s26
	s_subb_u32 s1, s1, s27
	v_writelane_b32 v48, s0, 24
	v_writelane_b32 v48, s1, 25
	s_branch .LBB14_25
.LBB14_23:
                                        ; implicit-def: $sgpr40_sgpr41
	s_branch .LBB14_20
.LBB14_24:
	s_mov_b64 s[24:25], -1
                                        ; implicit-def: $sgpr0_sgpr1
                                        ; kill: killed $sgpr0_sgpr1
.LBB14_25:
	s_load_dwordx2 s[0:1], s[4:5], 0x440
	s_load_dwordx4 s[28:31], s[4:5], 0x430
	s_andn2_b64 vcc, exec, s[24:25]
	s_waitcnt lgkmcnt(0)
	v_writelane_b32 v48, s0, 12
	v_writelane_b32 v48, s1, 13
	s_load_dwordx2 s[0:1], s[4:5], 0x2a0
	v_writelane_b32 v48, s28, 14
	v_writelane_b32 v48, s29, 15
	v_writelane_b32 v48, s30, 16
	v_writelane_b32 v48, s31, 17
	s_load_dwordx4 s[28:31], s[4:5], 0x290
	s_waitcnt lgkmcnt(0)
	v_writelane_b32 v48, s0, 18
	v_writelane_b32 v48, s1, 19
	s_load_dwordx2 s[0:1], s[4:5], 0x0
	v_writelane_b32 v48, s28, 20
	v_writelane_b32 v48, s29, 21
	;; [unrolled: 1-line block ×4, first 2 shown]
	s_cbranch_vccnz .LBB14_27
; %bb.26:
	s_load_dwordx4 s[28:31], s[4:5], 0x370
	s_mov_b32 s27, 0
	s_waitcnt lgkmcnt(0)
	v_cvt_f32_u32_e32 v1, s28
	s_sub_i32 s7, 0, s28
	v_rcp_iflag_f32_e32 v1, v1
	v_mul_f32_e32 v1, 0x4f7ffffe, v1
	v_cvt_u32_f32_e32 v1, v1
	v_readfirstlane_b32 s19, v1
	s_mul_i32 s7, s7, s19
	s_mul_hi_u32 s7, s19, s7
	s_add_i32 s19, s19, s7
	s_mul_hi_u32 s7, s40, s19
	s_mul_i32 s24, s7, s28
	s_sub_i32 s24, s40, s24
	s_add_i32 s19, s7, 1
	s_sub_i32 s25, s24, s28
	s_cmp_ge_u32 s24, s28
	s_cselect_b32 s7, s19, s7
	s_cselect_b32 s24, s25, s24
	s_add_i32 s19, s7, 1
	s_cmp_ge_u32 s24, s28
	s_cselect_b32 s26, s19, s7
	v_writelane_b32 v48, s26, 24
	v_writelane_b32 v48, s27, 25
.LBB14_27:
	s_load_dwordx2 s[24:25], s[4:5], 0x360
	v_writelane_b32 v48, s40, 26
	s_load_dwordx2 s[4:5], s[4:5], 0x1c0
	v_writelane_b32 v48, s41, 27
	s_mov_b32 s93, 0
	s_waitcnt lgkmcnt(0)
	v_writelane_b32 v48, s24, 28
	v_writelane_b32 v48, s25, 29
	;; [unrolled: 1-line block ×4, first 2 shown]
	v_cmp_eq_u32_e64 s[24:25], 0, v0
	s_mov_b64 s[4:5], exec
	v_writelane_b32 v48, s24, 32
	v_writelane_b32 v48, s25, 33
	s_and_b64 s[24:25], s[4:5], s[24:25]
	s_mov_b64 exec, s[24:25]
	s_cbranch_execz .LBB14_29
; %bb.28:
	v_mov_b32_e32 v2, 0
	v_mov_b32_e32 v4, s52
	;; [unrolled: 1-line block ×4, first 2 shown]
	ds_write_b32 v2, v2 offset:5136
	ds_write_b128 v2, v[2:5] offset:5120
.LBB14_29:
	s_or_b64 exec, exec, s[4:5]
	s_mul_i32 s4, s20, s9
	s_mul_hi_u32 s5, s20, s8
	s_add_i32 s4, s5, s4
	s_mul_i32 s5, s21, s8
	s_add_i32 s4, s4, s5
	s_mul_i32 s5, s20, s8
	s_sub_u32 s5, s2, s5
	s_subb_u32 s4, s3, s4
	s_mul_i32 s7, s5, s15
	s_mul_hi_u32 s8, s5, s14
	s_add_i32 s7, s8, s7
	s_mul_i32 s4, s4, s14
	s_add_i32 s7, s7, s4
	s_mul_i32 s8, s5, s14
	s_mul_i32 s4, s20, s13
	s_mul_hi_u32 s5, s20, s12
	s_add_i32 s4, s5, s4
	s_mul_i32 s5, s21, s12
	s_add_i32 s9, s4, s5
	s_mul_i32 s4, s2, s11
	s_mul_hi_u32 s5, s2, s10
	s_add_i32 s4, s5, s4
	s_mul_i32 s3, s3, s10
	s_add_i32 s4, s4, s3
	s_mul_i32 s2, s2, s10
	s_sub_u32 s2, s38, s2
	s_mov_b32 s10, s38
	s_subb_u32 s3, 0, s4
	s_mul_i32 s4, s2, s23
	s_mul_hi_u32 s5, s2, s22
	v_writelane_b32 v48, s10, 34
	s_add_i32 s4, s5, s4
	s_mul_i32 s3, s3, s22
	s_mul_i32 s12, s20, s12
	v_writelane_b32 v48, s11, 35
	s_add_i32 s10, s4, s3
	s_mul_i32 s11, s2, s22
	s_add_u32 s2, s0, s12
	s_addc_u32 s3, s1, s9
	s_add_u32 s2, s2, s8
	s_addc_u32 s3, s3, s7
	v_mbcnt_lo_u32_b32 v1, -1, 0
	s_add_u32 s14, s2, s11
	v_mbcnt_hi_u32_b32 v36, -1, v1
	s_addc_u32 s15, s3, s10
	v_cmp_gt_u32_e32 vcc, 64, v0
	v_cmp_gt_i32_e64 s[2:3], 4, v36
	s_and_b64 s[86:87], vcc, s[2:3]
	v_cmp_gt_u32_e64 s[2:3], 2, v0
	v_mov_b32_e32 v2, 0xc00
	v_writelane_b32 v48, s2, 36
	v_mov_b32_e32 v3, 0
	v_writelane_b32 v48, s3, 37
	v_cmp_gt_i64_e64 s[2:3], s[52:53], v[2:3]
	v_writelane_b32 v48, s2, 38
	v_writelane_b32 v48, s3, 39
	v_mov_b32_e32 v13, 0
	v_writelane_b32 v48, s14, 40
	v_pk_mov_b32 v[4:5], s[14:15], s[14:15] op_sel:[0,1]
	v_mov_b32_e32 v1, v13
	v_mad_u64_u32 v[2:3], s[2:3], v0, s58, 0
	v_mad_u64_u32 v[14:15], s[2:3], v0, s58, v[4:5]
	v_writelane_b32 v48, s15, 41
	v_cmp_gt_i64_e64 s[2:3], s[52:53], v[0:1]
	v_writelane_b32 v48, s2, 42
	s_waitcnt lgkmcnt(0)
	s_barrier
	v_writelane_b32 v48, s3, 43
	s_load_dword s2, s[16:17], 0xc
	v_lshrrev_b32_e32 v4, 4, v0
	v_and_b32_e32 v37, 60, v4
	v_lshlrev_b32_e32 v4, 2, v36
	v_lshlrev_b32_e32 v16, 2, v0
	s_waitcnt lgkmcnt(0)
	s_and_b32 s33, s2, 0xffff
	s_bfe_u32 s13, s2, 0xa0006
	v_cmp_gt_u16_e64 s[2:3], s2, 63
	v_writelane_b32 v48, s2, 44
	v_writelane_b32 v48, s3, 45
	s_add_u32 s2, s33, -1
	s_addc_u32 s3, 0, -1
	s_add_u32 s73, s2, s52
	s_addc_u32 s85, s3, s53
	s_cmp_lt_u32 s6, s18
	v_writelane_b32 v48, s2, 46
	s_cselect_b32 s2, 12, 18
	s_add_u32 s90, s16, s2
	s_addc_u32 s91, s17, 0
	s_add_i32 s2, s13, -1
	s_bfe_u32 s6, s33, 0x30006
	s_cmp_gt_u32 s2, 6
	v_writelane_b32 v48, s3, 47
	s_cselect_b64 s[14:15], -1, 0
	v_writelane_b32 v48, s14, 48
	s_and_b32 s2, s13, 0x3f8
	v_writelane_b32 v48, s15, 49
	s_cmp_lg_u32 s6, 0
	v_writelane_b32 v48, s6, 50
	s_cselect_b64 s[14:15], -1, 0
	s_add_u32 s6, s12, s11
	s_addc_u32 s9, s9, s10
	s_add_u32 s6, s6, s8
	v_and_b32_e32 v38, 0x100, v4
	v_lshlrev_b64 v[4:5], v36, -1
	s_addc_u32 s7, s9, s7
	v_not_b32_e32 v19, v5
	s_add_u32 s6, s0, s6
	v_or_b32_e32 v5, 3, v16
	s_addc_u32 s7, s1, s7
	v_mad_u64_u32 v[20:21], s[0:1], s58, v5, 0
	v_not_b32_e32 v18, v4
	v_mov_b32_e32 v4, v21
	v_writelane_b32 v48, s14, 51
	v_mad_u64_u32 v[4:5], s[0:1], s59, v5, v[4:5]
	v_writelane_b32 v48, s15, 52
	s_lshl_b64 s[0:1], s[58:59], 2
	v_writelane_b32 v48, s0, 53
	v_or_b32_e32 v5, 2, v16
	v_writelane_b32 v48, s1, 54
	v_mad_u64_u32 v[22:23], s[0:1], s58, v5, 0
	v_mul_lo_u32 v6, v0, s59
	v_mov_b32_e32 v21, v4
	v_mov_b32_e32 v4, v23
	v_add_u32_e32 v3, v3, v6
	v_mad_u64_u32 v[4:5], s[0:1], s59, v5, v[4:5]
	v_mov_b32_e32 v23, v4
	v_pk_mov_b32 v[4:5], s[58:59], s[58:59] op_sel:[0,1]
	v_lshlrev_b64 v[26:27], 2, v[2:3]
	v_mov_b32_e32 v2, s53
	v_add_co_u32_e32 v39, vcc, s52, v0
	v_mad_u64_u32 v[24:25], s[0:1], s58, v16, v[4:5]
	v_addc_co_u32_e32 v40, vcc, 0, v2, vcc
	v_mov_b32_e32 v2, 0xc00
	v_mov_b32_e32 v4, v25
	v_lshl_or_b32 v41, v36, 3, v2
	v_writelane_b32 v48, s6, 55
	v_pk_mov_b32 v[2:3], s[6:7], s[6:7] op_sel:[0,1]
	v_mad_u64_u32 v[4:5], s[0:1], s59, v16, v[4:5]
	v_mad_u64_u32 v[10:11], s[0:1], v0, s58, v[2:3]
	s_mul_i32 s0, s59, s33
	s_mul_hi_u32 s1, s58, s33
	v_cmp_eq_u32_e64 s[4:5], 0, v36
	v_add_u32_e32 v15, v6, v15
	v_mov_b32_e32 v17, v13
	s_mov_b32 s94, s93
	s_mov_b32 s3, 6
	v_mov_b32_e32 v25, v4
	v_add_u32_e32 v11, v6, v11
	s_add_i32 s95, s1, s0
	s_mul_i32 s72, s58, s33
	s_mov_b64 s[78:79], 0
	s_movk_i32 s26, 0x80
	v_cvt_f32_ubyte0_e32 v42, 0
	v_mov_b32_e32 v43, 0
	s_mov_b32 s27, 0
	s_mov_b32 s75, 0
	;; [unrolled: 1-line block ×3, first 2 shown]
	v_writelane_b32 v48, s7, 56
                                        ; implicit-def: $sgpr82_sgpr83
                                        ; implicit-def: $sgpr62_sgpr63
                                        ; implicit-def: $sgpr60_sgpr61
                                        ; implicit-def: $sgpr64_sgpr65
                                        ; implicit-def: $sgpr66_sgpr67
                                        ; implicit-def: $sgpr76_sgpr77
	s_branch .LBB14_34
.LBB14_30:                              ;   in Loop: Header=BB14_34 Depth=1
	s_xor_b32 s27, s27, 1
	s_add_i32 s12, s3, -2
	s_cmp_eq_u32 s3, 0
	s_mov_b64 s[6:7], 0
	s_cselect_b64 s[8:9], -1, 0
	s_mov_b32 s3, s12
.LBB14_31:                              ;   in Loop: Header=BB14_34 Depth=1
	s_andn2_b64 s[12:13], s[18:19], exec
	s_and_b64 s[6:7], s[6:7], exec
	s_or_b64 s[18:19], s[12:13], s[6:7]
	s_andn2_b64 s[20:21], s[20:21], exec
	s_andn2_b64 s[16:17], s[16:17], exec
	s_orn2_b64 s[12:13], s[8:9], exec
.LBB14_32:                              ;   in Loop: Header=BB14_34 Depth=1
	s_or_b64 exec, exec, s[0:1]
	s_andn2_b64 s[0:1], s[76:77], exec
	s_and_b64 s[6:7], s[18:19], exec
	s_or_b64 s[76:77], s[0:1], s[6:7]
	s_andn2_b64 s[0:1], s[66:67], exec
	s_and_b64 s[6:7], s[20:21], exec
	s_or_b64 s[66:67], s[0:1], s[6:7]
	;; [unrolled: 3-line block ×3, first 2 shown]
	s_orn2_b64 s[16:17], s[12:13], exec
.LBB14_33:                              ;   in Loop: Header=BB14_34 Depth=1
	s_or_b64 exec, exec, s[10:11]
	s_and_b64 s[0:1], exec, s[16:17]
	s_or_b64 s[78:79], s[0:1], s[78:79]
	s_andn2_b64 s[0:1], s[60:61], exec
	s_and_b64 s[6:7], s[76:77], exec
	s_or_b64 s[60:61], s[0:1], s[6:7]
	s_andn2_b64 s[0:1], s[62:63], exec
	s_and_b64 s[6:7], s[66:67], exec
	;; [unrolled: 3-line block ×3, first 2 shown]
	v_mov_b32_e32 v2, s75
	s_or_b64 s[82:83], s[0:1], s[6:7]
	s_andn2_b64 exec, exec, s[78:79]
	s_cbranch_execz .LBB14_301
.LBB14_34:                              ; =>This Loop Header: Depth=1
                                        ;     Child Loop BB14_39 Depth 2
                                        ;     Child Loop BB14_58 Depth 2
	;; [unrolled: 1-line block ×16, first 2 shown]
	ds_read_b128 v[2:5], v13 offset:5120
	s_waitcnt lgkmcnt(0)
	v_readfirstlane_b32 s81, v3
	v_readfirstlane_b32 s80, v2
	v_cmp_gt_i64_e64 s[0:1], s[80:81], 0
	s_and_b64 vcc, exec, s[0:1]
	s_cbranch_vccnz .LBB14_65
; %bb.35:                               ;   in Loop: Header=BB14_34 Depth=1
	v_readlane_b32 s0, v48, 38
	v_readlane_b32 s1, v48, 39
	s_and_b64 vcc, exec, s[0:1]
	s_cbranch_vccz .LBB14_47
; %bb.36:                               ;   in Loop: Header=BB14_34 Depth=1
	s_mov_b64 s[0:1], 0xc01
	v_cmp_gt_i64_e32 vcc, s[0:1], v[4:5]
	s_mov_b64 s[0:1], 0
	s_mov_b64 s[6:7], 0
	s_cbranch_vccz .LBB14_52
; %bb.37:                               ;   in Loop: Header=BB14_34 Depth=1
	global_load_ushort v6, v13, s[90:91]
	global_load_ubyte v7, v[14:15], off
	v_readlane_b32 s6, v48, 55
	v_readlane_b32 s7, v48, 56
	v_pk_mov_b32 v[2:3], s[6:7], s[6:7] op_sel:[0,1]
	s_mov_b64 s[8:9], 0
	s_waitcnt vmcnt(1)
	v_readfirstlane_b32 s6, v6
	s_and_b32 s6, 0xffff, s6
	v_add_u32_e32 v5, s6, v0
	s_mul_i32 s10, s59, s6
	s_mul_hi_u32 s11, s58, s6
	s_mul_i32 s18, s58, s6
	v_mad_u64_u32 v[2:3], s[6:7], s58, v5, v[2:3]
	v_mov_b32_e32 v4, v3
	v_mad_u64_u32 v[4:5], s[6:7], s59, v5, v[4:5]
	s_add_i32 s19, s11, s10
	v_mov_b32_e32 v3, v4
	v_pk_mov_b32 v[4:5], v[0:1], v[0:1] op_sel:[0,1]
	s_branch .LBB14_39
.LBB14_38:                              ;   in Loop: Header=BB14_39 Depth=2
	s_or_b64 exec, exec, s[6:7]
	v_mov_b32_e32 v7, s19
	v_add_co_u32_e32 v2, vcc, s18, v2
	v_addc_co_u32_e32 v3, vcc, v3, v7, vcc
	v_mov_b32_e32 v7, v8
	s_andn2_b64 exec, exec, s[8:9]
	s_cbranch_execz .LBB14_48
.LBB14_39:                              ;   Parent Loop BB14_34 Depth=1
                                        ; =>  This Inner Loop Header: Depth=2
	v_add_co_u32_sdwa v4, vcc, v4, v6 dst_sel:DWORD dst_unused:UNUSED_PAD src0_sel:DWORD src1_sel:WORD_0
	v_addc_co_u32_e32 v5, vcc, 0, v5, vcc
	v_cmp_gt_i64_e64 s[6:7], s[52:53], v[4:5]
	v_cmp_le_i64_e32 vcc, s[52:53], v[4:5]
	s_waitcnt lgkmcnt(0)
	v_mov_b32_e32 v9, 0
	v_mov_b32_e32 v8, 0
	s_and_saveexec_b64 s[10:11], s[6:7]
	s_cbranch_execz .LBB14_41
; %bb.40:                               ;   in Loop: Header=BB14_39 Depth=2
	global_load_ubyte v8, v[2:3], off
.LBB14_41:                              ;   in Loop: Header=BB14_39 Depth=2
	s_or_b64 exec, exec, s[10:11]
	s_waitcnt vmcnt(0)
	v_add_u32_sdwa v12, sext(v7), s26 dst_sel:DWORD dst_unused:UNUSED_PAD src0_sel:BYTE_0 src1_sel:DWORD
	v_and_b32_e32 v12, s74, v12
	v_cmp_eq_u32_e64 s[10:11], s75, v12
	s_cmp_lg_u64 s[10:11], 0
	s_cselect_b64 s[6:7], -1, 0
	s_and_b64 s[6:7], s[4:5], s[6:7]
	s_and_saveexec_b64 s[12:13], s[6:7]
	s_cbranch_execz .LBB14_45
; %bb.42:                               ;   in Loop: Header=BB14_39 Depth=2
	s_mov_b64 s[16:17], exec
	v_mbcnt_lo_u32_b32 v9, s16, 0
	v_mbcnt_hi_u32_b32 v9, s17, v9
	s_bcnt1_i32_b64 s20, s[10:11]
	v_cmp_eq_u32_e64 s[6:7], 0, v9
                                        ; implicit-def: $vgpr12
	s_and_saveexec_b64 s[14:15], s[6:7]
	s_cbranch_execz .LBB14_44
; %bb.43:                               ;   in Loop: Header=BB14_39 Depth=2
	s_bcnt1_i32_b64 s6, s[16:17]
	s_mul_i32 s6, s20, s6
	v_mov_b32_e32 v12, s6
	ds_add_rtn_u32 v12, v13, v12 offset:5136
.LBB14_44:                              ;   in Loop: Header=BB14_39 Depth=2
	s_or_b64 exec, exec, s[14:15]
	s_waitcnt lgkmcnt(0)
	v_readfirstlane_b32 s6, v12
	v_mov_b32_e32 v12, s6
	v_mad_u32_u24 v9, s20, v9, v12
.LBB14_45:                              ;   in Loop: Header=BB14_39 Depth=2
	s_or_b64 exec, exec, s[12:13]
	ds_bpermute_b32 v9, v38, v9
	s_and_b64 s[6:7], exec, vcc
	s_or_b64 s[8:9], s[6:7], s[8:9]
	s_and_saveexec_b64 s[6:7], s[10:11]
	s_cbranch_execz .LBB14_38
; %bb.46:                               ;   in Loop: Header=BB14_39 Depth=2
	v_and_b32_e32 v28, s10, v18
	v_and_b32_e32 v12, s11, v19
	v_bcnt_u32_b32 v28, v28, 0
	v_bcnt_u32_b32 v12, v12, v28
	s_waitcnt lgkmcnt(0)
	v_add_u32_e32 v9, v9, v12
	ds_write_b8 v9, v7
	s_branch .LBB14_38
.LBB14_47:                              ;   in Loop: Header=BB14_34 Depth=1
	s_mov_b64 s[0:1], -1
	s_mov_b64 s[6:7], 0
	s_branch .LBB14_51
.LBB14_48:                              ;   in Loop: Header=BB14_34 Depth=1
	s_or_b64 exec, exec, s[8:9]
	s_waitcnt lgkmcnt(0)
	s_barrier
	s_mov_b64 s[6:7], exec
	v_readlane_b32 s8, v48, 32
	v_readlane_b32 s9, v48, 33
	s_and_b64 s[8:9], s[6:7], s[8:9]
	s_mov_b64 exec, s[8:9]
	s_cbranch_execz .LBB14_50
; %bb.49:                               ;   in Loop: Header=BB14_34 Depth=1
	ds_read_b32 v2, v13 offset:5136
	s_waitcnt lgkmcnt(0)
	v_ashrrev_i32_e32 v3, 31, v2
	ds_write_b64 v13, v[2:3] offset:5120
.LBB14_50:                              ;   in Loop: Header=BB14_34 Depth=1
	s_or_b64 exec, exec, s[6:7]
	s_waitcnt lgkmcnt(0)
	s_barrier
	s_mov_b64 s[6:7], -1
.LBB14_51:                              ;   in Loop: Header=BB14_34 Depth=1
                                        ; implicit-def: $sgpr80_sgpr81
.LBB14_52:                              ;   in Loop: Header=BB14_34 Depth=1
	s_and_b64 vcc, exec, s[0:1]
	s_cbranch_vccz .LBB14_63
; %bb.53:                               ;   in Loop: Header=BB14_34 Depth=1
	v_mov_b32_e32 v6, 0
	s_mov_b64 s[0:1], exec
	v_readlane_b32 s6, v48, 42
	v_readlane_b32 s7, v48, 43
	s_and_b64 s[6:7], s[0:1], s[6:7]
	s_mov_b64 exec, s[6:7]
	s_cbranch_execz .LBB14_55
; %bb.54:                               ;   in Loop: Header=BB14_34 Depth=1
	global_load_ubyte v6, v[14:15], off
.LBB14_55:                              ;   in Loop: Header=BB14_34 Depth=1
	s_or_b64 exec, exec, s[0:1]
	s_mov_b64 s[0:1], exec
	v_readlane_b32 s6, v48, 42
	v_readlane_b32 s7, v48, 43
	s_and_b64 s[6:7], s[0:1], s[6:7]
	s_mov_b64 exec, s[6:7]
	s_cbranch_execz .LBB14_60
; %bb.56:                               ;   in Loop: Header=BB14_34 Depth=1
	global_load_ushort v7, v13, s[90:91]
	v_readlane_b32 s6, v48, 55
	v_readlane_b32 s7, v48, 56
	v_pk_mov_b32 v[2:3], s[6:7], s[6:7] op_sel:[0,1]
	s_mov_b64 s[8:9], 0
	v_mov_b32_e32 v8, v0
	s_waitcnt vmcnt(0)
	v_readfirstlane_b32 s6, v7
	s_and_b32 s12, 0xffff, s6
	v_add_u32_e32 v5, s12, v0
	v_mad_u64_u32 v[2:3], s[6:7], s58, v5, v[2:3]
	v_mov_b32_e32 v4, v3
	s_mul_i32 s10, s59, s12
	s_mul_hi_u32 s11, s58, s12
	v_mad_u64_u32 v[4:5], s[6:7], s59, v5, v[4:5]
	s_mul_i32 s13, s58, s12
	s_add_i32 s14, s11, s10
	v_mov_b32_e32 v3, v4
	v_pk_mov_b32 v[4:5], v[0:1], v[0:1] op_sel:[0,1]
	s_branch .LBB14_58
.LBB14_57:                              ;   in Loop: Header=BB14_58 Depth=2
	s_or_b64 exec, exec, s[10:11]
	s_and_b64 s[6:7], exec, vcc
	ds_write_b8 v8, v6
	v_mov_b32_e32 v6, s14
	v_add_co_u32_e32 v2, vcc, s13, v2
	s_or_b64 s[8:9], s[6:7], s[8:9]
	v_add_u32_e32 v8, s12, v8
	v_addc_co_u32_e32 v3, vcc, v3, v6, vcc
	s_waitcnt vmcnt(0)
	v_mov_b32_e32 v6, v9
	s_andn2_b64 exec, exec, s[8:9]
	s_cbranch_execz .LBB14_60
.LBB14_58:                              ;   Parent Loop BB14_34 Depth=1
                                        ; =>  This Inner Loop Header: Depth=2
	v_add_co_u32_sdwa v4, vcc, v4, v7 dst_sel:DWORD dst_unused:UNUSED_PAD src0_sel:DWORD src1_sel:WORD_0
	v_addc_co_u32_e32 v5, vcc, 0, v5, vcc
	v_cmp_gt_i64_e64 s[6:7], s[52:53], v[4:5]
	v_cmp_le_i64_e32 vcc, s[52:53], v[4:5]
	v_mov_b32_e32 v9, 0
	s_and_saveexec_b64 s[10:11], s[6:7]
	s_cbranch_execz .LBB14_57
; %bb.59:                               ;   in Loop: Header=BB14_58 Depth=2
	global_load_ubyte v9, v[2:3], off
	s_branch .LBB14_57
.LBB14_60:                              ;   in Loop: Header=BB14_34 Depth=1
	s_or_b64 exec, exec, s[0:1]
	s_waitcnt lgkmcnt(0)
	s_barrier
	s_mov_b64 s[0:1], exec
	v_readlane_b32 s6, v48, 32
	v_readlane_b32 s7, v48, 33
	s_and_b64 s[6:7], s[0:1], s[6:7]
	s_mov_b64 exec, s[6:7]
	s_cbranch_execz .LBB14_62
; %bb.61:                               ;   in Loop: Header=BB14_34 Depth=1
	v_pk_mov_b32 v[2:3], s[52:53], s[52:53] op_sel:[0,1]
	ds_write_b64 v13, v[2:3] offset:5120
.LBB14_62:                              ;   in Loop: Header=BB14_34 Depth=1
	s_or_b64 exec, exec, s[0:1]
	s_mov_b64 s[6:7], -1
	s_waitcnt lgkmcnt(0)
	s_barrier
                                        ; implicit-def: $sgpr80_sgpr81
.LBB14_63:                              ;   in Loop: Header=BB14_34 Depth=1
	s_and_b64 vcc, exec, s[6:7]
	s_cbranch_vccz .LBB14_65
; %bb.64:                               ;   in Loop: Header=BB14_34 Depth=1
	ds_read_b64 v[2:3], v13 offset:5120
	s_waitcnt lgkmcnt(0)
	v_readfirstlane_b32 s80, v2
.LBB14_65:                              ;   in Loop: Header=BB14_34 Depth=1
	s_cmp_lt_i32 s80, 1
	s_cbranch_scc0 .LBB14_80
; %bb.66:                               ;   in Loop: Header=BB14_34 Depth=1
	global_load_ushort v2, v13, s[90:91]
	s_mov_b32 s0, s93
	s_waitcnt vmcnt(0)
	v_readfirstlane_b32 s1, v2
	s_and_b32 s1, 0xffff, s1
	s_lshl_b32 s81, s1, 2
	s_mov_b32 s1, s53
	s_cmp_lg_u64 s[0:1], 0
	s_cbranch_scc0 .LBB14_100
; %bb.67:                               ;   in Loop: Header=BB14_34 Depth=1
	v_cvt_f32_u32_e32 v3, s81
	s_sub_u32 s0, 0, s81
	s_subb_u32 s1, 0, 0
	v_mac_f32_e32 v3, 0x4f800000, v42
	v_rcp_f32_e32 v3, v3
	v_mul_f32_e32 v3, 0x5f7ffffc, v3
	v_mul_f32_e32 v4, 0x2f800000, v3
	v_trunc_f32_e32 v4, v4
	v_mac_f32_e32 v3, 0xcf800000, v4
	v_cvt_u32_f32_e32 v4, v4
	v_cvt_u32_f32_e32 v3, v3
	v_readfirstlane_b32 s6, v4
	v_readfirstlane_b32 s7, v3
	s_mul_i32 s8, s0, s6
	s_mul_hi_u32 s10, s0, s7
	s_mul_i32 s9, s1, s7
	s_add_i32 s8, s10, s8
	s_mul_i32 s11, s0, s7
	s_add_i32 s8, s8, s9
	s_mul_hi_u32 s10, s7, s11
	s_mul_hi_u32 s9, s7, s8
	s_mul_i32 s7, s7, s8
	s_add_u32 s7, s10, s7
	s_addc_u32 s9, 0, s9
	s_mul_hi_u32 s12, s6, s11
	s_mul_i32 s11, s6, s11
	s_add_u32 s7, s7, s11
	s_mul_hi_u32 s10, s6, s8
	s_addc_u32 s7, s9, s12
	s_addc_u32 s9, s10, 0
	s_mul_i32 s8, s6, s8
	s_add_u32 s7, s7, s8
	s_addc_u32 s8, 0, s9
	v_add_co_u32_e32 v3, vcc, s7, v3
	s_cmp_lg_u64 vcc, 0
	s_addc_u32 s6, s6, s8
	v_readfirstlane_b32 s8, v3
	s_mul_i32 s7, s0, s6
	s_mul_hi_u32 s9, s0, s8
	s_add_i32 s7, s9, s7
	s_mul_i32 s1, s1, s8
	s_add_i32 s7, s7, s1
	s_mul_i32 s0, s0, s8
	s_mul_hi_u32 s9, s6, s0
	s_mul_i32 s10, s6, s0
	s_mul_i32 s12, s8, s7
	s_mul_hi_u32 s0, s8, s0
	s_mul_hi_u32 s11, s8, s7
	s_add_u32 s0, s0, s12
	s_addc_u32 s8, 0, s11
	s_add_u32 s0, s0, s10
	s_mul_hi_u32 s1, s6, s7
	s_addc_u32 s0, s8, s9
	s_addc_u32 s1, s1, 0
	s_mul_i32 s7, s6, s7
	s_add_u32 s0, s0, s7
	s_addc_u32 s1, 0, s1
	v_add_co_u32_e32 v3, vcc, s0, v3
	s_cmp_lg_u64 vcc, 0
	s_addc_u32 s8, s6, s1
	s_ashr_i32 s0, s53, 31
	s_add_u32 s6, s52, s0
	s_mov_b32 s1, s0
	s_addc_u32 s7, s53, s0
	s_xor_b64 s[6:7], s[6:7], s[0:1]
	v_readfirstlane_b32 s10, v3
	s_mul_i32 s9, s6, s8
	s_mul_hi_u32 s11, s6, s10
	s_mul_hi_u32 s1, s6, s8
	s_add_u32 s9, s11, s9
	s_addc_u32 s1, 0, s1
	s_mul_hi_u32 s12, s7, s10
	s_mul_i32 s10, s7, s10
	s_add_u32 s9, s9, s10
	s_mul_hi_u32 s11, s7, s8
	s_addc_u32 s1, s1, s12
	s_addc_u32 s9, s11, 0
	s_mul_i32 s8, s7, s8
	s_add_u32 s1, s1, s8
	s_addc_u32 s8, 0, s9
	s_mul_hi_u32 s9, s81, s1
	s_mul_i32 s1, s81, s1
	s_mul_i32 s8, s81, s8
	v_mov_b32_e32 v3, s1
	s_add_i32 s9, s9, s8
	v_sub_co_u32_e32 v3, vcc, s6, v3
	s_cmp_lg_u64 vcc, 0
	s_subb_u32 s1, s7, s9
	v_subrev_co_u32_e32 v4, vcc, s81, v3
	s_cmp_lg_u64 vcc, 0
	s_subb_u32 s6, s1, 0
	v_subrev_co_u32_e32 v5, vcc, s81, v4
	s_cmp_lg_u64 vcc, 0
	s_subb_u32 s7, s6, 0
	v_cmp_le_u32_e32 vcc, s81, v4
	s_cmp_eq_u32 s6, 0
	v_cndmask_b32_e64 v6, 0, -1, vcc
	s_cselect_b64 vcc, -1, 0
	v_cndmask_b32_e32 v6, -1, v6, vcc
	v_mov_b32_e32 v7, s6
	v_mov_b32_e32 v8, s7
	v_cmp_ne_u32_e32 vcc, 0, v6
	v_cndmask_b32_e32 v6, v7, v8, vcc
	v_cndmask_b32_e32 v4, v4, v5, vcc
	v_cmp_le_u32_e32 vcc, s81, v3
	s_cmp_eq_u32 s1, 0
	v_cndmask_b32_e64 v5, 0, -1, vcc
	s_cselect_b64 vcc, -1, 0
	v_cndmask_b32_e32 v5, -1, v5, vcc
	v_cmp_ne_u32_e32 vcc, 0, v5
	v_mov_b32_e32 v7, s1
	v_cndmask_b32_e32 v3, v3, v4, vcc
	v_cndmask_b32_e32 v5, v7, v6, vcc
	v_xor_b32_e32 v3, s0, v3
	v_xor_b32_e32 v4, s0, v5
	v_mov_b32_e32 v5, s0
	v_subrev_co_u32_e32 v28, vcc, s0, v3
	v_subb_co_u32_e32 v29, vcc, v4, v5, vcc
	s_cbranch_execnz .LBB14_69
.LBB14_68:                              ;   in Loop: Header=BB14_34 Depth=1
	v_cvt_f32_u32_e32 v3, s81
	s_sub_i32 s0, 0, s81
	v_rcp_iflag_f32_e32 v3, v3
	v_mul_f32_e32 v3, 0x4f7ffffe, v3
	v_cvt_u32_f32_e32 v3, v3
	v_mul_lo_u32 v4, s0, v3
	v_mul_hi_u32 v4, v3, v4
	v_add_u32_e32 v3, v3, v4
	v_mul_hi_u32 v3, s52, v3
	v_mul_lo_u32 v3, v3, s81
	v_sub_u32_e32 v3, s52, v3
	v_subrev_u32_e32 v4, s81, v3
	v_cmp_le_u32_e32 vcc, s81, v3
	v_cndmask_b32_e32 v3, v3, v4, vcc
	v_subrev_u32_e32 v4, s81, v3
	v_cmp_le_u32_e32 vcc, s81, v3
	v_cndmask_b32_e32 v12, v3, v4, vcc
	v_pk_mov_b32 v[28:29], v[12:13], v[12:13] op_sel:[0,1]
.LBB14_69:                              ;   in Loop: Header=BB14_34 Depth=1
	v_and_b32_e32 v12, 0xffff, v2
	v_mov_b32_e32 v2, s53
	v_sub_co_u32_e32 v30, vcc, s52, v28
	v_subb_co_u32_e32 v31, vcc, v2, v29, vcc
	v_pk_mov_b32 v[2:3], 0, 0
	v_cmp_gt_i64_e32 vcc, v[30:31], v[16:17]
	s_mov_b64 s[70:71], 0
	v_pk_mov_b32 v[4:5], v[2:3], v[2:3] op_sel:[0,1]
	v_pk_mov_b32 v[6:7], v[2:3], v[2:3] op_sel:[0,1]
	;; [unrolled: 1-line block ×3, first 2 shown]
	s_and_saveexec_b64 s[68:69], vcc
	s_cbranch_execz .LBB14_73
; %bb.70:                               ;   in Loop: Header=BB14_34 Depth=1
	v_readlane_b32 s0, v48, 53
	v_readlane_b32 s1, v48, 54
	v_mul_lo_u32 v2, s1, v12
	v_mul_hi_u32 v3, s0, v12
	v_mul_lo_u32 v45, s0, v12
	v_readlane_b32 s0, v48, 40
	v_readlane_b32 s1, v48, 41
	s_and_b32 s84, s3, 0xfe
	v_add_u32_e32 v44, v3, v2
	v_pk_mov_b32 v[32:33], s[0:1], s[0:1] op_sel:[0,1]
	s_mov_b64 s[56:57], 0
	s_mov_b64 s[0:1], 0
	;; [unrolled: 1-line block ×4, first 2 shown]
	v_pk_mov_b32 v[34:35], v[16:17], v[16:17] op_sel:[0,1]
.LBB14_71:                              ;   Parent Loop BB14_34 Depth=1
                                        ; =>  This Inner Loop Header: Depth=2
	v_add_co_u32_e32 v2, vcc, v32, v26
	v_addc_co_u32_e32 v3, vcc, v33, v27, vcc
	v_add_co_u32_e32 v4, vcc, v32, v24
	v_addc_co_u32_e32 v5, vcc, v33, v25, vcc
	;; [unrolled: 2-line block ×4, first 2 shown]
	global_load_sbyte v2, v[2:3], off
	s_nop 0
	global_load_sbyte v3, v[4:5], off
	s_nop 0
	global_load_sbyte v4, v[6:7], off
	global_load_sbyte v5, v[8:9], off
	v_add_co_u32_e32 v34, vcc, s81, v34
	v_addc_co_u32_e32 v35, vcc, 0, v35, vcc
	v_add_co_u32_e32 v32, vcc, v32, v45
	v_addc_co_u32_e32 v33, vcc, v33, v44, vcc
	v_cmp_ge_i64_e32 vcc, v[34:35], v[30:31]
	s_waitcnt vmcnt(3)
	v_add_u32_e32 v2, 0x80, v2
	s_waitcnt vmcnt(2)
	v_add_u32_e32 v3, 0x80, v3
	v_and_b32_e32 v6, s74, v2
	v_bfe_u32 v2, v2, s84, 2
	s_waitcnt vmcnt(1)
	v_add_u32_e32 v4, 0x80, v4
	v_and_b32_e32 v7, s74, v3
	v_bfe_u32 v3, v3, s84, 2
	v_cmp_eq_u32_e64 s[16:17], s75, v6
	v_cmp_eq_u32_e64 s[6:7], 0, v2
	s_waitcnt vmcnt(0)
	v_add_u32_e32 v5, 0x80, v5
	v_and_b32_e32 v8, s74, v4
	v_bfe_u32 v4, v4, s84, 2
	v_cmp_eq_u32_e64 s[14:15], s75, v7
	v_cmp_eq_u32_e64 s[28:29], 0, v3
	s_and_b64 s[6:7], s[16:17], s[6:7]
	v_and_b32_e32 v9, s74, v5
	v_bfe_u32 v5, v5, s84, 2
	v_cmp_eq_u32_e64 s[12:13], s75, v8
	v_cmp_eq_u32_e64 s[30:31], 0, v4
	;; [unrolled: 1-line block ×5, first 2 shown]
	v_cndmask_b32_e64 v2, 0, 1, s[6:7]
	s_and_b64 s[6:7], s[14:15], s[28:29]
	v_cmp_eq_u32_e64 s[10:11], s75, v9
	v_cmp_eq_u32_e64 s[34:35], 0, v5
	;; [unrolled: 1-line block ×5, first 2 shown]
	v_cndmask_b32_e64 v3, 0, 1, s[6:7]
	s_and_b64 s[6:7], s[12:13], s[30:31]
	v_cmp_eq_u32_e64 s[40:41], 1, v4
	v_cmp_eq_u32_e64 s[48:49], 2, v4
	;; [unrolled: 1-line block ×3, first 2 shown]
	v_cndmask_b32_e64 v4, 0, 1, s[6:7]
	s_and_b64 s[6:7], s[10:11], s[34:35]
	v_cmp_eq_u32_e64 s[42:43], 1, v5
	v_cmp_eq_u32_e64 s[50:51], 2, v5
	;; [unrolled: 1-line block ×3, first 2 shown]
	v_cndmask_b32_e64 v5, 0, 1, s[6:7]
	v_cmp_ne_u32_e64 s[6:7], 0, v2
	v_cmp_ne_u32_e64 s[28:29], 0, v3
	v_cmp_ne_u32_e64 s[30:31], 0, v4
	v_cmp_ne_u32_e64 s[34:35], 0, v5
	s_bcnt1_i32_b64 s6, s[6:7]
	s_bcnt1_i32_b64 s7, s[28:29]
	s_bcnt1_i32_b64 s28, s[30:31]
	s_bcnt1_i32_b64 s29, s[34:35]
	s_add_u32 s6, s6, s88
	s_addc_u32 s30, 0, s89
	s_add_u32 s6, s6, s7
	s_addc_u32 s7, s30, 0
	s_add_u32 s6, s6, s28
	s_addc_u32 s7, s7, 0
	s_add_u32 s88, s6, s29
	s_addc_u32 s89, s7, 0
	s_and_b64 s[6:7], s[16:17], s[36:37]
	v_cndmask_b32_e64 v4, 0, 1, s[6:7]
	s_and_b64 s[6:7], s[14:15], s[38:39]
	v_cndmask_b32_e64 v5, 0, 1, s[6:7]
	s_and_b64 s[6:7], s[12:13], s[40:41]
	v_cndmask_b32_e64 v6, 0, 1, s[6:7]
	s_and_b64 s[6:7], s[10:11], s[42:43]
	v_cndmask_b32_e64 v7, 0, 1, s[6:7]
	v_cmp_ne_u32_e64 s[6:7], 0, v4
	v_cmp_ne_u32_e64 s[28:29], 0, v5
	v_cmp_ne_u32_e64 s[30:31], 0, v6
	v_cmp_ne_u32_e64 s[34:35], 0, v7
	s_bcnt1_i32_b64 s6, s[6:7]
	s_bcnt1_i32_b64 s7, s[28:29]
	s_bcnt1_i32_b64 s28, s[30:31]
	s_bcnt1_i32_b64 s29, s[34:35]
	s_add_u32 s6, s6, s8
	s_addc_u32 s8, 0, s9
	s_add_u32 s6, s6, s7
	s_addc_u32 s7, s8, 0
	s_add_u32 s6, s6, s28
	s_addc_u32 s7, s7, 0
	s_add_u32 s8, s6, s29
	s_addc_u32 s9, s7, 0
	s_and_b64 s[6:7], s[16:17], s[44:45]
	v_cndmask_b32_e64 v6, 0, 1, s[6:7]
	s_and_b64 s[6:7], s[14:15], s[46:47]
	v_cndmask_b32_e64 v7, 0, 1, s[6:7]
	s_and_b64 s[6:7], s[12:13], s[48:49]
	v_cndmask_b32_e64 v8, 0, 1, s[6:7]
	s_and_b64 s[6:7], s[10:11], s[50:51]
	;; [unrolled: 24-line block ×3, first 2 shown]
	v_cndmask_b32_e64 v47, 0, 1, s[6:7]
	v_cmp_ne_u32_e64 s[6:7], 0, v8
	v_cmp_ne_u32_e64 s[10:11], 0, v9
	;; [unrolled: 1-line block ×4, first 2 shown]
	s_bcnt1_i32_b64 s6, s[6:7]
	s_bcnt1_i32_b64 s7, s[10:11]
	;; [unrolled: 1-line block ×4, first 2 shown]
	s_add_u32 s6, s6, s56
	s_addc_u32 s12, 0, s57
	s_add_u32 s6, s6, s7
	s_addc_u32 s7, s12, 0
	;; [unrolled: 2-line block ×4, first 2 shown]
	v_pk_mov_b32 v[2:3], s[88:89], s[88:89] op_sel:[0,1]
	v_pk_mov_b32 v[4:5], s[8:9], s[8:9] op_sel:[0,1]
	;; [unrolled: 1-line block ×3, first 2 shown]
	s_or_b64 s[70:71], vcc, s[70:71]
	v_pk_mov_b32 v[8:9], s[56:57], s[56:57] op_sel:[0,1]
	s_andn2_b64 exec, exec, s[70:71]
	s_cbranch_execnz .LBB14_71
; %bb.72:                               ;   in Loop: Header=BB14_34 Depth=1
	s_or_b64 exec, exec, s[70:71]
.LBB14_73:                              ;   in Loop: Header=BB14_34 Depth=1
	s_or_b64 exec, exec, s[68:69]
	v_add_co_u32_e32 v30, vcc, v30, v0
	v_addc_co_u32_e32 v31, vcc, 0, v31, vcc
	v_cmp_gt_i64_e32 vcc, s[52:53], v[30:31]
	v_mov_b32_e32 v34, 0
	s_and_saveexec_b64 s[0:1], vcc
	s_cbranch_execz .LBB14_75
; %bb.74:                               ;   in Loop: Header=BB14_34 Depth=1
	v_readlane_b32 s6, v48, 40
	v_readlane_b32 s7, v48, 41
	v_pk_mov_b32 v[32:33], s[6:7], s[6:7] op_sel:[0,1]
	v_mad_u64_u32 v[32:33], s[6:7], v30, s58, v[32:33]
	v_mul_lo_u32 v34, v30, s59
	v_mul_lo_u32 v35, v31, s58
	v_add3_u32 v33, v35, v33, v34
	global_load_ubyte v34, v[32:33], off
.LBB14_75:                              ;   in Loop: Header=BB14_34 Depth=1
	s_or_b64 exec, exec, s[0:1]
	s_and_saveexec_b64 s[0:1], vcc
	s_cbranch_execz .LBB14_82
; %bb.76:                               ;   in Loop: Header=BB14_34 Depth=1
	v_add_co_u32_e32 v32, vcc, v39, v12
	v_addc_co_u32_e32 v33, vcc, 0, v40, vcc
	v_sub_co_u32_e32 v32, vcc, v32, v28
	v_readlane_b32 s6, v48, 55
	v_subb_co_u32_e32 v28, vcc, v33, v29, vcc
	v_readlane_b32 s7, v48, 56
	v_mul_lo_u32 v33, s58, v28
	v_pk_mov_b32 v[28:29], s[6:7], s[6:7] op_sel:[0,1]
	v_mul_lo_u32 v35, s59, v32
	v_mad_u64_u32 v[28:29], s[6:7], s58, v32, v[28:29]
	v_add3_u32 v29, v35, v29, v33
	v_mul_lo_u32 v32, s59, v12
	v_mul_hi_u32 v33, s58, v12
	s_and_b32 s12, s3, 0xfe
	v_add_u32_e32 v32, v33, v32
	v_mul_lo_u32 v33, s58, v12
	s_mov_b64 s[8:9], 0
	s_branch .LBB14_78
.LBB14_77:                              ;   in Loop: Header=BB14_78 Depth=2
	s_or_b64 exec, exec, s[10:11]
	s_waitcnt vmcnt(0)
	v_add_u32_sdwa v34, sext(v34), s26 dst_sel:DWORD dst_unused:UNUSED_PAD src0_sel:BYTE_0 src1_sel:DWORD
	s_and_b64 s[6:7], exec, vcc
	v_and_b32_e32 v44, s74, v34
	v_bfe_u32 v34, v34, s12, 2
	s_or_b64 s[8:9], s[6:7], s[8:9]
	v_cmp_eq_u32_e32 vcc, s75, v44
	v_cmp_eq_u32_e64 s[6:7], 0, v34
	s_and_b64 s[6:7], vcc, s[6:7]
	v_cndmask_b32_e64 v44, 0, 1, s[6:7]
	v_cmp_ne_u32_e64 s[6:7], 0, v44
	s_bcnt1_i32_b64 s6, s[6:7]
	v_add_co_u32_e64 v2, s[6:7], s6, v2
	v_addc_co_u32_e64 v3, s[6:7], 0, v3, s[6:7]
	v_cmp_eq_u32_e64 s[6:7], 1, v34
	s_and_b64 s[6:7], vcc, s[6:7]
	v_cndmask_b32_e64 v44, 0, 1, s[6:7]
	v_cmp_ne_u32_e64 s[6:7], 0, v44
	s_bcnt1_i32_b64 s6, s[6:7]
	v_add_co_u32_e64 v4, s[6:7], s6, v4
	v_addc_co_u32_e64 v5, s[6:7], 0, v5, s[6:7]
	;; [unrolled: 7-line block ×3, first 2 shown]
	v_cmp_eq_u32_e64 s[6:7], 3, v34
	s_and_b64 s[6:7], vcc, s[6:7]
	v_cndmask_b32_e64 v34, 0, 1, s[6:7]
	v_cmp_ne_u32_e32 vcc, 0, v34
	s_bcnt1_i32_b64 s6, vcc
	v_add_co_u32_e32 v8, vcc, s6, v8
	v_addc_co_u32_e32 v9, vcc, 0, v9, vcc
	v_add_co_u32_e32 v28, vcc, v28, v33
	v_addc_co_u32_e32 v29, vcc, v29, v32, vcc
	v_mov_b32_e32 v34, v35
	s_andn2_b64 exec, exec, s[8:9]
	s_cbranch_execz .LBB14_81
.LBB14_78:                              ;   Parent Loop BB14_34 Depth=1
                                        ; =>  This Inner Loop Header: Depth=2
	v_add_co_u32_e32 v30, vcc, v30, v12
	v_addc_co_u32_e32 v31, vcc, 0, v31, vcc
	v_cmp_gt_i64_e64 s[6:7], s[52:53], v[30:31]
	v_cmp_le_i64_e32 vcc, s[52:53], v[30:31]
	v_mov_b32_e32 v35, 0
	s_and_saveexec_b64 s[10:11], s[6:7]
	s_cbranch_execz .LBB14_77
; %bb.79:                               ;   in Loop: Header=BB14_78 Depth=2
	global_load_ubyte v35, v[28:29], off
	s_branch .LBB14_77
.LBB14_80:                              ;   in Loop: Header=BB14_34 Depth=1
                                        ; implicit-def: $vgpr8_vgpr9
                                        ; implicit-def: $vgpr4_vgpr5
	s_cbranch_execnz .LBB14_83
	s_branch .LBB14_92
.LBB14_81:                              ;   in Loop: Header=BB14_34 Depth=1
	s_or_b64 exec, exec, s[8:9]
.LBB14_82:                              ;   in Loop: Header=BB14_34 Depth=1
	s_or_b64 exec, exec, s[0:1]
	s_branch .LBB14_92
.LBB14_83:                              ;   in Loop: Header=BB14_34 Depth=1
	global_load_ushort v12, v13, s[90:91]
	s_mov_b64 s[68:69], 0
	s_waitcnt vmcnt(0)
	v_readfirstlane_b32 s0, v12
	s_and_b32 s0, 0xffff, s0
	s_lshl_b32 s81, s0, 2
	v_cvt_f32_u32_e32 v2, s81
	s_sub_i32 s0, 0, s81
	v_rcp_iflag_f32_e32 v4, v2
	v_pk_mov_b32 v[2:3], 0, 0
	v_pk_mov_b32 v[6:7], v[2:3], v[2:3] op_sel:[0,1]
	v_mul_f32_e32 v4, 0x4f7ffffe, v4
	v_cvt_u32_f32_e32 v8, v4
	v_pk_mov_b32 v[4:5], v[2:3], v[2:3] op_sel:[0,1]
	v_readfirstlane_b32 s1, v8
	s_mul_i32 s0, s0, s1
	s_mul_hi_u32 s0, s1, s0
	s_add_i32 s1, s1, s0
	s_mul_hi_u32 s0, s80, s1
	s_mul_i32 s0, s0, s81
	s_sub_i32 s0, s80, s0
	s_sub_i32 s1, s0, s81
	s_cmp_ge_u32 s0, s81
	s_cselect_b32 s0, s1, s0
	s_sub_i32 s1, s0, s81
	s_cmp_ge_u32 s0, s81
	s_cselect_b32 s0, s1, s0
	s_sub_i32 s92, s80, s0
	v_cmp_gt_u32_e32 vcc, s92, v16
	v_pk_mov_b32 v[8:9], v[2:3], v[2:3] op_sel:[0,1]
	s_and_saveexec_b64 s[0:1], vcc
	s_cbranch_execz .LBB14_87
; %bb.84:                               ;   in Loop: Header=BB14_34 Depth=1
	s_and_b32 s84, s3, 0xfe
	v_mov_b32_e32 v30, v16
	s_mov_b64 s[8:9], 0
	s_mov_b64 s[56:57], 0
	s_mov_b64 s[70:71], 0
	s_mov_b64 s[88:89], 0
	v_pk_mov_b32 v[28:29], v[16:17], v[16:17] op_sel:[0,1]
.LBB14_85:                              ;   Parent Loop BB14_34 Depth=1
                                        ; =>  This Inner Loop Header: Depth=2
	ds_read_b32 v2, v30
	v_add_co_u32_e32 v28, vcc, s81, v28
	v_addc_co_u32_e32 v29, vcc, 0, v29, vcc
	s_waitcnt lgkmcnt(0)
	v_add_u32_sdwa v3, sext(v2), s26 dst_sel:DWORD dst_unused:UNUSED_PAD src0_sel:BYTE_0 src1_sel:DWORD
	v_add_u32_sdwa v4, sext(v2), s26 dst_sel:DWORD dst_unused:UNUSED_PAD src0_sel:BYTE_1 src1_sel:DWORD
	v_and_b32_e32 v6, s74, v3
	v_bfe_u32 v3, v3, s84, 2
	v_add_u32_sdwa v5, sext(v2), s26 dst_sel:DWORD dst_unused:UNUSED_PAD src0_sel:BYTE_2 src1_sel:DWORD
	v_add_u32_sdwa v2, sext(v2), s26 dst_sel:DWORD dst_unused:UNUSED_PAD src0_sel:BYTE_3 src1_sel:DWORD
	v_and_b32_e32 v7, s74, v4
	v_bfe_u32 v4, v4, s84, 2
	v_cmp_eq_u32_e64 s[16:17], s75, v6
	v_cmp_eq_u32_e64 s[6:7], 0, v3
	v_and_b32_e32 v8, s74, v5
	v_and_b32_e32 v9, s74, v2
	v_bfe_u32 v5, v5, s84, 2
	v_bfe_u32 v2, v2, s84, 2
	v_cmp_eq_u32_e64 s[14:15], s75, v7
	v_cmp_eq_u32_e64 s[28:29], 0, v4
	s_and_b64 s[6:7], s[16:17], s[6:7]
	v_cmp_eq_u32_e64 s[12:13], s75, v8
	v_cmp_eq_u32_e64 s[30:31], 0, v5
	;; [unrolled: 1-line block ×6, first 2 shown]
	v_cndmask_b32_e64 v2, 0, 1, s[6:7]
	s_and_b64 s[6:7], s[14:15], s[28:29]
	v_cmp_eq_u32_e64 s[10:11], s75, v9
	v_cmp_eq_u32_e64 s[36:37], 1, v3
	;; [unrolled: 1-line block ×4, first 2 shown]
	v_cndmask_b32_e64 v3, 0, 1, s[6:7]
	s_and_b64 s[6:7], s[12:13], s[30:31]
	v_cmp_eq_u32_e64 s[38:39], 1, v4
	v_cmp_eq_u32_e64 s[46:47], 2, v4
	;; [unrolled: 1-line block ×3, first 2 shown]
	v_cndmask_b32_e64 v4, 0, 1, s[6:7]
	s_and_b64 s[6:7], s[10:11], s[34:35]
	v_cmp_eq_u32_e64 s[40:41], 1, v5
	v_cmp_eq_u32_e64 s[48:49], 2, v5
	v_cmp_eq_u32_e64 s[20:21], 3, v5
	v_cndmask_b32_e64 v5, 0, 1, s[6:7]
	v_cmp_ne_u32_e64 s[6:7], 0, v2
	v_cmp_ne_u32_e64 s[28:29], 0, v3
	v_cmp_ne_u32_e64 s[30:31], 0, v4
	v_cmp_ne_u32_e64 s[34:35], 0, v5
	s_bcnt1_i32_b64 s6, s[6:7]
	s_bcnt1_i32_b64 s7, s[28:29]
	s_bcnt1_i32_b64 s28, s[30:31]
	s_bcnt1_i32_b64 s29, s[34:35]
	s_add_u32 s6, s6, s88
	s_addc_u32 s30, 0, s89
	s_add_u32 s6, s6, s7
	s_addc_u32 s7, s30, 0
	s_add_u32 s6, s6, s28
	s_addc_u32 s7, s7, 0
	s_add_u32 s88, s6, s29
	s_addc_u32 s89, s7, 0
	s_and_b64 s[6:7], s[16:17], s[36:37]
	v_cndmask_b32_e64 v4, 0, 1, s[6:7]
	s_and_b64 s[6:7], s[14:15], s[38:39]
	v_cndmask_b32_e64 v5, 0, 1, s[6:7]
	s_and_b64 s[6:7], s[12:13], s[40:41]
	v_cndmask_b32_e64 v6, 0, 1, s[6:7]
	s_and_b64 s[6:7], s[10:11], s[42:43]
	v_cndmask_b32_e64 v7, 0, 1, s[6:7]
	v_cmp_ne_u32_e64 s[6:7], 0, v4
	v_cmp_ne_u32_e64 s[28:29], 0, v5
	v_cmp_ne_u32_e64 s[30:31], 0, v6
	v_cmp_ne_u32_e64 s[34:35], 0, v7
	s_bcnt1_i32_b64 s6, s[6:7]
	s_bcnt1_i32_b64 s7, s[28:29]
	s_bcnt1_i32_b64 s28, s[30:31]
	s_bcnt1_i32_b64 s29, s[34:35]
	s_add_u32 s6, s6, s70
	s_addc_u32 s30, 0, s71
	s_add_u32 s6, s6, s7
	s_addc_u32 s7, s30, 0
	s_add_u32 s6, s6, s28
	s_addc_u32 s7, s7, 0
	s_add_u32 s70, s6, s29
	s_addc_u32 s71, s7, 0
	s_and_b64 s[6:7], s[16:17], s[44:45]
	v_cndmask_b32_e64 v6, 0, 1, s[6:7]
	s_and_b64 s[6:7], s[14:15], s[46:47]
	v_cndmask_b32_e64 v7, 0, 1, s[6:7]
	s_and_b64 s[6:7], s[12:13], s[48:49]
	v_cndmask_b32_e64 v8, 0, 1, s[6:7]
	s_and_b64 s[6:7], s[10:11], s[50:51]
	;; [unrolled: 24-line block ×3, first 2 shown]
	v_cndmask_b32_e64 v32, 0, 1, s[6:7]
	v_cmp_ne_u32_e64 s[6:7], 0, v8
	v_cmp_ne_u32_e64 s[10:11], 0, v9
	;; [unrolled: 1-line block ×4, first 2 shown]
	s_bcnt1_i32_b64 s6, s[6:7]
	s_bcnt1_i32_b64 s7, s[10:11]
	;; [unrolled: 1-line block ×4, first 2 shown]
	s_add_u32 s6, s6, s8
	s_addc_u32 s8, 0, s9
	s_add_u32 s6, s6, s7
	s_addc_u32 s7, s8, 0
	;; [unrolled: 2-line block ×3, first 2 shown]
	s_add_u32 s8, s6, s11
	v_cmp_le_u64_e32 vcc, s[92:93], v[28:29]
	s_addc_u32 s9, s7, 0
	v_add_u32_e32 v30, s81, v30
	v_pk_mov_b32 v[2:3], s[88:89], s[88:89] op_sel:[0,1]
	v_pk_mov_b32 v[4:5], s[70:71], s[70:71] op_sel:[0,1]
	;; [unrolled: 1-line block ×3, first 2 shown]
	s_or_b64 s[68:69], vcc, s[68:69]
	v_pk_mov_b32 v[8:9], s[8:9], s[8:9] op_sel:[0,1]
	s_andn2_b64 exec, exec, s[68:69]
	s_cbranch_execnz .LBB14_85
; %bb.86:                               ;   in Loop: Header=BB14_34 Depth=1
	s_or_b64 exec, exec, s[68:69]
.LBB14_87:                              ;   in Loop: Header=BB14_34 Depth=1
	s_or_b64 exec, exec, s[0:1]
	v_and_b32_e32 v30, 0xffff, v12
	v_add_u32_e32 v12, s92, v0
	v_cmp_gt_u32_e32 vcc, s80, v12
	s_and_saveexec_b64 s[0:1], vcc
	s_cbranch_execz .LBB14_91
; %bb.88:                               ;   in Loop: Header=BB14_34 Depth=1
	s_and_b32 s92, s80, 0x7fffffff
	s_and_b32 s18, s3, 0xfe
	s_mov_b64 s[8:9], 0
	v_pk_mov_b32 v[28:29], v[12:13], v[12:13] op_sel:[0,1]
.LBB14_89:                              ;   Parent Loop BB14_34 Depth=1
                                        ; =>  This Inner Loop Header: Depth=2
	ds_read_i8 v31, v12
	v_add_co_u32_e32 v28, vcc, v28, v30
	v_addc_co_u32_e32 v29, vcc, 0, v29, vcc
	s_waitcnt lgkmcnt(0)
	v_add_u32_e32 v31, 0x80, v31
	v_and_b32_e32 v32, s74, v31
	v_bfe_u32 v31, v31, s18, 2
	v_cmp_eq_u32_e64 s[6:7], s75, v32
	v_cmp_eq_u32_e64 s[10:11], 0, v31
	v_cmp_eq_u32_e64 s[12:13], 1, v31
	s_and_b64 s[10:11], s[6:7], s[10:11]
	v_cmp_eq_u32_e64 s[14:15], 2, v31
	v_cmp_eq_u32_e64 s[16:17], 3, v31
	v_cndmask_b32_e64 v31, 0, 1, s[10:11]
	s_and_b64 s[10:11], s[6:7], s[12:13]
	v_cndmask_b32_e64 v32, 0, 1, s[10:11]
	s_and_b64 s[10:11], s[6:7], s[14:15]
	s_and_b64 s[6:7], s[6:7], s[16:17]
	v_cndmask_b32_e64 v33, 0, 1, s[10:11]
	v_cndmask_b32_e64 v34, 0, 1, s[6:7]
	v_cmp_ne_u32_e64 s[6:7], 0, v31
	v_cmp_ne_u32_e64 s[10:11], 0, v32
	;; [unrolled: 1-line block ×4, first 2 shown]
	v_cmp_le_u64_e32 vcc, s[92:93], v[28:29]
	s_bcnt1_i32_b64 s6, s[6:7]
	s_bcnt1_i32_b64 s7, s[10:11]
	;; [unrolled: 1-line block ×4, first 2 shown]
	s_or_b64 s[8:9], vcc, s[8:9]
	v_add_co_u32_e32 v2, vcc, s6, v2
	v_addc_co_u32_e32 v3, vcc, 0, v3, vcc
	v_add_co_u32_e32 v4, vcc, s7, v4
	v_addc_co_u32_e32 v5, vcc, 0, v5, vcc
	;; [unrolled: 2-line block ×3, first 2 shown]
	v_add_co_u32_e32 v8, vcc, s11, v8
	v_add_u32_e32 v12, v12, v30
	v_addc_co_u32_e32 v9, vcc, 0, v9, vcc
	s_andn2_b64 exec, exec, s[8:9]
	s_cbranch_execnz .LBB14_89
; %bb.90:                               ;   in Loop: Header=BB14_34 Depth=1
	s_or_b64 exec, exec, s[8:9]
.LBB14_91:                              ;   in Loop: Header=BB14_34 Depth=1
	s_or_b64 exec, exec, s[0:1]
.LBB14_92:                              ;   in Loop: Header=BB14_34 Depth=1
	s_lshl_b32 s6, s27, 6
	s_and_saveexec_b64 s[0:1], s[4:5]
	s_cbranch_execz .LBB14_94
; %bb.93:                               ;   in Loop: Header=BB14_34 Depth=1
	v_or_b32_e32 v12, s6, v37
	v_lshlrev_b32_e32 v12, 3, v12
	ds_write_b128 v12, v[2:5] offset:3072
	s_waitcnt vmcnt(0)
	ds_write_b128 v12, v[6:9] offset:3088
.LBB14_94:                              ;   in Loop: Header=BB14_34 Depth=1
	s_or_b64 exec, exec, s[0:1]
	s_waitcnt lgkmcnt(0)
	s_barrier
	s_and_saveexec_b64 s[0:1], s[86:87]
	s_cbranch_execz .LBB14_106
; %bb.95:                               ;   in Loop: Header=BB14_34 Depth=1
	v_readlane_b32 s8, v48, 44
	v_readlane_b32 s9, v48, 45
	s_andn2_b64 vcc, exec, s[8:9]
	v_pk_mov_b32 v[2:3], 0, 0
	s_cbranch_vccnz .LBB14_105
; %bb.96:                               ;   in Loop: Header=BB14_34 Depth=1
	v_readlane_b32 s8, v48, 48
	v_readlane_b32 s9, v48, 49
	s_andn2_b64 vcc, exec, s[8:9]
	s_cbranch_vccnz .LBB14_101
; %bb.97:                               ;   in Loop: Header=BB14_34 Depth=1
	v_lshl_add_u32 v4, s27, 9, v41
	s_mov_b32 s7, 0
	v_pk_mov_b32 v[2:3], 0, 0
.LBB14_98:                              ;   Parent Loop BB14_34 Depth=1
                                        ; =>  This Inner Loop Header: Depth=2
	s_waitcnt vmcnt(0)
	ds_read2_b64 v[6:9], v4 offset1:4
	ds_read2_b64 v[28:31], v4 offset0:8 offset1:12
	ds_read2_b64 v[32:35], v4 offset0:16 offset1:20
	;; [unrolled: 1-line block ×3, first 2 shown]
	s_add_i32 s7, s7, 8
	s_waitcnt lgkmcnt(3)
	v_add_co_u32_e32 v2, vcc, v6, v2
	v_addc_co_u32_e32 v3, vcc, v7, v3, vcc
	v_add_co_u32_e32 v2, vcc, v8, v2
	v_addc_co_u32_e32 v3, vcc, v9, v3, vcc
	s_waitcnt lgkmcnt(2)
	v_add_co_u32_e32 v2, vcc, v28, v2
	v_addc_co_u32_e32 v3, vcc, v29, v3, vcc
	v_add_co_u32_e32 v2, vcc, v30, v2
	v_addc_co_u32_e32 v3, vcc, v31, v3, vcc
	;; [unrolled: 5-line block ×3, first 2 shown]
	s_waitcnt lgkmcnt(0)
	v_add_co_u32_e32 v2, vcc, v44, v2
	v_addc_co_u32_e32 v3, vcc, v45, v3, vcc
	v_add_co_u32_e32 v2, vcc, v46, v2
	v_add_u32_e32 v4, 0x100, v4
	s_cmp_eq_u32 s2, s7
	v_addc_co_u32_e32 v3, vcc, v47, v3, vcc
	s_cbranch_scc0 .LBB14_98
; %bb.99:                               ;   in Loop: Header=BB14_34 Depth=1
	s_mov_b32 s7, s2
	s_branch .LBB14_102
.LBB14_100:                             ;   in Loop: Header=BB14_34 Depth=1
                                        ; implicit-def: $vgpr28_vgpr29
	s_branch .LBB14_68
.LBB14_101:                             ;   in Loop: Header=BB14_34 Depth=1
	s_mov_b32 s7, 0
	v_pk_mov_b32 v[2:3], 0, 0
.LBB14_102:                             ;   in Loop: Header=BB14_34 Depth=1
	v_readlane_b32 s8, v48, 51
	v_readlane_b32 s9, v48, 52
	s_andn2_b64 vcc, exec, s[8:9]
	s_cbranch_vccnz .LBB14_105
; %bb.103:                              ;   in Loop: Header=BB14_34 Depth=1
	s_lshl_b32 s8, s27, 9
	s_lshl_b32 s7, s7, 5
	s_add_i32 s8, s8, s7
	v_add_u32_e32 v4, s8, v41
	v_readlane_b32 s7, v48, 50
.LBB14_104:                             ;   Parent Loop BB14_34 Depth=1
                                        ; =>  This Inner Loop Header: Depth=2
	s_waitcnt vmcnt(0)
	ds_read_b64 v[6:7], v4
	s_add_i32 s7, s7, -1
	v_add_u32_e32 v4, 32, v4
	s_cmp_lg_u32 s7, 0
	s_waitcnt lgkmcnt(0)
	v_add_co_u32_e32 v2, vcc, v6, v2
	v_addc_co_u32_e32 v3, vcc, v7, v3, vcc
	s_cbranch_scc1 .LBB14_104
.LBB14_105:                             ;   in Loop: Header=BB14_34 Depth=1
	v_add_lshl_u32 v4, s6, v36, 3
	ds_write_b64 v4, v[2:3] offset:3072
.LBB14_106:                             ;   in Loop: Header=BB14_34 Depth=1
	s_or_b64 exec, exec, s[0:1]
	s_lshl_b32 s0, s6, 3
	s_waitcnt vmcnt(0)
	v_mov_b32_e32 v6, s0
	s_waitcnt lgkmcnt(0)
	s_barrier
	ds_read_b128 v[2:5], v6 offset:3072
	ds_read_b128 v[6:9], v6 offset:3088
	s_and_b32 s38, s3, 0xfe
	s_lshl_b32 s46, 3, s38
	s_not_b32 s39, s46
	s_waitcnt lgkmcnt(1)
	v_readfirstlane_b32 s13, v3
	v_readfirstlane_b32 s12, v2
	s_cmp_eq_u64 s[12:13], 1
	s_cselect_b64 s[0:1], -1, 0
	s_cmp_eq_u64 s[54:55], 1
	s_cselect_b64 s[8:9], -1, 0
	s_and_b64 s[18:19], s[0:1], s[8:9]
	v_readfirstlane_b32 s24, v4
	v_readfirstlane_b32 s25, v5
	s_waitcnt lgkmcnt(0)
	v_readfirstlane_b32 s14, v6
	v_readfirstlane_b32 s15, v7
	;; [unrolled: 1-line block ×4, first 2 shown]
	s_mov_b64 s[16:17], -1
	s_and_b64 vcc, exec, s[18:19]
	s_cbranch_vccz .LBB14_121
; %bb.107:                              ;   in Loop: Header=BB14_34 Depth=1
	ds_read_b64 v[2:3], v13 offset:5120
	s_waitcnt lgkmcnt(0)
	s_barrier
	v_readfirstlane_b32 s10, v2
	v_readfirstlane_b32 s11, v3
	s_mov_b64 s[0:1], exec
	v_readlane_b32 s8, v48, 36
	v_readlane_b32 s9, v48, 37
	s_and_b64 s[8:9], s[0:1], s[8:9]
	s_mov_b64 exec, s[8:9]
	s_cbranch_execz .LBB14_109
; %bb.108:                              ;   in Loop: Header=BB14_34 Depth=1
	ds_write_b8 v0, v13 offset:3072
.LBB14_109:                             ;   in Loop: Header=BB14_34 Depth=1
	s_or_b64 exec, exec, s[0:1]
	v_cmp_lt_i64_e64 s[0:1], s[10:11], 1
	s_and_b32 s75, s75, s39
	s_or_b32 s74, s74, s46
	s_and_b64 vcc, exec, s[0:1]
	s_waitcnt lgkmcnt(0)
	s_barrier
	s_cbranch_vccz .LBB14_122
; %bb.110:                              ;   in Loop: Header=BB14_34 Depth=1
	s_mov_b32 s84, s93
	s_cmp_lg_u64 s[84:85], 0
	s_cbranch_scc0 .LBB14_167
; %bb.111:                              ;   in Loop: Header=BB14_34 Depth=1
	v_cvt_f32_u32_e32 v2, s33
	s_sub_u32 s0, 0, s33
	s_subb_u32 s1, 0, 0
	v_mac_f32_e32 v2, 0x4f800000, v42
	v_rcp_f32_e32 v2, v2
	v_mul_f32_e32 v2, 0x5f7ffffc, v2
	v_mul_f32_e32 v3, 0x2f800000, v2
	v_trunc_f32_e32 v3, v3
	v_mac_f32_e32 v2, 0xcf800000, v3
	v_cvt_u32_f32_e32 v3, v3
	v_cvt_u32_f32_e32 v2, v2
	v_readfirstlane_b32 s8, v3
	v_readfirstlane_b32 s9, v2
	s_mul_i32 s20, s0, s8
	s_mul_hi_u32 s22, s0, s9
	s_mul_i32 s21, s1, s9
	s_add_i32 s20, s22, s20
	s_mul_i32 s23, s0, s9
	s_add_i32 s20, s20, s21
	s_mul_hi_u32 s22, s9, s23
	s_mul_hi_u32 s21, s9, s20
	s_mul_i32 s9, s9, s20
	s_add_u32 s9, s22, s9
	s_addc_u32 s21, 0, s21
	s_mul_hi_u32 s28, s8, s23
	s_mul_i32 s23, s8, s23
	s_add_u32 s9, s9, s23
	s_mul_hi_u32 s22, s8, s20
	s_addc_u32 s9, s21, s28
	s_addc_u32 s21, s22, 0
	s_mul_i32 s20, s8, s20
	s_add_u32 s9, s9, s20
	s_addc_u32 s20, 0, s21
	v_add_co_u32_e32 v2, vcc, s9, v2
	s_cmp_lg_u64 vcc, 0
	s_addc_u32 s8, s8, s20
	v_readfirstlane_b32 s20, v2
	s_mul_i32 s9, s0, s8
	s_mul_hi_u32 s21, s0, s20
	s_add_i32 s9, s21, s9
	s_mul_i32 s1, s1, s20
	s_add_i32 s9, s9, s1
	s_mul_i32 s0, s0, s20
	s_mul_hi_u32 s21, s8, s0
	s_mul_i32 s22, s8, s0
	s_mul_i32 s28, s20, s9
	s_mul_hi_u32 s0, s20, s0
	s_mul_hi_u32 s23, s20, s9
	s_add_u32 s0, s0, s28
	s_addc_u32 s20, 0, s23
	s_add_u32 s0, s0, s22
	s_mul_hi_u32 s1, s8, s9
	s_addc_u32 s0, s20, s21
	s_addc_u32 s1, s1, 0
	s_mul_i32 s9, s8, s9
	s_add_u32 s0, s0, s9
	s_addc_u32 s1, 0, s1
	v_add_co_u32_e32 v2, vcc, s0, v2
	s_cmp_lg_u64 vcc, 0
	s_addc_u32 s20, s8, s1
	s_ashr_i32 s0, s85, 31
	s_add_u32 s8, s73, s0
	s_mov_b32 s1, s0
	s_addc_u32 s9, s85, s0
	s_xor_b64 s[8:9], s[8:9], s[0:1]
	v_readfirstlane_b32 s22, v2
	s_mul_i32 s21, s8, s20
	s_mul_hi_u32 s23, s8, s22
	s_mul_hi_u32 s1, s8, s20
	s_add_u32 s21, s23, s21
	s_addc_u32 s1, 0, s1
	s_mul_hi_u32 s28, s9, s22
	s_mul_i32 s22, s9, s22
	s_add_u32 s21, s21, s22
	s_mul_hi_u32 s23, s9, s20
	s_addc_u32 s1, s1, s28
	s_addc_u32 s21, s23, 0
	s_mul_i32 s20, s9, s20
	s_add_u32 s1, s1, s20
	s_addc_u32 s20, 0, s21
	s_mul_hi_u32 s21, s33, s1
	s_mul_i32 s1, s33, s1
	s_mul_i32 s20, s33, s20
	v_mov_b32_e32 v2, s1
	s_add_i32 s21, s21, s20
	v_sub_co_u32_e32 v2, vcc, s8, v2
	s_cmp_lg_u64 vcc, 0
	s_subb_u32 s1, s9, s21
	v_subrev_co_u32_e32 v3, vcc, s33, v2
	s_cmp_lg_u64 vcc, 0
	s_subb_u32 s8, s1, 0
	v_subrev_co_u32_e32 v4, vcc, s33, v3
	s_cmp_lg_u64 vcc, 0
	s_subb_u32 s9, s8, 0
	v_cmp_le_u32_e32 vcc, s33, v3
	s_cmp_eq_u32 s8, 0
	v_cndmask_b32_e64 v5, 0, -1, vcc
	s_cselect_b64 vcc, -1, 0
	v_cndmask_b32_e32 v5, -1, v5, vcc
	v_mov_b32_e32 v6, s8
	v_mov_b32_e32 v7, s9
	v_cmp_ne_u32_e32 vcc, 0, v5
	v_cndmask_b32_e32 v5, v6, v7, vcc
	v_cndmask_b32_e32 v3, v3, v4, vcc
	v_cmp_le_u32_e32 vcc, s33, v2
	s_cmp_eq_u32 s1, 0
	v_cndmask_b32_e64 v4, 0, -1, vcc
	s_cselect_b64 vcc, -1, 0
	v_cndmask_b32_e32 v4, -1, v4, vcc
	v_cmp_ne_u32_e32 vcc, 0, v4
	v_mov_b32_e32 v6, s1
	v_cndmask_b32_e32 v2, v2, v3, vcc
	v_cndmask_b32_e32 v4, v6, v5, vcc
	v_xor_b32_e32 v2, s0, v2
	v_xor_b32_e32 v3, s0, v4
	v_mov_b32_e32 v4, s0
	v_subrev_co_u32_e32 v2, vcc, s0, v2
	v_subb_co_u32_e32 v3, vcc, v3, v4, vcc
	s_cbranch_execnz .LBB14_113
.LBB14_112:                             ;   in Loop: Header=BB14_34 Depth=1
	v_cvt_f32_u32_e32 v2, s33
	s_sub_i32 s0, 0, s33
	v_rcp_iflag_f32_e32 v2, v2
	v_mul_f32_e32 v2, 0x4f7ffffe, v2
	v_cvt_u32_f32_e32 v2, v2
	v_mul_lo_u32 v3, s0, v2
	v_mul_hi_u32 v3, v2, v3
	v_add_u32_e32 v2, v2, v3
	v_mul_hi_u32 v2, s73, v2
	v_mul_lo_u32 v2, v2, s33
	v_sub_u32_e32 v2, s73, v2
	v_subrev_u32_e32 v3, s33, v2
	v_cmp_le_u32_e32 vcc, s33, v2
	v_cndmask_b32_e32 v2, v2, v3, vcc
	v_subrev_u32_e32 v3, s33, v2
	v_cmp_le_u32_e32 vcc, s33, v2
	v_cndmask_b32_e32 v12, v2, v3, vcc
	v_pk_mov_b32 v[2:3], v[12:13], v[12:13] op_sel:[0,1]
.LBB14_113:                             ;   in Loop: Header=BB14_34 Depth=1
	v_mov_b32_e32 v4, s85
	v_sub_co_u32_e32 v2, vcc, s73, v2
	v_subb_co_u32_e32 v3, vcc, v4, v3, vcc
	v_cmp_gt_i64_e32 vcc, v[2:3], v[0:1]
	s_mov_b64 s[0:1], 0
                                        ; implicit-def: $vgpr43
	s_and_saveexec_b64 s[8:9], vcc
	s_cbranch_execz .LBB14_124
; %bb.114:                              ;   in Loop: Header=BB14_34 Depth=1
	v_pk_mov_b32 v[4:5], v[10:11], v[10:11] op_sel:[0,1]
	v_pk_mov_b32 v[6:7], v[0:1], v[0:1] op_sel:[0,1]
                                        ; implicit-def: $sgpr20_sgpr21
	s_branch .LBB14_116
.LBB14_115:                             ;   in Loop: Header=BB14_116 Depth=2
	s_or_b64 exec, exec, s[22:23]
	s_waitcnt lgkmcnt(0)
	s_barrier
	s_waitcnt vmcnt(0)
	ds_read_u16 v8, v13 offset:3072
	v_mov_b32_e32 v9, s94
	v_add_co_u32_e32 v6, vcc, s33, v6
	v_addc_co_u32_e32 v7, vcc, v7, v9, vcc
	s_waitcnt lgkmcnt(0)
	v_cmp_ne_u16_sdwa s[22:23], v8, v13 src0_sel:BYTE_0 src1_sel:DWORD
	v_cmp_ge_i64_e32 vcc, v[6:7], v[2:3]
	s_or_b64 s[28:29], s[22:23], vcc
	s_and_b64 s[28:29], exec, s[28:29]
	s_or_b64 s[0:1], s[28:29], s[0:1]
	v_mov_b32_e32 v9, s95
	v_add_co_u32_e32 v4, vcc, s72, v4
	s_andn2_b64 s[20:21], s[20:21], exec
	s_and_b64 s[22:23], s[22:23], exec
	v_addc_co_u32_e32 v5, vcc, v5, v9, vcc
	s_or_b64 s[20:21], s[20:21], s[22:23]
	s_barrier
	s_andn2_b64 exec, exec, s[0:1]
	s_cbranch_execz .LBB14_123
.LBB14_116:                             ;   Parent Loop BB14_34 Depth=1
                                        ; =>  This Inner Loop Header: Depth=2
	v_cmp_gt_i64_e32 vcc, s[52:53], v[6:7]
	v_mov_b32_e32 v8, 0
	s_and_saveexec_b64 s[22:23], vcc
	s_cbranch_execz .LBB14_118
; %bb.117:                              ;   in Loop: Header=BB14_116 Depth=2
	global_load_ubyte v8, v[4:5], off
.LBB14_118:                             ;   in Loop: Header=BB14_116 Depth=2
	s_or_b64 exec, exec, s[22:23]
	s_and_saveexec_b64 s[22:23], vcc
	s_cbranch_execz .LBB14_115
; %bb.119:                              ;   in Loop: Header=BB14_116 Depth=2
	s_waitcnt vmcnt(0)
	v_add_u32_sdwa v9, sext(v8), s26 dst_sel:DWORD dst_unused:UNUSED_PAD src0_sel:BYTE_0 src1_sel:DWORD
	v_and_b32_e32 v9, s74, v9
	v_cmp_eq_u32_e32 vcc, s75, v9
	s_and_b64 exec, exec, vcc
	s_cbranch_execz .LBB14_115
; %bb.120:                              ;   in Loop: Header=BB14_116 Depth=2
	v_lshlrev_b16_e32 v8, 8, v8
	v_or_b32_e32 v8, 1, v8
	ds_write_b16 v13, v8 offset:3072
	s_branch .LBB14_115
.LBB14_121:                             ;   in Loop: Header=BB14_34 Depth=1
	s_mov_b64 s[0:1], -1
                                        ; implicit-def: $sgpr8_sgpr9
                                        ; implicit-def: $sgpr22_sgpr23
                                        ; implicit-def: $sgpr20_sgpr21
	s_branch .LBB14_138
.LBB14_122:                             ;   in Loop: Header=BB14_34 Depth=1
	s_mov_b64 s[8:9], -1
	s_mov_b64 s[0:1], 0
                                        ; implicit-def: $sgpr20_sgpr21
                                        ; implicit-def: $vgpr43
	s_mov_b64 s[22:23], s[8:9]
	s_cbranch_execnz .LBB14_125
	s_branch .LBB14_138
.LBB14_123:                             ;   in Loop: Header=BB14_34 Depth=1
	s_or_b64 exec, exec, s[0:1]
	v_lshrrev_b16_e32 v43, 8, v8
	s_and_b64 s[0:1], s[20:21], exec
.LBB14_124:                             ;   in Loop: Header=BB14_34 Depth=1
	s_or_b64 exec, exec, s[8:9]
	s_mov_b64 s[20:21], -1
	s_mov_b64 s[8:9], 0
	s_mov_b64 s[22:23], s[8:9]
	s_branch .LBB14_138
.LBB14_125:                             ;   in Loop: Header=BB14_34 Depth=1
	v_readlane_b32 s0, v48, 46
	s_add_u32 s20, s0, s10
	v_readlane_b32 s0, v48, 47
	s_addc_u32 s1, s0, s11
	s_mov_b32 s0, s93
	s_cmp_lg_u64 s[0:1], 0
	s_cbranch_scc0 .LBB14_168
; %bb.126:                              ;   in Loop: Header=BB14_34 Depth=1
	v_cvt_f32_u32_e32 v2, s33
	s_sub_u32 s0, 0, s33
	s_subb_u32 s8, 0, 0
	v_mac_f32_e32 v2, 0x4f800000, v42
	v_rcp_f32_e32 v2, v2
	v_mul_f32_e32 v2, 0x5f7ffffc, v2
	v_mul_f32_e32 v3, 0x2f800000, v2
	v_trunc_f32_e32 v3, v3
	v_mac_f32_e32 v2, 0xcf800000, v3
	v_cvt_u32_f32_e32 v3, v3
	v_cvt_u32_f32_e32 v2, v2
	v_readfirstlane_b32 s9, v3
	v_readfirstlane_b32 s21, v2
	s_mul_i32 s22, s0, s9
	s_mul_hi_u32 s28, s0, s21
	s_mul_i32 s23, s8, s21
	s_add_i32 s22, s28, s22
	s_mul_i32 s29, s0, s21
	s_add_i32 s22, s22, s23
	s_mul_hi_u32 s28, s21, s29
	s_mul_hi_u32 s23, s21, s22
	s_mul_i32 s21, s21, s22
	s_add_u32 s21, s28, s21
	s_addc_u32 s23, 0, s23
	s_mul_hi_u32 s30, s9, s29
	s_mul_i32 s29, s9, s29
	s_add_u32 s21, s21, s29
	s_mul_hi_u32 s28, s9, s22
	s_addc_u32 s21, s23, s30
	s_addc_u32 s23, s28, 0
	s_mul_i32 s22, s9, s22
	s_add_u32 s21, s21, s22
	s_addc_u32 s22, 0, s23
	v_add_co_u32_e32 v2, vcc, s21, v2
	s_cmp_lg_u64 vcc, 0
	s_addc_u32 s9, s9, s22
	v_readfirstlane_b32 s22, v2
	s_mul_i32 s21, s0, s9
	s_mul_hi_u32 s23, s0, s22
	s_add_i32 s21, s23, s21
	s_mul_i32 s8, s8, s22
	s_add_i32 s21, s21, s8
	s_mul_i32 s0, s0, s22
	s_mul_hi_u32 s23, s9, s0
	s_mul_i32 s28, s9, s0
	s_mul_i32 s30, s22, s21
	s_mul_hi_u32 s0, s22, s0
	s_mul_hi_u32 s29, s22, s21
	s_add_u32 s0, s0, s30
	s_addc_u32 s22, 0, s29
	s_add_u32 s0, s0, s28
	s_mul_hi_u32 s8, s9, s21
	s_addc_u32 s0, s22, s23
	s_addc_u32 s8, s8, 0
	s_mul_i32 s21, s9, s21
	s_add_u32 s0, s0, s21
	s_addc_u32 s8, 0, s8
	v_add_co_u32_e32 v2, vcc, s0, v2
	s_cmp_lg_u64 vcc, 0
	s_addc_u32 s0, s9, s8
	s_ashr_i32 s8, s1, 31
	s_add_u32 s22, s20, s8
	s_mov_b32 s9, s8
	s_addc_u32 s23, s1, s8
	s_xor_b64 s[22:23], s[22:23], s[8:9]
	v_readfirstlane_b32 s28, v2
	s_mul_i32 s21, s22, s0
	s_mul_hi_u32 s29, s22, s28
	s_mul_hi_u32 s9, s22, s0
	s_add_u32 s21, s29, s21
	s_addc_u32 s9, 0, s9
	s_mul_hi_u32 s30, s23, s28
	s_mul_i32 s28, s23, s28
	s_add_u32 s21, s21, s28
	s_mul_hi_u32 s29, s23, s0
	s_addc_u32 s9, s9, s30
	s_addc_u32 s21, s29, 0
	s_mul_i32 s0, s23, s0
	s_add_u32 s0, s9, s0
	s_addc_u32 s9, 0, s21
	s_mul_hi_u32 s21, s33, s0
	s_mul_i32 s0, s33, s0
	s_mul_i32 s9, s33, s9
	v_mov_b32_e32 v2, s0
	s_add_i32 s21, s21, s9
	v_sub_co_u32_e32 v2, vcc, s22, v2
	s_cmp_lg_u64 vcc, 0
	s_subb_u32 s0, s23, s21
	v_subrev_co_u32_e32 v3, vcc, s33, v2
	s_cmp_lg_u64 vcc, 0
	s_subb_u32 s9, s0, 0
	v_subrev_co_u32_e32 v4, vcc, s33, v3
	s_cmp_lg_u64 vcc, 0
	s_subb_u32 s21, s9, 0
	v_cmp_le_u32_e32 vcc, s33, v3
	s_cmp_eq_u32 s9, 0
	v_cndmask_b32_e64 v5, 0, -1, vcc
	s_cselect_b64 vcc, -1, 0
	v_cndmask_b32_e32 v5, -1, v5, vcc
	v_mov_b32_e32 v6, s9
	v_mov_b32_e32 v7, s21
	v_cmp_ne_u32_e32 vcc, 0, v5
	v_cndmask_b32_e32 v5, v6, v7, vcc
	v_cndmask_b32_e32 v3, v3, v4, vcc
	v_cmp_le_u32_e32 vcc, s33, v2
	s_cmp_eq_u32 s0, 0
	v_cndmask_b32_e64 v4, 0, -1, vcc
	s_cselect_b64 vcc, -1, 0
	v_cndmask_b32_e32 v4, -1, v4, vcc
	v_cmp_ne_u32_e32 vcc, 0, v4
	v_mov_b32_e32 v6, s0
	v_cndmask_b32_e32 v2, v2, v3, vcc
	v_cndmask_b32_e32 v4, v6, v5, vcc
	v_xor_b32_e32 v2, s8, v2
	v_xor_b32_e32 v3, s8, v4
	v_mov_b32_e32 v4, s8
	v_subrev_co_u32_e32 v2, vcc, s8, v2
	v_subb_co_u32_e32 v3, vcc, v3, v4, vcc
	s_cbranch_execnz .LBB14_128
.LBB14_127:                             ;   in Loop: Header=BB14_34 Depth=1
	v_cvt_f32_u32_e32 v2, s33
	s_sub_i32 s0, 0, s33
	v_rcp_iflag_f32_e32 v2, v2
	v_mul_f32_e32 v2, 0x4f7ffffe, v2
	v_cvt_u32_f32_e32 v2, v2
	v_mul_lo_u32 v3, s0, v2
	v_mul_hi_u32 v3, v2, v3
	v_add_u32_e32 v2, v2, v3
	v_mul_hi_u32 v2, s20, v2
	v_mul_lo_u32 v2, v2, s33
	v_sub_u32_e32 v2, s20, v2
	v_subrev_u32_e32 v3, s33, v2
	v_cmp_le_u32_e32 vcc, s33, v2
	v_cndmask_b32_e32 v2, v2, v3, vcc
	v_subrev_u32_e32 v3, s33, v2
	v_cmp_le_u32_e32 vcc, s33, v2
	v_cndmask_b32_e32 v12, v2, v3, vcc
	v_pk_mov_b32 v[2:3], v[12:13], v[12:13] op_sel:[0,1]
.LBB14_128:                             ;   in Loop: Header=BB14_34 Depth=1
	v_mov_b32_e32 v4, s1
	v_sub_co_u32_e32 v2, vcc, s20, v2
	v_subb_co_u32_e32 v3, vcc, v4, v3, vcc
	v_cmp_gt_i64_e32 vcc, v[2:3], v[0:1]
	s_mov_b64 s[0:1], 0
                                        ; implicit-def: $vgpr43
	s_and_saveexec_b64 s[8:9], vcc
	s_cbranch_execz .LBB14_137
; %bb.129:                              ;   in Loop: Header=BB14_34 Depth=1
	v_mov_b32_e32 v6, v0
	v_pk_mov_b32 v[4:5], v[0:1], v[0:1] op_sel:[0,1]
                                        ; implicit-def: $sgpr20_sgpr21
	s_branch .LBB14_131
.LBB14_130:                             ;   in Loop: Header=BB14_131 Depth=2
	s_or_b64 exec, exec, s[22:23]
	s_waitcnt lgkmcnt(0)
	s_barrier
	ds_read_u16 v7, v13 offset:3072
	v_mov_b32_e32 v8, s94
	v_add_co_u32_e32 v4, vcc, s33, v4
	v_addc_co_u32_e32 v5, vcc, v5, v8, vcc
	s_waitcnt lgkmcnt(0)
	v_cmp_ne_u16_sdwa s[22:23], v7, v13 src0_sel:BYTE_0 src1_sel:DWORD
	v_cmp_ge_i64_e32 vcc, v[4:5], v[2:3]
	s_or_b64 s[28:29], s[22:23], vcc
	s_and_b64 s[28:29], exec, s[28:29]
	s_or_b64 s[0:1], s[28:29], s[0:1]
	s_andn2_b64 s[20:21], s[20:21], exec
	s_and_b64 s[22:23], s[22:23], exec
	v_add_u32_e32 v6, s33, v6
	s_or_b64 s[20:21], s[20:21], s[22:23]
	s_barrier
	s_andn2_b64 exec, exec, s[0:1]
	s_cbranch_execz .LBB14_136
.LBB14_131:                             ;   Parent Loop BB14_34 Depth=1
                                        ; =>  This Inner Loop Header: Depth=2
	v_cmp_gt_i64_e32 vcc, s[10:11], v[4:5]
	v_mov_b32_e32 v7, 0
	s_and_saveexec_b64 s[22:23], vcc
	s_cbranch_execz .LBB14_133
; %bb.132:                              ;   in Loop: Header=BB14_131 Depth=2
	ds_read_u8 v7, v6
.LBB14_133:                             ;   in Loop: Header=BB14_131 Depth=2
	s_or_b64 exec, exec, s[22:23]
	s_and_saveexec_b64 s[22:23], vcc
	s_cbranch_execz .LBB14_130
; %bb.134:                              ;   in Loop: Header=BB14_131 Depth=2
	s_waitcnt lgkmcnt(0)
	v_add_u32_sdwa v8, sext(v7), s26 dst_sel:DWORD dst_unused:UNUSED_PAD src0_sel:BYTE_0 src1_sel:DWORD
	v_and_b32_e32 v8, s74, v8
	v_cmp_eq_u32_e32 vcc, s75, v8
	s_and_b64 exec, exec, vcc
	s_cbranch_execz .LBB14_130
; %bb.135:                              ;   in Loop: Header=BB14_131 Depth=2
	v_lshlrev_b16_e32 v7, 8, v7
	v_or_b32_e32 v7, 1, v7
	ds_write_b16 v13, v7 offset:3072
	s_branch .LBB14_130
.LBB14_136:                             ;   in Loop: Header=BB14_34 Depth=1
	s_or_b64 exec, exec, s[0:1]
	v_lshrrev_b16_e32 v43, 8, v7
	s_and_b64 s[0:1], s[20:21], exec
.LBB14_137:                             ;   in Loop: Header=BB14_34 Depth=1
	s_or_b64 exec, exec, s[8:9]
	s_mov_b64 s[22:23], -1
	s_mov_b64 s[8:9], 0
	s_mov_b64 s[20:21], 0
.LBB14_138:                             ;   in Loop: Header=BB14_34 Depth=1
	s_andn2_b64 s[10:11], s[76:77], exec
	s_and_b64 s[8:9], s[8:9], exec
	s_or_b64 s[76:77], s[10:11], s[8:9]
	s_andn2_b64 s[8:9], s[66:67], exec
	s_and_b64 s[10:11], s[22:23], exec
	s_or_b64 s[66:67], s[8:9], s[10:11]
	s_andn2_b64 s[8:9], s[64:65], exec
	s_and_b64 s[10:11], s[20:21], exec
	s_or_b64 s[64:65], s[8:9], s[10:11]
	s_and_saveexec_b64 s[10:11], s[0:1]
	s_cbranch_execz .LBB14_33
; %bb.139:                              ;   in Loop: Header=BB14_34 Depth=1
	s_xor_b64 s[0:1], s[18:19], -1
	s_andn2_b64 vcc, exec, s[0:1]
	s_mov_b32 s47, 1
	s_cbranch_vccnz .LBB14_150
; %bb.140:                              ;   in Loop: Header=BB14_34 Depth=1
	v_pk_mov_b32 v[2:3], s[12:13], s[12:13] op_sel:[0,1]
	v_cmp_gt_i64_e32 vcc, s[54:55], v[2:3]
	s_mov_b64 s[0:1], -1
                                        ; implicit-def: $sgpr47
                                        ; implicit-def: $sgpr8
                                        ; implicit-def: $sgpr9
	s_cbranch_vccnz .LBB14_146
; %bb.141:                              ;   in Loop: Header=BB14_34 Depth=1
	ds_read_b64 v[2:3], v13 offset:5120
	s_waitcnt lgkmcnt(0)
	v_cmp_ne_u64_e32 vcc, 0, v[2:3]
	s_cbranch_vccnz .LBB14_145
; %bb.142:                              ;   in Loop: Header=BB14_34 Depth=1
	s_mov_b64 s[0:1], exec
	v_readlane_b32 s8, v48, 32
	v_readlane_b32 s9, v48, 33
	s_and_b64 s[8:9], s[0:1], s[8:9]
	s_mov_b64 exec, s[8:9]
	s_cbranch_execz .LBB14_144
; %bb.143:                              ;   in Loop: Header=BB14_34 Depth=1
	v_pk_mov_b32 v[2:3], s[12:13], s[12:13] op_sel:[0,1]
	ds_write_b64 v13, v[2:3] offset:5128
.LBB14_144:                             ;   in Loop: Header=BB14_34 Depth=1
	s_or_b64 exec, exec, s[0:1]
	s_waitcnt lgkmcnt(0)
	s_barrier
.LBB14_145:                             ;   in Loop: Header=BB14_34 Depth=1
	s_and_b32 s8, s75, s39
	s_or_b32 s9, s74, s46
	s_mov_b64 s[0:1], 0
	s_mov_b32 s47, 8
.LBB14_146:                             ;   in Loop: Header=BB14_34 Depth=1
	s_andn2_b64 vcc, exec, s[0:1]
	s_cbranch_vccnz .LBB14_148
; %bb.147:                              ;   in Loop: Header=BB14_34 Depth=1
	s_sub_u32 s54, s54, s12
	s_subb_u32 s55, s55, s13
	s_mov_b64 s[0:1], -1
	s_mov_b32 s47, 0
	s_mov_b32 s8, s75
	;; [unrolled: 1-line block ×3, first 2 shown]
.LBB14_148:                             ;   in Loop: Header=BB14_34 Depth=1
	s_mov_b32 s74, s9
	s_mov_b32 s75, s8
	s_mov_b64 s[12:13], -1
	s_and_b64 vcc, exec, s[0:1]
	s_cbranch_vccnz .LBB14_151
.LBB14_149:                             ;   in Loop: Header=BB14_34 Depth=1
	s_mov_b64 s[8:9], -1
                                        ; implicit-def: $sgpr16_sgpr17
                                        ; implicit-def: $sgpr20_sgpr21
                                        ; implicit-def: $sgpr18_sgpr19
	s_and_saveexec_b64 s[0:1], s[8:9]
	s_xor_b64 s[0:1], exec, s[0:1]
	s_cbranch_execz .LBB14_32
	s_branch .LBB14_297
.LBB14_150:                             ;   in Loop: Header=BB14_34 Depth=1
	s_mov_b64 s[54:55], 1
	s_mov_b64 s[12:13], -1
	s_branch .LBB14_149
.LBB14_151:                             ;   in Loop: Header=BB14_34 Depth=1
	s_cmp_eq_u64 s[24:25], 1
	s_cselect_b64 s[0:1], -1, 0
	s_cmp_eq_u64 s[54:55], 1
	s_cselect_b64 s[8:9], -1, 0
	s_and_b64 s[28:29], s[0:1], s[8:9]
	s_mov_b64 s[0:1], -1
	s_and_b64 vcc, exec, s[28:29]
	s_cbranch_vccz .LBB14_166
; %bb.152:                              ;   in Loop: Header=BB14_34 Depth=1
	ds_read_b64 v[2:3], v13 offset:5120
	s_waitcnt lgkmcnt(0)
	s_barrier
	v_readfirstlane_b32 s22, v2
	v_readfirstlane_b32 s23, v3
	s_mov_b64 s[0:1], exec
	v_readlane_b32 s8, v48, 36
	v_readlane_b32 s9, v48, 37
	s_and_b64 s[8:9], s[0:1], s[8:9]
	s_mov_b64 exec, s[8:9]
	s_cbranch_execz .LBB14_154
; %bb.153:                              ;   in Loop: Header=BB14_34 Depth=1
	ds_write_b8 v0, v13 offset:3072
.LBB14_154:                             ;   in Loop: Header=BB14_34 Depth=1
	s_or_b64 exec, exec, s[0:1]
	s_lshl_b32 s0, 1, s38
	s_and_b32 s1, s75, s39
	s_or_b32 s75, s1, s0
	v_cmp_gt_i64_e64 s[0:1], s[22:23], 0
	s_or_b32 s74, s74, s46
	s_and_b64 vcc, exec, s[0:1]
	s_waitcnt lgkmcnt(0)
	s_barrier
	s_cbranch_vccnz .LBB14_169
; %bb.155:                              ;   in Loop: Header=BB14_34 Depth=1
	s_mov_b32 s84, s93
	s_cmp_lg_u64 s[84:85], 0
	s_cbranch_scc0 .LBB14_214
; %bb.156:                              ;   in Loop: Header=BB14_34 Depth=1
	v_cvt_f32_u32_e32 v2, s33
	s_sub_u32 s0, 0, s33
	s_subb_u32 s1, 0, 0
	v_mac_f32_e32 v2, 0x4f800000, v42
	v_rcp_f32_e32 v2, v2
	v_mul_f32_e32 v2, 0x5f7ffffc, v2
	v_mul_f32_e32 v3, 0x2f800000, v2
	v_trunc_f32_e32 v3, v3
	v_mac_f32_e32 v2, 0xcf800000, v3
	v_cvt_u32_f32_e32 v3, v3
	v_cvt_u32_f32_e32 v2, v2
	v_readfirstlane_b32 s8, v3
	v_readfirstlane_b32 s9, v2
	s_mul_i32 s16, s0, s8
	s_mul_hi_u32 s18, s0, s9
	s_mul_i32 s17, s1, s9
	s_add_i32 s16, s18, s16
	s_mul_i32 s19, s0, s9
	s_add_i32 s16, s16, s17
	s_mul_hi_u32 s18, s9, s19
	s_mul_hi_u32 s17, s9, s16
	s_mul_i32 s9, s9, s16
	s_add_u32 s9, s18, s9
	s_addc_u32 s17, 0, s17
	s_mul_hi_u32 s20, s8, s19
	s_mul_i32 s19, s8, s19
	s_add_u32 s9, s9, s19
	s_mul_hi_u32 s18, s8, s16
	s_addc_u32 s9, s17, s20
	s_addc_u32 s17, s18, 0
	s_mul_i32 s16, s8, s16
	s_add_u32 s9, s9, s16
	s_addc_u32 s16, 0, s17
	v_add_co_u32_e32 v2, vcc, s9, v2
	s_cmp_lg_u64 vcc, 0
	s_addc_u32 s8, s8, s16
	v_readfirstlane_b32 s16, v2
	s_mul_i32 s9, s0, s8
	s_mul_hi_u32 s17, s0, s16
	s_add_i32 s9, s17, s9
	s_mul_i32 s1, s1, s16
	s_add_i32 s9, s9, s1
	s_mul_i32 s0, s0, s16
	s_mul_hi_u32 s17, s8, s0
	s_mul_i32 s18, s8, s0
	s_mul_i32 s20, s16, s9
	s_mul_hi_u32 s0, s16, s0
	s_mul_hi_u32 s19, s16, s9
	s_add_u32 s0, s0, s20
	s_addc_u32 s16, 0, s19
	s_add_u32 s0, s0, s18
	s_mul_hi_u32 s1, s8, s9
	s_addc_u32 s0, s16, s17
	s_addc_u32 s1, s1, 0
	s_mul_i32 s9, s8, s9
	s_add_u32 s0, s0, s9
	s_addc_u32 s1, 0, s1
	v_add_co_u32_e32 v2, vcc, s0, v2
	s_cmp_lg_u64 vcc, 0
	s_addc_u32 s16, s8, s1
	s_ashr_i32 s0, s85, 31
	s_add_u32 s8, s73, s0
	s_mov_b32 s1, s0
	s_addc_u32 s9, s85, s0
	s_xor_b64 s[8:9], s[8:9], s[0:1]
	v_readfirstlane_b32 s18, v2
	s_mul_i32 s17, s8, s16
	s_mul_hi_u32 s19, s8, s18
	s_mul_hi_u32 s1, s8, s16
	s_add_u32 s17, s19, s17
	s_addc_u32 s1, 0, s1
	s_mul_hi_u32 s20, s9, s18
	s_mul_i32 s18, s9, s18
	s_add_u32 s17, s17, s18
	s_mul_hi_u32 s19, s9, s16
	s_addc_u32 s1, s1, s20
	s_addc_u32 s17, s19, 0
	s_mul_i32 s16, s9, s16
	s_add_u32 s1, s1, s16
	s_addc_u32 s16, 0, s17
	s_mul_hi_u32 s17, s33, s1
	s_mul_i32 s1, s33, s1
	s_mul_i32 s16, s33, s16
	v_mov_b32_e32 v2, s1
	s_add_i32 s17, s17, s16
	v_sub_co_u32_e32 v2, vcc, s8, v2
	s_cmp_lg_u64 vcc, 0
	s_subb_u32 s1, s9, s17
	v_subrev_co_u32_e32 v3, vcc, s33, v2
	s_cmp_lg_u64 vcc, 0
	s_subb_u32 s8, s1, 0
	v_subrev_co_u32_e32 v4, vcc, s33, v3
	s_cmp_lg_u64 vcc, 0
	s_subb_u32 s9, s8, 0
	v_cmp_le_u32_e32 vcc, s33, v3
	s_cmp_eq_u32 s8, 0
	v_cndmask_b32_e64 v5, 0, -1, vcc
	s_cselect_b64 vcc, -1, 0
	v_cndmask_b32_e32 v5, -1, v5, vcc
	v_mov_b32_e32 v6, s8
	v_mov_b32_e32 v7, s9
	v_cmp_ne_u32_e32 vcc, 0, v5
	v_cndmask_b32_e32 v5, v6, v7, vcc
	v_cndmask_b32_e32 v3, v3, v4, vcc
	v_cmp_le_u32_e32 vcc, s33, v2
	s_cmp_eq_u32 s1, 0
	v_cndmask_b32_e64 v4, 0, -1, vcc
	s_cselect_b64 vcc, -1, 0
	v_cndmask_b32_e32 v4, -1, v4, vcc
	v_cmp_ne_u32_e32 vcc, 0, v4
	v_mov_b32_e32 v6, s1
	v_cndmask_b32_e32 v2, v2, v3, vcc
	v_cndmask_b32_e32 v4, v6, v5, vcc
	v_xor_b32_e32 v2, s0, v2
	v_xor_b32_e32 v3, s0, v4
	v_mov_b32_e32 v4, s0
	v_subrev_co_u32_e32 v2, vcc, s0, v2
	v_subb_co_u32_e32 v3, vcc, v3, v4, vcc
	s_cbranch_execnz .LBB14_158
.LBB14_157:                             ;   in Loop: Header=BB14_34 Depth=1
	v_cvt_f32_u32_e32 v2, s33
	s_sub_i32 s0, 0, s33
	v_rcp_iflag_f32_e32 v2, v2
	v_mul_f32_e32 v2, 0x4f7ffffe, v2
	v_cvt_u32_f32_e32 v2, v2
	v_mul_lo_u32 v3, s0, v2
	v_mul_hi_u32 v3, v2, v3
	v_add_u32_e32 v2, v2, v3
	v_mul_hi_u32 v2, s73, v2
	v_mul_lo_u32 v2, v2, s33
	v_sub_u32_e32 v2, s73, v2
	v_subrev_u32_e32 v3, s33, v2
	v_cmp_le_u32_e32 vcc, s33, v2
	v_cndmask_b32_e32 v2, v2, v3, vcc
	v_subrev_u32_e32 v3, s33, v2
	v_cmp_le_u32_e32 vcc, s33, v2
	v_cndmask_b32_e32 v12, v2, v3, vcc
	v_pk_mov_b32 v[2:3], v[12:13], v[12:13] op_sel:[0,1]
.LBB14_158:                             ;   in Loop: Header=BB14_34 Depth=1
	v_mov_b32_e32 v4, s85
	v_sub_co_u32_e32 v2, vcc, s73, v2
	v_subb_co_u32_e32 v3, vcc, v4, v3, vcc
	v_cmp_gt_i64_e32 vcc, v[2:3], v[0:1]
	s_mov_b64 s[0:1], 0
                                        ; implicit-def: $vgpr43
	s_and_saveexec_b64 s[8:9], vcc
	s_cbranch_execz .LBB14_171
; %bb.159:                              ;   in Loop: Header=BB14_34 Depth=1
	v_pk_mov_b32 v[4:5], v[10:11], v[10:11] op_sel:[0,1]
	v_pk_mov_b32 v[6:7], v[0:1], v[0:1] op_sel:[0,1]
                                        ; implicit-def: $sgpr16_sgpr17
	s_branch .LBB14_161
.LBB14_160:                             ;   in Loop: Header=BB14_161 Depth=2
	s_or_b64 exec, exec, s[18:19]
	s_waitcnt lgkmcnt(0)
	s_barrier
	s_waitcnt vmcnt(0)
	ds_read_u16 v8, v13 offset:3072
	v_mov_b32_e32 v9, s94
	v_add_co_u32_e32 v6, vcc, s33, v6
	v_addc_co_u32_e32 v7, vcc, v7, v9, vcc
	s_waitcnt lgkmcnt(0)
	v_cmp_ne_u16_sdwa s[18:19], v8, v13 src0_sel:BYTE_0 src1_sel:DWORD
	v_cmp_ge_i64_e32 vcc, v[6:7], v[2:3]
	s_or_b64 s[20:21], s[18:19], vcc
	s_and_b64 s[20:21], exec, s[20:21]
	s_or_b64 s[0:1], s[20:21], s[0:1]
	v_mov_b32_e32 v9, s95
	v_add_co_u32_e32 v4, vcc, s72, v4
	s_andn2_b64 s[16:17], s[16:17], exec
	s_and_b64 s[18:19], s[18:19], exec
	v_addc_co_u32_e32 v5, vcc, v5, v9, vcc
	s_or_b64 s[16:17], s[16:17], s[18:19]
	s_barrier
	s_andn2_b64 exec, exec, s[0:1]
	s_cbranch_execz .LBB14_170
.LBB14_161:                             ;   Parent Loop BB14_34 Depth=1
                                        ; =>  This Inner Loop Header: Depth=2
	v_cmp_gt_i64_e32 vcc, s[52:53], v[6:7]
	v_mov_b32_e32 v8, 0
	s_and_saveexec_b64 s[18:19], vcc
	s_cbranch_execz .LBB14_163
; %bb.162:                              ;   in Loop: Header=BB14_161 Depth=2
	global_load_ubyte v8, v[4:5], off
.LBB14_163:                             ;   in Loop: Header=BB14_161 Depth=2
	s_or_b64 exec, exec, s[18:19]
	s_and_saveexec_b64 s[18:19], vcc
	s_cbranch_execz .LBB14_160
; %bb.164:                              ;   in Loop: Header=BB14_161 Depth=2
	s_waitcnt vmcnt(0)
	v_add_u32_sdwa v9, sext(v8), s26 dst_sel:DWORD dst_unused:UNUSED_PAD src0_sel:BYTE_0 src1_sel:DWORD
	v_and_b32_e32 v9, s74, v9
	v_cmp_eq_u32_e32 vcc, s75, v9
	s_and_b64 exec, exec, vcc
	s_cbranch_execz .LBB14_160
; %bb.165:                              ;   in Loop: Header=BB14_161 Depth=2
	v_lshlrev_b16_e32 v8, 8, v8
	v_or_b32_e32 v8, 1, v8
	ds_write_b16 v13, v8 offset:3072
	s_branch .LBB14_160
.LBB14_166:                             ;   in Loop: Header=BB14_34 Depth=1
                                        ; implicit-def: $sgpr18_sgpr19
                                        ; implicit-def: $sgpr20_sgpr21
                                        ; implicit-def: $sgpr16_sgpr17
	s_branch .LBB14_185
.LBB14_167:                             ;   in Loop: Header=BB14_34 Depth=1
                                        ; implicit-def: $vgpr2_vgpr3
	s_branch .LBB14_112
.LBB14_168:                             ;   in Loop: Header=BB14_34 Depth=1
                                        ; implicit-def: $vgpr2_vgpr3
	s_branch .LBB14_127
.LBB14_169:                             ;   in Loop: Header=BB14_34 Depth=1
	s_mov_b64 s[18:19], -1
	s_mov_b64 s[0:1], 0
                                        ; implicit-def: $sgpr16_sgpr17
                                        ; implicit-def: $vgpr43
	s_mov_b64 s[20:21], s[18:19]
	s_cbranch_execnz .LBB14_172
	s_branch .LBB14_185
.LBB14_170:                             ;   in Loop: Header=BB14_34 Depth=1
	s_or_b64 exec, exec, s[0:1]
	v_lshrrev_b16_e32 v43, 8, v8
	s_and_b64 s[0:1], s[16:17], exec
.LBB14_171:                             ;   in Loop: Header=BB14_34 Depth=1
	s_or_b64 exec, exec, s[8:9]
	s_mov_b64 s[16:17], -1
	s_mov_b64 s[18:19], 0
	s_mov_b64 s[20:21], s[18:19]
	s_branch .LBB14_185
.LBB14_172:                             ;   in Loop: Header=BB14_34 Depth=1
	v_readlane_b32 s0, v48, 46
	s_add_u32 s16, s0, s22
	v_readlane_b32 s0, v48, 47
	s_addc_u32 s1, s0, s23
	s_mov_b32 s0, s93
	s_cmp_lg_u64 s[0:1], 0
	s_cbranch_scc0 .LBB14_215
; %bb.173:                              ;   in Loop: Header=BB14_34 Depth=1
	v_cvt_f32_u32_e32 v2, s33
	s_sub_u32 s0, 0, s33
	s_subb_u32 s8, 0, 0
	v_mac_f32_e32 v2, 0x4f800000, v42
	v_rcp_f32_e32 v2, v2
	v_mul_f32_e32 v2, 0x5f7ffffc, v2
	v_mul_f32_e32 v3, 0x2f800000, v2
	v_trunc_f32_e32 v3, v3
	v_mac_f32_e32 v2, 0xcf800000, v3
	v_cvt_u32_f32_e32 v3, v3
	v_cvt_u32_f32_e32 v2, v2
	v_readfirstlane_b32 s9, v3
	v_readfirstlane_b32 s17, v2
	s_mul_i32 s18, s0, s9
	s_mul_hi_u32 s20, s0, s17
	s_mul_i32 s19, s8, s17
	s_add_i32 s18, s20, s18
	s_mul_i32 s21, s0, s17
	s_add_i32 s18, s18, s19
	s_mul_hi_u32 s20, s17, s21
	s_mul_hi_u32 s19, s17, s18
	s_mul_i32 s17, s17, s18
	s_add_u32 s17, s20, s17
	s_addc_u32 s19, 0, s19
	s_mul_hi_u32 s30, s9, s21
	s_mul_i32 s21, s9, s21
	s_add_u32 s17, s17, s21
	s_mul_hi_u32 s20, s9, s18
	s_addc_u32 s17, s19, s30
	s_addc_u32 s19, s20, 0
	s_mul_i32 s18, s9, s18
	s_add_u32 s17, s17, s18
	s_addc_u32 s18, 0, s19
	v_add_co_u32_e32 v2, vcc, s17, v2
	s_cmp_lg_u64 vcc, 0
	s_addc_u32 s9, s9, s18
	v_readfirstlane_b32 s18, v2
	s_mul_i32 s17, s0, s9
	s_mul_hi_u32 s19, s0, s18
	s_add_i32 s17, s19, s17
	s_mul_i32 s8, s8, s18
	s_add_i32 s17, s17, s8
	s_mul_i32 s0, s0, s18
	s_mul_hi_u32 s19, s9, s0
	s_mul_i32 s20, s9, s0
	s_mul_i32 s30, s18, s17
	s_mul_hi_u32 s0, s18, s0
	s_mul_hi_u32 s21, s18, s17
	s_add_u32 s0, s0, s30
	s_addc_u32 s18, 0, s21
	s_add_u32 s0, s0, s20
	s_mul_hi_u32 s8, s9, s17
	s_addc_u32 s0, s18, s19
	s_addc_u32 s8, s8, 0
	s_mul_i32 s17, s9, s17
	s_add_u32 s0, s0, s17
	s_addc_u32 s8, 0, s8
	v_add_co_u32_e32 v2, vcc, s0, v2
	s_cmp_lg_u64 vcc, 0
	s_addc_u32 s0, s9, s8
	s_ashr_i32 s8, s1, 31
	s_add_u32 s18, s16, s8
	s_mov_b32 s9, s8
	s_addc_u32 s19, s1, s8
	s_xor_b64 s[18:19], s[18:19], s[8:9]
	v_readfirstlane_b32 s20, v2
	s_mul_i32 s17, s18, s0
	s_mul_hi_u32 s21, s18, s20
	s_mul_hi_u32 s9, s18, s0
	s_add_u32 s17, s21, s17
	s_addc_u32 s9, 0, s9
	s_mul_hi_u32 s30, s19, s20
	s_mul_i32 s20, s19, s20
	s_add_u32 s17, s17, s20
	s_mul_hi_u32 s21, s19, s0
	s_addc_u32 s9, s9, s30
	s_addc_u32 s17, s21, 0
	s_mul_i32 s0, s19, s0
	s_add_u32 s0, s9, s0
	s_addc_u32 s9, 0, s17
	s_mul_hi_u32 s17, s33, s0
	s_mul_i32 s0, s33, s0
	s_mul_i32 s9, s33, s9
	v_mov_b32_e32 v2, s0
	s_add_i32 s17, s17, s9
	v_sub_co_u32_e32 v2, vcc, s18, v2
	s_cmp_lg_u64 vcc, 0
	s_subb_u32 s0, s19, s17
	v_subrev_co_u32_e32 v3, vcc, s33, v2
	s_cmp_lg_u64 vcc, 0
	s_subb_u32 s9, s0, 0
	v_subrev_co_u32_e32 v4, vcc, s33, v3
	s_cmp_lg_u64 vcc, 0
	s_subb_u32 s17, s9, 0
	v_cmp_le_u32_e32 vcc, s33, v3
	s_cmp_eq_u32 s9, 0
	v_cndmask_b32_e64 v5, 0, -1, vcc
	s_cselect_b64 vcc, -1, 0
	v_cndmask_b32_e32 v5, -1, v5, vcc
	v_mov_b32_e32 v6, s9
	v_mov_b32_e32 v7, s17
	v_cmp_ne_u32_e32 vcc, 0, v5
	v_cndmask_b32_e32 v5, v6, v7, vcc
	v_cndmask_b32_e32 v3, v3, v4, vcc
	v_cmp_le_u32_e32 vcc, s33, v2
	s_cmp_eq_u32 s0, 0
	v_cndmask_b32_e64 v4, 0, -1, vcc
	s_cselect_b64 vcc, -1, 0
	v_cndmask_b32_e32 v4, -1, v4, vcc
	v_cmp_ne_u32_e32 vcc, 0, v4
	v_mov_b32_e32 v6, s0
	v_cndmask_b32_e32 v2, v2, v3, vcc
	v_cndmask_b32_e32 v4, v6, v5, vcc
	v_xor_b32_e32 v2, s8, v2
	v_xor_b32_e32 v3, s8, v4
	v_mov_b32_e32 v4, s8
	v_subrev_co_u32_e32 v2, vcc, s8, v2
	v_subb_co_u32_e32 v3, vcc, v3, v4, vcc
	s_cbranch_execnz .LBB14_175
.LBB14_174:                             ;   in Loop: Header=BB14_34 Depth=1
	v_cvt_f32_u32_e32 v2, s33
	s_sub_i32 s0, 0, s33
	v_rcp_iflag_f32_e32 v2, v2
	v_mul_f32_e32 v2, 0x4f7ffffe, v2
	v_cvt_u32_f32_e32 v2, v2
	v_mul_lo_u32 v3, s0, v2
	v_mul_hi_u32 v3, v2, v3
	v_add_u32_e32 v2, v2, v3
	v_mul_hi_u32 v2, s16, v2
	v_mul_lo_u32 v2, v2, s33
	v_sub_u32_e32 v2, s16, v2
	v_subrev_u32_e32 v3, s33, v2
	v_cmp_le_u32_e32 vcc, s33, v2
	v_cndmask_b32_e32 v2, v2, v3, vcc
	v_subrev_u32_e32 v3, s33, v2
	v_cmp_le_u32_e32 vcc, s33, v2
	v_cndmask_b32_e32 v12, v2, v3, vcc
	v_pk_mov_b32 v[2:3], v[12:13], v[12:13] op_sel:[0,1]
.LBB14_175:                             ;   in Loop: Header=BB14_34 Depth=1
	v_mov_b32_e32 v4, s1
	v_sub_co_u32_e32 v2, vcc, s16, v2
	v_subb_co_u32_e32 v3, vcc, v4, v3, vcc
	v_cmp_gt_i64_e32 vcc, v[2:3], v[0:1]
	s_mov_b64 s[0:1], 0
                                        ; implicit-def: $vgpr43
	s_and_saveexec_b64 s[8:9], vcc
	s_cbranch_execz .LBB14_184
; %bb.176:                              ;   in Loop: Header=BB14_34 Depth=1
	v_mov_b32_e32 v6, v0
	v_pk_mov_b32 v[4:5], v[0:1], v[0:1] op_sel:[0,1]
                                        ; implicit-def: $sgpr16_sgpr17
	s_branch .LBB14_178
.LBB14_177:                             ;   in Loop: Header=BB14_178 Depth=2
	s_or_b64 exec, exec, s[18:19]
	s_waitcnt lgkmcnt(0)
	s_barrier
	ds_read_u16 v7, v13 offset:3072
	v_mov_b32_e32 v8, s94
	v_add_co_u32_e32 v4, vcc, s33, v4
	v_addc_co_u32_e32 v5, vcc, v5, v8, vcc
	s_waitcnt lgkmcnt(0)
	v_cmp_ne_u16_sdwa s[18:19], v7, v13 src0_sel:BYTE_0 src1_sel:DWORD
	v_cmp_ge_i64_e32 vcc, v[4:5], v[2:3]
	s_or_b64 s[20:21], s[18:19], vcc
	s_and_b64 s[20:21], exec, s[20:21]
	s_or_b64 s[0:1], s[20:21], s[0:1]
	s_andn2_b64 s[16:17], s[16:17], exec
	s_and_b64 s[18:19], s[18:19], exec
	v_add_u32_e32 v6, s33, v6
	s_or_b64 s[16:17], s[16:17], s[18:19]
	s_barrier
	s_andn2_b64 exec, exec, s[0:1]
	s_cbranch_execz .LBB14_183
.LBB14_178:                             ;   Parent Loop BB14_34 Depth=1
                                        ; =>  This Inner Loop Header: Depth=2
	v_cmp_gt_i64_e32 vcc, s[22:23], v[4:5]
	v_mov_b32_e32 v7, 0
	s_and_saveexec_b64 s[18:19], vcc
	s_cbranch_execz .LBB14_180
; %bb.179:                              ;   in Loop: Header=BB14_178 Depth=2
	ds_read_u8 v7, v6
.LBB14_180:                             ;   in Loop: Header=BB14_178 Depth=2
	s_or_b64 exec, exec, s[18:19]
	s_and_saveexec_b64 s[18:19], vcc
	s_cbranch_execz .LBB14_177
; %bb.181:                              ;   in Loop: Header=BB14_178 Depth=2
	s_waitcnt lgkmcnt(0)
	v_add_u32_sdwa v8, sext(v7), s26 dst_sel:DWORD dst_unused:UNUSED_PAD src0_sel:BYTE_0 src1_sel:DWORD
	v_and_b32_e32 v8, s74, v8
	v_cmp_eq_u32_e32 vcc, s75, v8
	s_and_b64 exec, exec, vcc
	s_cbranch_execz .LBB14_177
; %bb.182:                              ;   in Loop: Header=BB14_178 Depth=2
	v_lshlrev_b16_e32 v7, 8, v7
	v_or_b32_e32 v7, 1, v7
	ds_write_b16 v13, v7 offset:3072
	s_branch .LBB14_177
.LBB14_183:                             ;   in Loop: Header=BB14_34 Depth=1
	s_or_b64 exec, exec, s[0:1]
	v_lshrrev_b16_e32 v43, 8, v7
	s_and_b64 s[0:1], s[16:17], exec
.LBB14_184:                             ;   in Loop: Header=BB14_34 Depth=1
	s_or_b64 exec, exec, s[8:9]
	s_mov_b64 s[20:21], -1
	s_mov_b64 s[18:19], 0
	s_mov_b64 s[16:17], 0
.LBB14_185:                             ;   in Loop: Header=BB14_34 Depth=1
	s_mov_b64 s[8:9], 0
                                        ; implicit-def: $sgpr47
	s_and_saveexec_b64 s[22:23], s[0:1]
	s_cbranch_execz .LBB14_296
; %bb.186:                              ;   in Loop: Header=BB14_34 Depth=1
	s_xor_b64 s[0:1], s[28:29], -1
	s_andn2_b64 vcc, exec, s[0:1]
	s_mov_b32 s47, 1
	s_cbranch_vccnz .LBB14_197
; %bb.187:                              ;   in Loop: Header=BB14_34 Depth=1
	v_pk_mov_b32 v[2:3], s[24:25], s[24:25] op_sel:[0,1]
	v_cmp_gt_i64_e32 vcc, s[54:55], v[2:3]
	s_mov_b64 s[0:1], -1
                                        ; implicit-def: $sgpr47
                                        ; implicit-def: $sgpr8
                                        ; implicit-def: $sgpr9
	s_cbranch_vccnz .LBB14_193
; %bb.188:                              ;   in Loop: Header=BB14_34 Depth=1
	ds_read_b64 v[2:3], v13 offset:5120
	s_waitcnt lgkmcnt(0)
	v_cmp_ne_u64_e32 vcc, 0, v[2:3]
	s_cbranch_vccnz .LBB14_192
; %bb.189:                              ;   in Loop: Header=BB14_34 Depth=1
	s_mov_b64 s[0:1], exec
	v_readlane_b32 s8, v48, 32
	v_readlane_b32 s9, v48, 33
	s_and_b64 s[8:9], s[0:1], s[8:9]
	s_mov_b64 exec, s[8:9]
	s_cbranch_execz .LBB14_191
; %bb.190:                              ;   in Loop: Header=BB14_34 Depth=1
	v_pk_mov_b32 v[2:3], s[24:25], s[24:25] op_sel:[0,1]
	ds_write_b64 v13, v[2:3] offset:5128
.LBB14_191:                             ;   in Loop: Header=BB14_34 Depth=1
	s_or_b64 exec, exec, s[0:1]
	s_waitcnt lgkmcnt(0)
	s_barrier
.LBB14_192:                             ;   in Loop: Header=BB14_34 Depth=1
	s_lshl_b32 s0, 1, s38
	s_and_b32 s1, s75, s39
	s_or_b32 s8, s1, s0
	s_or_b32 s9, s74, s46
	s_mov_b64 s[0:1], 0
	s_mov_b32 s47, 8
.LBB14_193:                             ;   in Loop: Header=BB14_34 Depth=1
	s_andn2_b64 vcc, exec, s[0:1]
	s_cbranch_vccnz .LBB14_195
; %bb.194:                              ;   in Loop: Header=BB14_34 Depth=1
	s_sub_u32 s54, s54, s24
	s_subb_u32 s55, s55, s25
	s_mov_b64 s[0:1], -1
	s_mov_b32 s47, 0
	s_mov_b32 s8, s75
	;; [unrolled: 1-line block ×3, first 2 shown]
.LBB14_195:                             ;   in Loop: Header=BB14_34 Depth=1
	s_mov_b32 s74, s9
	s_mov_b32 s75, s8
	s_andn2_b64 vcc, exec, s[0:1]
	s_mov_b64 s[8:9], -1
	s_cbranch_vccz .LBB14_198
.LBB14_196:                             ;   in Loop: Header=BB14_34 Depth=1
                                        ; implicit-def: $sgpr28_sgpr29
                                        ; implicit-def: $sgpr30_sgpr31
                                        ; implicit-def: $sgpr24_sgpr25
	s_branch .LBB14_295
.LBB14_197:                             ;   in Loop: Header=BB14_34 Depth=1
	s_mov_b64 s[54:55], 1
	s_mov_b64 s[8:9], -1
	s_cbranch_execnz .LBB14_196
.LBB14_198:                             ;   in Loop: Header=BB14_34 Depth=1
	s_cmp_eq_u64 s[14:15], 1
	s_cselect_b64 s[0:1], -1, 0
	s_cmp_eq_u64 s[54:55], 1
	s_cselect_b64 s[8:9], -1, 0
	s_and_b64 s[36:37], s[0:1], s[8:9]
	s_mov_b64 s[0:1], -1
	s_and_b64 vcc, exec, s[36:37]
	s_cbranch_vccz .LBB14_213
; %bb.199:                              ;   in Loop: Header=BB14_34 Depth=1
	ds_read_b64 v[2:3], v13 offset:5120
	s_waitcnt lgkmcnt(0)
	s_barrier
	v_readfirstlane_b32 s34, v2
	v_readfirstlane_b32 s35, v3
	s_mov_b64 s[0:1], exec
	v_readlane_b32 s8, v48, 36
	v_readlane_b32 s9, v48, 37
	s_and_b64 s[8:9], s[0:1], s[8:9]
	s_mov_b64 exec, s[8:9]
	s_cbranch_execz .LBB14_201
; %bb.200:                              ;   in Loop: Header=BB14_34 Depth=1
	ds_write_b8 v0, v13 offset:3072
.LBB14_201:                             ;   in Loop: Header=BB14_34 Depth=1
	s_or_b64 exec, exec, s[0:1]
	s_lshl_b32 s0, 2, s38
	s_and_b32 s1, s75, s39
	s_or_b32 s75, s1, s0
	v_cmp_gt_i64_e64 s[0:1], s[34:35], 0
	s_or_b32 s74, s74, s46
	s_and_b64 vcc, exec, s[0:1]
	s_waitcnt lgkmcnt(0)
	s_barrier
	s_cbranch_vccnz .LBB14_216
; %bb.202:                              ;   in Loop: Header=BB14_34 Depth=1
	s_mov_b32 s84, s93
	s_cmp_lg_u64 s[84:85], 0
	s_cbranch_scc0 .LBB14_261
; %bb.203:                              ;   in Loop: Header=BB14_34 Depth=1
	v_cvt_f32_u32_e32 v2, s33
	s_sub_u32 s0, 0, s33
	s_subb_u32 s1, 0, 0
	v_mac_f32_e32 v2, 0x4f800000, v42
	v_rcp_f32_e32 v2, v2
	v_mul_f32_e32 v2, 0x5f7ffffc, v2
	v_mul_f32_e32 v3, 0x2f800000, v2
	v_trunc_f32_e32 v3, v3
	v_mac_f32_e32 v2, 0xcf800000, v3
	v_cvt_u32_f32_e32 v3, v3
	v_cvt_u32_f32_e32 v2, v2
	v_readfirstlane_b32 s8, v3
	v_readfirstlane_b32 s9, v2
	s_mul_i32 s24, s0, s8
	s_mul_hi_u32 s28, s0, s9
	s_mul_i32 s25, s1, s9
	s_add_i32 s24, s28, s24
	s_mul_i32 s29, s0, s9
	s_add_i32 s24, s24, s25
	s_mul_hi_u32 s28, s9, s29
	s_mul_hi_u32 s25, s9, s24
	s_mul_i32 s9, s9, s24
	s_add_u32 s9, s28, s9
	s_addc_u32 s25, 0, s25
	s_mul_hi_u32 s30, s8, s29
	s_mul_i32 s29, s8, s29
	s_add_u32 s9, s9, s29
	s_mul_hi_u32 s28, s8, s24
	s_addc_u32 s9, s25, s30
	s_addc_u32 s25, s28, 0
	s_mul_i32 s24, s8, s24
	s_add_u32 s9, s9, s24
	s_addc_u32 s24, 0, s25
	v_add_co_u32_e32 v2, vcc, s9, v2
	s_cmp_lg_u64 vcc, 0
	s_addc_u32 s8, s8, s24
	v_readfirstlane_b32 s24, v2
	s_mul_i32 s9, s0, s8
	s_mul_hi_u32 s25, s0, s24
	s_add_i32 s9, s25, s9
	s_mul_i32 s1, s1, s24
	s_add_i32 s9, s9, s1
	s_mul_i32 s0, s0, s24
	s_mul_hi_u32 s25, s8, s0
	s_mul_i32 s28, s8, s0
	s_mul_i32 s30, s24, s9
	s_mul_hi_u32 s0, s24, s0
	s_mul_hi_u32 s29, s24, s9
	s_add_u32 s0, s0, s30
	s_addc_u32 s24, 0, s29
	s_add_u32 s0, s0, s28
	s_mul_hi_u32 s1, s8, s9
	s_addc_u32 s0, s24, s25
	s_addc_u32 s1, s1, 0
	s_mul_i32 s9, s8, s9
	s_add_u32 s0, s0, s9
	s_addc_u32 s1, 0, s1
	v_add_co_u32_e32 v2, vcc, s0, v2
	s_cmp_lg_u64 vcc, 0
	s_addc_u32 s24, s8, s1
	s_ashr_i32 s0, s85, 31
	s_add_u32 s8, s73, s0
	s_mov_b32 s1, s0
	s_addc_u32 s9, s85, s0
	s_xor_b64 s[8:9], s[8:9], s[0:1]
	v_readfirstlane_b32 s28, v2
	s_mul_i32 s25, s8, s24
	s_mul_hi_u32 s29, s8, s28
	s_mul_hi_u32 s1, s8, s24
	s_add_u32 s25, s29, s25
	s_addc_u32 s1, 0, s1
	s_mul_hi_u32 s30, s9, s28
	s_mul_i32 s28, s9, s28
	s_add_u32 s25, s25, s28
	s_mul_hi_u32 s29, s9, s24
	s_addc_u32 s1, s1, s30
	s_addc_u32 s25, s29, 0
	s_mul_i32 s24, s9, s24
	s_add_u32 s1, s1, s24
	s_addc_u32 s24, 0, s25
	s_mul_hi_u32 s25, s33, s1
	s_mul_i32 s1, s33, s1
	s_mul_i32 s24, s33, s24
	v_mov_b32_e32 v2, s1
	s_add_i32 s25, s25, s24
	v_sub_co_u32_e32 v2, vcc, s8, v2
	s_cmp_lg_u64 vcc, 0
	s_subb_u32 s1, s9, s25
	v_subrev_co_u32_e32 v3, vcc, s33, v2
	s_cmp_lg_u64 vcc, 0
	s_subb_u32 s8, s1, 0
	v_subrev_co_u32_e32 v4, vcc, s33, v3
	s_cmp_lg_u64 vcc, 0
	s_subb_u32 s9, s8, 0
	v_cmp_le_u32_e32 vcc, s33, v3
	s_cmp_eq_u32 s8, 0
	v_cndmask_b32_e64 v5, 0, -1, vcc
	s_cselect_b64 vcc, -1, 0
	v_cndmask_b32_e32 v5, -1, v5, vcc
	v_mov_b32_e32 v6, s8
	v_mov_b32_e32 v7, s9
	v_cmp_ne_u32_e32 vcc, 0, v5
	v_cndmask_b32_e32 v5, v6, v7, vcc
	v_cndmask_b32_e32 v3, v3, v4, vcc
	v_cmp_le_u32_e32 vcc, s33, v2
	s_cmp_eq_u32 s1, 0
	v_cndmask_b32_e64 v4, 0, -1, vcc
	s_cselect_b64 vcc, -1, 0
	v_cndmask_b32_e32 v4, -1, v4, vcc
	v_cmp_ne_u32_e32 vcc, 0, v4
	v_mov_b32_e32 v6, s1
	v_cndmask_b32_e32 v2, v2, v3, vcc
	v_cndmask_b32_e32 v4, v6, v5, vcc
	v_xor_b32_e32 v2, s0, v2
	v_xor_b32_e32 v3, s0, v4
	v_mov_b32_e32 v4, s0
	v_subrev_co_u32_e32 v2, vcc, s0, v2
	v_subb_co_u32_e32 v3, vcc, v3, v4, vcc
	s_cbranch_execnz .LBB14_205
.LBB14_204:                             ;   in Loop: Header=BB14_34 Depth=1
	v_cvt_f32_u32_e32 v2, s33
	s_sub_i32 s0, 0, s33
	v_rcp_iflag_f32_e32 v2, v2
	v_mul_f32_e32 v2, 0x4f7ffffe, v2
	v_cvt_u32_f32_e32 v2, v2
	v_mul_lo_u32 v3, s0, v2
	v_mul_hi_u32 v3, v2, v3
	v_add_u32_e32 v2, v2, v3
	v_mul_hi_u32 v2, s73, v2
	v_mul_lo_u32 v2, v2, s33
	v_sub_u32_e32 v2, s73, v2
	v_subrev_u32_e32 v3, s33, v2
	v_cmp_le_u32_e32 vcc, s33, v2
	v_cndmask_b32_e32 v2, v2, v3, vcc
	v_subrev_u32_e32 v3, s33, v2
	v_cmp_le_u32_e32 vcc, s33, v2
	v_cndmask_b32_e32 v12, v2, v3, vcc
	v_pk_mov_b32 v[2:3], v[12:13], v[12:13] op_sel:[0,1]
.LBB14_205:                             ;   in Loop: Header=BB14_34 Depth=1
	v_mov_b32_e32 v4, s85
	v_sub_co_u32_e32 v2, vcc, s73, v2
	v_subb_co_u32_e32 v3, vcc, v4, v3, vcc
	v_cmp_gt_i64_e32 vcc, v[2:3], v[0:1]
	s_mov_b64 s[0:1], 0
                                        ; implicit-def: $vgpr43
	s_and_saveexec_b64 s[8:9], vcc
	s_cbranch_execz .LBB14_218
; %bb.206:                              ;   in Loop: Header=BB14_34 Depth=1
	v_pk_mov_b32 v[4:5], v[10:11], v[10:11] op_sel:[0,1]
	v_pk_mov_b32 v[6:7], v[0:1], v[0:1] op_sel:[0,1]
                                        ; implicit-def: $sgpr24_sgpr25
	s_branch .LBB14_208
.LBB14_207:                             ;   in Loop: Header=BB14_208 Depth=2
	s_or_b64 exec, exec, s[28:29]
	s_waitcnt lgkmcnt(0)
	s_barrier
	s_waitcnt vmcnt(0)
	ds_read_u16 v8, v13 offset:3072
	v_mov_b32_e32 v9, s94
	v_add_co_u32_e32 v6, vcc, s33, v6
	v_addc_co_u32_e32 v7, vcc, v7, v9, vcc
	s_waitcnt lgkmcnt(0)
	v_cmp_ne_u16_sdwa s[28:29], v8, v13 src0_sel:BYTE_0 src1_sel:DWORD
	v_cmp_ge_i64_e32 vcc, v[6:7], v[2:3]
	s_or_b64 s[30:31], s[28:29], vcc
	s_and_b64 s[30:31], exec, s[30:31]
	s_or_b64 s[0:1], s[30:31], s[0:1]
	v_mov_b32_e32 v9, s95
	v_add_co_u32_e32 v4, vcc, s72, v4
	s_andn2_b64 s[24:25], s[24:25], exec
	s_and_b64 s[28:29], s[28:29], exec
	v_addc_co_u32_e32 v5, vcc, v5, v9, vcc
	s_or_b64 s[24:25], s[24:25], s[28:29]
	s_barrier
	s_andn2_b64 exec, exec, s[0:1]
	s_cbranch_execz .LBB14_217
.LBB14_208:                             ;   Parent Loop BB14_34 Depth=1
                                        ; =>  This Inner Loop Header: Depth=2
	v_cmp_gt_i64_e32 vcc, s[52:53], v[6:7]
	v_mov_b32_e32 v8, 0
	s_and_saveexec_b64 s[28:29], vcc
	s_cbranch_execz .LBB14_210
; %bb.209:                              ;   in Loop: Header=BB14_208 Depth=2
	global_load_ubyte v8, v[4:5], off
.LBB14_210:                             ;   in Loop: Header=BB14_208 Depth=2
	s_or_b64 exec, exec, s[28:29]
	s_and_saveexec_b64 s[28:29], vcc
	s_cbranch_execz .LBB14_207
; %bb.211:                              ;   in Loop: Header=BB14_208 Depth=2
	s_waitcnt vmcnt(0)
	v_add_u32_sdwa v9, sext(v8), s26 dst_sel:DWORD dst_unused:UNUSED_PAD src0_sel:BYTE_0 src1_sel:DWORD
	v_and_b32_e32 v9, s74, v9
	v_cmp_eq_u32_e32 vcc, s75, v9
	s_and_b64 exec, exec, vcc
	s_cbranch_execz .LBB14_207
; %bb.212:                              ;   in Loop: Header=BB14_208 Depth=2
	v_lshlrev_b16_e32 v8, 8, v8
	v_or_b32_e32 v8, 1, v8
	ds_write_b16 v13, v8 offset:3072
	s_branch .LBB14_207
.LBB14_213:                             ;   in Loop: Header=BB14_34 Depth=1
                                        ; implicit-def: $sgpr24_sgpr25
                                        ; implicit-def: $sgpr30_sgpr31
                                        ; implicit-def: $sgpr28_sgpr29
	s_branch .LBB14_232
.LBB14_214:                             ;   in Loop: Header=BB14_34 Depth=1
                                        ; implicit-def: $vgpr2_vgpr3
	s_branch .LBB14_157
.LBB14_215:                             ;   in Loop: Header=BB14_34 Depth=1
                                        ; implicit-def: $vgpr2_vgpr3
	s_branch .LBB14_174
.LBB14_216:                             ;   in Loop: Header=BB14_34 Depth=1
	s_mov_b64 s[24:25], -1
	s_mov_b64 s[0:1], 0
                                        ; implicit-def: $sgpr28_sgpr29
                                        ; implicit-def: $vgpr43
	s_mov_b64 s[30:31], s[24:25]
	s_cbranch_execnz .LBB14_219
	s_branch .LBB14_232
.LBB14_217:                             ;   in Loop: Header=BB14_34 Depth=1
	s_or_b64 exec, exec, s[0:1]
	v_lshrrev_b16_e32 v43, 8, v8
	s_and_b64 s[0:1], s[24:25], exec
.LBB14_218:                             ;   in Loop: Header=BB14_34 Depth=1
	s_or_b64 exec, exec, s[8:9]
	s_mov_b64 s[28:29], -1
	s_mov_b64 s[24:25], 0
	s_mov_b64 s[30:31], s[24:25]
	s_branch .LBB14_232
.LBB14_219:                             ;   in Loop: Header=BB14_34 Depth=1
	v_readlane_b32 s0, v48, 46
	s_add_u32 s24, s0, s34
	v_readlane_b32 s0, v48, 47
	s_addc_u32 s1, s0, s35
	s_mov_b32 s0, s93
	s_cmp_lg_u64 s[0:1], 0
	s_cbranch_scc0 .LBB14_262
; %bb.220:                              ;   in Loop: Header=BB14_34 Depth=1
	v_cvt_f32_u32_e32 v2, s33
	s_sub_u32 s0, 0, s33
	s_subb_u32 s8, 0, 0
	v_mac_f32_e32 v2, 0x4f800000, v42
	v_rcp_f32_e32 v2, v2
	v_mul_f32_e32 v2, 0x5f7ffffc, v2
	v_mul_f32_e32 v3, 0x2f800000, v2
	v_trunc_f32_e32 v3, v3
	v_mac_f32_e32 v2, 0xcf800000, v3
	v_cvt_u32_f32_e32 v3, v3
	v_cvt_u32_f32_e32 v2, v2
	v_readfirstlane_b32 s9, v3
	v_readfirstlane_b32 s25, v2
	s_mul_i32 s28, s0, s9
	s_mul_hi_u32 s30, s0, s25
	s_mul_i32 s29, s8, s25
	s_add_i32 s28, s30, s28
	s_mul_i32 s31, s0, s25
	s_add_i32 s28, s28, s29
	s_mul_hi_u32 s30, s25, s31
	s_mul_hi_u32 s29, s25, s28
	s_mul_i32 s25, s25, s28
	s_add_u32 s25, s30, s25
	s_addc_u32 s29, 0, s29
	s_mul_hi_u32 s40, s9, s31
	s_mul_i32 s31, s9, s31
	s_add_u32 s25, s25, s31
	s_mul_hi_u32 s30, s9, s28
	s_addc_u32 s25, s29, s40
	s_addc_u32 s29, s30, 0
	s_mul_i32 s28, s9, s28
	s_add_u32 s25, s25, s28
	s_addc_u32 s28, 0, s29
	v_add_co_u32_e32 v2, vcc, s25, v2
	s_cmp_lg_u64 vcc, 0
	s_addc_u32 s9, s9, s28
	v_readfirstlane_b32 s28, v2
	s_mul_i32 s25, s0, s9
	s_mul_hi_u32 s29, s0, s28
	s_add_i32 s25, s29, s25
	s_mul_i32 s8, s8, s28
	s_add_i32 s25, s25, s8
	s_mul_i32 s0, s0, s28
	s_mul_hi_u32 s29, s9, s0
	s_mul_i32 s30, s9, s0
	s_mul_i32 s40, s28, s25
	s_mul_hi_u32 s0, s28, s0
	s_mul_hi_u32 s31, s28, s25
	s_add_u32 s0, s0, s40
	s_addc_u32 s28, 0, s31
	s_add_u32 s0, s0, s30
	s_mul_hi_u32 s8, s9, s25
	s_addc_u32 s0, s28, s29
	s_addc_u32 s8, s8, 0
	s_mul_i32 s25, s9, s25
	s_add_u32 s0, s0, s25
	s_addc_u32 s8, 0, s8
	v_add_co_u32_e32 v2, vcc, s0, v2
	s_cmp_lg_u64 vcc, 0
	s_addc_u32 s0, s9, s8
	s_ashr_i32 s8, s1, 31
	s_add_u32 s28, s24, s8
	s_mov_b32 s9, s8
	s_addc_u32 s29, s1, s8
	s_xor_b64 s[28:29], s[28:29], s[8:9]
	v_readfirstlane_b32 s30, v2
	s_mul_i32 s25, s28, s0
	s_mul_hi_u32 s31, s28, s30
	s_mul_hi_u32 s9, s28, s0
	s_add_u32 s25, s31, s25
	s_addc_u32 s9, 0, s9
	s_mul_hi_u32 s40, s29, s30
	s_mul_i32 s30, s29, s30
	s_add_u32 s25, s25, s30
	s_mul_hi_u32 s31, s29, s0
	s_addc_u32 s9, s9, s40
	s_addc_u32 s25, s31, 0
	s_mul_i32 s0, s29, s0
	s_add_u32 s0, s9, s0
	s_addc_u32 s9, 0, s25
	s_mul_hi_u32 s25, s33, s0
	s_mul_i32 s0, s33, s0
	s_mul_i32 s9, s33, s9
	v_mov_b32_e32 v2, s0
	s_add_i32 s25, s25, s9
	v_sub_co_u32_e32 v2, vcc, s28, v2
	s_cmp_lg_u64 vcc, 0
	s_subb_u32 s0, s29, s25
	v_subrev_co_u32_e32 v3, vcc, s33, v2
	s_cmp_lg_u64 vcc, 0
	s_subb_u32 s9, s0, 0
	v_subrev_co_u32_e32 v4, vcc, s33, v3
	s_cmp_lg_u64 vcc, 0
	s_subb_u32 s25, s9, 0
	v_cmp_le_u32_e32 vcc, s33, v3
	s_cmp_eq_u32 s9, 0
	v_cndmask_b32_e64 v5, 0, -1, vcc
	s_cselect_b64 vcc, -1, 0
	v_cndmask_b32_e32 v5, -1, v5, vcc
	v_mov_b32_e32 v6, s9
	v_mov_b32_e32 v7, s25
	v_cmp_ne_u32_e32 vcc, 0, v5
	v_cndmask_b32_e32 v5, v6, v7, vcc
	v_cndmask_b32_e32 v3, v3, v4, vcc
	v_cmp_le_u32_e32 vcc, s33, v2
	s_cmp_eq_u32 s0, 0
	v_cndmask_b32_e64 v4, 0, -1, vcc
	s_cselect_b64 vcc, -1, 0
	v_cndmask_b32_e32 v4, -1, v4, vcc
	v_cmp_ne_u32_e32 vcc, 0, v4
	v_mov_b32_e32 v6, s0
	v_cndmask_b32_e32 v2, v2, v3, vcc
	v_cndmask_b32_e32 v4, v6, v5, vcc
	v_xor_b32_e32 v2, s8, v2
	v_xor_b32_e32 v3, s8, v4
	v_mov_b32_e32 v4, s8
	v_subrev_co_u32_e32 v2, vcc, s8, v2
	v_subb_co_u32_e32 v3, vcc, v3, v4, vcc
	s_cbranch_execnz .LBB14_222
.LBB14_221:                             ;   in Loop: Header=BB14_34 Depth=1
	v_cvt_f32_u32_e32 v2, s33
	s_sub_i32 s0, 0, s33
	v_rcp_iflag_f32_e32 v2, v2
	v_mul_f32_e32 v2, 0x4f7ffffe, v2
	v_cvt_u32_f32_e32 v2, v2
	v_mul_lo_u32 v3, s0, v2
	v_mul_hi_u32 v3, v2, v3
	v_add_u32_e32 v2, v2, v3
	v_mul_hi_u32 v2, s24, v2
	v_mul_lo_u32 v2, v2, s33
	v_sub_u32_e32 v2, s24, v2
	v_subrev_u32_e32 v3, s33, v2
	v_cmp_le_u32_e32 vcc, s33, v2
	v_cndmask_b32_e32 v2, v2, v3, vcc
	v_subrev_u32_e32 v3, s33, v2
	v_cmp_le_u32_e32 vcc, s33, v2
	v_cndmask_b32_e32 v12, v2, v3, vcc
	v_pk_mov_b32 v[2:3], v[12:13], v[12:13] op_sel:[0,1]
.LBB14_222:                             ;   in Loop: Header=BB14_34 Depth=1
	v_mov_b32_e32 v4, s1
	v_sub_co_u32_e32 v2, vcc, s24, v2
	v_subb_co_u32_e32 v3, vcc, v4, v3, vcc
	v_cmp_gt_i64_e32 vcc, v[2:3], v[0:1]
	s_mov_b64 s[0:1], 0
                                        ; implicit-def: $vgpr43
	s_and_saveexec_b64 s[8:9], vcc
	s_cbranch_execz .LBB14_231
; %bb.223:                              ;   in Loop: Header=BB14_34 Depth=1
	v_mov_b32_e32 v6, v0
	v_pk_mov_b32 v[4:5], v[0:1], v[0:1] op_sel:[0,1]
                                        ; implicit-def: $sgpr24_sgpr25
	s_branch .LBB14_225
.LBB14_224:                             ;   in Loop: Header=BB14_225 Depth=2
	s_or_b64 exec, exec, s[28:29]
	s_waitcnt lgkmcnt(0)
	s_barrier
	ds_read_u16 v7, v13 offset:3072
	v_mov_b32_e32 v8, s94
	v_add_co_u32_e32 v4, vcc, s33, v4
	v_addc_co_u32_e32 v5, vcc, v5, v8, vcc
	s_waitcnt lgkmcnt(0)
	v_cmp_ne_u16_sdwa s[28:29], v7, v13 src0_sel:BYTE_0 src1_sel:DWORD
	v_cmp_ge_i64_e32 vcc, v[4:5], v[2:3]
	s_or_b64 s[30:31], s[28:29], vcc
	s_and_b64 s[30:31], exec, s[30:31]
	s_or_b64 s[0:1], s[30:31], s[0:1]
	s_andn2_b64 s[24:25], s[24:25], exec
	s_and_b64 s[28:29], s[28:29], exec
	v_add_u32_e32 v6, s33, v6
	s_or_b64 s[24:25], s[24:25], s[28:29]
	s_barrier
	s_andn2_b64 exec, exec, s[0:1]
	s_cbranch_execz .LBB14_230
.LBB14_225:                             ;   Parent Loop BB14_34 Depth=1
                                        ; =>  This Inner Loop Header: Depth=2
	v_cmp_gt_i64_e32 vcc, s[34:35], v[4:5]
	v_mov_b32_e32 v7, 0
	s_and_saveexec_b64 s[28:29], vcc
	s_cbranch_execz .LBB14_227
; %bb.226:                              ;   in Loop: Header=BB14_225 Depth=2
	ds_read_u8 v7, v6
.LBB14_227:                             ;   in Loop: Header=BB14_225 Depth=2
	s_or_b64 exec, exec, s[28:29]
	s_and_saveexec_b64 s[28:29], vcc
	s_cbranch_execz .LBB14_224
; %bb.228:                              ;   in Loop: Header=BB14_225 Depth=2
	s_waitcnt lgkmcnt(0)
	v_add_u32_sdwa v8, sext(v7), s26 dst_sel:DWORD dst_unused:UNUSED_PAD src0_sel:BYTE_0 src1_sel:DWORD
	v_and_b32_e32 v8, s74, v8
	v_cmp_eq_u32_e32 vcc, s75, v8
	s_and_b64 exec, exec, vcc
	s_cbranch_execz .LBB14_224
; %bb.229:                              ;   in Loop: Header=BB14_225 Depth=2
	v_lshlrev_b16_e32 v7, 8, v7
	v_or_b32_e32 v7, 1, v7
	ds_write_b16 v13, v7 offset:3072
	s_branch .LBB14_224
.LBB14_230:                             ;   in Loop: Header=BB14_34 Depth=1
	s_or_b64 exec, exec, s[0:1]
	v_lshrrev_b16_e32 v43, 8, v7
	s_and_b64 s[0:1], s[24:25], exec
.LBB14_231:                             ;   in Loop: Header=BB14_34 Depth=1
	s_or_b64 exec, exec, s[8:9]
	s_mov_b64 s[30:31], -1
	s_mov_b64 s[24:25], 0
	s_mov_b64 s[28:29], 0
.LBB14_232:                             ;   in Loop: Header=BB14_34 Depth=1
	s_mov_b64 s[8:9], 0
                                        ; implicit-def: $sgpr47
	s_and_saveexec_b64 s[34:35], s[0:1]
	s_cbranch_execz .LBB14_294
; %bb.233:                              ;   in Loop: Header=BB14_34 Depth=1
	s_xor_b64 s[0:1], s[36:37], -1
	s_andn2_b64 vcc, exec, s[0:1]
	s_mov_b32 s47, 1
	s_cbranch_vccnz .LBB14_244
; %bb.234:                              ;   in Loop: Header=BB14_34 Depth=1
	v_pk_mov_b32 v[2:3], s[14:15], s[14:15] op_sel:[0,1]
	v_cmp_gt_i64_e32 vcc, s[54:55], v[2:3]
	s_mov_b64 s[0:1], -1
                                        ; implicit-def: $sgpr47
                                        ; implicit-def: $sgpr8
                                        ; implicit-def: $sgpr9
	s_cbranch_vccnz .LBB14_240
; %bb.235:                              ;   in Loop: Header=BB14_34 Depth=1
	ds_read_b64 v[2:3], v13 offset:5120
	s_waitcnt lgkmcnt(0)
	v_cmp_ne_u64_e32 vcc, 0, v[2:3]
	s_cbranch_vccnz .LBB14_239
; %bb.236:                              ;   in Loop: Header=BB14_34 Depth=1
	s_mov_b64 s[0:1], exec
	v_readlane_b32 s8, v48, 32
	v_readlane_b32 s9, v48, 33
	s_and_b64 s[8:9], s[0:1], s[8:9]
	s_mov_b64 exec, s[8:9]
	s_cbranch_execz .LBB14_238
; %bb.237:                              ;   in Loop: Header=BB14_34 Depth=1
	v_pk_mov_b32 v[2:3], s[14:15], s[14:15] op_sel:[0,1]
	ds_write_b64 v13, v[2:3] offset:5128
.LBB14_238:                             ;   in Loop: Header=BB14_34 Depth=1
	s_or_b64 exec, exec, s[0:1]
	s_waitcnt lgkmcnt(0)
	s_barrier
.LBB14_239:                             ;   in Loop: Header=BB14_34 Depth=1
	s_lshl_b32 s0, 2, s38
	s_and_b32 s1, s75, s39
	s_or_b32 s8, s1, s0
	s_or_b32 s9, s74, s46
	s_mov_b64 s[0:1], 0
	s_mov_b32 s47, 8
.LBB14_240:                             ;   in Loop: Header=BB14_34 Depth=1
	s_andn2_b64 vcc, exec, s[0:1]
	s_cbranch_vccnz .LBB14_242
; %bb.241:                              ;   in Loop: Header=BB14_34 Depth=1
	s_sub_u32 s54, s54, s14
	s_subb_u32 s55, s55, s15
	s_mov_b64 s[0:1], -1
	s_mov_b32 s47, 0
	s_mov_b32 s8, s75
	;; [unrolled: 1-line block ×3, first 2 shown]
.LBB14_242:                             ;   in Loop: Header=BB14_34 Depth=1
	s_mov_b32 s74, s9
	s_mov_b32 s75, s8
	s_andn2_b64 vcc, exec, s[0:1]
	s_mov_b64 s[42:43], -1
	s_cbranch_vccz .LBB14_245
.LBB14_243:                             ;   in Loop: Header=BB14_34 Depth=1
                                        ; implicit-def: $sgpr0_sgpr1
                                        ; implicit-def: $sgpr38_sgpr39
                                        ; implicit-def: $sgpr8_sgpr9
	s_branch .LBB14_293
.LBB14_244:                             ;   in Loop: Header=BB14_34 Depth=1
	s_mov_b64 s[54:55], 1
	s_mov_b64 s[42:43], -1
	s_cbranch_execnz .LBB14_243
.LBB14_245:                             ;   in Loop: Header=BB14_34 Depth=1
	s_cmp_eq_u64 s[6:7], 1
	s_cselect_b64 s[0:1], -1, 0
	s_cmp_eq_u64 s[54:55], 1
	s_cselect_b64 s[8:9], -1, 0
	s_and_b64 s[14:15], s[0:1], s[8:9]
	s_mov_b64 s[40:41], -1
	s_and_b64 vcc, exec, s[14:15]
	s_cbranch_vccz .LBB14_260
; %bb.246:                              ;   in Loop: Header=BB14_34 Depth=1
	ds_read_b64 v[2:3], v13 offset:5120
	s_waitcnt lgkmcnt(0)
	s_barrier
	v_readfirstlane_b32 s36, v2
	v_readfirstlane_b32 s37, v3
	s_mov_b64 s[0:1], exec
	v_readlane_b32 s8, v48, 36
	v_readlane_b32 s9, v48, 37
	s_and_b64 s[8:9], s[0:1], s[8:9]
	s_mov_b64 exec, s[8:9]
	s_cbranch_execz .LBB14_248
; %bb.247:                              ;   in Loop: Header=BB14_34 Depth=1
	ds_write_b8 v0, v13 offset:3072
.LBB14_248:                             ;   in Loop: Header=BB14_34 Depth=1
	s_or_b64 exec, exec, s[0:1]
	v_cmp_gt_i64_e64 s[0:1], s[36:37], 0
	s_or_b32 s75, s75, s46
	s_or_b32 s74, s74, s46
	s_and_b64 vcc, exec, s[0:1]
	s_waitcnt lgkmcnt(0)
	s_barrier
	s_cbranch_vccnz .LBB14_263
; %bb.249:                              ;   in Loop: Header=BB14_34 Depth=1
	s_mov_b32 s84, s93
	s_cmp_lg_u64 s[84:85], 0
	s_cbranch_scc0 .LBB14_299
; %bb.250:                              ;   in Loop: Header=BB14_34 Depth=1
	v_cvt_f32_u32_e32 v2, s33
	s_sub_u32 s0, 0, s33
	s_subb_u32 s1, 0, 0
	v_mac_f32_e32 v2, 0x4f800000, v42
	v_rcp_f32_e32 v2, v2
	v_mul_f32_e32 v2, 0x5f7ffffc, v2
	v_mul_f32_e32 v3, 0x2f800000, v2
	v_trunc_f32_e32 v3, v3
	v_mac_f32_e32 v2, 0xcf800000, v3
	v_cvt_u32_f32_e32 v3, v3
	v_cvt_u32_f32_e32 v2, v2
	v_readfirstlane_b32 s8, v3
	v_readfirstlane_b32 s9, v2
	s_mul_i32 s38, s0, s8
	s_mul_hi_u32 s40, s0, s9
	s_mul_i32 s39, s1, s9
	s_add_i32 s38, s40, s38
	s_mul_i32 s41, s0, s9
	s_add_i32 s38, s38, s39
	s_mul_hi_u32 s40, s9, s41
	s_mul_hi_u32 s39, s9, s38
	s_mul_i32 s9, s9, s38
	s_add_u32 s9, s40, s9
	s_addc_u32 s39, 0, s39
	s_mul_hi_u32 s42, s8, s41
	s_mul_i32 s41, s8, s41
	s_add_u32 s9, s9, s41
	s_mul_hi_u32 s40, s8, s38
	s_addc_u32 s9, s39, s42
	s_addc_u32 s39, s40, 0
	s_mul_i32 s38, s8, s38
	s_add_u32 s9, s9, s38
	s_addc_u32 s38, 0, s39
	v_add_co_u32_e32 v2, vcc, s9, v2
	s_cmp_lg_u64 vcc, 0
	s_addc_u32 s8, s8, s38
	v_readfirstlane_b32 s38, v2
	s_mul_i32 s9, s0, s8
	s_mul_hi_u32 s39, s0, s38
	s_add_i32 s9, s39, s9
	s_mul_i32 s1, s1, s38
	s_add_i32 s9, s9, s1
	s_mul_i32 s0, s0, s38
	s_mul_hi_u32 s39, s8, s0
	s_mul_i32 s40, s8, s0
	s_mul_i32 s42, s38, s9
	s_mul_hi_u32 s0, s38, s0
	s_mul_hi_u32 s41, s38, s9
	s_add_u32 s0, s0, s42
	s_addc_u32 s38, 0, s41
	s_add_u32 s0, s0, s40
	s_mul_hi_u32 s1, s8, s9
	s_addc_u32 s0, s38, s39
	s_addc_u32 s1, s1, 0
	s_mul_i32 s9, s8, s9
	s_add_u32 s0, s0, s9
	s_addc_u32 s1, 0, s1
	v_add_co_u32_e32 v2, vcc, s0, v2
	s_cmp_lg_u64 vcc, 0
	s_addc_u32 s38, s8, s1
	s_ashr_i32 s0, s85, 31
	s_add_u32 s8, s73, s0
	s_mov_b32 s1, s0
	s_addc_u32 s9, s85, s0
	s_xor_b64 s[8:9], s[8:9], s[0:1]
	v_readfirstlane_b32 s40, v2
	s_mul_i32 s39, s8, s38
	s_mul_hi_u32 s41, s8, s40
	s_mul_hi_u32 s1, s8, s38
	s_add_u32 s39, s41, s39
	s_addc_u32 s1, 0, s1
	s_mul_hi_u32 s42, s9, s40
	s_mul_i32 s40, s9, s40
	s_add_u32 s39, s39, s40
	s_mul_hi_u32 s41, s9, s38
	s_addc_u32 s1, s1, s42
	s_addc_u32 s39, s41, 0
	s_mul_i32 s38, s9, s38
	s_add_u32 s1, s1, s38
	s_addc_u32 s38, 0, s39
	s_mul_hi_u32 s39, s33, s1
	s_mul_i32 s1, s33, s1
	s_mul_i32 s38, s33, s38
	v_mov_b32_e32 v2, s1
	s_add_i32 s39, s39, s38
	v_sub_co_u32_e32 v2, vcc, s8, v2
	s_cmp_lg_u64 vcc, 0
	s_subb_u32 s1, s9, s39
	v_subrev_co_u32_e32 v3, vcc, s33, v2
	s_cmp_lg_u64 vcc, 0
	s_subb_u32 s8, s1, 0
	v_subrev_co_u32_e32 v4, vcc, s33, v3
	s_cmp_lg_u64 vcc, 0
	s_subb_u32 s9, s8, 0
	v_cmp_le_u32_e32 vcc, s33, v3
	s_cmp_eq_u32 s8, 0
	v_cndmask_b32_e64 v5, 0, -1, vcc
	s_cselect_b64 vcc, -1, 0
	v_cndmask_b32_e32 v5, -1, v5, vcc
	v_mov_b32_e32 v6, s8
	v_mov_b32_e32 v7, s9
	v_cmp_ne_u32_e32 vcc, 0, v5
	v_cndmask_b32_e32 v5, v6, v7, vcc
	v_cndmask_b32_e32 v3, v3, v4, vcc
	v_cmp_le_u32_e32 vcc, s33, v2
	s_cmp_eq_u32 s1, 0
	v_cndmask_b32_e64 v4, 0, -1, vcc
	s_cselect_b64 vcc, -1, 0
	v_cndmask_b32_e32 v4, -1, v4, vcc
	v_cmp_ne_u32_e32 vcc, 0, v4
	v_mov_b32_e32 v6, s1
	v_cndmask_b32_e32 v2, v2, v3, vcc
	v_cndmask_b32_e32 v4, v6, v5, vcc
	v_xor_b32_e32 v2, s0, v2
	v_xor_b32_e32 v3, s0, v4
	v_mov_b32_e32 v4, s0
	v_subrev_co_u32_e32 v2, vcc, s0, v2
	v_subb_co_u32_e32 v3, vcc, v3, v4, vcc
	s_cbranch_execnz .LBB14_252
.LBB14_251:                             ;   in Loop: Header=BB14_34 Depth=1
	v_cvt_f32_u32_e32 v2, s33
	s_sub_i32 s0, 0, s33
	v_rcp_iflag_f32_e32 v2, v2
	v_mul_f32_e32 v2, 0x4f7ffffe, v2
	v_cvt_u32_f32_e32 v2, v2
	v_mul_lo_u32 v3, s0, v2
	v_mul_hi_u32 v3, v2, v3
	v_add_u32_e32 v2, v2, v3
	v_mul_hi_u32 v2, s73, v2
	v_mul_lo_u32 v2, v2, s33
	v_sub_u32_e32 v2, s73, v2
	v_subrev_u32_e32 v3, s33, v2
	v_cmp_le_u32_e32 vcc, s33, v2
	v_cndmask_b32_e32 v2, v2, v3, vcc
	v_subrev_u32_e32 v3, s33, v2
	v_cmp_le_u32_e32 vcc, s33, v2
	v_cndmask_b32_e32 v12, v2, v3, vcc
	v_pk_mov_b32 v[2:3], v[12:13], v[12:13] op_sel:[0,1]
.LBB14_252:                             ;   in Loop: Header=BB14_34 Depth=1
	v_mov_b32_e32 v4, s85
	v_sub_co_u32_e32 v2, vcc, s73, v2
	v_subb_co_u32_e32 v3, vcc, v4, v3, vcc
	v_cmp_gt_i64_e32 vcc, v[2:3], v[0:1]
	s_mov_b64 s[40:41], 0
                                        ; implicit-def: $vgpr43
	s_and_saveexec_b64 s[0:1], vcc
	s_cbranch_execz .LBB14_265
; %bb.253:                              ;   in Loop: Header=BB14_34 Depth=1
	s_mov_b64 s[8:9], 0
	v_pk_mov_b32 v[4:5], v[10:11], v[10:11] op_sel:[0,1]
	v_pk_mov_b32 v[6:7], v[0:1], v[0:1] op_sel:[0,1]
                                        ; implicit-def: $sgpr38_sgpr39
	s_branch .LBB14_255
.LBB14_254:                             ;   in Loop: Header=BB14_255 Depth=2
	s_or_b64 exec, exec, s[40:41]
	s_waitcnt lgkmcnt(0)
	s_barrier
	s_waitcnt vmcnt(0)
	ds_read_u16 v8, v13 offset:3072
	v_mov_b32_e32 v9, s94
	v_add_co_u32_e32 v6, vcc, s33, v6
	v_addc_co_u32_e32 v7, vcc, v7, v9, vcc
	s_waitcnt lgkmcnt(0)
	v_cmp_ne_u16_sdwa s[40:41], v8, v13 src0_sel:BYTE_0 src1_sel:DWORD
	v_cmp_ge_i64_e32 vcc, v[6:7], v[2:3]
	s_or_b64 s[42:43], s[40:41], vcc
	s_and_b64 s[42:43], exec, s[42:43]
	s_or_b64 s[8:9], s[42:43], s[8:9]
	v_mov_b32_e32 v9, s95
	v_add_co_u32_e32 v4, vcc, s72, v4
	s_andn2_b64 s[38:39], s[38:39], exec
	s_and_b64 s[40:41], s[40:41], exec
	v_addc_co_u32_e32 v5, vcc, v5, v9, vcc
	s_or_b64 s[38:39], s[38:39], s[40:41]
	s_barrier
	s_andn2_b64 exec, exec, s[8:9]
	s_cbranch_execz .LBB14_264
.LBB14_255:                             ;   Parent Loop BB14_34 Depth=1
                                        ; =>  This Inner Loop Header: Depth=2
	v_cmp_gt_i64_e32 vcc, s[52:53], v[6:7]
	v_mov_b32_e32 v8, 0
	s_and_saveexec_b64 s[40:41], vcc
	s_cbranch_execz .LBB14_257
; %bb.256:                              ;   in Loop: Header=BB14_255 Depth=2
	global_load_ubyte v8, v[4:5], off
.LBB14_257:                             ;   in Loop: Header=BB14_255 Depth=2
	s_or_b64 exec, exec, s[40:41]
	s_and_saveexec_b64 s[40:41], vcc
	s_cbranch_execz .LBB14_254
; %bb.258:                              ;   in Loop: Header=BB14_255 Depth=2
	s_waitcnt vmcnt(0)
	v_add_u32_sdwa v9, sext(v8), s26 dst_sel:DWORD dst_unused:UNUSED_PAD src0_sel:BYTE_0 src1_sel:DWORD
	v_and_b32_e32 v9, s74, v9
	v_cmp_eq_u32_e32 vcc, s75, v9
	s_and_b64 exec, exec, vcc
	s_cbranch_execz .LBB14_254
; %bb.259:                              ;   in Loop: Header=BB14_255 Depth=2
	v_lshlrev_b16_e32 v8, 8, v8
	v_or_b32_e32 v8, 1, v8
	ds_write_b16 v13, v8 offset:3072
	s_branch .LBB14_254
.LBB14_260:                             ;   in Loop: Header=BB14_34 Depth=1
                                        ; implicit-def: $sgpr0_sgpr1
                                        ; implicit-def: $sgpr38_sgpr39
                                        ; implicit-def: $sgpr8_sgpr9
	s_branch .LBB14_279
.LBB14_261:                             ;   in Loop: Header=BB14_34 Depth=1
                                        ; implicit-def: $vgpr2_vgpr3
	s_branch .LBB14_204
.LBB14_262:                             ;   in Loop: Header=BB14_34 Depth=1
                                        ; implicit-def: $vgpr2_vgpr3
	s_branch .LBB14_221
.LBB14_263:                             ;   in Loop: Header=BB14_34 Depth=1
	s_mov_b64 s[0:1], -1
	s_mov_b64 s[40:41], 0
                                        ; implicit-def: $sgpr8_sgpr9
                                        ; implicit-def: $vgpr43
	s_mov_b64 s[38:39], s[0:1]
	s_cbranch_execnz .LBB14_266
	s_branch .LBB14_279
.LBB14_264:                             ;   in Loop: Header=BB14_34 Depth=1
	s_or_b64 exec, exec, s[8:9]
	v_lshrrev_b16_e32 v43, 8, v8
	s_and_b64 s[40:41], s[38:39], exec
.LBB14_265:                             ;   in Loop: Header=BB14_34 Depth=1
	s_or_b64 exec, exec, s[0:1]
	s_mov_b64 s[8:9], -1
	s_mov_b64 s[0:1], 0
	s_mov_b64 s[38:39], s[0:1]
	s_branch .LBB14_279
.LBB14_266:                             ;   in Loop: Header=BB14_34 Depth=1
	v_readlane_b32 s0, v48, 46
	s_add_u32 s38, s0, s36
	v_readlane_b32 s0, v48, 47
	s_addc_u32 s1, s0, s37
	s_mov_b32 s0, s93
	s_cmp_lg_u64 s[0:1], 0
	s_cbranch_scc0 .LBB14_300
; %bb.267:                              ;   in Loop: Header=BB14_34 Depth=1
	v_cvt_f32_u32_e32 v2, s33
	s_sub_u32 s0, 0, s33
	s_subb_u32 s8, 0, 0
	v_mac_f32_e32 v2, 0x4f800000, v42
	v_rcp_f32_e32 v2, v2
	v_mul_f32_e32 v2, 0x5f7ffffc, v2
	v_mul_f32_e32 v3, 0x2f800000, v2
	v_trunc_f32_e32 v3, v3
	v_mac_f32_e32 v2, 0xcf800000, v3
	v_cvt_u32_f32_e32 v3, v3
	v_cvt_u32_f32_e32 v2, v2
	v_readfirstlane_b32 s9, v3
	v_readfirstlane_b32 s39, v2
	s_mul_i32 s40, s0, s9
	s_mul_hi_u32 s42, s0, s39
	s_mul_i32 s41, s8, s39
	s_add_i32 s40, s42, s40
	s_mul_i32 s43, s0, s39
	s_add_i32 s40, s40, s41
	s_mul_hi_u32 s42, s39, s43
	s_mul_hi_u32 s41, s39, s40
	s_mul_i32 s39, s39, s40
	s_add_u32 s39, s42, s39
	s_addc_u32 s41, 0, s41
	s_mul_hi_u32 s44, s9, s43
	s_mul_i32 s43, s9, s43
	s_add_u32 s39, s39, s43
	s_mul_hi_u32 s42, s9, s40
	s_addc_u32 s39, s41, s44
	s_addc_u32 s41, s42, 0
	s_mul_i32 s40, s9, s40
	s_add_u32 s39, s39, s40
	s_addc_u32 s40, 0, s41
	v_add_co_u32_e32 v2, vcc, s39, v2
	s_cmp_lg_u64 vcc, 0
	s_addc_u32 s9, s9, s40
	v_readfirstlane_b32 s40, v2
	s_mul_i32 s39, s0, s9
	s_mul_hi_u32 s41, s0, s40
	s_add_i32 s39, s41, s39
	s_mul_i32 s8, s8, s40
	s_add_i32 s39, s39, s8
	s_mul_i32 s0, s0, s40
	s_mul_hi_u32 s41, s9, s0
	s_mul_i32 s42, s9, s0
	s_mul_i32 s44, s40, s39
	s_mul_hi_u32 s0, s40, s0
	s_mul_hi_u32 s43, s40, s39
	s_add_u32 s0, s0, s44
	s_addc_u32 s40, 0, s43
	s_add_u32 s0, s0, s42
	s_mul_hi_u32 s8, s9, s39
	s_addc_u32 s0, s40, s41
	s_addc_u32 s8, s8, 0
	s_mul_i32 s39, s9, s39
	s_add_u32 s0, s0, s39
	s_addc_u32 s8, 0, s8
	v_add_co_u32_e32 v2, vcc, s0, v2
	s_cmp_lg_u64 vcc, 0
	s_addc_u32 s0, s9, s8
	s_ashr_i32 s8, s1, 31
	s_add_u32 s40, s38, s8
	s_mov_b32 s9, s8
	s_addc_u32 s41, s1, s8
	s_xor_b64 s[40:41], s[40:41], s[8:9]
	v_readfirstlane_b32 s42, v2
	s_mul_i32 s39, s40, s0
	s_mul_hi_u32 s43, s40, s42
	s_mul_hi_u32 s9, s40, s0
	s_add_u32 s39, s43, s39
	s_addc_u32 s9, 0, s9
	s_mul_hi_u32 s44, s41, s42
	s_mul_i32 s42, s41, s42
	s_add_u32 s39, s39, s42
	s_mul_hi_u32 s43, s41, s0
	s_addc_u32 s9, s9, s44
	s_addc_u32 s39, s43, 0
	s_mul_i32 s0, s41, s0
	s_add_u32 s0, s9, s0
	s_addc_u32 s9, 0, s39
	s_mul_hi_u32 s39, s33, s0
	s_mul_i32 s0, s33, s0
	s_mul_i32 s9, s33, s9
	v_mov_b32_e32 v2, s0
	s_add_i32 s39, s39, s9
	v_sub_co_u32_e32 v2, vcc, s40, v2
	s_cmp_lg_u64 vcc, 0
	s_subb_u32 s0, s41, s39
	v_subrev_co_u32_e32 v3, vcc, s33, v2
	s_cmp_lg_u64 vcc, 0
	s_subb_u32 s9, s0, 0
	v_subrev_co_u32_e32 v4, vcc, s33, v3
	s_cmp_lg_u64 vcc, 0
	s_subb_u32 s39, s9, 0
	v_cmp_le_u32_e32 vcc, s33, v3
	s_cmp_eq_u32 s9, 0
	v_cndmask_b32_e64 v5, 0, -1, vcc
	s_cselect_b64 vcc, -1, 0
	v_cndmask_b32_e32 v5, -1, v5, vcc
	v_mov_b32_e32 v6, s9
	v_mov_b32_e32 v7, s39
	v_cmp_ne_u32_e32 vcc, 0, v5
	v_cndmask_b32_e32 v5, v6, v7, vcc
	v_cndmask_b32_e32 v3, v3, v4, vcc
	v_cmp_le_u32_e32 vcc, s33, v2
	s_cmp_eq_u32 s0, 0
	v_cndmask_b32_e64 v4, 0, -1, vcc
	s_cselect_b64 vcc, -1, 0
	v_cndmask_b32_e32 v4, -1, v4, vcc
	v_cmp_ne_u32_e32 vcc, 0, v4
	v_mov_b32_e32 v6, s0
	v_cndmask_b32_e32 v2, v2, v3, vcc
	v_cndmask_b32_e32 v4, v6, v5, vcc
	v_xor_b32_e32 v2, s8, v2
	v_xor_b32_e32 v3, s8, v4
	v_mov_b32_e32 v4, s8
	v_subrev_co_u32_e32 v2, vcc, s8, v2
	v_subb_co_u32_e32 v3, vcc, v3, v4, vcc
	s_cbranch_execnz .LBB14_269
.LBB14_268:                             ;   in Loop: Header=BB14_34 Depth=1
	v_cvt_f32_u32_e32 v2, s33
	s_sub_i32 s0, 0, s33
	v_rcp_iflag_f32_e32 v2, v2
	v_mul_f32_e32 v2, 0x4f7ffffe, v2
	v_cvt_u32_f32_e32 v2, v2
	v_mul_lo_u32 v3, s0, v2
	v_mul_hi_u32 v3, v2, v3
	v_add_u32_e32 v2, v2, v3
	v_mul_hi_u32 v2, s38, v2
	v_mul_lo_u32 v2, v2, s33
	v_sub_u32_e32 v2, s38, v2
	v_subrev_u32_e32 v3, s33, v2
	v_cmp_le_u32_e32 vcc, s33, v2
	v_cndmask_b32_e32 v2, v2, v3, vcc
	v_subrev_u32_e32 v3, s33, v2
	v_cmp_le_u32_e32 vcc, s33, v2
	v_cndmask_b32_e32 v12, v2, v3, vcc
	v_pk_mov_b32 v[2:3], v[12:13], v[12:13] op_sel:[0,1]
.LBB14_269:                             ;   in Loop: Header=BB14_34 Depth=1
	v_mov_b32_e32 v4, s1
	v_sub_co_u32_e32 v2, vcc, s38, v2
	v_subb_co_u32_e32 v3, vcc, v4, v3, vcc
	v_cmp_gt_i64_e32 vcc, v[2:3], v[0:1]
	s_mov_b64 s[40:41], 0
                                        ; implicit-def: $vgpr43
	s_and_saveexec_b64 s[0:1], vcc
	s_cbranch_execz .LBB14_278
; %bb.270:                              ;   in Loop: Header=BB14_34 Depth=1
	s_mov_b64 s[8:9], 0
	v_mov_b32_e32 v6, v0
	v_pk_mov_b32 v[4:5], v[0:1], v[0:1] op_sel:[0,1]
                                        ; implicit-def: $sgpr38_sgpr39
	s_branch .LBB14_272
.LBB14_271:                             ;   in Loop: Header=BB14_272 Depth=2
	s_or_b64 exec, exec, s[40:41]
	s_waitcnt lgkmcnt(0)
	s_barrier
	ds_read_u16 v7, v13 offset:3072
	v_mov_b32_e32 v8, s94
	v_add_co_u32_e32 v4, vcc, s33, v4
	v_addc_co_u32_e32 v5, vcc, v5, v8, vcc
	s_waitcnt lgkmcnt(0)
	v_cmp_ne_u16_sdwa s[40:41], v7, v13 src0_sel:BYTE_0 src1_sel:DWORD
	v_cmp_ge_i64_e32 vcc, v[4:5], v[2:3]
	s_or_b64 s[42:43], s[40:41], vcc
	s_and_b64 s[42:43], exec, s[42:43]
	s_or_b64 s[8:9], s[42:43], s[8:9]
	s_andn2_b64 s[38:39], s[38:39], exec
	s_and_b64 s[40:41], s[40:41], exec
	v_add_u32_e32 v6, s33, v6
	s_or_b64 s[38:39], s[38:39], s[40:41]
	s_barrier
	s_andn2_b64 exec, exec, s[8:9]
	s_cbranch_execz .LBB14_277
.LBB14_272:                             ;   Parent Loop BB14_34 Depth=1
                                        ; =>  This Inner Loop Header: Depth=2
	v_cmp_gt_i64_e32 vcc, s[36:37], v[4:5]
	v_mov_b32_e32 v7, 0
	s_and_saveexec_b64 s[40:41], vcc
	s_cbranch_execz .LBB14_274
; %bb.273:                              ;   in Loop: Header=BB14_272 Depth=2
	ds_read_u8 v7, v6
.LBB14_274:                             ;   in Loop: Header=BB14_272 Depth=2
	s_or_b64 exec, exec, s[40:41]
	s_and_saveexec_b64 s[40:41], vcc
	s_cbranch_execz .LBB14_271
; %bb.275:                              ;   in Loop: Header=BB14_272 Depth=2
	s_waitcnt lgkmcnt(0)
	v_add_u32_sdwa v8, sext(v7), s26 dst_sel:DWORD dst_unused:UNUSED_PAD src0_sel:BYTE_0 src1_sel:DWORD
	v_and_b32_e32 v8, s74, v8
	v_cmp_eq_u32_e32 vcc, s75, v8
	s_and_b64 exec, exec, vcc
	s_cbranch_execz .LBB14_271
; %bb.276:                              ;   in Loop: Header=BB14_272 Depth=2
	v_lshlrev_b16_e32 v7, 8, v7
	v_or_b32_e32 v7, 1, v7
	ds_write_b16 v13, v7 offset:3072
	s_branch .LBB14_271
.LBB14_277:                             ;   in Loop: Header=BB14_34 Depth=1
	s_or_b64 exec, exec, s[8:9]
	v_lshrrev_b16_e32 v43, 8, v7
	s_and_b64 s[40:41], s[38:39], exec
.LBB14_278:                             ;   in Loop: Header=BB14_34 Depth=1
	s_or_b64 exec, exec, s[0:1]
	s_mov_b64 s[38:39], -1
	s_mov_b64 s[0:1], 0
	s_mov_b64 s[8:9], 0
.LBB14_279:                             ;   in Loop: Header=BB14_34 Depth=1
	s_mov_b64 s[42:43], 0
                                        ; implicit-def: $sgpr47
                                        ; implicit-def: $sgpr44_sgpr45
	s_and_saveexec_b64 s[36:37], s[40:41]
	s_cbranch_execz .LBB14_292
; %bb.280:                              ;   in Loop: Header=BB14_34 Depth=1
	s_xor_b64 s[14:15], s[14:15], -1
	s_mov_b64 s[44:45], 1
	s_andn2_b64 vcc, exec, s[14:15]
	s_mov_b32 s47, 1
	s_cbranch_vccnz .LBB14_291
; %bb.281:                              ;   in Loop: Header=BB14_34 Depth=1
	v_pk_mov_b32 v[2:3], s[6:7], s[6:7] op_sel:[0,1]
	v_cmp_gt_i64_e32 vcc, s[54:55], v[2:3]
	s_cbranch_vccnz .LBB14_287
; %bb.282:                              ;   in Loop: Header=BB14_34 Depth=1
	ds_read_b64 v[2:3], v13 offset:5120
	s_waitcnt lgkmcnt(0)
	v_cmp_ne_u64_e32 vcc, 0, v[2:3]
	s_cbranch_vccnz .LBB14_286
; %bb.283:                              ;   in Loop: Header=BB14_34 Depth=1
	s_mov_b64 s[14:15], exec
	v_readlane_b32 s40, v48, 32
	v_readlane_b32 s41, v48, 33
	s_and_b64 s[40:41], s[14:15], s[40:41]
	s_mov_b64 exec, s[40:41]
	s_cbranch_execz .LBB14_285
; %bb.284:                              ;   in Loop: Header=BB14_34 Depth=1
	v_pk_mov_b32 v[2:3], s[6:7], s[6:7] op_sel:[0,1]
	ds_write_b64 v13, v[2:3] offset:5128
.LBB14_285:                             ;   in Loop: Header=BB14_34 Depth=1
	s_or_b64 exec, exec, s[14:15]
	s_waitcnt lgkmcnt(0)
	s_barrier
.LBB14_286:                             ;   in Loop: Header=BB14_34 Depth=1
	s_or_b32 s40, s75, s46
	s_or_b32 s41, s74, s46
	s_mov_b64 s[14:15], 0
	s_mov_b32 s47, 8
	s_branch .LBB14_288
.LBB14_287:                             ;   in Loop: Header=BB14_34 Depth=1
	s_mov_b64 s[14:15], -1
                                        ; implicit-def: $sgpr47
                                        ; implicit-def: $sgpr40
                                        ; implicit-def: $sgpr41
.LBB14_288:                             ;   in Loop: Header=BB14_34 Depth=1
	s_andn2_b64 vcc, exec, s[14:15]
	s_cbranch_vccnz .LBB14_290
; %bb.289:                              ;   in Loop: Header=BB14_34 Depth=1
	s_sub_u32 s54, s54, s6
	s_subb_u32 s55, s55, s7
	s_mov_b32 s47, 8
	s_mov_b32 s40, s75
	;; [unrolled: 1-line block ×3, first 2 shown]
.LBB14_290:                             ;   in Loop: Header=BB14_34 Depth=1
	s_mov_b64 s[44:45], s[54:55]
	s_mov_b32 s75, s40
	s_mov_b32 s74, s41
.LBB14_291:                             ;   in Loop: Header=BB14_34 Depth=1
	s_mov_b64 s[42:43], exec
.LBB14_292:                             ;   in Loop: Header=BB14_34 Depth=1
	s_or_b64 exec, exec, s[36:37]
	s_mov_b64 s[54:55], s[44:45]
.LBB14_293:                             ;   in Loop: Header=BB14_34 Depth=1
	s_andn2_b64 s[6:7], s[24:25], exec
	s_and_b64 s[0:1], s[0:1], exec
	s_or_b64 s[24:25], s[6:7], s[0:1]
	s_andn2_b64 s[0:1], s[30:31], exec
	s_and_b64 s[6:7], s[38:39], exec
	s_or_b64 s[30:31], s[0:1], s[6:7]
	;; [unrolled: 3-line block ×3, first 2 shown]
	s_and_b64 s[8:9], s[42:43], exec
.LBB14_294:                             ;   in Loop: Header=BB14_34 Depth=1
	s_or_b64 exec, exec, s[34:35]
.LBB14_295:                             ;   in Loop: Header=BB14_34 Depth=1
	s_andn2_b64 s[0:1], s[18:19], exec
	s_and_b64 s[6:7], s[24:25], exec
	s_or_b64 s[18:19], s[0:1], s[6:7]
	s_andn2_b64 s[0:1], s[20:21], exec
	s_and_b64 s[6:7], s[30:31], exec
	s_or_b64 s[20:21], s[0:1], s[6:7]
	;; [unrolled: 3-line block ×3, first 2 shown]
	s_and_b64 s[8:9], s[8:9], exec
.LBB14_296:                             ;   in Loop: Header=BB14_34 Depth=1
	s_or_b64 exec, exec, s[22:23]
	s_and_saveexec_b64 s[0:1], s[8:9]
	s_xor_b64 s[0:1], exec, s[0:1]
	s_cbranch_execz .LBB14_32
.LBB14_297:                             ;   in Loop: Header=BB14_34 Depth=1
	s_and_b32 s6, s47, -9
	s_cmp_eq_u32 s6, 0
	s_cbranch_scc1 .LBB14_30
; %bb.298:                              ;   in Loop: Header=BB14_34 Depth=1
	s_mov_b64 s[6:7], -1
                                        ; implicit-def: $sgpr74
                                        ; implicit-def: $sgpr3
                                        ; implicit-def: $sgpr27
	s_mov_b64 s[8:9], -1
	s_branch .LBB14_31
.LBB14_299:                             ;   in Loop: Header=BB14_34 Depth=1
                                        ; implicit-def: $vgpr2_vgpr3
	s_branch .LBB14_251
.LBB14_300:                             ;   in Loop: Header=BB14_34 Depth=1
                                        ; implicit-def: $vgpr2_vgpr3
	s_branch .LBB14_268
.LBB14_301:
	s_or_b64 exec, exec, s[78:79]
	s_xor_b64 s[8:9], s[62:63], -1
	s_xor_b64 s[0:1], s[82:83], -1
	;; [unrolled: 1-line block ×3, first 2 shown]
	s_mov_b64 s[4:5], 0
	s_and_saveexec_b64 s[2:3], s[0:1]
	s_xor_b64 s[0:1], exec, s[2:3]
	s_cbranch_execnz .LBB14_306
; %bb.302:
	s_andn2_saveexec_b64 s[0:1], s[0:1]
	s_cbranch_execnz .LBB14_328
.LBB14_303:
	s_or_b64 exec, exec, s[0:1]
	s_and_saveexec_b64 s[0:1], s[4:5]
.LBB14_304:
	; divergent unreachable
.LBB14_305:
	s_endpgm
.LBB14_306:
	s_and_saveexec_b64 s[2:3], s[8:9]
	s_xor_b64 s[4:5], exec, s[2:3]
	s_cbranch_execz .LBB14_326
; %bb.307:
	s_and_saveexec_b64 s[2:3], s[6:7]
	s_xor_b64 s[6:7], exec, s[2:3]
; %bb.308:
	v_xor_b32_e32 v43, 0xffffff80, v2
; %bb.309:
	s_or_b64 exec, exec, s[6:7]
	s_mov_b64 s[6:7], exec
	v_readlane_b32 s2, v48, 32
	v_readlane_b32 s3, v48, 33
	;; [unrolled: 1-line block ×3, first 2 shown]
	s_and_b64 s[2:3], s[6:7], s[2:3]
	v_readlane_b32 s24, v48, 34
	v_readlane_b32 s27, v48, 27
	;; [unrolled: 1-line block ×3, first 2 shown]
	s_mov_b64 exec, s[2:3]
	s_cbranch_execz .LBB14_311
; %bb.310:
	v_mov_b32_e32 v2, 0
	v_mov_b32_e32 v3, s52
	ds_write_b32 v2, v3 offset:5140
.LBB14_311:
	s_or_b64 exec, exec, s[6:7]
	s_waitcnt lgkmcnt(0)
	s_barrier
	s_mov_b64 s[6:7], exec
	v_readlane_b32 s2, v48, 42
	v_readlane_b32 s3, v48, 43
	s_and_b64 s[2:3], s[6:7], s[2:3]
	s_mov_b64 exec, s[2:3]
	s_cbranch_execz .LBB14_323
; %bb.312:
	v_mov_b32_e32 v2, 0
	ds_read_b32 v4, v2 offset:5140
	s_mov_b64 s[2:3], 0
                                        ; implicit-def: $sgpr8_sgpr9
                                        ; implicit-def: $sgpr10_sgpr11
                                        ; implicit-def: $sgpr12_sgpr13
	s_waitcnt lgkmcnt(0)
	v_ashrrev_i32_e32 v5, 31, v4
	s_branch .LBB14_315
.LBB14_313:                             ;   in Loop: Header=BB14_315 Depth=1
	s_or_b64 exec, exec, s[18:19]
	s_andn2_b64 s[12:13], s[12:13], exec
	s_and_b64 s[16:17], s[16:17], exec
	s_or_b64 s[12:13], s[12:13], s[16:17]
	s_andn2_b64 s[10:11], s[10:11], exec
	s_and_b64 s[16:17], s[20:21], exec
	s_or_b64 s[10:11], s[10:11], s[16:17]
.LBB14_314:                             ;   in Loop: Header=BB14_315 Depth=1
	s_or_b64 exec, exec, s[14:15]
	s_and_b64 s[14:15], exec, s[10:11]
	s_or_b64 s[2:3], s[14:15], s[2:3]
	s_andn2_b64 s[8:9], s[8:9], exec
	s_and_b64 s[14:15], s[12:13], exec
	s_or_b64 s[8:9], s[8:9], s[14:15]
	s_andn2_b64 exec, exec, s[2:3]
	s_cbranch_execz .LBB14_318
.LBB14_315:                             ; =>This Inner Loop Header: Depth=1
	v_pk_mov_b32 v[2:3], v[0:1], v[0:1] op_sel:[0,1]
	v_cmp_lt_i64_e32 vcc, v[2:3], v[4:5]
	s_or_b64 s[12:13], s[12:13], exec
	s_or_b64 s[10:11], s[10:11], exec
                                        ; implicit-def: $vgpr0_vgpr1
	s_and_saveexec_b64 s[14:15], vcc
	s_cbranch_execz .LBB14_314
; %bb.316:                              ;   in Loop: Header=BB14_315 Depth=1
	global_load_ubyte v0, v[10:11], off
	s_mov_b64 s[20:21], -1
	s_mov_b64 s[16:17], 0
	s_waitcnt vmcnt(0)
	v_cmp_ne_u16_sdwa s[22:23], v0, v43 src0_sel:DWORD src1_sel:BYTE_0
                                        ; implicit-def: $vgpr0_vgpr1
	s_and_saveexec_b64 s[18:19], s[22:23]
	s_cbranch_execz .LBB14_313
; %bb.317:                              ;   in Loop: Header=BB14_315 Depth=1
	v_mov_b32_e32 v1, s94
	v_add_co_u32_e32 v0, vcc, s33, v2
	v_addc_co_u32_e32 v1, vcc, v3, v1, vcc
	v_mov_b32_e32 v3, s95
	v_add_co_u32_e32 v10, vcc, s72, v10
	v_addc_co_u32_e32 v11, vcc, v11, v3, vcc
	v_cmp_le_i64_e32 vcc, s[52:53], v[0:1]
	s_mov_b64 s[16:17], exec
	s_orn2_b64 s[20:21], vcc, exec
	s_branch .LBB14_313
.LBB14_318:
	s_or_b64 exec, exec, s[2:3]
	s_xor_b64 s[2:3], s[8:9], -1
	s_and_saveexec_b64 s[8:9], s[2:3]
	s_xor_b64 s[8:9], exec, s[8:9]
	s_cbranch_execz .LBB14_323
; %bb.319:
	s_mov_b64 s[2:3], exec
	s_brev_b32 s8, -2
.LBB14_320:                             ; =>This Inner Loop Header: Depth=1
	s_ff1_i32_b64 s9, s[2:3]
	v_readlane_b32 s12, v2, s9
	s_lshl_b64 s[10:11], 1, s9
	s_min_i32 s8, s8, s12
	s_andn2_b64 s[2:3], s[2:3], s[10:11]
	s_cmp_lg_u64 s[2:3], 0
	s_cbranch_scc1 .LBB14_320
; %bb.321:
	v_mbcnt_lo_u32_b32 v0, exec_lo, 0
	v_mbcnt_hi_u32_b32 v0, exec_hi, v0
	v_cmp_eq_u32_e32 vcc, 0, v0
	s_and_saveexec_b64 s[2:3], vcc
	s_xor_b64 s[2:3], exec, s[2:3]
	s_cbranch_execz .LBB14_323
; %bb.322:
	v_mov_b32_e32 v0, 0
	v_mov_b32_e32 v1, s8
	ds_min_i32 v0, v1 offset:5140
.LBB14_323:
	s_or_b64 exec, exec, s[6:7]
	s_waitcnt lgkmcnt(0)
	s_barrier
	s_mov_b64 s[2:3], exec
	v_readlane_b32 s6, v48, 32
	v_readlane_b32 s7, v48, 33
	s_and_b64 s[6:7], s[2:3], s[6:7]
	s_mov_b64 exec, s[6:7]
	s_cbranch_execz .LBB14_325
; %bb.324:
	v_readlane_b32 s20, v48, 6
	v_readlane_b32 s22, v48, 8
	;; [unrolled: 1-line block ×3, first 2 shown]
	s_mul_i32 s6, s26, s23
	s_mul_hi_u32 s7, s26, s22
	s_add_i32 s6, s7, s6
	s_mul_i32 s7, s27, s22
	s_add_i32 s6, s6, s7
	s_mul_i32 s7, s26, s22
	v_readlane_b32 s10, v48, 12
	s_sub_u32 s8, s24, s7
	v_readlane_b32 s11, v48, 13
	s_subb_u32 s6, 0, s6
	s_mul_i32 s7, s8, s11
	s_mul_hi_u32 s9, s8, s10
	v_readlane_b32 s16, v48, 0
	s_add_i32 s7, s9, s7
	s_mul_i32 s6, s6, s10
	v_readlane_b32 s17, v48, 1
	v_readlane_b32 s22, v48, 10
	s_add_i32 s7, s7, s6
	s_mul_i32 s6, s8, s10
	v_readlane_b32 s23, v48, 11
	s_mul_i32 s8, s22, s17
	s_mul_hi_u32 s9, s22, s16
	s_add_i32 s8, s9, s8
	s_mul_i32 s9, s23, s16
	s_add_i32 s8, s8, s9
	s_mul_i32 s9, s22, s16
	v_readlane_b32 s16, v48, 4
	v_readlane_b32 s28, v48, 20
	;; [unrolled: 1-line block ×3, first 2 shown]
	s_sub_u32 s9, s16, s9
	v_readlane_b32 s30, v48, 22
	v_readlane_b32 s31, v48, 23
	s_subb_u32 s8, s17, s8
	s_mul_i32 s10, s9, s31
	s_mul_hi_u32 s11, s9, s30
	v_readlane_b32 s29, v48, 21
	s_add_i32 s10, s11, s10
	s_mul_i32 s8, s8, s30
	s_add_i32 s12, s10, s8
	s_mul_i32 s13, s9, s30
	s_mul_i32 s8, s22, s29
	s_mul_hi_u32 s9, s22, s28
	v_readlane_b32 s18, v48, 2
	v_readlane_b32 s19, v48, 3
	s_add_i32 s8, s9, s8
	s_mul_i32 s9, s23, s28
	s_add_i32 s14, s8, s9
	s_mul_i32 s8, s16, s19
	s_mul_hi_u32 s9, s16, s18
	s_add_i32 s8, s9, s8
	s_mul_i32 s9, s17, s18
	s_add_i32 s8, s8, s9
	s_mul_i32 s9, s16, s18
	v_readlane_b32 s18, v48, 18
	s_sub_u32 s9, s24, s9
	v_readlane_b32 s19, v48, 19
	s_subb_u32 s8, 0, s8
	s_mul_i32 s10, s9, s19
	s_mul_hi_u32 s11, s9, s18
	v_readlane_b32 s21, v48, 7
	s_add_i32 s10, s11, s10
	s_mul_i32 s8, s8, s18
	s_mul_i32 s17, s9, s18
	v_readlane_b32 s18, v48, 24
	s_add_i32 s16, s10, s8
	v_readlane_b32 s19, v48, 25
	s_mul_i32 s8, s18, s21
	s_mul_hi_u32 s9, s18, s20
	s_add_i32 s8, s9, s8
	s_mul_i32 s9, s19, s20
	s_mul_i32 s15, s22, s28
	s_add_i32 s8, s8, s9
	s_mul_i32 s9, s18, s20
	v_readlane_b32 s20, v48, 14
	s_sub_u32 s10, s26, s9
	v_readlane_b32 s22, v48, 16
	v_readlane_b32 s23, v48, 17
	s_subb_u32 s8, s27, s8
	s_mul_i32 s9, s10, s23
	s_mul_hi_u32 s11, s10, s22
	v_readlane_b32 s21, v48, 15
	s_add_i32 s9, s11, s9
	s_mul_i32 s8, s8, s22
	s_add_i32 s9, s9, s8
	s_mul_i32 s8, s10, s22
	s_mul_i32 s10, s18, s21
	s_mul_hi_u32 s11, s18, s20
	s_add_i32 s10, s11, s10
	s_mul_i32 s11, s19, s20
	s_add_i32 s11, s10, s11
	s_mul_i32 s10, s18, s20
	v_readlane_b32 s18, v48, 30
	v_readlane_b32 s19, v48, 31
	s_add_u32 s15, s18, s15
	s_addc_u32 s14, s19, s14
	s_add_u32 s13, s15, s13
	s_addc_u32 s14, s14, s12
	;; [unrolled: 2-line block ×3, first 2 shown]
	s_lshl_b64 s[10:11], s[10:11], 3
	v_readlane_b32 s14, v48, 28
	v_mov_b32_e32 v2, 0
	v_readlane_b32 s15, v48, 29
	s_add_u32 s10, s14, s10
	ds_read_b32 v0, v2 offset:5140
	s_addc_u32 s11, s15, s11
	s_lshl_b64 s[8:9], s[8:9], 3
	s_add_u32 s8, s10, s8
	s_addc_u32 s9, s11, s9
	s_lshl_b64 s[6:7], s[6:7], 3
	s_add_u32 s6, s8, s6
	s_addc_u32 s7, s9, s7
	s_waitcnt lgkmcnt(0)
	v_ashrrev_i32_e32 v1, 31, v0
	global_store_dwordx2 v2, v[0:1], s[6:7]
	global_store_byte v2, v43, s[12:13]
.LBB14_325:
	s_or_b64 exec, exec, s[2:3]
.LBB14_326:
	s_or_saveexec_b64 s[2:3], s[4:5]
	s_mov_b64 s[4:5], 0
	s_xor_b64 exec, exec, s[2:3]
	s_cbranch_execnz .LBB14_329
.LBB14_327:
	s_or_b64 exec, exec, s[2:3]
	s_and_b64 s[4:5], s[4:5], exec
	s_andn2_saveexec_b64 s[0:1], s[0:1]
	s_cbranch_execz .LBB14_303
.LBB14_328:
	s_or_b64 s[4:5], s[4:5], exec
	s_trap 2
	s_or_b64 exec, exec, s[0:1]
	s_and_saveexec_b64 s[0:1], s[4:5]
	s_cbranch_execnz .LBB14_304
	s_branch .LBB14_305
.LBB14_329:
	s_mov_b64 s[4:5], exec
	s_trap 2
	s_branch .LBB14_327
	.section	.rodata,"a",@progbits
	.p2align	6, 0x0
	.amdhsa_kernel _ZN2at6native12_GLOBAL__N_114gatherKthValueIalLi3EEEvNS_4cuda6detail10TensorInfoIKT_T0_EES8_S8_S8_S8_NS5_IS6_S8_EENS5_IlS8_EE
		.amdhsa_group_segment_fixed_size 5144
		.amdhsa_private_segment_fixed_size 0
		.amdhsa_kernarg_size 1536
		.amdhsa_user_sgpr_count 6
		.amdhsa_user_sgpr_private_segment_buffer 1
		.amdhsa_user_sgpr_dispatch_ptr 0
		.amdhsa_user_sgpr_queue_ptr 0
		.amdhsa_user_sgpr_kernarg_segment_ptr 1
		.amdhsa_user_sgpr_dispatch_id 0
		.amdhsa_user_sgpr_flat_scratch_init 0
		.amdhsa_user_sgpr_kernarg_preload_length 0
		.amdhsa_user_sgpr_kernarg_preload_offset 0
		.amdhsa_user_sgpr_private_segment_size 0
		.amdhsa_uses_dynamic_stack 0
		.amdhsa_system_sgpr_private_segment_wavefront_offset 0
		.amdhsa_system_sgpr_workgroup_id_x 1
		.amdhsa_system_sgpr_workgroup_id_y 1
		.amdhsa_system_sgpr_workgroup_id_z 1
		.amdhsa_system_sgpr_workgroup_info 0
		.amdhsa_system_vgpr_workitem_id 0
		.amdhsa_next_free_vgpr 49
		.amdhsa_next_free_sgpr 96
		.amdhsa_accum_offset 52
		.amdhsa_reserve_vcc 1
		.amdhsa_reserve_flat_scratch 0
		.amdhsa_float_round_mode_32 0
		.amdhsa_float_round_mode_16_64 0
		.amdhsa_float_denorm_mode_32 3
		.amdhsa_float_denorm_mode_16_64 3
		.amdhsa_dx10_clamp 1
		.amdhsa_ieee_mode 1
		.amdhsa_fp16_overflow 0
		.amdhsa_tg_split 0
		.amdhsa_exception_fp_ieee_invalid_op 0
		.amdhsa_exception_fp_denorm_src 0
		.amdhsa_exception_fp_ieee_div_zero 0
		.amdhsa_exception_fp_ieee_overflow 0
		.amdhsa_exception_fp_ieee_underflow 0
		.amdhsa_exception_fp_ieee_inexact 0
		.amdhsa_exception_int_div_zero 0
	.end_amdhsa_kernel
	.section	.text._ZN2at6native12_GLOBAL__N_114gatherKthValueIalLi3EEEvNS_4cuda6detail10TensorInfoIKT_T0_EES8_S8_S8_S8_NS5_IS6_S8_EENS5_IlS8_EE,"axG",@progbits,_ZN2at6native12_GLOBAL__N_114gatherKthValueIalLi3EEEvNS_4cuda6detail10TensorInfoIKT_T0_EES8_S8_S8_S8_NS5_IS6_S8_EENS5_IlS8_EE,comdat
.Lfunc_end14:
	.size	_ZN2at6native12_GLOBAL__N_114gatherKthValueIalLi3EEEvNS_4cuda6detail10TensorInfoIKT_T0_EES8_S8_S8_S8_NS5_IS6_S8_EENS5_IlS8_EE, .Lfunc_end14-_ZN2at6native12_GLOBAL__N_114gatherKthValueIalLi3EEEvNS_4cuda6detail10TensorInfoIKT_T0_EES8_S8_S8_S8_NS5_IS6_S8_EENS5_IlS8_EE
                                        ; -- End function
	.section	.AMDGPU.csdata,"",@progbits
; Kernel info:
; codeLenInByte = 20592
; NumSgprs: 100
; NumVgprs: 49
; NumAgprs: 0
; TotalNumVgprs: 49
; ScratchSize: 0
; MemoryBound: 0
; FloatMode: 240
; IeeeMode: 1
; LDSByteSize: 5144 bytes/workgroup (compile time only)
; SGPRBlocks: 12
; VGPRBlocks: 6
; NumSGPRsForWavesPerEU: 100
; NumVGPRsForWavesPerEU: 49
; AccumOffset: 52
; Occupancy: 8
; WaveLimiterHint : 1
; COMPUTE_PGM_RSRC2:SCRATCH_EN: 0
; COMPUTE_PGM_RSRC2:USER_SGPR: 6
; COMPUTE_PGM_RSRC2:TRAP_HANDLER: 0
; COMPUTE_PGM_RSRC2:TGID_X_EN: 1
; COMPUTE_PGM_RSRC2:TGID_Y_EN: 1
; COMPUTE_PGM_RSRC2:TGID_Z_EN: 1
; COMPUTE_PGM_RSRC2:TIDIG_COMP_CNT: 0
; COMPUTE_PGM_RSRC3_GFX90A:ACCUM_OFFSET: 12
; COMPUTE_PGM_RSRC3_GFX90A:TG_SPLIT: 0
	.section	.text._ZN2at6native12_GLOBAL__N_114gatherKthValueIalLin1EEEvNS_4cuda6detail10TensorInfoIKT_T0_EES8_S8_S8_S8_NS5_IS6_S8_EENS5_IlS8_EE,"axG",@progbits,_ZN2at6native12_GLOBAL__N_114gatherKthValueIalLin1EEEvNS_4cuda6detail10TensorInfoIKT_T0_EES8_S8_S8_S8_NS5_IS6_S8_EENS5_IlS8_EE,comdat
	.globl	_ZN2at6native12_GLOBAL__N_114gatherKthValueIalLin1EEEvNS_4cuda6detail10TensorInfoIKT_T0_EES8_S8_S8_S8_NS5_IS6_S8_EENS5_IlS8_EE ; -- Begin function _ZN2at6native12_GLOBAL__N_114gatherKthValueIalLin1EEEvNS_4cuda6detail10TensorInfoIKT_T0_EES8_S8_S8_S8_NS5_IS6_S8_EENS5_IlS8_EE
	.p2align	8
	.type	_ZN2at6native12_GLOBAL__N_114gatherKthValueIalLin1EEEvNS_4cuda6detail10TensorInfoIKT_T0_EES8_S8_S8_S8_NS5_IS6_S8_EENS5_IlS8_EE,@function
_ZN2at6native12_GLOBAL__N_114gatherKthValueIalLin1EEEvNS_4cuda6detail10TensorInfoIKT_T0_EES8_S8_S8_S8_NS5_IS6_S8_EENS5_IlS8_EE: ; @_ZN2at6native12_GLOBAL__N_114gatherKthValueIalLin1EEEvNS_4cuda6detail10TensorInfoIKT_T0_EES8_S8_S8_S8_NS5_IS6_S8_EENS5_IlS8_EE
; %bb.0:
	s_load_dwordx8 s[52:59], s[4:5], 0x1a0
	s_load_dwordx2 s[12:13], s[4:5], 0x500
	s_add_u32 s10, s4, 0x500
	s_addc_u32 s11, s5, 0
	s_mov_b32 s3, 0
	s_waitcnt lgkmcnt(0)
	v_mov_b32_e32 v2, s56
	s_mul_i32 s0, s13, s8
	s_add_i32 s0, s0, s7
	s_mul_i32 s0, s0, s12
	v_mov_b32_e32 v3, s57
	s_add_i32 s2, s0, s6
	v_cmp_ge_i64_e32 vcc, s[2:3], v[2:3]
	s_cbranch_vccnz .LBB15_304
; %bb.1:
	s_load_dword s0, s[4:5], 0x198
	s_mov_b64 s[14:15], 0
	s_mov_b64 s[8:9], s[2:3]
	s_waitcnt lgkmcnt(0)
	s_cmp_lt_i32 s0, 2
	s_cbranch_scc1 .LBB15_9
; %bb.2:
	s_mov_b32 s16, 0
	s_add_i32 s7, s0, 1
	s_add_i32 s0, s0, -1
	s_mov_b32 s1, s16
	s_lshl_b64 s[0:1], s[0:1], 3
	s_add_u32 s0, s0, s4
	s_addc_u32 s1, s1, s5
	s_add_u32 s18, s0, 8
	s_addc_u32 s19, s1, 0
	s_mov_b64 s[20:21], s[2:3]
.LBB15_3:                               ; =>This Inner Loop Header: Depth=1
	s_load_dwordx2 s[22:23], s[18:19], 0x0
	s_waitcnt lgkmcnt(0)
	s_or_b64 s[0:1], s[20:21], s[22:23]
	s_mov_b32 s17, s1
	s_cmp_lg_u64 s[16:17], 0
	s_cbranch_scc0 .LBB15_8
; %bb.4:                                ;   in Loop: Header=BB15_3 Depth=1
	s_ashr_i32 s8, s23, 31
	s_add_u32 s0, s22, s8
	s_mov_b32 s9, s8
	s_addc_u32 s1, s23, s8
	s_xor_b64 s[24:25], s[0:1], s[8:9]
	v_cvt_f32_u32_e32 v1, s24
	v_cvt_f32_u32_e32 v2, s25
	s_sub_u32 s0, 0, s24
	s_subb_u32 s1, 0, s25
	v_mac_f32_e32 v1, 0x4f800000, v2
	v_rcp_f32_e32 v1, v1
	v_mul_f32_e32 v1, 0x5f7ffffc, v1
	v_mul_f32_e32 v2, 0x2f800000, v1
	v_trunc_f32_e32 v2, v2
	v_mac_f32_e32 v1, 0xcf800000, v2
	v_cvt_u32_f32_e32 v2, v2
	v_cvt_u32_f32_e32 v1, v1
	v_readfirstlane_b32 s13, v2
	v_readfirstlane_b32 s17, v1
	s_mul_i32 s26, s0, s13
	s_mul_hi_u32 s28, s0, s17
	s_mul_i32 s27, s1, s17
	s_add_i32 s26, s28, s26
	s_add_i32 s26, s26, s27
	s_mul_i32 s29, s0, s17
	s_mul_hi_u32 s27, s17, s26
	s_mul_i32 s28, s17, s26
	s_mul_hi_u32 s17, s17, s29
	s_add_u32 s17, s17, s28
	s_addc_u32 s27, 0, s27
	s_mul_hi_u32 s30, s13, s29
	s_mul_i32 s29, s13, s29
	s_add_u32 s17, s17, s29
	s_mul_hi_u32 s28, s13, s26
	s_addc_u32 s17, s27, s30
	s_addc_u32 s27, s28, 0
	s_mul_i32 s26, s13, s26
	s_add_u32 s17, s17, s26
	s_addc_u32 s26, 0, s27
	v_add_co_u32_e32 v1, vcc, s17, v1
	s_cmp_lg_u64 vcc, 0
	s_addc_u32 s13, s13, s26
	v_readfirstlane_b32 s26, v1
	s_mul_i32 s17, s0, s13
	s_mul_hi_u32 s27, s0, s26
	s_add_i32 s17, s27, s17
	s_mul_i32 s1, s1, s26
	s_add_i32 s17, s17, s1
	s_mul_i32 s0, s0, s26
	s_mul_hi_u32 s27, s13, s0
	s_mul_i32 s28, s13, s0
	s_mul_i32 s30, s26, s17
	s_mul_hi_u32 s0, s26, s0
	s_mul_hi_u32 s29, s26, s17
	s_add_u32 s0, s0, s30
	s_addc_u32 s26, 0, s29
	s_add_u32 s0, s0, s28
	s_mul_hi_u32 s1, s13, s17
	s_addc_u32 s0, s26, s27
	s_addc_u32 s1, s1, 0
	s_mul_i32 s17, s13, s17
	s_add_u32 s0, s0, s17
	s_addc_u32 s1, 0, s1
	v_add_co_u32_e32 v1, vcc, s0, v1
	s_cmp_lg_u64 vcc, 0
	s_addc_u32 s13, s13, s1
	s_ashr_i32 s26, s21, 31
	s_add_u32 s0, s20, s26
	s_mov_b32 s27, s26
	s_addc_u32 s1, s21, s26
	s_xor_b64 s[28:29], s[0:1], s[26:27]
	v_readfirstlane_b32 s17, v1
	s_mul_i32 s1, s28, s13
	s_mul_hi_u32 s30, s28, s17
	s_mul_hi_u32 s0, s28, s13
	s_add_u32 s1, s30, s1
	s_addc_u32 s0, 0, s0
	s_mul_hi_u32 s31, s29, s17
	s_mul_i32 s17, s29, s17
	s_add_u32 s1, s1, s17
	s_mul_hi_u32 s30, s29, s13
	s_addc_u32 s0, s0, s31
	s_addc_u32 s1, s30, 0
	s_mul_i32 s13, s29, s13
	s_add_u32 s13, s0, s13
	s_addc_u32 s17, 0, s1
	s_mul_i32 s0, s24, s17
	s_mul_hi_u32 s1, s24, s13
	s_add_i32 s0, s1, s0
	s_mul_i32 s1, s25, s13
	s_add_i32 s30, s0, s1
	s_mul_i32 s1, s24, s13
	v_mov_b32_e32 v1, s1
	s_sub_i32 s0, s29, s30
	v_sub_co_u32_e32 v1, vcc, s28, v1
	s_cmp_lg_u64 vcc, 0
	s_subb_u32 s28, s0, s25
	v_subrev_co_u32_e64 v2, s[0:1], s24, v1
	s_cmp_lg_u64 s[0:1], 0
	s_subb_u32 s0, s28, 0
	s_cmp_ge_u32 s0, s25
	v_readfirstlane_b32 s28, v2
	s_cselect_b32 s1, -1, 0
	s_cmp_ge_u32 s28, s24
	s_cselect_b32 s28, -1, 0
	s_cmp_eq_u32 s0, s25
	s_cselect_b32 s0, s28, s1
	s_add_u32 s1, s13, 1
	s_addc_u32 s28, s17, 0
	s_add_u32 s31, s13, 2
	s_addc_u32 s33, s17, 0
	s_cmp_lg_u32 s0, 0
	s_cselect_b32 s0, s31, s1
	s_cselect_b32 s1, s33, s28
	s_cmp_lg_u64 vcc, 0
	s_subb_u32 s28, s29, s30
	s_cmp_ge_u32 s28, s25
	v_readfirstlane_b32 s30, v1
	s_cselect_b32 s29, -1, 0
	s_cmp_ge_u32 s30, s24
	s_cselect_b32 s24, -1, 0
	s_cmp_eq_u32 s28, s25
	s_cselect_b32 s24, s24, s29
	s_cmp_lg_u32 s24, 0
	s_cselect_b32 s1, s1, s17
	s_cselect_b32 s0, s0, s13
	s_xor_b64 s[8:9], s[26:27], s[8:9]
	s_xor_b64 s[0:1], s[0:1], s[8:9]
	s_sub_u32 s8, s0, s8
	s_subb_u32 s9, s1, s9
	s_cbranch_execnz .LBB15_6
.LBB15_5:                               ;   in Loop: Header=BB15_3 Depth=1
	v_cvt_f32_u32_e32 v1, s22
	s_sub_i32 s0, 0, s22
	v_rcp_iflag_f32_e32 v1, v1
	v_mul_f32_e32 v1, 0x4f7ffffe, v1
	v_cvt_u32_f32_e32 v1, v1
	v_readfirstlane_b32 s1, v1
	s_mul_i32 s0, s0, s1
	s_mul_hi_u32 s0, s1, s0
	s_add_i32 s1, s1, s0
	s_mul_hi_u32 s0, s20, s1
	s_mul_i32 s8, s0, s22
	s_sub_i32 s8, s20, s8
	s_add_i32 s1, s0, 1
	s_sub_i32 s9, s8, s22
	s_cmp_ge_u32 s8, s22
	s_cselect_b32 s0, s1, s0
	s_cselect_b32 s8, s9, s8
	s_add_i32 s1, s0, 1
	s_cmp_ge_u32 s8, s22
	s_cselect_b32 s8, s1, s0
	s_mov_b32 s9, s16
.LBB15_6:                               ;   in Loop: Header=BB15_3 Depth=1
	s_mul_i32 s0, s8, s23
	s_mul_hi_u32 s1, s8, s22
	s_add_i32 s13, s1, s0
	s_load_dwordx2 s[0:1], s[18:19], 0xc8
	s_mul_i32 s17, s9, s22
	s_add_i32 s13, s13, s17
	s_mul_i32 s17, s8, s22
	s_sub_u32 s17, s20, s17
	s_subb_u32 s13, s21, s13
	s_waitcnt lgkmcnt(0)
	s_mul_i32 s13, s0, s13
	s_mul_hi_u32 s20, s0, s17
	s_add_i32 s13, s20, s13
	s_mul_i32 s1, s1, s17
	s_add_i32 s13, s13, s1
	s_mul_i32 s0, s0, s17
	s_add_u32 s14, s0, s14
	s_addc_u32 s15, s13, s15
	s_add_i32 s7, s7, -1
	s_add_u32 s18, s18, -8
	s_addc_u32 s19, s19, -1
	s_cmp_gt_u32 s7, 2
	s_cbranch_scc0 .LBB15_9
; %bb.7:                                ;   in Loop: Header=BB15_3 Depth=1
	s_mov_b64 s[20:21], s[8:9]
	s_branch .LBB15_3
.LBB15_8:                               ;   in Loop: Header=BB15_3 Depth=1
                                        ; implicit-def: $sgpr8_sgpr9
	s_branch .LBB15_5
.LBB15_9:
	s_load_dword s0, s[4:5], 0x358
	s_load_dwordx2 s[16:17], s[4:5], 0xd0
	s_add_u32 s18, s4, 0x1c0
	s_addc_u32 s19, s5, 0
	s_mov_b64 s[56:57], 0
	s_waitcnt lgkmcnt(0)
	s_cmp_lt_i32 s0, 2
	s_mov_b64 s[28:29], s[2:3]
	s_cbranch_scc1 .LBB15_17
; %bb.10:
	s_mov_b32 s20, 0
	s_add_i32 s7, s0, 1
	s_add_i32 s0, s0, -1
	s_mov_b32 s1, s20
	s_lshl_b64 s[0:1], s[0:1], 3
	s_add_u32 s0, s0, s18
	s_addc_u32 s1, s1, s19
	s_add_u32 s22, s0, 8
	s_addc_u32 s23, s1, 0
	s_mov_b64 s[24:25], s[2:3]
.LBB15_11:                              ; =>This Inner Loop Header: Depth=1
	s_load_dwordx2 s[26:27], s[22:23], 0x0
	s_waitcnt lgkmcnt(0)
	s_or_b64 s[0:1], s[24:25], s[26:27]
	s_mov_b32 s21, s1
	s_cmp_lg_u64 s[20:21], 0
	s_cbranch_scc0 .LBB15_16
; %bb.12:                               ;   in Loop: Header=BB15_11 Depth=1
	s_ashr_i32 s28, s27, 31
	s_add_u32 s0, s26, s28
	s_mov_b32 s29, s28
	s_addc_u32 s1, s27, s28
	s_xor_b64 s[30:31], s[0:1], s[28:29]
	v_cvt_f32_u32_e32 v1, s30
	v_cvt_f32_u32_e32 v2, s31
	s_sub_u32 s0, 0, s30
	s_subb_u32 s1, 0, s31
	v_mac_f32_e32 v1, 0x4f800000, v2
	v_rcp_f32_e32 v1, v1
	v_mul_f32_e32 v1, 0x5f7ffffc, v1
	v_mul_f32_e32 v2, 0x2f800000, v1
	v_trunc_f32_e32 v2, v2
	v_mac_f32_e32 v1, 0xcf800000, v2
	v_cvt_u32_f32_e32 v2, v2
	v_cvt_u32_f32_e32 v1, v1
	v_readfirstlane_b32 s13, v2
	v_readfirstlane_b32 s21, v1
	s_mul_i32 s33, s0, s13
	s_mul_hi_u32 s35, s0, s21
	s_mul_i32 s34, s1, s21
	s_add_i32 s33, s35, s33
	s_add_i32 s33, s33, s34
	s_mul_i32 s36, s0, s21
	s_mul_hi_u32 s34, s21, s33
	s_mul_i32 s35, s21, s33
	s_mul_hi_u32 s21, s21, s36
	s_add_u32 s21, s21, s35
	s_addc_u32 s34, 0, s34
	s_mul_hi_u32 s37, s13, s36
	s_mul_i32 s36, s13, s36
	s_add_u32 s21, s21, s36
	s_mul_hi_u32 s35, s13, s33
	s_addc_u32 s21, s34, s37
	s_addc_u32 s34, s35, 0
	s_mul_i32 s33, s13, s33
	s_add_u32 s21, s21, s33
	s_addc_u32 s33, 0, s34
	v_add_co_u32_e32 v1, vcc, s21, v1
	s_cmp_lg_u64 vcc, 0
	s_addc_u32 s13, s13, s33
	v_readfirstlane_b32 s33, v1
	s_mul_i32 s21, s0, s13
	s_mul_hi_u32 s34, s0, s33
	s_add_i32 s21, s34, s21
	s_mul_i32 s1, s1, s33
	s_add_i32 s21, s21, s1
	s_mul_i32 s0, s0, s33
	s_mul_hi_u32 s34, s13, s0
	s_mul_i32 s35, s13, s0
	s_mul_i32 s37, s33, s21
	s_mul_hi_u32 s0, s33, s0
	s_mul_hi_u32 s36, s33, s21
	s_add_u32 s0, s0, s37
	s_addc_u32 s33, 0, s36
	s_add_u32 s0, s0, s35
	s_mul_hi_u32 s1, s13, s21
	s_addc_u32 s0, s33, s34
	s_addc_u32 s1, s1, 0
	s_mul_i32 s21, s13, s21
	s_add_u32 s0, s0, s21
	s_addc_u32 s1, 0, s1
	v_add_co_u32_e32 v1, vcc, s0, v1
	s_cmp_lg_u64 vcc, 0
	s_addc_u32 s13, s13, s1
	s_ashr_i32 s34, s25, 31
	s_add_u32 s0, s24, s34
	s_mov_b32 s35, s34
	s_addc_u32 s1, s25, s34
	s_xor_b64 s[36:37], s[0:1], s[34:35]
	v_readfirstlane_b32 s21, v1
	s_mul_i32 s1, s36, s13
	s_mul_hi_u32 s33, s36, s21
	s_mul_hi_u32 s0, s36, s13
	s_add_u32 s1, s33, s1
	s_addc_u32 s0, 0, s0
	s_mul_hi_u32 s38, s37, s21
	s_mul_i32 s21, s37, s21
	s_add_u32 s1, s1, s21
	s_mul_hi_u32 s33, s37, s13
	s_addc_u32 s0, s0, s38
	s_addc_u32 s1, s33, 0
	s_mul_i32 s13, s37, s13
	s_add_u32 s13, s0, s13
	s_addc_u32 s21, 0, s1
	s_mul_i32 s0, s30, s21
	s_mul_hi_u32 s1, s30, s13
	s_add_i32 s0, s1, s0
	s_mul_i32 s1, s31, s13
	s_add_i32 s33, s0, s1
	s_mul_i32 s1, s30, s13
	v_mov_b32_e32 v1, s1
	s_sub_i32 s0, s37, s33
	v_sub_co_u32_e32 v1, vcc, s36, v1
	s_cmp_lg_u64 vcc, 0
	s_subb_u32 s36, s0, s31
	v_subrev_co_u32_e64 v2, s[0:1], s30, v1
	s_cmp_lg_u64 s[0:1], 0
	s_subb_u32 s0, s36, 0
	s_cmp_ge_u32 s0, s31
	v_readfirstlane_b32 s36, v2
	s_cselect_b32 s1, -1, 0
	s_cmp_ge_u32 s36, s30
	s_cselect_b32 s36, -1, 0
	s_cmp_eq_u32 s0, s31
	s_cselect_b32 s0, s36, s1
	s_add_u32 s1, s13, 1
	s_addc_u32 s36, s21, 0
	s_add_u32 s38, s13, 2
	s_addc_u32 s39, s21, 0
	s_cmp_lg_u32 s0, 0
	s_cselect_b32 s0, s38, s1
	s_cselect_b32 s1, s39, s36
	s_cmp_lg_u64 vcc, 0
	s_subb_u32 s33, s37, s33
	s_cmp_ge_u32 s33, s31
	v_readfirstlane_b32 s37, v1
	s_cselect_b32 s36, -1, 0
	s_cmp_ge_u32 s37, s30
	s_cselect_b32 s30, -1, 0
	s_cmp_eq_u32 s33, s31
	s_cselect_b32 s30, s30, s36
	s_cmp_lg_u32 s30, 0
	s_cselect_b32 s1, s1, s21
	s_cselect_b32 s0, s0, s13
	s_xor_b64 s[28:29], s[34:35], s[28:29]
	s_xor_b64 s[0:1], s[0:1], s[28:29]
	s_sub_u32 s28, s0, s28
	s_subb_u32 s29, s1, s29
	s_cbranch_execnz .LBB15_14
.LBB15_13:                              ;   in Loop: Header=BB15_11 Depth=1
	v_cvt_f32_u32_e32 v1, s26
	s_sub_i32 s0, 0, s26
	s_mov_b32 s29, s20
	v_rcp_iflag_f32_e32 v1, v1
	v_mul_f32_e32 v1, 0x4f7ffffe, v1
	v_cvt_u32_f32_e32 v1, v1
	v_readfirstlane_b32 s1, v1
	s_mul_i32 s0, s0, s1
	s_mul_hi_u32 s0, s1, s0
	s_add_i32 s1, s1, s0
	s_mul_hi_u32 s0, s24, s1
	s_mul_i32 s13, s0, s26
	s_sub_i32 s13, s24, s13
	s_add_i32 s1, s0, 1
	s_sub_i32 s21, s13, s26
	s_cmp_ge_u32 s13, s26
	s_cselect_b32 s0, s1, s0
	s_cselect_b32 s13, s21, s13
	s_add_i32 s1, s0, 1
	s_cmp_ge_u32 s13, s26
	s_cselect_b32 s28, s1, s0
.LBB15_14:                              ;   in Loop: Header=BB15_11 Depth=1
	s_mul_i32 s0, s28, s27
	s_mul_hi_u32 s1, s28, s26
	s_add_i32 s13, s1, s0
	s_load_dwordx2 s[0:1], s[22:23], 0xc8
	s_mul_i32 s21, s29, s26
	s_add_i32 s13, s13, s21
	s_mul_i32 s21, s28, s26
	s_sub_u32 s21, s24, s21
	s_subb_u32 s13, s25, s13
	s_waitcnt lgkmcnt(0)
	s_mul_i32 s13, s0, s13
	s_mul_hi_u32 s24, s0, s21
	s_add_i32 s13, s24, s13
	s_mul_i32 s1, s1, s21
	s_add_i32 s13, s13, s1
	s_mul_i32 s0, s0, s21
	s_add_u32 s56, s0, s56
	s_addc_u32 s57, s13, s57
	s_add_i32 s7, s7, -1
	s_add_u32 s22, s22, -8
	s_addc_u32 s23, s23, -1
	s_cmp_gt_u32 s7, 2
	s_cbranch_scc0 .LBB15_17
; %bb.15:                               ;   in Loop: Header=BB15_11 Depth=1
	s_mov_b64 s[24:25], s[28:29]
	s_branch .LBB15_11
.LBB15_16:                              ;   in Loop: Header=BB15_11 Depth=1
                                        ; implicit-def: $sgpr28_sgpr29
	s_branch .LBB15_13
.LBB15_17:
	s_load_dword s13, s[4:5], 0x4f8
	s_load_dwordx2 s[0:1], s[18:19], 0xd0
                                        ; implicit-def: $vgpr48 : SGPR spill to VGPR lane
	s_mov_b64 s[62:63], 0
	v_writelane_b32 v48, s28, 0
	v_writelane_b32 v48, s29, 1
                                        ; kill: killed $sgpr18 killed $sgpr19
	s_waitcnt lgkmcnt(0)
	v_writelane_b32 v48, s0, 2
	v_writelane_b32 v48, s1, 3
	s_add_u32 s0, s4, 0x360
	s_addc_u32 s1, s5, 0
	s_cmp_lt_i32 s13, 2
	s_cbranch_scc1 .LBB15_25
; %bb.18:
	s_mov_b32 s18, 0
	s_add_i32 s20, s13, -1
	s_mov_b32 s21, s18
	s_add_i32 s7, s13, 1
	s_lshl_b64 s[20:21], s[20:21], 3
	s_add_u32 s0, s20, s0
	s_addc_u32 s1, s21, s1
	s_add_u32 s20, s0, 8
	s_addc_u32 s21, s1, 0
.LBB15_19:                              ; =>This Inner Loop Header: Depth=1
	s_load_dwordx2 s[22:23], s[20:21], 0x0
	s_waitcnt lgkmcnt(0)
	s_or_b64 s[0:1], s[2:3], s[22:23]
	s_mov_b32 s19, s1
	s_cmp_lg_u64 s[18:19], 0
	s_cbranch_scc0 .LBB15_24
; %bb.20:                               ;   in Loop: Header=BB15_19 Depth=1
	s_ashr_i32 s24, s23, 31
	s_add_u32 s0, s22, s24
	s_mov_b32 s25, s24
	s_addc_u32 s1, s23, s24
	s_xor_b64 s[26:27], s[0:1], s[24:25]
	v_cvt_f32_u32_e32 v1, s26
	v_cvt_f32_u32_e32 v2, s27
	s_sub_u32 s0, 0, s26
	s_subb_u32 s1, 0, s27
	v_mac_f32_e32 v1, 0x4f800000, v2
	v_rcp_f32_e32 v1, v1
	v_mul_f32_e32 v1, 0x5f7ffffc, v1
	v_mul_f32_e32 v2, 0x2f800000, v1
	v_trunc_f32_e32 v2, v2
	v_mac_f32_e32 v1, 0xcf800000, v2
	v_cvt_u32_f32_e32 v2, v2
	v_cvt_u32_f32_e32 v1, v1
	v_readfirstlane_b32 s13, v2
	v_readfirstlane_b32 s19, v1
	s_mul_i32 s28, s0, s13
	s_mul_hi_u32 s30, s0, s19
	s_mul_i32 s29, s1, s19
	s_add_i32 s28, s30, s28
	s_add_i32 s28, s28, s29
	s_mul_i32 s31, s0, s19
	s_mul_hi_u32 s29, s19, s28
	s_mul_i32 s30, s19, s28
	s_mul_hi_u32 s19, s19, s31
	s_add_u32 s19, s19, s30
	s_addc_u32 s29, 0, s29
	s_mul_hi_u32 s33, s13, s31
	s_mul_i32 s31, s13, s31
	s_add_u32 s19, s19, s31
	s_mul_hi_u32 s30, s13, s28
	s_addc_u32 s19, s29, s33
	s_addc_u32 s29, s30, 0
	s_mul_i32 s28, s13, s28
	s_add_u32 s19, s19, s28
	s_addc_u32 s28, 0, s29
	v_add_co_u32_e32 v1, vcc, s19, v1
	s_cmp_lg_u64 vcc, 0
	s_addc_u32 s13, s13, s28
	v_readfirstlane_b32 s28, v1
	s_mul_i32 s19, s0, s13
	s_mul_hi_u32 s29, s0, s28
	s_add_i32 s19, s29, s19
	s_mul_i32 s1, s1, s28
	s_add_i32 s19, s19, s1
	s_mul_i32 s0, s0, s28
	s_mul_hi_u32 s29, s13, s0
	s_mul_i32 s30, s13, s0
	s_mul_i32 s33, s28, s19
	s_mul_hi_u32 s0, s28, s0
	s_mul_hi_u32 s31, s28, s19
	s_add_u32 s0, s0, s33
	s_addc_u32 s28, 0, s31
	s_add_u32 s0, s0, s30
	s_mul_hi_u32 s1, s13, s19
	s_addc_u32 s0, s28, s29
	s_addc_u32 s1, s1, 0
	s_mul_i32 s19, s13, s19
	s_add_u32 s0, s0, s19
	s_addc_u32 s1, 0, s1
	v_add_co_u32_e32 v1, vcc, s0, v1
	s_cmp_lg_u64 vcc, 0
	s_addc_u32 s13, s13, s1
	s_ashr_i32 s28, s3, 31
	s_add_u32 s0, s2, s28
	s_mov_b32 s29, s28
	s_addc_u32 s1, s3, s28
	s_xor_b64 s[30:31], s[0:1], s[28:29]
	v_readfirstlane_b32 s19, v1
	s_mul_i32 s1, s30, s13
	s_mul_hi_u32 s33, s30, s19
	s_mul_hi_u32 s0, s30, s13
	s_add_u32 s1, s33, s1
	s_addc_u32 s0, 0, s0
	s_mul_hi_u32 s34, s31, s19
	s_mul_i32 s19, s31, s19
	s_add_u32 s1, s1, s19
	s_mul_hi_u32 s33, s31, s13
	s_addc_u32 s0, s0, s34
	s_addc_u32 s1, s33, 0
	s_mul_i32 s13, s31, s13
	s_add_u32 s13, s0, s13
	s_addc_u32 s19, 0, s1
	s_mul_i32 s0, s26, s19
	s_mul_hi_u32 s1, s26, s13
	s_add_i32 s0, s1, s0
	s_mul_i32 s1, s27, s13
	s_add_i32 s33, s0, s1
	s_mul_i32 s1, s26, s13
	v_mov_b32_e32 v1, s1
	s_sub_i32 s0, s31, s33
	v_sub_co_u32_e32 v1, vcc, s30, v1
	s_cmp_lg_u64 vcc, 0
	s_subb_u32 s30, s0, s27
	v_subrev_co_u32_e64 v2, s[0:1], s26, v1
	s_cmp_lg_u64 s[0:1], 0
	s_subb_u32 s0, s30, 0
	s_cmp_ge_u32 s0, s27
	v_readfirstlane_b32 s30, v2
	s_cselect_b32 s1, -1, 0
	s_cmp_ge_u32 s30, s26
	s_cselect_b32 s30, -1, 0
	s_cmp_eq_u32 s0, s27
	s_cselect_b32 s0, s30, s1
	s_add_u32 s1, s13, 1
	s_addc_u32 s30, s19, 0
	s_add_u32 s34, s13, 2
	s_addc_u32 s35, s19, 0
	s_cmp_lg_u32 s0, 0
	s_cselect_b32 s0, s34, s1
	s_cselect_b32 s1, s35, s30
	s_cmp_lg_u64 vcc, 0
	s_subb_u32 s30, s31, s33
	s_cmp_ge_u32 s30, s27
	v_readfirstlane_b32 s33, v1
	s_cselect_b32 s31, -1, 0
	s_cmp_ge_u32 s33, s26
	s_cselect_b32 s26, -1, 0
	s_cmp_eq_u32 s30, s27
	s_cselect_b32 s26, s26, s31
	s_cmp_lg_u32 s26, 0
	s_cselect_b32 s1, s1, s19
	s_cselect_b32 s0, s0, s13
	s_xor_b64 s[24:25], s[28:29], s[24:25]
	s_xor_b64 s[0:1], s[0:1], s[24:25]
	s_sub_u32 s66, s0, s24
	s_subb_u32 s67, s1, s25
	s_cbranch_execnz .LBB15_22
.LBB15_21:                              ;   in Loop: Header=BB15_19 Depth=1
	v_cvt_f32_u32_e32 v1, s22
	s_sub_i32 s0, 0, s22
	s_mov_b32 s67, s18
	v_rcp_iflag_f32_e32 v1, v1
	v_mul_f32_e32 v1, 0x4f7ffffe, v1
	v_cvt_u32_f32_e32 v1, v1
	v_readfirstlane_b32 s1, v1
	s_mul_i32 s0, s0, s1
	s_mul_hi_u32 s0, s1, s0
	s_add_i32 s1, s1, s0
	s_mul_hi_u32 s0, s2, s1
	s_mul_i32 s13, s0, s22
	s_sub_i32 s13, s2, s13
	s_add_i32 s1, s0, 1
	s_sub_i32 s19, s13, s22
	s_cmp_ge_u32 s13, s22
	s_cselect_b32 s0, s1, s0
	s_cselect_b32 s13, s19, s13
	s_add_i32 s1, s0, 1
	s_cmp_ge_u32 s13, s22
	s_cselect_b32 s66, s1, s0
.LBB15_22:                              ;   in Loop: Header=BB15_19 Depth=1
	s_mul_i32 s0, s66, s23
	s_mul_hi_u32 s1, s66, s22
	s_add_i32 s13, s1, s0
	s_load_dwordx2 s[0:1], s[20:21], 0xc8
	s_mul_i32 s19, s67, s22
	s_add_i32 s13, s13, s19
	s_mul_i32 s19, s66, s22
	s_sub_u32 s2, s2, s19
	s_subb_u32 s3, s3, s13
	s_waitcnt lgkmcnt(0)
	s_mul_i32 s3, s0, s3
	s_mul_hi_u32 s13, s0, s2
	s_add_i32 s3, s13, s3
	s_mul_i32 s1, s1, s2
	s_add_i32 s3, s3, s1
	s_mul_i32 s0, s0, s2
	s_add_u32 s62, s0, s62
	s_addc_u32 s63, s3, s63
	s_add_i32 s7, s7, -1
	s_add_u32 s20, s20, -8
	s_addc_u32 s21, s21, -1
	s_cmp_gt_u32 s7, 2
	s_cbranch_scc0 .LBB15_26
; %bb.23:                               ;   in Loop: Header=BB15_19 Depth=1
	s_mov_b64 s[2:3], s[66:67]
	s_branch .LBB15_19
.LBB15_24:                              ;   in Loop: Header=BB15_19 Depth=1
                                        ; implicit-def: $sgpr66_sgpr67
	s_branch .LBB15_21
.LBB15_25:
	s_mov_b64 s[66:67], s[2:3]
.LBB15_26:
	s_load_dwordx2 s[0:1], s[4:5], 0x0
	s_load_dwordx2 s[2:3], s[4:5], 0x1c0
	s_mov_b32 s75, 0
                                        ; kill: killed $sgpr4 killed $sgpr5
	s_waitcnt lgkmcnt(0)
	v_writelane_b32 v48, s2, 4
	v_writelane_b32 v48, s3, 5
	s_load_dwordx2 s[2:3], s[4:5], 0x430
	s_waitcnt lgkmcnt(0)
	v_writelane_b32 v48, s2, 6
	v_writelane_b32 v48, s3, 7
	s_load_dwordx2 s[2:3], s[4:5], 0x360
	v_cmp_eq_u32_e64 s[4:5], 0, v0
	s_waitcnt lgkmcnt(0)
	v_writelane_b32 v48, s2, 8
	v_writelane_b32 v48, s3, 9
	s_mov_b64 s[2:3], exec
	v_writelane_b32 v48, s4, 10
	v_writelane_b32 v48, s5, 11
	s_and_b64 s[4:5], s[2:3], s[4:5]
	s_mov_b64 exec, s[4:5]
	s_cbranch_execz .LBB15_28
; %bb.27:
	v_mov_b32_e32 v2, 0
	v_mov_b32_e32 v4, s52
	;; [unrolled: 1-line block ×4, first 2 shown]
	ds_write_b32 v2, v2 offset:5136
	ds_write_b128 v2, v[2:5] offset:5120
.LBB15_28:
	s_or_b64 exec, exec, s[2:3]
	s_mul_i32 s2, s16, s9
	s_mul_hi_u32 s3, s16, s8
	s_add_i32 s2, s3, s2
	s_mul_i32 s3, s17, s8
	s_add_i32 s7, s2, s3
	s_mul_i32 s8, s16, s8
	s_add_u32 s2, s0, s8
	s_addc_u32 s3, s1, s7
	v_mbcnt_lo_u32_b32 v1, -1, 0
	s_add_u32 s16, s2, s14
	v_mbcnt_hi_u32_b32 v36, -1, v1
	s_addc_u32 s17, s3, s15
	v_cmp_gt_u32_e32 vcc, 64, v0
	v_cmp_gt_i32_e64 s[2:3], 4, v36
	s_and_b64 s[44:45], vcc, s[2:3]
	v_cmp_gt_u32_e64 s[2:3], 2, v0
	v_mov_b32_e32 v2, 0xc00
	v_writelane_b32 v48, s2, 12
	v_mov_b32_e32 v3, 0
	v_writelane_b32 v48, s3, 13
	v_cmp_gt_i64_e64 s[2:3], s[52:53], v[2:3]
	v_writelane_b32 v48, s2, 14
	v_writelane_b32 v48, s3, 15
	v_mov_b32_e32 v13, 0
	v_writelane_b32 v48, s16, 16
	v_pk_mov_b32 v[4:5], s[16:17], s[16:17] op_sel:[0,1]
	v_mov_b32_e32 v1, v13
	v_mad_u64_u32 v[2:3], s[2:3], v0, s58, 0
	v_mad_u64_u32 v[14:15], s[2:3], v0, s58, v[4:5]
	v_writelane_b32 v48, s17, 17
	v_cmp_gt_i64_e64 s[2:3], s[52:53], v[0:1]
	v_writelane_b32 v48, s2, 18
	s_waitcnt lgkmcnt(0)
	s_barrier
	v_writelane_b32 v48, s3, 19
	s_load_dword s2, s[10:11], 0xc
	v_lshrrev_b32_e32 v4, 4, v0
	v_and_b32_e32 v37, 60, v4
	v_lshlrev_b32_e32 v4, 2, v36
	v_lshlrev_b32_e32 v16, 2, v0
	s_waitcnt lgkmcnt(0)
	s_and_b32 s33, s2, 0xffff
	s_bfe_u32 s3, s2, 0xa0006
	v_cmp_gt_u16_e64 s[16:17], s2, 63
	s_add_u32 s2, s33, -1
	s_addc_u32 s9, 0, -1
	s_add_u32 s84, s2, s52
	v_writelane_b32 v48, s16, 20
	s_addc_u32 s49, s9, s53
	v_writelane_b32 v48, s17, 21
	s_cmp_lt_u32 s6, s12
	v_writelane_b32 v48, s2, 22
	s_cselect_b32 s2, 12, 18
	s_add_u32 s50, s10, s2
	s_addc_u32 s51, s11, 0
	s_add_i32 s2, s3, -1
	s_bfe_u32 s6, s33, 0x30006
	s_cmp_gt_u32 s2, 6
	v_writelane_b32 v48, s9, 23
	s_cselect_b64 s[10:11], -1, 0
	v_writelane_b32 v48, s10, 24
	s_and_b32 s79, s3, 0x3f8
	v_writelane_b32 v48, s11, 25
	s_cmp_lg_u32 s6, 0
	v_writelane_b32 v48, s6, 26
	s_cselect_b64 s[2:3], -1, 0
	v_writelane_b32 v48, s2, 27
	v_writelane_b32 v48, s3, 28
	s_add_u32 s2, s14, s8
	v_and_b32_e32 v38, 0x100, v4
	v_lshlrev_b64 v[4:5], v36, -1
	s_addc_u32 s3, s15, s7
	v_not_b32_e32 v19, v5
	s_add_u32 s2, s0, s2
	v_or_b32_e32 v5, 3, v16
	s_addc_u32 s3, s1, s3
	v_mad_u64_u32 v[20:21], s[0:1], s58, v5, 0
	v_not_b32_e32 v18, v4
	v_mov_b32_e32 v4, v21
	v_mad_u64_u32 v[4:5], s[0:1], s59, v5, v[4:5]
	s_lshl_b64 s[0:1], s[58:59], 2
	v_writelane_b32 v48, s0, 29
	v_or_b32_e32 v5, 2, v16
	v_writelane_b32 v48, s1, 30
	v_mad_u64_u32 v[22:23], s[0:1], s58, v5, 0
	v_mul_lo_u32 v6, v0, s59
	v_mov_b32_e32 v21, v4
	v_mov_b32_e32 v4, v23
	v_writelane_b32 v48, s2, 31
	v_add_u32_e32 v3, v3, v6
	v_mad_u64_u32 v[4:5], s[0:1], s59, v5, v[4:5]
	v_writelane_b32 v48, s3, 32
	v_mov_b32_e32 v23, v4
	v_pk_mov_b32 v[4:5], s[58:59], s[58:59] op_sel:[0,1]
	v_lshlrev_b64 v[26:27], 2, v[2:3]
	v_mov_b32_e32 v2, s53
	v_add_co_u32_e32 v39, vcc, s52, v0
	v_writelane_b32 v48, s44, 33
	v_mad_u64_u32 v[24:25], s[0:1], s58, v16, v[4:5]
	v_addc_co_u32_e32 v40, vcc, 0, v2, vcc
	v_mov_b32_e32 v2, 0xc00
	s_mul_i32 s46, s58, s33
	v_writelane_b32 v48, s45, 34
	v_mov_b32_e32 v4, v25
	v_lshl_or_b32 v41, v36, 3, v2
	v_pk_mov_b32 v[2:3], s[2:3], s[2:3] op_sel:[0,1]
	v_writelane_b32 v48, s46, 35
	v_mad_u64_u32 v[4:5], s[0:1], s59, v16, v[4:5]
	v_mad_u64_u32 v[10:11], s[0:1], v0, s58, v[2:3]
	v_writelane_b32 v48, s50, 36
	s_mul_i32 s0, s59, s33
	s_mul_hi_u32 s1, s58, s33
	v_writelane_b32 v48, s51, 37
	v_cmp_eq_u32_e64 s[4:5], 0, v36
	v_add_u32_e32 v15, v6, v15
	v_mov_b32_e32 v17, v13
	s_mov_b32 s92, s75
	s_mov_b32 s47, 6
	v_mov_b32_e32 v25, v4
	v_add_u32_e32 v11, v6, v11
	s_add_i32 s93, s1, s0
	s_mov_b64 s[94:95], 0
	s_movk_i32 s85, 0x80
	v_cvt_f32_ubyte0_e32 v42, 0
	v_mov_b32_e32 v43, 0
	s_mov_b32 s60, 0
	s_mov_b32 s83, 0
	;; [unrolled: 1-line block ×3, first 2 shown]
	v_writelane_b32 v48, s66, 38
                                        ; implicit-def: $sgpr70_sgpr71
                                        ; implicit-def: $sgpr72_sgpr73
                                        ; implicit-def: $sgpr64_sgpr65
                                        ; implicit-def: $sgpr68_sgpr69
                                        ; implicit-def: $sgpr86_sgpr87
                                        ; implicit-def: $sgpr88_sgpr89
	v_writelane_b32 v48, s67, 39
	s_branch .LBB15_33
.LBB15_29:                              ;   in Loop: Header=BB15_33 Depth=1
	s_xor_b32 s60, s60, 1
	s_add_i32 s8, s47, -2
	s_cmp_eq_u32 s47, 0
	s_mov_b64 s[2:3], 0
	s_cselect_b64 s[6:7], -1, 0
	s_mov_b32 s47, s8
.LBB15_30:                              ;   in Loop: Header=BB15_33 Depth=1
	s_andn2_b64 s[8:9], s[18:19], exec
	s_and_b64 s[2:3], s[2:3], exec
	s_or_b64 s[18:19], s[8:9], s[2:3]
	s_andn2_b64 s[20:21], s[20:21], exec
	s_andn2_b64 s[16:17], s[16:17], exec
	s_orn2_b64 s[12:13], s[6:7], exec
.LBB15_31:                              ;   in Loop: Header=BB15_33 Depth=1
	s_or_b64 exec, exec, s[0:1]
	s_andn2_b64 s[0:1], s[88:89], exec
	s_and_b64 s[2:3], s[18:19], exec
	s_or_b64 s[88:89], s[0:1], s[2:3]
	s_andn2_b64 s[0:1], s[86:87], exec
	s_and_b64 s[2:3], s[20:21], exec
	s_or_b64 s[86:87], s[0:1], s[2:3]
	;; [unrolled: 3-line block ×3, first 2 shown]
	s_orn2_b64 s[12:13], s[12:13], exec
.LBB15_32:                              ;   in Loop: Header=BB15_33 Depth=1
	s_or_b64 exec, exec, s[10:11]
	s_and_b64 s[0:1], exec, s[12:13]
	s_or_b64 s[94:95], s[0:1], s[94:95]
	s_andn2_b64 s[0:1], s[64:65], exec
	s_and_b64 s[2:3], s[88:89], exec
	s_or_b64 s[64:65], s[0:1], s[2:3]
	s_andn2_b64 s[0:1], s[72:73], exec
	s_and_b64 s[2:3], s[86:87], exec
	;; [unrolled: 3-line block ×3, first 2 shown]
	v_mov_b32_e32 v2, s83
	s_or_b64 s[70:71], s[0:1], s[2:3]
	s_andn2_b64 exec, exec, s[94:95]
	s_cbranch_execz .LBB15_300
.LBB15_33:                              ; =>This Loop Header: Depth=1
                                        ;     Child Loop BB15_38 Depth 2
                                        ;     Child Loop BB15_57 Depth 2
	;; [unrolled: 1-line block ×16, first 2 shown]
	ds_read_b128 v[2:5], v13 offset:5120
	s_waitcnt lgkmcnt(0)
	v_readfirstlane_b32 s1, v3
	v_readfirstlane_b32 s0, v2
	v_cmp_gt_i64_e64 s[2:3], s[0:1], 0
	s_and_b64 vcc, exec, s[2:3]
	s_cbranch_vccnz .LBB15_64
; %bb.34:                               ;   in Loop: Header=BB15_33 Depth=1
	v_readlane_b32 s2, v48, 14
	v_readlane_b32 s3, v48, 15
	s_and_b64 vcc, exec, s[2:3]
	s_cbranch_vccz .LBB15_46
; %bb.35:                               ;   in Loop: Header=BB15_33 Depth=1
	s_mov_b64 s[2:3], 0xc01
	v_cmp_gt_i64_e32 vcc, s[2:3], v[4:5]
	s_mov_b64 s[2:3], 0
	s_mov_b64 s[6:7], 0
	s_cbranch_vccz .LBB15_51
; %bb.36:                               ;   in Loop: Header=BB15_33 Depth=1
	global_load_ushort v6, v13, s[50:51]
	global_load_ubyte v7, v[14:15], off
	v_readlane_b32 s0, v48, 31
	v_readlane_b32 s1, v48, 32
	v_pk_mov_b32 v[2:3], s[0:1], s[0:1] op_sel:[0,1]
	s_mov_b64 s[0:1], 0
	s_waitcnt vmcnt(1)
	v_readfirstlane_b32 s6, v6
	s_and_b32 s6, 0xffff, s6
	v_add_u32_e32 v5, s6, v0
	s_mul_i32 s8, s59, s6
	s_mul_hi_u32 s9, s58, s6
	s_mul_i32 s16, s58, s6
	v_mad_u64_u32 v[2:3], s[6:7], s58, v5, v[2:3]
	v_mov_b32_e32 v4, v3
	v_mad_u64_u32 v[4:5], s[6:7], s59, v5, v[4:5]
	s_add_i32 s17, s9, s8
	v_mov_b32_e32 v3, v4
	v_pk_mov_b32 v[4:5], v[0:1], v[0:1] op_sel:[0,1]
	s_branch .LBB15_38
.LBB15_37:                              ;   in Loop: Header=BB15_38 Depth=2
	s_or_b64 exec, exec, s[6:7]
	v_mov_b32_e32 v7, s17
	v_add_co_u32_e32 v2, vcc, s16, v2
	v_addc_co_u32_e32 v3, vcc, v3, v7, vcc
	v_mov_b32_e32 v7, v8
	s_andn2_b64 exec, exec, s[0:1]
	s_cbranch_execz .LBB15_47
.LBB15_38:                              ;   Parent Loop BB15_33 Depth=1
                                        ; =>  This Inner Loop Header: Depth=2
	v_add_co_u32_sdwa v4, vcc, v4, v6 dst_sel:DWORD dst_unused:UNUSED_PAD src0_sel:DWORD src1_sel:WORD_0
	v_addc_co_u32_e32 v5, vcc, 0, v5, vcc
	v_cmp_gt_i64_e64 s[6:7], s[52:53], v[4:5]
	v_cmp_le_i64_e32 vcc, s[52:53], v[4:5]
	s_waitcnt lgkmcnt(0)
	v_mov_b32_e32 v9, 0
	v_mov_b32_e32 v8, 0
	s_and_saveexec_b64 s[8:9], s[6:7]
	s_cbranch_execz .LBB15_40
; %bb.39:                               ;   in Loop: Header=BB15_38 Depth=2
	global_load_ubyte v8, v[2:3], off
.LBB15_40:                              ;   in Loop: Header=BB15_38 Depth=2
	s_or_b64 exec, exec, s[8:9]
	s_waitcnt vmcnt(0)
	v_add_u32_sdwa v12, sext(v7), s85 dst_sel:DWORD dst_unused:UNUSED_PAD src0_sel:BYTE_0 src1_sel:DWORD
	v_and_b32_e32 v12, s82, v12
	v_cmp_eq_u32_e64 s[10:11], s83, v12
	s_cmp_lg_u64 s[10:11], 0
	s_cselect_b64 s[6:7], -1, 0
	s_and_b64 s[6:7], s[4:5], s[6:7]
	s_and_saveexec_b64 s[8:9], s[6:7]
	s_cbranch_execz .LBB15_44
; %bb.41:                               ;   in Loop: Header=BB15_38 Depth=2
	s_mov_b64 s[14:15], exec
	v_mbcnt_lo_u32_b32 v9, s14, 0
	v_mbcnt_hi_u32_b32 v9, s15, v9
	s_bcnt1_i32_b64 s18, s[10:11]
	v_cmp_eq_u32_e64 s[6:7], 0, v9
                                        ; implicit-def: $vgpr12
	s_and_saveexec_b64 s[12:13], s[6:7]
	s_cbranch_execz .LBB15_43
; %bb.42:                               ;   in Loop: Header=BB15_38 Depth=2
	s_bcnt1_i32_b64 s6, s[14:15]
	s_mul_i32 s6, s18, s6
	v_mov_b32_e32 v12, s6
	ds_add_rtn_u32 v12, v13, v12 offset:5136
.LBB15_43:                              ;   in Loop: Header=BB15_38 Depth=2
	s_or_b64 exec, exec, s[12:13]
	s_waitcnt lgkmcnt(0)
	v_readfirstlane_b32 s6, v12
	v_mov_b32_e32 v12, s6
	v_mad_u32_u24 v9, s18, v9, v12
.LBB15_44:                              ;   in Loop: Header=BB15_38 Depth=2
	s_or_b64 exec, exec, s[8:9]
	ds_bpermute_b32 v9, v38, v9
	s_and_b64 s[6:7], exec, vcc
	s_or_b64 s[0:1], s[6:7], s[0:1]
	s_and_saveexec_b64 s[6:7], s[10:11]
	s_cbranch_execz .LBB15_37
; %bb.45:                               ;   in Loop: Header=BB15_38 Depth=2
	v_and_b32_e32 v28, s10, v18
	v_and_b32_e32 v12, s11, v19
	v_bcnt_u32_b32 v28, v28, 0
	v_bcnt_u32_b32 v12, v12, v28
	s_waitcnt lgkmcnt(0)
	v_add_u32_e32 v9, v9, v12
	ds_write_b8 v9, v7
	s_branch .LBB15_37
.LBB15_46:                              ;   in Loop: Header=BB15_33 Depth=1
	s_mov_b64 s[2:3], -1
	s_mov_b64 s[6:7], 0
	s_branch .LBB15_50
.LBB15_47:                              ;   in Loop: Header=BB15_33 Depth=1
	s_or_b64 exec, exec, s[0:1]
	s_waitcnt lgkmcnt(0)
	s_barrier
	s_mov_b64 s[0:1], exec
	v_readlane_b32 s6, v48, 10
	v_readlane_b32 s7, v48, 11
	s_and_b64 s[6:7], s[0:1], s[6:7]
	s_mov_b64 exec, s[6:7]
	s_cbranch_execz .LBB15_49
; %bb.48:                               ;   in Loop: Header=BB15_33 Depth=1
	ds_read_b32 v2, v13 offset:5136
	s_waitcnt lgkmcnt(0)
	v_ashrrev_i32_e32 v3, 31, v2
	ds_write_b64 v13, v[2:3] offset:5120
.LBB15_49:                              ;   in Loop: Header=BB15_33 Depth=1
	s_or_b64 exec, exec, s[0:1]
	s_waitcnt lgkmcnt(0)
	s_barrier
	s_mov_b64 s[6:7], -1
.LBB15_50:                              ;   in Loop: Header=BB15_33 Depth=1
                                        ; implicit-def: $sgpr0_sgpr1
.LBB15_51:                              ;   in Loop: Header=BB15_33 Depth=1
	s_and_b64 vcc, exec, s[2:3]
	s_cbranch_vccz .LBB15_62
; %bb.52:                               ;   in Loop: Header=BB15_33 Depth=1
	v_mov_b32_e32 v6, 0
	s_mov_b64 s[0:1], exec
	v_readlane_b32 s2, v48, 18
	v_readlane_b32 s3, v48, 19
	s_and_b64 s[2:3], s[0:1], s[2:3]
	s_mov_b64 exec, s[2:3]
	s_cbranch_execz .LBB15_54
; %bb.53:                               ;   in Loop: Header=BB15_33 Depth=1
	global_load_ubyte v6, v[14:15], off
.LBB15_54:                              ;   in Loop: Header=BB15_33 Depth=1
	s_or_b64 exec, exec, s[0:1]
	s_mov_b64 s[0:1], exec
	v_readlane_b32 s2, v48, 18
	v_readlane_b32 s3, v48, 19
	s_and_b64 s[2:3], s[0:1], s[2:3]
	s_mov_b64 exec, s[2:3]
	s_cbranch_execz .LBB15_59
; %bb.55:                               ;   in Loop: Header=BB15_33 Depth=1
	global_load_ushort v7, v13, s[50:51]
	v_readlane_b32 s2, v48, 31
	v_readlane_b32 s3, v48, 32
	v_pk_mov_b32 v[2:3], s[2:3], s[2:3] op_sel:[0,1]
	s_mov_b64 s[2:3], 0
	v_mov_b32_e32 v8, v0
	s_waitcnt vmcnt(0)
	v_readfirstlane_b32 s6, v7
	s_and_b32 s10, 0xffff, s6
	v_add_u32_e32 v5, s10, v0
	v_mad_u64_u32 v[2:3], s[6:7], s58, v5, v[2:3]
	v_mov_b32_e32 v4, v3
	s_mul_i32 s8, s59, s10
	s_mul_hi_u32 s9, s58, s10
	v_mad_u64_u32 v[4:5], s[6:7], s59, v5, v[4:5]
	s_mul_i32 s11, s58, s10
	s_add_i32 s12, s9, s8
	v_mov_b32_e32 v3, v4
	v_pk_mov_b32 v[4:5], v[0:1], v[0:1] op_sel:[0,1]
	s_branch .LBB15_57
.LBB15_56:                              ;   in Loop: Header=BB15_57 Depth=2
	s_or_b64 exec, exec, s[8:9]
	s_and_b64 s[6:7], exec, vcc
	ds_write_b8 v8, v6
	v_mov_b32_e32 v6, s12
	v_add_co_u32_e32 v2, vcc, s11, v2
	s_or_b64 s[2:3], s[6:7], s[2:3]
	v_add_u32_e32 v8, s10, v8
	v_addc_co_u32_e32 v3, vcc, v3, v6, vcc
	s_waitcnt vmcnt(0)
	v_mov_b32_e32 v6, v9
	s_andn2_b64 exec, exec, s[2:3]
	s_cbranch_execz .LBB15_59
.LBB15_57:                              ;   Parent Loop BB15_33 Depth=1
                                        ; =>  This Inner Loop Header: Depth=2
	v_add_co_u32_sdwa v4, vcc, v4, v7 dst_sel:DWORD dst_unused:UNUSED_PAD src0_sel:DWORD src1_sel:WORD_0
	v_addc_co_u32_e32 v5, vcc, 0, v5, vcc
	v_cmp_gt_i64_e64 s[6:7], s[52:53], v[4:5]
	v_cmp_le_i64_e32 vcc, s[52:53], v[4:5]
	v_mov_b32_e32 v9, 0
	s_and_saveexec_b64 s[8:9], s[6:7]
	s_cbranch_execz .LBB15_56
; %bb.58:                               ;   in Loop: Header=BB15_57 Depth=2
	global_load_ubyte v9, v[2:3], off
	s_branch .LBB15_56
.LBB15_59:                              ;   in Loop: Header=BB15_33 Depth=1
	s_or_b64 exec, exec, s[0:1]
	s_waitcnt lgkmcnt(0)
	s_barrier
	s_mov_b64 s[0:1], exec
	v_readlane_b32 s2, v48, 10
	v_readlane_b32 s3, v48, 11
	s_and_b64 s[2:3], s[0:1], s[2:3]
	s_mov_b64 exec, s[2:3]
	s_cbranch_execz .LBB15_61
; %bb.60:                               ;   in Loop: Header=BB15_33 Depth=1
	v_pk_mov_b32 v[2:3], s[52:53], s[52:53] op_sel:[0,1]
	ds_write_b64 v13, v[2:3] offset:5120
.LBB15_61:                              ;   in Loop: Header=BB15_33 Depth=1
	s_or_b64 exec, exec, s[0:1]
	s_mov_b64 s[6:7], -1
	s_waitcnt lgkmcnt(0)
	s_barrier
                                        ; implicit-def: $sgpr0_sgpr1
.LBB15_62:                              ;   in Loop: Header=BB15_33 Depth=1
	s_and_b64 vcc, exec, s[6:7]
	s_cbranch_vccz .LBB15_64
; %bb.63:                               ;   in Loop: Header=BB15_33 Depth=1
	ds_read_b64 v[2:3], v13 offset:5120
	s_waitcnt lgkmcnt(0)
	v_readfirstlane_b32 s0, v2
.LBB15_64:                              ;   in Loop: Header=BB15_33 Depth=1
	s_cmp_lt_i32 s0, 1
	s_cbranch_scc0 .LBB15_79
; %bb.65:                               ;   in Loop: Header=BB15_33 Depth=1
	global_load_ushort v2, v13, s[50:51]
	s_mov_b32 s2, s75
	s_mov_b32 s3, s53
	s_waitcnt vmcnt(0)
	v_readfirstlane_b32 s1, v2
	s_and_b32 s1, 0xffff, s1
	s_lshl_b32 s1, s1, 2
	s_cmp_lg_u64 s[2:3], 0
	s_cbranch_scc0 .LBB15_99
; %bb.66:                               ;   in Loop: Header=BB15_33 Depth=1
	v_cvt_f32_u32_e32 v3, s1
	s_sub_u32 s2, 0, s1
	s_subb_u32 s3, 0, 0
	v_mac_f32_e32 v3, 0x4f800000, v42
	v_rcp_f32_e32 v3, v3
	v_mul_f32_e32 v3, 0x5f7ffffc, v3
	v_mul_f32_e32 v4, 0x2f800000, v3
	v_trunc_f32_e32 v4, v4
	v_mac_f32_e32 v3, 0xcf800000, v4
	v_cvt_u32_f32_e32 v4, v4
	v_cvt_u32_f32_e32 v3, v3
	v_readfirstlane_b32 s6, v4
	v_readfirstlane_b32 s7, v3
	s_mul_i32 s8, s2, s6
	s_mul_hi_u32 s10, s2, s7
	s_mul_i32 s9, s3, s7
	s_add_i32 s8, s10, s8
	s_mul_i32 s11, s2, s7
	s_add_i32 s8, s8, s9
	s_mul_hi_u32 s10, s7, s11
	s_mul_hi_u32 s9, s7, s8
	s_mul_i32 s7, s7, s8
	s_add_u32 s7, s10, s7
	s_addc_u32 s9, 0, s9
	s_mul_hi_u32 s12, s6, s11
	s_mul_i32 s11, s6, s11
	s_add_u32 s7, s7, s11
	s_mul_hi_u32 s10, s6, s8
	s_addc_u32 s7, s9, s12
	s_addc_u32 s9, s10, 0
	s_mul_i32 s8, s6, s8
	s_add_u32 s7, s7, s8
	s_addc_u32 s8, 0, s9
	v_add_co_u32_e32 v3, vcc, s7, v3
	s_cmp_lg_u64 vcc, 0
	s_addc_u32 s6, s6, s8
	v_readfirstlane_b32 s8, v3
	s_mul_i32 s7, s2, s6
	s_mul_hi_u32 s9, s2, s8
	s_add_i32 s7, s9, s7
	s_mul_i32 s3, s3, s8
	s_add_i32 s7, s7, s3
	s_mul_i32 s2, s2, s8
	s_mul_hi_u32 s9, s6, s2
	s_mul_i32 s10, s6, s2
	s_mul_i32 s12, s8, s7
	s_mul_hi_u32 s2, s8, s2
	s_mul_hi_u32 s11, s8, s7
	s_add_u32 s2, s2, s12
	s_addc_u32 s8, 0, s11
	s_add_u32 s2, s2, s10
	s_mul_hi_u32 s3, s6, s7
	s_addc_u32 s2, s8, s9
	s_addc_u32 s3, s3, 0
	s_mul_i32 s7, s6, s7
	s_add_u32 s2, s2, s7
	s_addc_u32 s3, 0, s3
	v_add_co_u32_e32 v3, vcc, s2, v3
	s_cmp_lg_u64 vcc, 0
	s_addc_u32 s8, s6, s3
	s_ashr_i32 s2, s53, 31
	s_add_u32 s6, s52, s2
	s_mov_b32 s3, s2
	s_addc_u32 s7, s53, s2
	s_xor_b64 s[6:7], s[6:7], s[2:3]
	v_readfirstlane_b32 s10, v3
	s_mul_i32 s9, s6, s8
	s_mul_hi_u32 s11, s6, s10
	s_mul_hi_u32 s3, s6, s8
	s_add_u32 s9, s11, s9
	s_addc_u32 s3, 0, s3
	s_mul_hi_u32 s12, s7, s10
	s_mul_i32 s10, s7, s10
	s_add_u32 s9, s9, s10
	s_mul_hi_u32 s11, s7, s8
	s_addc_u32 s3, s3, s12
	s_addc_u32 s9, s11, 0
	s_mul_i32 s8, s7, s8
	s_add_u32 s3, s3, s8
	s_addc_u32 s8, 0, s9
	s_mul_hi_u32 s9, s1, s3
	s_mul_i32 s3, s1, s3
	s_mul_i32 s8, s1, s8
	v_mov_b32_e32 v3, s3
	s_add_i32 s9, s9, s8
	v_sub_co_u32_e32 v3, vcc, s6, v3
	s_cmp_lg_u64 vcc, 0
	s_subb_u32 s3, s7, s9
	v_subrev_co_u32_e32 v4, vcc, s1, v3
	s_cmp_lg_u64 vcc, 0
	s_subb_u32 s6, s3, 0
	v_subrev_co_u32_e32 v5, vcc, s1, v4
	s_cmp_lg_u64 vcc, 0
	s_subb_u32 s7, s6, 0
	v_cmp_le_u32_e32 vcc, s1, v4
	s_cmp_eq_u32 s6, 0
	v_cndmask_b32_e64 v6, 0, -1, vcc
	s_cselect_b64 vcc, -1, 0
	v_cndmask_b32_e32 v6, -1, v6, vcc
	v_mov_b32_e32 v7, s6
	v_mov_b32_e32 v8, s7
	v_cmp_ne_u32_e32 vcc, 0, v6
	v_cndmask_b32_e32 v6, v7, v8, vcc
	v_cndmask_b32_e32 v4, v4, v5, vcc
	v_cmp_le_u32_e32 vcc, s1, v3
	s_cmp_eq_u32 s3, 0
	v_cndmask_b32_e64 v5, 0, -1, vcc
	s_cselect_b64 vcc, -1, 0
	v_cndmask_b32_e32 v5, -1, v5, vcc
	v_cmp_ne_u32_e32 vcc, 0, v5
	v_mov_b32_e32 v7, s3
	v_cndmask_b32_e32 v3, v3, v4, vcc
	v_cndmask_b32_e32 v5, v7, v6, vcc
	v_xor_b32_e32 v3, s2, v3
	v_xor_b32_e32 v4, s2, v5
	v_mov_b32_e32 v5, s2
	v_subrev_co_u32_e32 v28, vcc, s2, v3
	v_subb_co_u32_e32 v29, vcc, v4, v5, vcc
	s_cbranch_execnz .LBB15_68
.LBB15_67:                              ;   in Loop: Header=BB15_33 Depth=1
	v_cvt_f32_u32_e32 v3, s1
	s_sub_i32 s2, 0, s1
	v_rcp_iflag_f32_e32 v3, v3
	v_mul_f32_e32 v3, 0x4f7ffffe, v3
	v_cvt_u32_f32_e32 v3, v3
	v_mul_lo_u32 v4, s2, v3
	v_mul_hi_u32 v4, v3, v4
	v_add_u32_e32 v3, v3, v4
	v_mul_hi_u32 v3, s52, v3
	v_mul_lo_u32 v3, v3, s1
	v_sub_u32_e32 v3, s52, v3
	v_subrev_u32_e32 v4, s1, v3
	v_cmp_le_u32_e32 vcc, s1, v3
	v_cndmask_b32_e32 v3, v3, v4, vcc
	v_subrev_u32_e32 v4, s1, v3
	v_cmp_le_u32_e32 vcc, s1, v3
	v_cndmask_b32_e32 v12, v3, v4, vcc
	v_pk_mov_b32 v[28:29], v[12:13], v[12:13] op_sel:[0,1]
.LBB15_68:                              ;   in Loop: Header=BB15_33 Depth=1
	v_and_b32_e32 v12, 0xffff, v2
	v_mov_b32_e32 v2, s53
	v_sub_co_u32_e32 v30, vcc, s52, v28
	v_subb_co_u32_e32 v31, vcc, v2, v29, vcc
	v_pk_mov_b32 v[2:3], 0, 0
	v_cmp_gt_i64_e32 vcc, v[30:31], v[16:17]
	s_mov_b64 s[80:81], 0
	v_pk_mov_b32 v[4:5], v[2:3], v[2:3] op_sel:[0,1]
	v_pk_mov_b32 v[6:7], v[2:3], v[2:3] op_sel:[0,1]
	;; [unrolled: 1-line block ×3, first 2 shown]
	s_and_saveexec_b64 s[8:9], vcc
	s_cbranch_execz .LBB15_72
; %bb.69:                               ;   in Loop: Header=BB15_33 Depth=1
	v_readlane_b32 s2, v48, 29
	v_readlane_b32 s3, v48, 30
	v_mul_lo_u32 v2, s3, v12
	v_mul_hi_u32 v3, s2, v12
	v_mul_lo_u32 v45, s2, v12
	v_readlane_b32 s2, v48, 16
	v_readlane_b32 s3, v48, 17
	s_mov_b32 s61, s49
	s_mov_b32 s78, s47
	s_and_b32 s74, s47, 0xfe
	v_add_u32_e32 v44, v3, v2
	v_pk_mov_b32 v[32:33], s[2:3], s[2:3] op_sel:[0,1]
	s_mov_b64 s[2:3], 0
	s_mov_b64 s[76:77], 0
	;; [unrolled: 1-line block ×4, first 2 shown]
	v_pk_mov_b32 v[34:35], v[16:17], v[16:17] op_sel:[0,1]
.LBB15_70:                              ;   Parent Loop BB15_33 Depth=1
                                        ; =>  This Inner Loop Header: Depth=2
	v_add_co_u32_e32 v2, vcc, v32, v26
	v_addc_co_u32_e32 v3, vcc, v33, v27, vcc
	v_add_co_u32_e32 v4, vcc, v32, v24
	v_addc_co_u32_e32 v5, vcc, v33, v25, vcc
	v_add_co_u32_e32 v6, vcc, v32, v22
	v_addc_co_u32_e32 v7, vcc, v33, v23, vcc
	v_add_co_u32_e32 v8, vcc, v32, v20
	v_addc_co_u32_e32 v9, vcc, v33, v21, vcc
	global_load_sbyte v2, v[2:3], off
	s_nop 0
	global_load_sbyte v3, v[4:5], off
	s_nop 0
	global_load_sbyte v4, v[6:7], off
	global_load_sbyte v5, v[8:9], off
	v_add_co_u32_e32 v34, vcc, s1, v34
	v_addc_co_u32_e32 v35, vcc, 0, v35, vcc
	v_add_co_u32_e32 v32, vcc, v32, v45
	v_addc_co_u32_e32 v33, vcc, v33, v44, vcc
	v_cmp_ge_i64_e32 vcc, v[34:35], v[30:31]
	s_waitcnt vmcnt(3)
	v_add_u32_e32 v2, 0x80, v2
	s_waitcnt vmcnt(2)
	v_add_u32_e32 v3, 0x80, v3
	v_and_b32_e32 v6, s82, v2
	v_bfe_u32 v2, v2, s74, 2
	s_waitcnt vmcnt(1)
	v_add_u32_e32 v4, 0x80, v4
	v_and_b32_e32 v7, s82, v3
	v_bfe_u32 v3, v3, s74, 2
	v_cmp_eq_u32_e64 s[16:17], s83, v6
	v_cmp_eq_u32_e64 s[6:7], 0, v2
	s_waitcnt vmcnt(0)
	v_add_u32_e32 v5, 0x80, v5
	v_and_b32_e32 v8, s82, v4
	v_bfe_u32 v4, v4, s74, 2
	v_cmp_eq_u32_e64 s[14:15], s83, v7
	v_cmp_eq_u32_e64 s[28:29], 0, v3
	s_and_b64 s[6:7], s[16:17], s[6:7]
	v_and_b32_e32 v9, s82, v5
	v_bfe_u32 v5, v5, s74, 2
	v_cmp_eq_u32_e64 s[12:13], s83, v8
	v_cmp_eq_u32_e64 s[30:31], 0, v4
	;; [unrolled: 1-line block ×5, first 2 shown]
	v_cndmask_b32_e64 v2, 0, 1, s[6:7]
	s_and_b64 s[6:7], s[14:15], s[28:29]
	v_cmp_eq_u32_e64 s[10:11], s83, v9
	v_cmp_eq_u32_e64 s[34:35], 0, v5
	v_cmp_eq_u32_e64 s[38:39], 1, v3
	v_cmp_eq_u32_e64 s[46:47], 2, v3
	v_cmp_eq_u32_e64 s[22:23], 3, v3
	v_cndmask_b32_e64 v3, 0, 1, s[6:7]
	s_and_b64 s[6:7], s[12:13], s[30:31]
	v_cmp_eq_u32_e64 s[40:41], 1, v4
	v_cmp_eq_u32_e64 s[48:49], 2, v4
	;; [unrolled: 1-line block ×3, first 2 shown]
	v_cndmask_b32_e64 v4, 0, 1, s[6:7]
	s_and_b64 s[6:7], s[10:11], s[34:35]
	v_cmp_eq_u32_e64 s[42:43], 1, v5
	v_cmp_eq_u32_e64 s[50:51], 2, v5
	;; [unrolled: 1-line block ×3, first 2 shown]
	v_cndmask_b32_e64 v5, 0, 1, s[6:7]
	v_cmp_ne_u32_e64 s[6:7], 0, v2
	v_cmp_ne_u32_e64 s[28:29], 0, v3
	v_cmp_ne_u32_e64 s[30:31], 0, v4
	v_cmp_ne_u32_e64 s[34:35], 0, v5
	s_bcnt1_i32_b64 s6, s[6:7]
	s_bcnt1_i32_b64 s7, s[28:29]
	s_bcnt1_i32_b64 s28, s[30:31]
	s_bcnt1_i32_b64 s29, s[34:35]
	s_add_u32 s6, s6, s26
	s_addc_u32 s26, 0, s27
	s_add_u32 s6, s6, s7
	s_addc_u32 s7, s26, 0
	s_add_u32 s6, s6, s28
	s_addc_u32 s7, s7, 0
	s_add_u32 s26, s6, s29
	s_addc_u32 s27, s7, 0
	s_and_b64 s[6:7], s[16:17], s[36:37]
	v_cndmask_b32_e64 v4, 0, 1, s[6:7]
	s_and_b64 s[6:7], s[14:15], s[38:39]
	v_cndmask_b32_e64 v5, 0, 1, s[6:7]
	s_and_b64 s[6:7], s[12:13], s[40:41]
	v_cndmask_b32_e64 v6, 0, 1, s[6:7]
	s_and_b64 s[6:7], s[10:11], s[42:43]
	v_cndmask_b32_e64 v7, 0, 1, s[6:7]
	v_cmp_ne_u32_e64 s[6:7], 0, v4
	v_cmp_ne_u32_e64 s[28:29], 0, v5
	v_cmp_ne_u32_e64 s[30:31], 0, v6
	v_cmp_ne_u32_e64 s[34:35], 0, v7
	s_bcnt1_i32_b64 s6, s[6:7]
	s_bcnt1_i32_b64 s7, s[28:29]
	s_bcnt1_i32_b64 s28, s[30:31]
	s_bcnt1_i32_b64 s29, s[34:35]
	s_add_u32 s6, s6, s90
	s_addc_u32 s30, 0, s91
	s_add_u32 s6, s6, s7
	s_addc_u32 s7, s30, 0
	s_add_u32 s6, s6, s28
	s_addc_u32 s7, s7, 0
	s_add_u32 s90, s6, s29
	s_addc_u32 s91, s7, 0
	s_and_b64 s[6:7], s[16:17], s[44:45]
	v_cndmask_b32_e64 v6, 0, 1, s[6:7]
	s_and_b64 s[6:7], s[14:15], s[46:47]
	v_cndmask_b32_e64 v7, 0, 1, s[6:7]
	s_and_b64 s[6:7], s[12:13], s[48:49]
	v_cndmask_b32_e64 v8, 0, 1, s[6:7]
	s_and_b64 s[6:7], s[10:11], s[50:51]
	;; [unrolled: 24-line block ×3, first 2 shown]
	v_cndmask_b32_e64 v47, 0, 1, s[6:7]
	v_cmp_ne_u32_e64 s[6:7], 0, v8
	v_cmp_ne_u32_e64 s[10:11], 0, v9
	;; [unrolled: 1-line block ×4, first 2 shown]
	s_bcnt1_i32_b64 s6, s[6:7]
	s_bcnt1_i32_b64 s7, s[10:11]
	;; [unrolled: 1-line block ×4, first 2 shown]
	s_add_u32 s2, s6, s2
	s_addc_u32 s3, 0, s3
	s_add_u32 s2, s2, s7
	s_addc_u32 s3, s3, 0
	;; [unrolled: 2-line block ×4, first 2 shown]
	v_pk_mov_b32 v[2:3], s[26:27], s[26:27] op_sel:[0,1]
	v_pk_mov_b32 v[4:5], s[90:91], s[90:91] op_sel:[0,1]
	;; [unrolled: 1-line block ×3, first 2 shown]
	s_or_b64 s[80:81], vcc, s[80:81]
	v_pk_mov_b32 v[8:9], s[2:3], s[2:3] op_sel:[0,1]
	s_andn2_b64 exec, exec, s[80:81]
	s_cbranch_execnz .LBB15_70
; %bb.71:                               ;   in Loop: Header=BB15_33 Depth=1
	s_or_b64 exec, exec, s[80:81]
	v_readlane_b32 s44, v48, 33
	v_readlane_b32 s50, v48, 36
	;; [unrolled: 1-line block ×5, first 2 shown]
	s_mov_b32 s49, s61
	v_readlane_b32 s51, v48, 37
	s_mov_b32 s47, s78
	v_readlane_b32 s67, v48, 39
.LBB15_72:                              ;   in Loop: Header=BB15_33 Depth=1
	s_or_b64 exec, exec, s[8:9]
	v_add_co_u32_e32 v30, vcc, v30, v0
	v_addc_co_u32_e32 v31, vcc, 0, v31, vcc
	v_cmp_gt_i64_e32 vcc, s[52:53], v[30:31]
	v_mov_b32_e32 v34, 0
	s_and_saveexec_b64 s[2:3], vcc
	s_cbranch_execz .LBB15_74
; %bb.73:                               ;   in Loop: Header=BB15_33 Depth=1
	v_readlane_b32 s6, v48, 16
	v_readlane_b32 s7, v48, 17
	v_pk_mov_b32 v[32:33], s[6:7], s[6:7] op_sel:[0,1]
	v_mad_u64_u32 v[32:33], s[6:7], v30, s58, v[32:33]
	v_mul_lo_u32 v34, v30, s59
	v_mul_lo_u32 v35, v31, s58
	v_add3_u32 v33, v35, v33, v34
	global_load_ubyte v34, v[32:33], off
.LBB15_74:                              ;   in Loop: Header=BB15_33 Depth=1
	s_or_b64 exec, exec, s[2:3]
	s_and_saveexec_b64 s[2:3], vcc
	s_cbranch_execz .LBB15_81
; %bb.75:                               ;   in Loop: Header=BB15_33 Depth=1
	v_add_co_u32_e32 v32, vcc, v39, v12
	v_addc_co_u32_e32 v33, vcc, 0, v40, vcc
	v_sub_co_u32_e32 v32, vcc, v32, v28
	v_readlane_b32 s6, v48, 31
	v_subb_co_u32_e32 v28, vcc, v33, v29, vcc
	v_readlane_b32 s7, v48, 32
	v_mul_lo_u32 v33, s58, v28
	v_pk_mov_b32 v[28:29], s[6:7], s[6:7] op_sel:[0,1]
	v_mul_lo_u32 v35, s59, v32
	v_mad_u64_u32 v[28:29], s[6:7], s58, v32, v[28:29]
	v_add3_u32 v29, v35, v29, v33
	v_mul_lo_u32 v32, s59, v12
	v_mul_hi_u32 v33, s58, v12
	s_and_b32 s1, s47, 0xfe
	v_add_u32_e32 v32, v33, v32
	v_mul_lo_u32 v33, s58, v12
	s_mov_b64 s[8:9], 0
	s_branch .LBB15_77
.LBB15_76:                              ;   in Loop: Header=BB15_77 Depth=2
	s_or_b64 exec, exec, s[10:11]
	s_waitcnt vmcnt(0)
	v_add_u32_sdwa v34, sext(v34), s85 dst_sel:DWORD dst_unused:UNUSED_PAD src0_sel:BYTE_0 src1_sel:DWORD
	s_and_b64 s[6:7], exec, vcc
	v_and_b32_e32 v44, s82, v34
	v_bfe_u32 v34, v34, s1, 2
	s_or_b64 s[8:9], s[6:7], s[8:9]
	v_cmp_eq_u32_e32 vcc, s83, v44
	v_cmp_eq_u32_e64 s[6:7], 0, v34
	s_and_b64 s[6:7], vcc, s[6:7]
	v_cndmask_b32_e64 v44, 0, 1, s[6:7]
	v_cmp_ne_u32_e64 s[6:7], 0, v44
	s_bcnt1_i32_b64 s6, s[6:7]
	v_add_co_u32_e64 v2, s[6:7], s6, v2
	v_addc_co_u32_e64 v3, s[6:7], 0, v3, s[6:7]
	v_cmp_eq_u32_e64 s[6:7], 1, v34
	s_and_b64 s[6:7], vcc, s[6:7]
	v_cndmask_b32_e64 v44, 0, 1, s[6:7]
	v_cmp_ne_u32_e64 s[6:7], 0, v44
	s_bcnt1_i32_b64 s6, s[6:7]
	v_add_co_u32_e64 v4, s[6:7], s6, v4
	v_addc_co_u32_e64 v5, s[6:7], 0, v5, s[6:7]
	;; [unrolled: 7-line block ×3, first 2 shown]
	v_cmp_eq_u32_e64 s[6:7], 3, v34
	s_and_b64 s[6:7], vcc, s[6:7]
	v_cndmask_b32_e64 v34, 0, 1, s[6:7]
	v_cmp_ne_u32_e32 vcc, 0, v34
	s_bcnt1_i32_b64 s6, vcc
	v_add_co_u32_e32 v8, vcc, s6, v8
	v_addc_co_u32_e32 v9, vcc, 0, v9, vcc
	v_add_co_u32_e32 v28, vcc, v28, v33
	v_addc_co_u32_e32 v29, vcc, v29, v32, vcc
	v_mov_b32_e32 v34, v35
	s_andn2_b64 exec, exec, s[8:9]
	s_cbranch_execz .LBB15_80
.LBB15_77:                              ;   Parent Loop BB15_33 Depth=1
                                        ; =>  This Inner Loop Header: Depth=2
	v_add_co_u32_e32 v30, vcc, v30, v12
	v_addc_co_u32_e32 v31, vcc, 0, v31, vcc
	v_cmp_gt_i64_e64 s[6:7], s[52:53], v[30:31]
	v_cmp_le_i64_e32 vcc, s[52:53], v[30:31]
	v_mov_b32_e32 v35, 0
	s_and_saveexec_b64 s[10:11], s[6:7]
	s_cbranch_execz .LBB15_76
; %bb.78:                               ;   in Loop: Header=BB15_77 Depth=2
	global_load_ubyte v35, v[28:29], off
	s_branch .LBB15_76
.LBB15_79:                              ;   in Loop: Header=BB15_33 Depth=1
                                        ; implicit-def: $vgpr8_vgpr9
                                        ; implicit-def: $vgpr4_vgpr5
	s_cbranch_execnz .LBB15_82
	s_branch .LBB15_91
.LBB15_80:                              ;   in Loop: Header=BB15_33 Depth=1
	s_or_b64 exec, exec, s[8:9]
.LBB15_81:                              ;   in Loop: Header=BB15_33 Depth=1
	s_or_b64 exec, exec, s[2:3]
	s_branch .LBB15_91
.LBB15_82:                              ;   in Loop: Header=BB15_33 Depth=1
	global_load_ushort v12, v13, s[50:51]
	s_mov_b64 s[8:9], 0
	s_waitcnt vmcnt(0)
	v_readfirstlane_b32 s1, v12
	s_and_b32 s1, 0xffff, s1
	s_lshl_b32 s1, s1, 2
	v_cvt_f32_u32_e32 v2, s1
	s_sub_i32 s2, 0, s1
	v_rcp_iflag_f32_e32 v4, v2
	v_pk_mov_b32 v[2:3], 0, 0
	v_pk_mov_b32 v[6:7], v[2:3], v[2:3] op_sel:[0,1]
	v_mul_f32_e32 v4, 0x4f7ffffe, v4
	v_cvt_u32_f32_e32 v8, v4
	v_pk_mov_b32 v[4:5], v[2:3], v[2:3] op_sel:[0,1]
	v_readfirstlane_b32 s3, v8
	s_mul_i32 s2, s2, s3
	s_mul_hi_u32 s2, s3, s2
	s_add_i32 s3, s3, s2
	s_mul_hi_u32 s2, s0, s3
	s_mul_i32 s2, s2, s1
	s_sub_i32 s2, s0, s2
	s_sub_i32 s3, s2, s1
	s_cmp_ge_u32 s2, s1
	s_cselect_b32 s2, s3, s2
	s_sub_i32 s3, s2, s1
	s_cmp_ge_u32 s2, s1
	s_cselect_b32 s2, s3, s2
	s_sub_i32 s74, s0, s2
	v_cmp_gt_u32_e32 vcc, s74, v16
	v_pk_mov_b32 v[8:9], v[2:3], v[2:3] op_sel:[0,1]
	s_and_saveexec_b64 s[2:3], vcc
	s_cbranch_execz .LBB15_86
; %bb.83:                               ;   in Loop: Header=BB15_33 Depth=1
	s_mov_b32 s66, s60
	s_mov_b32 s61, s49
	;; [unrolled: 1-line block ×4, first 2 shown]
	s_and_b32 s84, s47, 0xfe
	v_mov_b32_e32 v30, v16
	s_mov_b64 s[26:27], 0
	s_mov_b64 s[76:77], 0
	;; [unrolled: 1-line block ×4, first 2 shown]
	v_pk_mov_b32 v[28:29], v[16:17], v[16:17] op_sel:[0,1]
.LBB15_84:                              ;   Parent Loop BB15_33 Depth=1
                                        ; =>  This Inner Loop Header: Depth=2
	ds_read_b32 v2, v30
	v_add_co_u32_e32 v28, vcc, s1, v28
	v_addc_co_u32_e32 v29, vcc, 0, v29, vcc
	s_waitcnt lgkmcnt(0)
	v_add_u32_sdwa v3, sext(v2), s85 dst_sel:DWORD dst_unused:UNUSED_PAD src0_sel:BYTE_0 src1_sel:DWORD
	v_add_u32_sdwa v4, sext(v2), s85 dst_sel:DWORD dst_unused:UNUSED_PAD src0_sel:BYTE_1 src1_sel:DWORD
	v_and_b32_e32 v6, s82, v3
	v_bfe_u32 v3, v3, s84, 2
	v_add_u32_sdwa v5, sext(v2), s85 dst_sel:DWORD dst_unused:UNUSED_PAD src0_sel:BYTE_2 src1_sel:DWORD
	v_add_u32_sdwa v2, sext(v2), s85 dst_sel:DWORD dst_unused:UNUSED_PAD src0_sel:BYTE_3 src1_sel:DWORD
	v_and_b32_e32 v7, s82, v4
	v_bfe_u32 v4, v4, s84, 2
	v_cmp_eq_u32_e64 s[16:17], s83, v6
	v_cmp_eq_u32_e64 s[6:7], 0, v3
	v_and_b32_e32 v8, s82, v5
	v_and_b32_e32 v9, s82, v2
	v_bfe_u32 v5, v5, s84, 2
	v_bfe_u32 v2, v2, s84, 2
	v_cmp_eq_u32_e64 s[14:15], s83, v7
	v_cmp_eq_u32_e64 s[28:29], 0, v4
	s_and_b64 s[6:7], s[16:17], s[6:7]
	v_cmp_eq_u32_e64 s[12:13], s83, v8
	v_cmp_eq_u32_e64 s[30:31], 0, v5
	;; [unrolled: 1-line block ×6, first 2 shown]
	v_cndmask_b32_e64 v2, 0, 1, s[6:7]
	s_and_b64 s[6:7], s[14:15], s[28:29]
	v_cmp_eq_u32_e64 s[10:11], s83, v9
	v_cmp_eq_u32_e64 s[36:37], 1, v3
	;; [unrolled: 1-line block ×4, first 2 shown]
	v_cndmask_b32_e64 v3, 0, 1, s[6:7]
	s_and_b64 s[6:7], s[12:13], s[30:31]
	v_cmp_eq_u32_e64 s[38:39], 1, v4
	v_cmp_eq_u32_e64 s[46:47], 2, v4
	;; [unrolled: 1-line block ×3, first 2 shown]
	v_cndmask_b32_e64 v4, 0, 1, s[6:7]
	s_and_b64 s[6:7], s[10:11], s[34:35]
	v_cmp_eq_u32_e64 s[40:41], 1, v5
	v_cmp_eq_u32_e64 s[48:49], 2, v5
	;; [unrolled: 1-line block ×3, first 2 shown]
	v_cndmask_b32_e64 v5, 0, 1, s[6:7]
	v_cmp_ne_u32_e64 s[6:7], 0, v2
	v_cmp_ne_u32_e64 s[28:29], 0, v3
	v_cmp_ne_u32_e64 s[30:31], 0, v4
	v_cmp_ne_u32_e64 s[34:35], 0, v5
	s_bcnt1_i32_b64 s6, s[6:7]
	s_bcnt1_i32_b64 s7, s[28:29]
	s_bcnt1_i32_b64 s28, s[30:31]
	s_bcnt1_i32_b64 s29, s[34:35]
	s_add_u32 s6, s6, s90
	s_addc_u32 s30, 0, s91
	s_add_u32 s6, s6, s7
	s_addc_u32 s7, s30, 0
	s_add_u32 s6, s6, s28
	s_addc_u32 s7, s7, 0
	s_add_u32 s90, s6, s29
	s_addc_u32 s91, s7, 0
	s_and_b64 s[6:7], s[16:17], s[36:37]
	v_cndmask_b32_e64 v4, 0, 1, s[6:7]
	s_and_b64 s[6:7], s[14:15], s[38:39]
	v_cndmask_b32_e64 v5, 0, 1, s[6:7]
	s_and_b64 s[6:7], s[12:13], s[40:41]
	v_cndmask_b32_e64 v6, 0, 1, s[6:7]
	s_and_b64 s[6:7], s[10:11], s[42:43]
	v_cndmask_b32_e64 v7, 0, 1, s[6:7]
	v_cmp_ne_u32_e64 s[6:7], 0, v4
	v_cmp_ne_u32_e64 s[28:29], 0, v5
	v_cmp_ne_u32_e64 s[30:31], 0, v6
	v_cmp_ne_u32_e64 s[34:35], 0, v7
	s_bcnt1_i32_b64 s6, s[6:7]
	s_bcnt1_i32_b64 s7, s[28:29]
	s_bcnt1_i32_b64 s28, s[30:31]
	s_bcnt1_i32_b64 s29, s[34:35]
	s_add_u32 s6, s6, s80
	s_addc_u32 s30, 0, s81
	s_add_u32 s6, s6, s7
	s_addc_u32 s7, s30, 0
	s_add_u32 s6, s6, s28
	s_addc_u32 s7, s7, 0
	s_add_u32 s80, s6, s29
	s_addc_u32 s81, s7, 0
	s_and_b64 s[6:7], s[16:17], s[44:45]
	v_cndmask_b32_e64 v6, 0, 1, s[6:7]
	s_and_b64 s[6:7], s[14:15], s[46:47]
	v_cndmask_b32_e64 v7, 0, 1, s[6:7]
	s_and_b64 s[6:7], s[12:13], s[48:49]
	v_cndmask_b32_e64 v8, 0, 1, s[6:7]
	s_and_b64 s[6:7], s[10:11], s[50:51]
	v_cndmask_b32_e64 v9, 0, 1, s[6:7]
	v_cmp_ne_u32_e64 s[6:7], 0, v6
	v_cmp_ne_u32_e64 s[28:29], 0, v7
	v_cmp_ne_u32_e64 s[30:31], 0, v8
	v_cmp_ne_u32_e64 s[34:35], 0, v9
	s_bcnt1_i32_b64 s6, s[6:7]
	s_bcnt1_i32_b64 s7, s[28:29]
	s_bcnt1_i32_b64 s28, s[30:31]
	s_bcnt1_i32_b64 s29, s[34:35]
	s_add_u32 s6, s6, s76
	s_addc_u32 s30, 0, s77
	s_add_u32 s6, s6, s7
	s_addc_u32 s7, s30, 0
	s_add_u32 s6, s6, s28
	s_addc_u32 s7, s7, 0
	s_add_u32 s76, s6, s29
	s_addc_u32 s77, s7, 0
	s_and_b64 s[6:7], s[16:17], s[24:25]
	v_cndmask_b32_e64 v8, 0, 1, s[6:7]
	s_and_b64 s[6:7], s[14:15], s[22:23]
	v_cndmask_b32_e64 v9, 0, 1, s[6:7]
	s_and_b64 s[6:7], s[12:13], s[20:21]
	v_cndmask_b32_e64 v31, 0, 1, s[6:7]
	s_and_b64 s[6:7], s[10:11], s[18:19]
	v_cndmask_b32_e64 v32, 0, 1, s[6:7]
	v_cmp_ne_u32_e64 s[6:7], 0, v8
	v_cmp_ne_u32_e64 s[10:11], 0, v9
	;; [unrolled: 1-line block ×4, first 2 shown]
	s_bcnt1_i32_b64 s6, s[6:7]
	s_bcnt1_i32_b64 s7, s[10:11]
	;; [unrolled: 1-line block ×4, first 2 shown]
	s_add_u32 s6, s6, s26
	s_addc_u32 s12, 0, s27
	s_add_u32 s6, s6, s7
	s_addc_u32 s7, s12, 0
	;; [unrolled: 2-line block ×3, first 2 shown]
	s_add_u32 s26, s6, s11
	v_cmp_le_u64_e32 vcc, s[74:75], v[28:29]
	s_addc_u32 s27, s7, 0
	v_add_u32_e32 v30, s1, v30
	v_pk_mov_b32 v[2:3], s[90:91], s[90:91] op_sel:[0,1]
	v_pk_mov_b32 v[4:5], s[80:81], s[80:81] op_sel:[0,1]
	;; [unrolled: 1-line block ×3, first 2 shown]
	s_or_b64 s[8:9], vcc, s[8:9]
	v_pk_mov_b32 v[8:9], s[26:27], s[26:27] op_sel:[0,1]
	s_andn2_b64 exec, exec, s[8:9]
	s_cbranch_execnz .LBB15_84
; %bb.85:                               ;   in Loop: Header=BB15_33 Depth=1
	s_or_b64 exec, exec, s[8:9]
	v_readlane_b32 s44, v48, 33
	v_readlane_b32 s50, v48, 36
	s_mov_b32 s47, s60
	s_mov_b32 s60, s66
	v_readlane_b32 s66, v48, 38
	v_readlane_b32 s45, v48, 34
	s_mov_b32 s84, s78
	v_readlane_b32 s46, v48, 35
	s_mov_b32 s49, s61
	v_readlane_b32 s51, v48, 37
	v_readlane_b32 s67, v48, 39
.LBB15_86:                              ;   in Loop: Header=BB15_33 Depth=1
	s_or_b64 exec, exec, s[2:3]
	v_and_b32_e32 v30, 0xffff, v12
	v_add_u32_e32 v12, s74, v0
	v_cmp_gt_u32_e32 vcc, s0, v12
	s_and_saveexec_b64 s[2:3], vcc
	s_cbranch_execz .LBB15_90
; %bb.87:                               ;   in Loop: Header=BB15_33 Depth=1
	s_and_b32 s74, s0, 0x7fffffff
	s_and_b32 s8, s47, 0xfe
	s_mov_b64 s[0:1], 0
	v_pk_mov_b32 v[28:29], v[12:13], v[12:13] op_sel:[0,1]
.LBB15_88:                              ;   Parent Loop BB15_33 Depth=1
                                        ; =>  This Inner Loop Header: Depth=2
	ds_read_i8 v31, v12
	v_add_co_u32_e32 v28, vcc, v28, v30
	v_addc_co_u32_e32 v29, vcc, 0, v29, vcc
	s_waitcnt lgkmcnt(0)
	v_add_u32_e32 v31, 0x80, v31
	v_and_b32_e32 v32, s82, v31
	v_bfe_u32 v31, v31, s8, 2
	v_cmp_eq_u32_e64 s[6:7], s83, v32
	v_cmp_eq_u32_e64 s[10:11], 0, v31
	;; [unrolled: 1-line block ×3, first 2 shown]
	s_and_b64 s[10:11], s[6:7], s[10:11]
	v_cmp_eq_u32_e64 s[14:15], 2, v31
	v_cmp_eq_u32_e64 s[16:17], 3, v31
	v_cndmask_b32_e64 v31, 0, 1, s[10:11]
	s_and_b64 s[10:11], s[6:7], s[12:13]
	v_cndmask_b32_e64 v32, 0, 1, s[10:11]
	s_and_b64 s[10:11], s[6:7], s[14:15]
	s_and_b64 s[6:7], s[6:7], s[16:17]
	v_cndmask_b32_e64 v34, 0, 1, s[6:7]
	v_cmp_ne_u32_e64 s[6:7], 0, v31
	s_bcnt1_i32_b64 s6, s[6:7]
	v_cndmask_b32_e64 v33, 0, 1, s[10:11]
	v_cmp_ne_u32_e64 s[10:11], 0, v32
	v_add_co_u32_e64 v2, s[6:7], s6, v2
	s_bcnt1_i32_b64 s9, s[10:11]
	v_addc_co_u32_e64 v3, s[6:7], 0, v3, s[6:7]
	v_cmp_ne_u32_e64 s[12:13], 0, v33
	v_cmp_ne_u32_e64 s[14:15], 0, v34
	v_add_co_u32_e64 v4, s[6:7], s9, v4
	v_cmp_le_u64_e32 vcc, s[74:75], v[28:29]
	s_bcnt1_i32_b64 s10, s[12:13]
	s_bcnt1_i32_b64 s11, s[14:15]
	v_addc_co_u32_e64 v5, s[6:7], 0, v5, s[6:7]
	v_add_co_u32_e64 v6, s[6:7], s10, v6
	s_or_b64 s[0:1], vcc, s[0:1]
	v_add_co_u32_e32 v8, vcc, s11, v8
	v_add_u32_e32 v12, v12, v30
	v_addc_co_u32_e64 v7, s[6:7], 0, v7, s[6:7]
	v_addc_co_u32_e32 v9, vcc, 0, v9, vcc
	s_andn2_b64 exec, exec, s[0:1]
	s_cbranch_execnz .LBB15_88
; %bb.89:                               ;   in Loop: Header=BB15_33 Depth=1
	s_or_b64 exec, exec, s[0:1]
.LBB15_90:                              ;   in Loop: Header=BB15_33 Depth=1
	s_or_b64 exec, exec, s[2:3]
.LBB15_91:                              ;   in Loop: Header=BB15_33 Depth=1
	s_lshl_b32 s2, s60, 6
	s_and_saveexec_b64 s[0:1], s[4:5]
	s_cbranch_execz .LBB15_93
; %bb.92:                               ;   in Loop: Header=BB15_33 Depth=1
	v_or_b32_e32 v12, s2, v37
	v_lshlrev_b32_e32 v12, 3, v12
	ds_write_b128 v12, v[2:5] offset:3072
	s_waitcnt vmcnt(0)
	ds_write_b128 v12, v[6:9] offset:3088
.LBB15_93:                              ;   in Loop: Header=BB15_33 Depth=1
	s_or_b64 exec, exec, s[0:1]
	s_waitcnt lgkmcnt(0)
	s_barrier
	s_and_saveexec_b64 s[0:1], s[44:45]
	s_cbranch_execz .LBB15_105
; %bb.94:                               ;   in Loop: Header=BB15_33 Depth=1
	v_readlane_b32 s6, v48, 20
	v_readlane_b32 s7, v48, 21
	s_andn2_b64 vcc, exec, s[6:7]
	v_pk_mov_b32 v[2:3], 0, 0
	s_cbranch_vccnz .LBB15_104
; %bb.95:                               ;   in Loop: Header=BB15_33 Depth=1
	v_readlane_b32 s6, v48, 24
	v_readlane_b32 s7, v48, 25
	s_andn2_b64 vcc, exec, s[6:7]
	s_cbranch_vccnz .LBB15_100
; %bb.96:                               ;   in Loop: Header=BB15_33 Depth=1
	v_lshl_add_u32 v4, s60, 9, v41
	s_mov_b32 s3, 0
	v_pk_mov_b32 v[2:3], 0, 0
.LBB15_97:                              ;   Parent Loop BB15_33 Depth=1
                                        ; =>  This Inner Loop Header: Depth=2
	s_waitcnt vmcnt(0)
	ds_read2_b64 v[6:9], v4 offset1:4
	ds_read2_b64 v[28:31], v4 offset0:8 offset1:12
	ds_read2_b64 v[32:35], v4 offset0:16 offset1:20
	;; [unrolled: 1-line block ×3, first 2 shown]
	s_add_i32 s3, s3, 8
	s_waitcnt lgkmcnt(3)
	v_add_co_u32_e32 v2, vcc, v6, v2
	v_addc_co_u32_e32 v3, vcc, v7, v3, vcc
	v_add_co_u32_e32 v2, vcc, v8, v2
	v_addc_co_u32_e32 v3, vcc, v9, v3, vcc
	s_waitcnt lgkmcnt(2)
	v_add_co_u32_e32 v2, vcc, v28, v2
	v_addc_co_u32_e32 v3, vcc, v29, v3, vcc
	v_add_co_u32_e32 v2, vcc, v30, v2
	v_addc_co_u32_e32 v3, vcc, v31, v3, vcc
	;; [unrolled: 5-line block ×3, first 2 shown]
	s_waitcnt lgkmcnt(0)
	v_add_co_u32_e32 v2, vcc, v44, v2
	v_addc_co_u32_e32 v3, vcc, v45, v3, vcc
	v_add_co_u32_e32 v2, vcc, v46, v2
	v_add_u32_e32 v4, 0x100, v4
	s_cmp_eq_u32 s79, s3
	v_addc_co_u32_e32 v3, vcc, v47, v3, vcc
	s_cbranch_scc0 .LBB15_97
; %bb.98:                               ;   in Loop: Header=BB15_33 Depth=1
	s_mov_b32 s3, s79
	s_branch .LBB15_101
.LBB15_99:                              ;   in Loop: Header=BB15_33 Depth=1
                                        ; implicit-def: $vgpr28_vgpr29
	s_branch .LBB15_67
.LBB15_100:                             ;   in Loop: Header=BB15_33 Depth=1
	s_mov_b32 s3, 0
	v_pk_mov_b32 v[2:3], 0, 0
.LBB15_101:                             ;   in Loop: Header=BB15_33 Depth=1
	v_readlane_b32 s6, v48, 27
	v_readlane_b32 s7, v48, 28
	s_andn2_b64 vcc, exec, s[6:7]
	s_cbranch_vccnz .LBB15_104
; %bb.102:                              ;   in Loop: Header=BB15_33 Depth=1
	s_lshl_b32 s6, s60, 9
	s_lshl_b32 s3, s3, 5
	s_add_i32 s6, s6, s3
	v_add_u32_e32 v4, s6, v41
	v_readlane_b32 s3, v48, 26
.LBB15_103:                             ;   Parent Loop BB15_33 Depth=1
                                        ; =>  This Inner Loop Header: Depth=2
	s_waitcnt vmcnt(0)
	ds_read_b64 v[6:7], v4
	s_add_i32 s3, s3, -1
	v_add_u32_e32 v4, 32, v4
	s_cmp_lg_u32 s3, 0
	s_waitcnt lgkmcnt(0)
	v_add_co_u32_e32 v2, vcc, v6, v2
	v_addc_co_u32_e32 v3, vcc, v7, v3, vcc
	s_cbranch_scc1 .LBB15_103
.LBB15_104:                             ;   in Loop: Header=BB15_33 Depth=1
	v_add_lshl_u32 v4, s2, v36, 3
	ds_write_b64 v4, v[2:3] offset:3072
.LBB15_105:                             ;   in Loop: Header=BB15_33 Depth=1
	s_or_b64 exec, exec, s[0:1]
	s_lshl_b32 s0, s2, 3
	s_waitcnt vmcnt(0)
	v_mov_b32_e32 v6, s0
	s_waitcnt lgkmcnt(0)
	s_barrier
	ds_read_b128 v[2:5], v6 offset:3072
	ds_read_b128 v[6:9], v6 offset:3088
	s_and_b32 s26, s47, 0xfe
	s_lshl_b32 s42, 3, s26
	s_not_b32 s27, s42
	s_waitcnt lgkmcnt(1)
	v_readfirstlane_b32 s1, v3
	v_readfirstlane_b32 s0, v2
	s_cmp_eq_u64 s[0:1], 1
	s_cselect_b64 s[2:3], -1, 0
	s_cmp_eq_u64 s[54:55], 1
	s_cselect_b64 s[8:9], -1, 0
	s_and_b64 s[16:17], s[2:3], s[8:9]
	v_readfirstlane_b32 s24, v4
	v_readfirstlane_b32 s25, v5
	s_waitcnt lgkmcnt(0)
	v_readfirstlane_b32 s14, v6
	v_readfirstlane_b32 s15, v7
	;; [unrolled: 1-line block ×4, first 2 shown]
	s_mov_b64 s[12:13], -1
	s_and_b64 vcc, exec, s[16:17]
	s_cbranch_vccz .LBB15_120
; %bb.106:                              ;   in Loop: Header=BB15_33 Depth=1
	ds_read_b64 v[2:3], v13 offset:5120
	s_waitcnt lgkmcnt(0)
	s_barrier
	v_readfirstlane_b32 s10, v2
	v_readfirstlane_b32 s11, v3
	s_mov_b64 s[2:3], exec
	v_readlane_b32 s8, v48, 12
	v_readlane_b32 s9, v48, 13
	s_and_b64 s[8:9], s[2:3], s[8:9]
	s_mov_b64 exec, s[8:9]
	s_cbranch_execz .LBB15_108
; %bb.107:                              ;   in Loop: Header=BB15_33 Depth=1
	ds_write_b8 v0, v13 offset:3072
.LBB15_108:                             ;   in Loop: Header=BB15_33 Depth=1
	s_or_b64 exec, exec, s[2:3]
	v_cmp_lt_i64_e64 s[2:3], s[10:11], 1
	s_and_b32 s83, s83, s27
	s_or_b32 s82, s82, s42
	s_and_b64 vcc, exec, s[2:3]
	s_waitcnt lgkmcnt(0)
	s_barrier
	s_cbranch_vccz .LBB15_121
; %bb.109:                              ;   in Loop: Header=BB15_33 Depth=1
	s_mov_b32 s48, s75
	s_cmp_lg_u64 s[48:49], 0
	s_cbranch_scc0 .LBB15_166
; %bb.110:                              ;   in Loop: Header=BB15_33 Depth=1
	v_cvt_f32_u32_e32 v2, s33
	s_sub_u32 s2, 0, s33
	s_subb_u32 s3, 0, 0
	v_mac_f32_e32 v2, 0x4f800000, v42
	v_rcp_f32_e32 v2, v2
	v_mul_f32_e32 v2, 0x5f7ffffc, v2
	v_mul_f32_e32 v3, 0x2f800000, v2
	v_trunc_f32_e32 v3, v3
	v_mac_f32_e32 v2, 0xcf800000, v3
	v_cvt_u32_f32_e32 v3, v3
	v_cvt_u32_f32_e32 v2, v2
	v_readfirstlane_b32 s8, v3
	v_readfirstlane_b32 s9, v2
	s_mul_i32 s18, s2, s8
	s_mul_hi_u32 s20, s2, s9
	s_mul_i32 s19, s3, s9
	s_add_i32 s18, s20, s18
	s_mul_i32 s21, s2, s9
	s_add_i32 s18, s18, s19
	s_mul_hi_u32 s20, s9, s21
	s_mul_hi_u32 s19, s9, s18
	s_mul_i32 s9, s9, s18
	s_add_u32 s9, s20, s9
	s_addc_u32 s19, 0, s19
	s_mul_hi_u32 s22, s8, s21
	s_mul_i32 s21, s8, s21
	s_add_u32 s9, s9, s21
	s_mul_hi_u32 s20, s8, s18
	s_addc_u32 s9, s19, s22
	s_addc_u32 s19, s20, 0
	s_mul_i32 s18, s8, s18
	s_add_u32 s9, s9, s18
	s_addc_u32 s18, 0, s19
	v_add_co_u32_e32 v2, vcc, s9, v2
	s_cmp_lg_u64 vcc, 0
	s_addc_u32 s8, s8, s18
	v_readfirstlane_b32 s18, v2
	s_mul_i32 s9, s2, s8
	s_mul_hi_u32 s19, s2, s18
	s_add_i32 s9, s19, s9
	s_mul_i32 s3, s3, s18
	s_add_i32 s9, s9, s3
	s_mul_i32 s2, s2, s18
	s_mul_hi_u32 s19, s8, s2
	s_mul_i32 s20, s8, s2
	s_mul_i32 s22, s18, s9
	s_mul_hi_u32 s2, s18, s2
	s_mul_hi_u32 s21, s18, s9
	s_add_u32 s2, s2, s22
	s_addc_u32 s18, 0, s21
	s_add_u32 s2, s2, s20
	s_mul_hi_u32 s3, s8, s9
	s_addc_u32 s2, s18, s19
	s_addc_u32 s3, s3, 0
	s_mul_i32 s9, s8, s9
	s_add_u32 s2, s2, s9
	s_addc_u32 s3, 0, s3
	v_add_co_u32_e32 v2, vcc, s2, v2
	s_cmp_lg_u64 vcc, 0
	s_addc_u32 s18, s8, s3
	s_ashr_i32 s2, s49, 31
	s_add_u32 s8, s84, s2
	s_mov_b32 s3, s2
	s_addc_u32 s9, s49, s2
	s_xor_b64 s[8:9], s[8:9], s[2:3]
	v_readfirstlane_b32 s20, v2
	s_mul_i32 s19, s8, s18
	s_mul_hi_u32 s21, s8, s20
	s_mul_hi_u32 s3, s8, s18
	s_add_u32 s19, s21, s19
	s_addc_u32 s3, 0, s3
	s_mul_hi_u32 s22, s9, s20
	s_mul_i32 s20, s9, s20
	s_add_u32 s19, s19, s20
	s_mul_hi_u32 s21, s9, s18
	s_addc_u32 s3, s3, s22
	s_addc_u32 s19, s21, 0
	s_mul_i32 s18, s9, s18
	s_add_u32 s3, s3, s18
	s_addc_u32 s18, 0, s19
	s_mul_hi_u32 s19, s33, s3
	s_mul_i32 s3, s33, s3
	s_mul_i32 s18, s33, s18
	v_mov_b32_e32 v2, s3
	s_add_i32 s19, s19, s18
	v_sub_co_u32_e32 v2, vcc, s8, v2
	s_cmp_lg_u64 vcc, 0
	s_subb_u32 s3, s9, s19
	v_subrev_co_u32_e32 v3, vcc, s33, v2
	s_cmp_lg_u64 vcc, 0
	s_subb_u32 s8, s3, 0
	v_subrev_co_u32_e32 v4, vcc, s33, v3
	s_cmp_lg_u64 vcc, 0
	s_subb_u32 s9, s8, 0
	v_cmp_le_u32_e32 vcc, s33, v3
	s_cmp_eq_u32 s8, 0
	v_cndmask_b32_e64 v5, 0, -1, vcc
	s_cselect_b64 vcc, -1, 0
	v_cndmask_b32_e32 v5, -1, v5, vcc
	v_mov_b32_e32 v6, s8
	v_mov_b32_e32 v7, s9
	v_cmp_ne_u32_e32 vcc, 0, v5
	v_cndmask_b32_e32 v5, v6, v7, vcc
	v_cndmask_b32_e32 v3, v3, v4, vcc
	v_cmp_le_u32_e32 vcc, s33, v2
	s_cmp_eq_u32 s3, 0
	v_cndmask_b32_e64 v4, 0, -1, vcc
	s_cselect_b64 vcc, -1, 0
	v_cndmask_b32_e32 v4, -1, v4, vcc
	v_cmp_ne_u32_e32 vcc, 0, v4
	v_mov_b32_e32 v6, s3
	v_cndmask_b32_e32 v2, v2, v3, vcc
	v_cndmask_b32_e32 v4, v6, v5, vcc
	v_xor_b32_e32 v2, s2, v2
	v_xor_b32_e32 v3, s2, v4
	v_mov_b32_e32 v4, s2
	v_subrev_co_u32_e32 v2, vcc, s2, v2
	v_subb_co_u32_e32 v3, vcc, v3, v4, vcc
	s_cbranch_execnz .LBB15_112
.LBB15_111:                             ;   in Loop: Header=BB15_33 Depth=1
	v_cvt_f32_u32_e32 v2, s33
	s_sub_i32 s2, 0, s33
	v_rcp_iflag_f32_e32 v2, v2
	v_mul_f32_e32 v2, 0x4f7ffffe, v2
	v_cvt_u32_f32_e32 v2, v2
	v_mul_lo_u32 v3, s2, v2
	v_mul_hi_u32 v3, v2, v3
	v_add_u32_e32 v2, v2, v3
	v_mul_hi_u32 v2, s84, v2
	v_mul_lo_u32 v2, v2, s33
	v_sub_u32_e32 v2, s84, v2
	v_subrev_u32_e32 v3, s33, v2
	v_cmp_le_u32_e32 vcc, s33, v2
	v_cndmask_b32_e32 v2, v2, v3, vcc
	v_subrev_u32_e32 v3, s33, v2
	v_cmp_le_u32_e32 vcc, s33, v2
	v_cndmask_b32_e32 v12, v2, v3, vcc
	v_pk_mov_b32 v[2:3], v[12:13], v[12:13] op_sel:[0,1]
.LBB15_112:                             ;   in Loop: Header=BB15_33 Depth=1
	v_mov_b32_e32 v4, s49
	v_sub_co_u32_e32 v2, vcc, s84, v2
	v_subb_co_u32_e32 v3, vcc, v4, v3, vcc
	v_cmp_gt_i64_e32 vcc, v[2:3], v[0:1]
	s_mov_b64 s[2:3], 0
                                        ; implicit-def: $vgpr43
	s_and_saveexec_b64 s[8:9], vcc
	s_cbranch_execz .LBB15_123
; %bb.113:                              ;   in Loop: Header=BB15_33 Depth=1
	v_pk_mov_b32 v[4:5], v[10:11], v[10:11] op_sel:[0,1]
	v_pk_mov_b32 v[6:7], v[0:1], v[0:1] op_sel:[0,1]
                                        ; implicit-def: $sgpr18_sgpr19
	s_branch .LBB15_115
.LBB15_114:                             ;   in Loop: Header=BB15_115 Depth=2
	s_or_b64 exec, exec, s[20:21]
	s_waitcnt lgkmcnt(0)
	s_barrier
	s_waitcnt vmcnt(0)
	ds_read_u16 v8, v13 offset:3072
	v_mov_b32_e32 v9, s92
	v_add_co_u32_e32 v6, vcc, s33, v6
	v_addc_co_u32_e32 v7, vcc, v7, v9, vcc
	s_waitcnt lgkmcnt(0)
	v_cmp_ne_u16_sdwa s[20:21], v8, v13 src0_sel:BYTE_0 src1_sel:DWORD
	v_cmp_ge_i64_e32 vcc, v[6:7], v[2:3]
	s_or_b64 s[22:23], s[20:21], vcc
	s_and_b64 s[22:23], exec, s[22:23]
	s_or_b64 s[2:3], s[22:23], s[2:3]
	v_mov_b32_e32 v9, s93
	v_add_co_u32_e32 v4, vcc, s46, v4
	s_andn2_b64 s[18:19], s[18:19], exec
	s_and_b64 s[20:21], s[20:21], exec
	v_addc_co_u32_e32 v5, vcc, v5, v9, vcc
	s_or_b64 s[18:19], s[18:19], s[20:21]
	s_barrier
	s_andn2_b64 exec, exec, s[2:3]
	s_cbranch_execz .LBB15_122
.LBB15_115:                             ;   Parent Loop BB15_33 Depth=1
                                        ; =>  This Inner Loop Header: Depth=2
	v_cmp_gt_i64_e32 vcc, s[52:53], v[6:7]
	v_mov_b32_e32 v8, 0
	s_and_saveexec_b64 s[20:21], vcc
	s_cbranch_execz .LBB15_117
; %bb.116:                              ;   in Loop: Header=BB15_115 Depth=2
	global_load_ubyte v8, v[4:5], off
.LBB15_117:                             ;   in Loop: Header=BB15_115 Depth=2
	s_or_b64 exec, exec, s[20:21]
	s_and_saveexec_b64 s[20:21], vcc
	s_cbranch_execz .LBB15_114
; %bb.118:                              ;   in Loop: Header=BB15_115 Depth=2
	s_waitcnt vmcnt(0)
	v_add_u32_sdwa v9, sext(v8), s85 dst_sel:DWORD dst_unused:UNUSED_PAD src0_sel:BYTE_0 src1_sel:DWORD
	v_and_b32_e32 v9, s82, v9
	v_cmp_eq_u32_e32 vcc, s83, v9
	s_and_b64 exec, exec, vcc
	s_cbranch_execz .LBB15_114
; %bb.119:                              ;   in Loop: Header=BB15_115 Depth=2
	v_lshlrev_b16_e32 v8, 8, v8
	v_or_b32_e32 v8, 1, v8
	ds_write_b16 v13, v8 offset:3072
	s_branch .LBB15_114
.LBB15_120:                             ;   in Loop: Header=BB15_33 Depth=1
	s_mov_b64 s[2:3], -1
                                        ; implicit-def: $sgpr8_sgpr9
                                        ; implicit-def: $sgpr20_sgpr21
                                        ; implicit-def: $sgpr18_sgpr19
	s_branch .LBB15_137
.LBB15_121:                             ;   in Loop: Header=BB15_33 Depth=1
	s_mov_b64 s[8:9], -1
	s_mov_b64 s[2:3], 0
                                        ; implicit-def: $sgpr18_sgpr19
                                        ; implicit-def: $vgpr43
	s_mov_b64 s[20:21], s[8:9]
	s_cbranch_execnz .LBB15_124
	s_branch .LBB15_137
.LBB15_122:                             ;   in Loop: Header=BB15_33 Depth=1
	s_or_b64 exec, exec, s[2:3]
	v_lshrrev_b16_e32 v43, 8, v8
	s_and_b64 s[2:3], s[18:19], exec
.LBB15_123:                             ;   in Loop: Header=BB15_33 Depth=1
	s_or_b64 exec, exec, s[8:9]
	s_mov_b64 s[18:19], -1
	s_mov_b64 s[8:9], 0
	s_mov_b64 s[20:21], s[8:9]
	s_branch .LBB15_137
.LBB15_124:                             ;   in Loop: Header=BB15_33 Depth=1
	v_readlane_b32 s2, v48, 22
	s_add_u32 s18, s2, s10
	v_readlane_b32 s2, v48, 23
	s_addc_u32 s3, s2, s11
	s_mov_b32 s2, s75
	s_cmp_lg_u64 s[2:3], 0
	s_cbranch_scc0 .LBB15_167
; %bb.125:                              ;   in Loop: Header=BB15_33 Depth=1
	v_cvt_f32_u32_e32 v2, s33
	s_sub_u32 s2, 0, s33
	s_subb_u32 s8, 0, 0
	v_mac_f32_e32 v2, 0x4f800000, v42
	v_rcp_f32_e32 v2, v2
	v_mul_f32_e32 v2, 0x5f7ffffc, v2
	v_mul_f32_e32 v3, 0x2f800000, v2
	v_trunc_f32_e32 v3, v3
	v_mac_f32_e32 v2, 0xcf800000, v3
	v_cvt_u32_f32_e32 v3, v3
	v_cvt_u32_f32_e32 v2, v2
	v_readfirstlane_b32 s9, v3
	v_readfirstlane_b32 s19, v2
	s_mul_i32 s20, s2, s9
	s_mul_hi_u32 s22, s2, s19
	s_mul_i32 s21, s8, s19
	s_add_i32 s20, s22, s20
	s_mul_i32 s23, s2, s19
	s_add_i32 s20, s20, s21
	s_mul_hi_u32 s22, s19, s23
	s_mul_hi_u32 s21, s19, s20
	s_mul_i32 s19, s19, s20
	s_add_u32 s19, s22, s19
	s_addc_u32 s21, 0, s21
	s_mul_hi_u32 s28, s9, s23
	s_mul_i32 s23, s9, s23
	s_add_u32 s19, s19, s23
	s_mul_hi_u32 s22, s9, s20
	s_addc_u32 s19, s21, s28
	s_addc_u32 s21, s22, 0
	s_mul_i32 s20, s9, s20
	s_add_u32 s19, s19, s20
	s_addc_u32 s20, 0, s21
	v_add_co_u32_e32 v2, vcc, s19, v2
	s_cmp_lg_u64 vcc, 0
	s_addc_u32 s9, s9, s20
	v_readfirstlane_b32 s20, v2
	s_mul_i32 s19, s2, s9
	s_mul_hi_u32 s21, s2, s20
	s_add_i32 s19, s21, s19
	s_mul_i32 s8, s8, s20
	s_add_i32 s19, s19, s8
	s_mul_i32 s2, s2, s20
	s_mul_hi_u32 s21, s9, s2
	s_mul_i32 s22, s9, s2
	s_mul_i32 s28, s20, s19
	s_mul_hi_u32 s2, s20, s2
	s_mul_hi_u32 s23, s20, s19
	s_add_u32 s2, s2, s28
	s_addc_u32 s20, 0, s23
	s_add_u32 s2, s2, s22
	s_mul_hi_u32 s8, s9, s19
	s_addc_u32 s2, s20, s21
	s_addc_u32 s8, s8, 0
	s_mul_i32 s19, s9, s19
	s_add_u32 s2, s2, s19
	s_addc_u32 s8, 0, s8
	v_add_co_u32_e32 v2, vcc, s2, v2
	s_cmp_lg_u64 vcc, 0
	s_addc_u32 s2, s9, s8
	s_ashr_i32 s8, s3, 31
	s_add_u32 s20, s18, s8
	s_mov_b32 s9, s8
	s_addc_u32 s21, s3, s8
	s_xor_b64 s[20:21], s[20:21], s[8:9]
	v_readfirstlane_b32 s22, v2
	s_mul_i32 s19, s20, s2
	s_mul_hi_u32 s23, s20, s22
	s_mul_hi_u32 s9, s20, s2
	s_add_u32 s19, s23, s19
	s_addc_u32 s9, 0, s9
	s_mul_hi_u32 s28, s21, s22
	s_mul_i32 s22, s21, s22
	s_add_u32 s19, s19, s22
	s_mul_hi_u32 s23, s21, s2
	s_addc_u32 s9, s9, s28
	s_addc_u32 s19, s23, 0
	s_mul_i32 s2, s21, s2
	s_add_u32 s2, s9, s2
	s_addc_u32 s9, 0, s19
	s_mul_hi_u32 s19, s33, s2
	s_mul_i32 s2, s33, s2
	s_mul_i32 s9, s33, s9
	v_mov_b32_e32 v2, s2
	s_add_i32 s19, s19, s9
	v_sub_co_u32_e32 v2, vcc, s20, v2
	s_cmp_lg_u64 vcc, 0
	s_subb_u32 s2, s21, s19
	v_subrev_co_u32_e32 v3, vcc, s33, v2
	s_cmp_lg_u64 vcc, 0
	s_subb_u32 s9, s2, 0
	v_subrev_co_u32_e32 v4, vcc, s33, v3
	s_cmp_lg_u64 vcc, 0
	s_subb_u32 s19, s9, 0
	v_cmp_le_u32_e32 vcc, s33, v3
	s_cmp_eq_u32 s9, 0
	v_cndmask_b32_e64 v5, 0, -1, vcc
	s_cselect_b64 vcc, -1, 0
	v_cndmask_b32_e32 v5, -1, v5, vcc
	v_mov_b32_e32 v6, s9
	v_mov_b32_e32 v7, s19
	v_cmp_ne_u32_e32 vcc, 0, v5
	v_cndmask_b32_e32 v5, v6, v7, vcc
	v_cndmask_b32_e32 v3, v3, v4, vcc
	v_cmp_le_u32_e32 vcc, s33, v2
	s_cmp_eq_u32 s2, 0
	v_cndmask_b32_e64 v4, 0, -1, vcc
	s_cselect_b64 vcc, -1, 0
	v_cndmask_b32_e32 v4, -1, v4, vcc
	v_cmp_ne_u32_e32 vcc, 0, v4
	v_mov_b32_e32 v6, s2
	v_cndmask_b32_e32 v2, v2, v3, vcc
	v_cndmask_b32_e32 v4, v6, v5, vcc
	v_xor_b32_e32 v2, s8, v2
	v_xor_b32_e32 v3, s8, v4
	v_mov_b32_e32 v4, s8
	v_subrev_co_u32_e32 v2, vcc, s8, v2
	v_subb_co_u32_e32 v3, vcc, v3, v4, vcc
	s_cbranch_execnz .LBB15_127
.LBB15_126:                             ;   in Loop: Header=BB15_33 Depth=1
	v_cvt_f32_u32_e32 v2, s33
	s_sub_i32 s2, 0, s33
	v_rcp_iflag_f32_e32 v2, v2
	v_mul_f32_e32 v2, 0x4f7ffffe, v2
	v_cvt_u32_f32_e32 v2, v2
	v_mul_lo_u32 v3, s2, v2
	v_mul_hi_u32 v3, v2, v3
	v_add_u32_e32 v2, v2, v3
	v_mul_hi_u32 v2, s18, v2
	v_mul_lo_u32 v2, v2, s33
	v_sub_u32_e32 v2, s18, v2
	v_subrev_u32_e32 v3, s33, v2
	v_cmp_le_u32_e32 vcc, s33, v2
	v_cndmask_b32_e32 v2, v2, v3, vcc
	v_subrev_u32_e32 v3, s33, v2
	v_cmp_le_u32_e32 vcc, s33, v2
	v_cndmask_b32_e32 v12, v2, v3, vcc
	v_pk_mov_b32 v[2:3], v[12:13], v[12:13] op_sel:[0,1]
.LBB15_127:                             ;   in Loop: Header=BB15_33 Depth=1
	v_mov_b32_e32 v4, s3
	v_sub_co_u32_e32 v2, vcc, s18, v2
	v_subb_co_u32_e32 v3, vcc, v4, v3, vcc
	v_cmp_gt_i64_e32 vcc, v[2:3], v[0:1]
	s_mov_b64 s[2:3], 0
                                        ; implicit-def: $vgpr43
	s_and_saveexec_b64 s[8:9], vcc
	s_cbranch_execz .LBB15_136
; %bb.128:                              ;   in Loop: Header=BB15_33 Depth=1
	v_mov_b32_e32 v6, v0
	v_pk_mov_b32 v[4:5], v[0:1], v[0:1] op_sel:[0,1]
                                        ; implicit-def: $sgpr18_sgpr19
	s_branch .LBB15_130
.LBB15_129:                             ;   in Loop: Header=BB15_130 Depth=2
	s_or_b64 exec, exec, s[20:21]
	s_waitcnt lgkmcnt(0)
	s_barrier
	ds_read_u16 v7, v13 offset:3072
	v_mov_b32_e32 v8, s92
	v_add_co_u32_e32 v4, vcc, s33, v4
	v_addc_co_u32_e32 v5, vcc, v5, v8, vcc
	s_waitcnt lgkmcnt(0)
	v_cmp_ne_u16_sdwa s[20:21], v7, v13 src0_sel:BYTE_0 src1_sel:DWORD
	v_cmp_ge_i64_e32 vcc, v[4:5], v[2:3]
	s_or_b64 s[22:23], s[20:21], vcc
	s_and_b64 s[22:23], exec, s[22:23]
	s_or_b64 s[2:3], s[22:23], s[2:3]
	s_andn2_b64 s[18:19], s[18:19], exec
	s_and_b64 s[20:21], s[20:21], exec
	v_add_u32_e32 v6, s33, v6
	s_or_b64 s[18:19], s[18:19], s[20:21]
	s_barrier
	s_andn2_b64 exec, exec, s[2:3]
	s_cbranch_execz .LBB15_135
.LBB15_130:                             ;   Parent Loop BB15_33 Depth=1
                                        ; =>  This Inner Loop Header: Depth=2
	v_cmp_gt_i64_e32 vcc, s[10:11], v[4:5]
	v_mov_b32_e32 v7, 0
	s_and_saveexec_b64 s[20:21], vcc
	s_cbranch_execz .LBB15_132
; %bb.131:                              ;   in Loop: Header=BB15_130 Depth=2
	ds_read_u8 v7, v6
.LBB15_132:                             ;   in Loop: Header=BB15_130 Depth=2
	s_or_b64 exec, exec, s[20:21]
	s_and_saveexec_b64 s[20:21], vcc
	s_cbranch_execz .LBB15_129
; %bb.133:                              ;   in Loop: Header=BB15_130 Depth=2
	s_waitcnt lgkmcnt(0)
	v_add_u32_sdwa v8, sext(v7), s85 dst_sel:DWORD dst_unused:UNUSED_PAD src0_sel:BYTE_0 src1_sel:DWORD
	v_and_b32_e32 v8, s82, v8
	v_cmp_eq_u32_e32 vcc, s83, v8
	s_and_b64 exec, exec, vcc
	s_cbranch_execz .LBB15_129
; %bb.134:                              ;   in Loop: Header=BB15_130 Depth=2
	v_lshlrev_b16_e32 v7, 8, v7
	v_or_b32_e32 v7, 1, v7
	ds_write_b16 v13, v7 offset:3072
	s_branch .LBB15_129
.LBB15_135:                             ;   in Loop: Header=BB15_33 Depth=1
	s_or_b64 exec, exec, s[2:3]
	v_lshrrev_b16_e32 v43, 8, v7
	s_and_b64 s[2:3], s[18:19], exec
.LBB15_136:                             ;   in Loop: Header=BB15_33 Depth=1
	s_or_b64 exec, exec, s[8:9]
	s_mov_b64 s[20:21], -1
	s_mov_b64 s[8:9], 0
	s_mov_b64 s[18:19], 0
.LBB15_137:                             ;   in Loop: Header=BB15_33 Depth=1
	s_andn2_b64 s[10:11], s[88:89], exec
	s_and_b64 s[8:9], s[8:9], exec
	s_or_b64 s[88:89], s[10:11], s[8:9]
	s_andn2_b64 s[8:9], s[86:87], exec
	s_and_b64 s[10:11], s[20:21], exec
	s_or_b64 s[86:87], s[8:9], s[10:11]
	;; [unrolled: 3-line block ×3, first 2 shown]
	s_and_saveexec_b64 s[10:11], s[2:3]
	s_cbranch_execz .LBB15_32
; %bb.138:                              ;   in Loop: Header=BB15_33 Depth=1
	s_xor_b64 s[2:3], s[16:17], -1
	s_andn2_b64 vcc, exec, s[2:3]
	s_mov_b32 s43, 1
	s_cbranch_vccnz .LBB15_149
; %bb.139:                              ;   in Loop: Header=BB15_33 Depth=1
	v_pk_mov_b32 v[2:3], s[0:1], s[0:1] op_sel:[0,1]
	v_cmp_gt_i64_e32 vcc, s[54:55], v[2:3]
	s_mov_b64 s[2:3], -1
                                        ; implicit-def: $sgpr43
                                        ; implicit-def: $sgpr8
                                        ; implicit-def: $sgpr9
	s_cbranch_vccnz .LBB15_145
; %bb.140:                              ;   in Loop: Header=BB15_33 Depth=1
	ds_read_b64 v[2:3], v13 offset:5120
	s_waitcnt lgkmcnt(0)
	v_cmp_ne_u64_e32 vcc, 0, v[2:3]
	s_cbranch_vccnz .LBB15_144
; %bb.141:                              ;   in Loop: Header=BB15_33 Depth=1
	s_mov_b64 s[2:3], exec
	v_readlane_b32 s8, v48, 10
	v_readlane_b32 s9, v48, 11
	s_and_b64 s[8:9], s[2:3], s[8:9]
	s_mov_b64 exec, s[8:9]
	s_cbranch_execz .LBB15_143
; %bb.142:                              ;   in Loop: Header=BB15_33 Depth=1
	v_pk_mov_b32 v[2:3], s[0:1], s[0:1] op_sel:[0,1]
	ds_write_b64 v13, v[2:3] offset:5128
.LBB15_143:                             ;   in Loop: Header=BB15_33 Depth=1
	s_or_b64 exec, exec, s[2:3]
	s_waitcnt lgkmcnt(0)
	s_barrier
.LBB15_144:                             ;   in Loop: Header=BB15_33 Depth=1
	s_and_b32 s8, s83, s27
	s_or_b32 s9, s82, s42
	s_mov_b64 s[2:3], 0
	s_mov_b32 s43, 8
.LBB15_145:                             ;   in Loop: Header=BB15_33 Depth=1
	s_andn2_b64 vcc, exec, s[2:3]
	s_cbranch_vccnz .LBB15_147
; %bb.146:                              ;   in Loop: Header=BB15_33 Depth=1
	s_sub_u32 s54, s54, s0
	s_subb_u32 s55, s55, s1
	s_mov_b64 s[2:3], -1
	s_mov_b32 s43, 0
	s_mov_b32 s8, s83
	;; [unrolled: 1-line block ×3, first 2 shown]
.LBB15_147:                             ;   in Loop: Header=BB15_33 Depth=1
	s_mov_b32 s82, s9
	s_mov_b32 s83, s8
	s_mov_b64 s[12:13], -1
	s_and_b64 vcc, exec, s[2:3]
	s_cbranch_vccnz .LBB15_150
.LBB15_148:                             ;   in Loop: Header=BB15_33 Depth=1
	s_mov_b64 s[8:9], -1
                                        ; implicit-def: $sgpr16_sgpr17
                                        ; implicit-def: $sgpr20_sgpr21
                                        ; implicit-def: $sgpr18_sgpr19
	s_and_saveexec_b64 s[0:1], s[8:9]
	s_xor_b64 s[0:1], exec, s[0:1]
	s_cbranch_execz .LBB15_31
	s_branch .LBB15_296
.LBB15_149:                             ;   in Loop: Header=BB15_33 Depth=1
	s_mov_b64 s[54:55], 1
	s_mov_b64 s[12:13], -1
	s_branch .LBB15_148
.LBB15_150:                             ;   in Loop: Header=BB15_33 Depth=1
	s_cmp_eq_u64 s[24:25], 1
	s_cselect_b64 s[0:1], -1, 0
	s_cmp_eq_u64 s[54:55], 1
	s_cselect_b64 s[2:3], -1, 0
	s_and_b64 s[0:1], s[0:1], s[2:3]
	s_mov_b64 s[2:3], -1
	s_and_b64 vcc, exec, s[0:1]
	s_cbranch_vccz .LBB15_165
; %bb.151:                              ;   in Loop: Header=BB15_33 Depth=1
	ds_read_b64 v[2:3], v13 offset:5120
	s_waitcnt lgkmcnt(0)
	s_barrier
	v_readfirstlane_b32 s22, v2
	v_readfirstlane_b32 s23, v3
	s_mov_b64 s[2:3], exec
	v_readlane_b32 s8, v48, 12
	v_readlane_b32 s9, v48, 13
	s_and_b64 s[8:9], s[2:3], s[8:9]
	s_mov_b64 exec, s[8:9]
	s_cbranch_execz .LBB15_153
; %bb.152:                              ;   in Loop: Header=BB15_33 Depth=1
	ds_write_b8 v0, v13 offset:3072
.LBB15_153:                             ;   in Loop: Header=BB15_33 Depth=1
	s_or_b64 exec, exec, s[2:3]
	s_lshl_b32 s2, 1, s26
	s_and_b32 s3, s83, s27
	s_or_b32 s83, s3, s2
	v_cmp_gt_i64_e64 s[2:3], s[22:23], 0
	s_or_b32 s82, s82, s42
	s_and_b64 vcc, exec, s[2:3]
	s_waitcnt lgkmcnt(0)
	s_barrier
	s_cbranch_vccnz .LBB15_168
; %bb.154:                              ;   in Loop: Header=BB15_33 Depth=1
	s_mov_b32 s48, s75
	s_cmp_lg_u64 s[48:49], 0
	s_cbranch_scc0 .LBB15_213
; %bb.155:                              ;   in Loop: Header=BB15_33 Depth=1
	v_cvt_f32_u32_e32 v2, s33
	s_sub_u32 s2, 0, s33
	s_subb_u32 s3, 0, 0
	v_mac_f32_e32 v2, 0x4f800000, v42
	v_rcp_f32_e32 v2, v2
	v_mul_f32_e32 v2, 0x5f7ffffc, v2
	v_mul_f32_e32 v3, 0x2f800000, v2
	v_trunc_f32_e32 v3, v3
	v_mac_f32_e32 v2, 0xcf800000, v3
	v_cvt_u32_f32_e32 v3, v3
	v_cvt_u32_f32_e32 v2, v2
	v_readfirstlane_b32 s8, v3
	v_readfirstlane_b32 s9, v2
	s_mul_i32 s16, s2, s8
	s_mul_hi_u32 s18, s2, s9
	s_mul_i32 s17, s3, s9
	s_add_i32 s16, s18, s16
	s_mul_i32 s19, s2, s9
	s_add_i32 s16, s16, s17
	s_mul_hi_u32 s18, s9, s19
	s_mul_hi_u32 s17, s9, s16
	s_mul_i32 s9, s9, s16
	s_add_u32 s9, s18, s9
	s_addc_u32 s17, 0, s17
	s_mul_hi_u32 s20, s8, s19
	s_mul_i32 s19, s8, s19
	s_add_u32 s9, s9, s19
	s_mul_hi_u32 s18, s8, s16
	s_addc_u32 s9, s17, s20
	s_addc_u32 s17, s18, 0
	s_mul_i32 s16, s8, s16
	s_add_u32 s9, s9, s16
	s_addc_u32 s16, 0, s17
	v_add_co_u32_e32 v2, vcc, s9, v2
	s_cmp_lg_u64 vcc, 0
	s_addc_u32 s8, s8, s16
	v_readfirstlane_b32 s16, v2
	s_mul_i32 s9, s2, s8
	s_mul_hi_u32 s17, s2, s16
	s_add_i32 s9, s17, s9
	s_mul_i32 s3, s3, s16
	s_add_i32 s9, s9, s3
	s_mul_i32 s2, s2, s16
	s_mul_hi_u32 s17, s8, s2
	s_mul_i32 s18, s8, s2
	s_mul_i32 s20, s16, s9
	s_mul_hi_u32 s2, s16, s2
	s_mul_hi_u32 s19, s16, s9
	s_add_u32 s2, s2, s20
	s_addc_u32 s16, 0, s19
	s_add_u32 s2, s2, s18
	s_mul_hi_u32 s3, s8, s9
	s_addc_u32 s2, s16, s17
	s_addc_u32 s3, s3, 0
	s_mul_i32 s9, s8, s9
	s_add_u32 s2, s2, s9
	s_addc_u32 s3, 0, s3
	v_add_co_u32_e32 v2, vcc, s2, v2
	s_cmp_lg_u64 vcc, 0
	s_addc_u32 s16, s8, s3
	s_ashr_i32 s2, s49, 31
	s_add_u32 s8, s84, s2
	s_mov_b32 s3, s2
	s_addc_u32 s9, s49, s2
	s_xor_b64 s[8:9], s[8:9], s[2:3]
	v_readfirstlane_b32 s18, v2
	s_mul_i32 s17, s8, s16
	s_mul_hi_u32 s19, s8, s18
	s_mul_hi_u32 s3, s8, s16
	s_add_u32 s17, s19, s17
	s_addc_u32 s3, 0, s3
	s_mul_hi_u32 s20, s9, s18
	s_mul_i32 s18, s9, s18
	s_add_u32 s17, s17, s18
	s_mul_hi_u32 s19, s9, s16
	s_addc_u32 s3, s3, s20
	s_addc_u32 s17, s19, 0
	s_mul_i32 s16, s9, s16
	s_add_u32 s3, s3, s16
	s_addc_u32 s16, 0, s17
	s_mul_hi_u32 s17, s33, s3
	s_mul_i32 s3, s33, s3
	s_mul_i32 s16, s33, s16
	v_mov_b32_e32 v2, s3
	s_add_i32 s17, s17, s16
	v_sub_co_u32_e32 v2, vcc, s8, v2
	s_cmp_lg_u64 vcc, 0
	s_subb_u32 s3, s9, s17
	v_subrev_co_u32_e32 v3, vcc, s33, v2
	s_cmp_lg_u64 vcc, 0
	s_subb_u32 s8, s3, 0
	v_subrev_co_u32_e32 v4, vcc, s33, v3
	s_cmp_lg_u64 vcc, 0
	s_subb_u32 s9, s8, 0
	v_cmp_le_u32_e32 vcc, s33, v3
	s_cmp_eq_u32 s8, 0
	v_cndmask_b32_e64 v5, 0, -1, vcc
	s_cselect_b64 vcc, -1, 0
	v_cndmask_b32_e32 v5, -1, v5, vcc
	v_mov_b32_e32 v6, s8
	v_mov_b32_e32 v7, s9
	v_cmp_ne_u32_e32 vcc, 0, v5
	v_cndmask_b32_e32 v5, v6, v7, vcc
	v_cndmask_b32_e32 v3, v3, v4, vcc
	v_cmp_le_u32_e32 vcc, s33, v2
	s_cmp_eq_u32 s3, 0
	v_cndmask_b32_e64 v4, 0, -1, vcc
	s_cselect_b64 vcc, -1, 0
	v_cndmask_b32_e32 v4, -1, v4, vcc
	v_cmp_ne_u32_e32 vcc, 0, v4
	v_mov_b32_e32 v6, s3
	v_cndmask_b32_e32 v2, v2, v3, vcc
	v_cndmask_b32_e32 v4, v6, v5, vcc
	v_xor_b32_e32 v2, s2, v2
	v_xor_b32_e32 v3, s2, v4
	v_mov_b32_e32 v4, s2
	v_subrev_co_u32_e32 v2, vcc, s2, v2
	v_subb_co_u32_e32 v3, vcc, v3, v4, vcc
	s_cbranch_execnz .LBB15_157
.LBB15_156:                             ;   in Loop: Header=BB15_33 Depth=1
	v_cvt_f32_u32_e32 v2, s33
	s_sub_i32 s2, 0, s33
	v_rcp_iflag_f32_e32 v2, v2
	v_mul_f32_e32 v2, 0x4f7ffffe, v2
	v_cvt_u32_f32_e32 v2, v2
	v_mul_lo_u32 v3, s2, v2
	v_mul_hi_u32 v3, v2, v3
	v_add_u32_e32 v2, v2, v3
	v_mul_hi_u32 v2, s84, v2
	v_mul_lo_u32 v2, v2, s33
	v_sub_u32_e32 v2, s84, v2
	v_subrev_u32_e32 v3, s33, v2
	v_cmp_le_u32_e32 vcc, s33, v2
	v_cndmask_b32_e32 v2, v2, v3, vcc
	v_subrev_u32_e32 v3, s33, v2
	v_cmp_le_u32_e32 vcc, s33, v2
	v_cndmask_b32_e32 v12, v2, v3, vcc
	v_pk_mov_b32 v[2:3], v[12:13], v[12:13] op_sel:[0,1]
.LBB15_157:                             ;   in Loop: Header=BB15_33 Depth=1
	v_mov_b32_e32 v4, s49
	v_sub_co_u32_e32 v2, vcc, s84, v2
	v_subb_co_u32_e32 v3, vcc, v4, v3, vcc
	v_cmp_gt_i64_e32 vcc, v[2:3], v[0:1]
	s_mov_b64 s[2:3], 0
                                        ; implicit-def: $vgpr43
	s_and_saveexec_b64 s[8:9], vcc
	s_cbranch_execz .LBB15_170
; %bb.158:                              ;   in Loop: Header=BB15_33 Depth=1
	v_pk_mov_b32 v[4:5], v[10:11], v[10:11] op_sel:[0,1]
	v_pk_mov_b32 v[6:7], v[0:1], v[0:1] op_sel:[0,1]
                                        ; implicit-def: $sgpr16_sgpr17
	s_branch .LBB15_160
.LBB15_159:                             ;   in Loop: Header=BB15_160 Depth=2
	s_or_b64 exec, exec, s[18:19]
	s_waitcnt lgkmcnt(0)
	s_barrier
	s_waitcnt vmcnt(0)
	ds_read_u16 v8, v13 offset:3072
	v_mov_b32_e32 v9, s92
	v_add_co_u32_e32 v6, vcc, s33, v6
	v_addc_co_u32_e32 v7, vcc, v7, v9, vcc
	s_waitcnt lgkmcnt(0)
	v_cmp_ne_u16_sdwa s[18:19], v8, v13 src0_sel:BYTE_0 src1_sel:DWORD
	v_cmp_ge_i64_e32 vcc, v[6:7], v[2:3]
	s_or_b64 s[20:21], s[18:19], vcc
	s_and_b64 s[20:21], exec, s[20:21]
	s_or_b64 s[2:3], s[20:21], s[2:3]
	v_mov_b32_e32 v9, s93
	v_add_co_u32_e32 v4, vcc, s46, v4
	s_andn2_b64 s[16:17], s[16:17], exec
	s_and_b64 s[18:19], s[18:19], exec
	v_addc_co_u32_e32 v5, vcc, v5, v9, vcc
	s_or_b64 s[16:17], s[16:17], s[18:19]
	s_barrier
	s_andn2_b64 exec, exec, s[2:3]
	s_cbranch_execz .LBB15_169
.LBB15_160:                             ;   Parent Loop BB15_33 Depth=1
                                        ; =>  This Inner Loop Header: Depth=2
	v_cmp_gt_i64_e32 vcc, s[52:53], v[6:7]
	v_mov_b32_e32 v8, 0
	s_and_saveexec_b64 s[18:19], vcc
	s_cbranch_execz .LBB15_162
; %bb.161:                              ;   in Loop: Header=BB15_160 Depth=2
	global_load_ubyte v8, v[4:5], off
.LBB15_162:                             ;   in Loop: Header=BB15_160 Depth=2
	s_or_b64 exec, exec, s[18:19]
	s_and_saveexec_b64 s[18:19], vcc
	s_cbranch_execz .LBB15_159
; %bb.163:                              ;   in Loop: Header=BB15_160 Depth=2
	s_waitcnt vmcnt(0)
	v_add_u32_sdwa v9, sext(v8), s85 dst_sel:DWORD dst_unused:UNUSED_PAD src0_sel:BYTE_0 src1_sel:DWORD
	v_and_b32_e32 v9, s82, v9
	v_cmp_eq_u32_e32 vcc, s83, v9
	s_and_b64 exec, exec, vcc
	s_cbranch_execz .LBB15_159
; %bb.164:                              ;   in Loop: Header=BB15_160 Depth=2
	v_lshlrev_b16_e32 v8, 8, v8
	v_or_b32_e32 v8, 1, v8
	ds_write_b16 v13, v8 offset:3072
	s_branch .LBB15_159
.LBB15_165:                             ;   in Loop: Header=BB15_33 Depth=1
                                        ; implicit-def: $sgpr18_sgpr19
                                        ; implicit-def: $sgpr20_sgpr21
                                        ; implicit-def: $sgpr16_sgpr17
	s_branch .LBB15_184
.LBB15_166:                             ;   in Loop: Header=BB15_33 Depth=1
                                        ; implicit-def: $vgpr2_vgpr3
	s_branch .LBB15_111
.LBB15_167:                             ;   in Loop: Header=BB15_33 Depth=1
                                        ; implicit-def: $vgpr2_vgpr3
	s_branch .LBB15_126
.LBB15_168:                             ;   in Loop: Header=BB15_33 Depth=1
	s_mov_b64 s[18:19], -1
	s_mov_b64 s[2:3], 0
                                        ; implicit-def: $sgpr16_sgpr17
                                        ; implicit-def: $vgpr43
	s_mov_b64 s[20:21], s[18:19]
	s_cbranch_execnz .LBB15_171
	s_branch .LBB15_184
.LBB15_169:                             ;   in Loop: Header=BB15_33 Depth=1
	s_or_b64 exec, exec, s[2:3]
	v_lshrrev_b16_e32 v43, 8, v8
	s_and_b64 s[2:3], s[16:17], exec
.LBB15_170:                             ;   in Loop: Header=BB15_33 Depth=1
	s_or_b64 exec, exec, s[8:9]
	s_mov_b64 s[16:17], -1
	s_mov_b64 s[18:19], 0
	s_mov_b64 s[20:21], s[18:19]
	s_branch .LBB15_184
.LBB15_171:                             ;   in Loop: Header=BB15_33 Depth=1
	v_readlane_b32 s2, v48, 22
	s_add_u32 s16, s2, s22
	v_readlane_b32 s2, v48, 23
	s_addc_u32 s3, s2, s23
	s_mov_b32 s2, s75
	s_cmp_lg_u64 s[2:3], 0
	s_cbranch_scc0 .LBB15_214
; %bb.172:                              ;   in Loop: Header=BB15_33 Depth=1
	v_cvt_f32_u32_e32 v2, s33
	s_sub_u32 s2, 0, s33
	s_subb_u32 s8, 0, 0
	v_mac_f32_e32 v2, 0x4f800000, v42
	v_rcp_f32_e32 v2, v2
	v_mul_f32_e32 v2, 0x5f7ffffc, v2
	v_mul_f32_e32 v3, 0x2f800000, v2
	v_trunc_f32_e32 v3, v3
	v_mac_f32_e32 v2, 0xcf800000, v3
	v_cvt_u32_f32_e32 v3, v3
	v_cvt_u32_f32_e32 v2, v2
	v_readfirstlane_b32 s9, v3
	v_readfirstlane_b32 s17, v2
	s_mul_i32 s18, s2, s9
	s_mul_hi_u32 s20, s2, s17
	s_mul_i32 s19, s8, s17
	s_add_i32 s18, s20, s18
	s_mul_i32 s21, s2, s17
	s_add_i32 s18, s18, s19
	s_mul_hi_u32 s20, s17, s21
	s_mul_hi_u32 s19, s17, s18
	s_mul_i32 s17, s17, s18
	s_add_u32 s17, s20, s17
	s_addc_u32 s19, 0, s19
	s_mul_hi_u32 s28, s9, s21
	s_mul_i32 s21, s9, s21
	s_add_u32 s17, s17, s21
	s_mul_hi_u32 s20, s9, s18
	s_addc_u32 s17, s19, s28
	s_addc_u32 s19, s20, 0
	s_mul_i32 s18, s9, s18
	s_add_u32 s17, s17, s18
	s_addc_u32 s18, 0, s19
	v_add_co_u32_e32 v2, vcc, s17, v2
	s_cmp_lg_u64 vcc, 0
	s_addc_u32 s9, s9, s18
	v_readfirstlane_b32 s18, v2
	s_mul_i32 s17, s2, s9
	s_mul_hi_u32 s19, s2, s18
	s_add_i32 s17, s19, s17
	s_mul_i32 s8, s8, s18
	s_add_i32 s17, s17, s8
	s_mul_i32 s2, s2, s18
	s_mul_hi_u32 s19, s9, s2
	s_mul_i32 s20, s9, s2
	s_mul_i32 s28, s18, s17
	s_mul_hi_u32 s2, s18, s2
	s_mul_hi_u32 s21, s18, s17
	s_add_u32 s2, s2, s28
	s_addc_u32 s18, 0, s21
	s_add_u32 s2, s2, s20
	s_mul_hi_u32 s8, s9, s17
	s_addc_u32 s2, s18, s19
	s_addc_u32 s8, s8, 0
	s_mul_i32 s17, s9, s17
	s_add_u32 s2, s2, s17
	s_addc_u32 s8, 0, s8
	v_add_co_u32_e32 v2, vcc, s2, v2
	s_cmp_lg_u64 vcc, 0
	s_addc_u32 s2, s9, s8
	s_ashr_i32 s8, s3, 31
	s_add_u32 s18, s16, s8
	s_mov_b32 s9, s8
	s_addc_u32 s19, s3, s8
	s_xor_b64 s[18:19], s[18:19], s[8:9]
	v_readfirstlane_b32 s20, v2
	s_mul_i32 s17, s18, s2
	s_mul_hi_u32 s21, s18, s20
	s_mul_hi_u32 s9, s18, s2
	s_add_u32 s17, s21, s17
	s_addc_u32 s9, 0, s9
	s_mul_hi_u32 s28, s19, s20
	s_mul_i32 s20, s19, s20
	s_add_u32 s17, s17, s20
	s_mul_hi_u32 s21, s19, s2
	s_addc_u32 s9, s9, s28
	s_addc_u32 s17, s21, 0
	s_mul_i32 s2, s19, s2
	s_add_u32 s2, s9, s2
	s_addc_u32 s9, 0, s17
	s_mul_hi_u32 s17, s33, s2
	s_mul_i32 s2, s33, s2
	s_mul_i32 s9, s33, s9
	v_mov_b32_e32 v2, s2
	s_add_i32 s17, s17, s9
	v_sub_co_u32_e32 v2, vcc, s18, v2
	s_cmp_lg_u64 vcc, 0
	s_subb_u32 s2, s19, s17
	v_subrev_co_u32_e32 v3, vcc, s33, v2
	s_cmp_lg_u64 vcc, 0
	s_subb_u32 s9, s2, 0
	v_subrev_co_u32_e32 v4, vcc, s33, v3
	s_cmp_lg_u64 vcc, 0
	s_subb_u32 s17, s9, 0
	v_cmp_le_u32_e32 vcc, s33, v3
	s_cmp_eq_u32 s9, 0
	v_cndmask_b32_e64 v5, 0, -1, vcc
	s_cselect_b64 vcc, -1, 0
	v_cndmask_b32_e32 v5, -1, v5, vcc
	v_mov_b32_e32 v6, s9
	v_mov_b32_e32 v7, s17
	v_cmp_ne_u32_e32 vcc, 0, v5
	v_cndmask_b32_e32 v5, v6, v7, vcc
	v_cndmask_b32_e32 v3, v3, v4, vcc
	v_cmp_le_u32_e32 vcc, s33, v2
	s_cmp_eq_u32 s2, 0
	v_cndmask_b32_e64 v4, 0, -1, vcc
	s_cselect_b64 vcc, -1, 0
	v_cndmask_b32_e32 v4, -1, v4, vcc
	v_cmp_ne_u32_e32 vcc, 0, v4
	v_mov_b32_e32 v6, s2
	v_cndmask_b32_e32 v2, v2, v3, vcc
	v_cndmask_b32_e32 v4, v6, v5, vcc
	v_xor_b32_e32 v2, s8, v2
	v_xor_b32_e32 v3, s8, v4
	v_mov_b32_e32 v4, s8
	v_subrev_co_u32_e32 v2, vcc, s8, v2
	v_subb_co_u32_e32 v3, vcc, v3, v4, vcc
	s_cbranch_execnz .LBB15_174
.LBB15_173:                             ;   in Loop: Header=BB15_33 Depth=1
	v_cvt_f32_u32_e32 v2, s33
	s_sub_i32 s2, 0, s33
	v_rcp_iflag_f32_e32 v2, v2
	v_mul_f32_e32 v2, 0x4f7ffffe, v2
	v_cvt_u32_f32_e32 v2, v2
	v_mul_lo_u32 v3, s2, v2
	v_mul_hi_u32 v3, v2, v3
	v_add_u32_e32 v2, v2, v3
	v_mul_hi_u32 v2, s16, v2
	v_mul_lo_u32 v2, v2, s33
	v_sub_u32_e32 v2, s16, v2
	v_subrev_u32_e32 v3, s33, v2
	v_cmp_le_u32_e32 vcc, s33, v2
	v_cndmask_b32_e32 v2, v2, v3, vcc
	v_subrev_u32_e32 v3, s33, v2
	v_cmp_le_u32_e32 vcc, s33, v2
	v_cndmask_b32_e32 v12, v2, v3, vcc
	v_pk_mov_b32 v[2:3], v[12:13], v[12:13] op_sel:[0,1]
.LBB15_174:                             ;   in Loop: Header=BB15_33 Depth=1
	v_mov_b32_e32 v4, s3
	v_sub_co_u32_e32 v2, vcc, s16, v2
	v_subb_co_u32_e32 v3, vcc, v4, v3, vcc
	v_cmp_gt_i64_e32 vcc, v[2:3], v[0:1]
	s_mov_b64 s[2:3], 0
                                        ; implicit-def: $vgpr43
	s_and_saveexec_b64 s[8:9], vcc
	s_cbranch_execz .LBB15_183
; %bb.175:                              ;   in Loop: Header=BB15_33 Depth=1
	v_mov_b32_e32 v6, v0
	v_pk_mov_b32 v[4:5], v[0:1], v[0:1] op_sel:[0,1]
                                        ; implicit-def: $sgpr16_sgpr17
	s_branch .LBB15_177
.LBB15_176:                             ;   in Loop: Header=BB15_177 Depth=2
	s_or_b64 exec, exec, s[18:19]
	s_waitcnt lgkmcnt(0)
	s_barrier
	ds_read_u16 v7, v13 offset:3072
	v_mov_b32_e32 v8, s92
	v_add_co_u32_e32 v4, vcc, s33, v4
	v_addc_co_u32_e32 v5, vcc, v5, v8, vcc
	s_waitcnt lgkmcnt(0)
	v_cmp_ne_u16_sdwa s[18:19], v7, v13 src0_sel:BYTE_0 src1_sel:DWORD
	v_cmp_ge_i64_e32 vcc, v[4:5], v[2:3]
	s_or_b64 s[20:21], s[18:19], vcc
	s_and_b64 s[20:21], exec, s[20:21]
	s_or_b64 s[2:3], s[20:21], s[2:3]
	s_andn2_b64 s[16:17], s[16:17], exec
	s_and_b64 s[18:19], s[18:19], exec
	v_add_u32_e32 v6, s33, v6
	s_or_b64 s[16:17], s[16:17], s[18:19]
	s_barrier
	s_andn2_b64 exec, exec, s[2:3]
	s_cbranch_execz .LBB15_182
.LBB15_177:                             ;   Parent Loop BB15_33 Depth=1
                                        ; =>  This Inner Loop Header: Depth=2
	v_cmp_gt_i64_e32 vcc, s[22:23], v[4:5]
	v_mov_b32_e32 v7, 0
	s_and_saveexec_b64 s[18:19], vcc
	s_cbranch_execz .LBB15_179
; %bb.178:                              ;   in Loop: Header=BB15_177 Depth=2
	ds_read_u8 v7, v6
.LBB15_179:                             ;   in Loop: Header=BB15_177 Depth=2
	s_or_b64 exec, exec, s[18:19]
	s_and_saveexec_b64 s[18:19], vcc
	s_cbranch_execz .LBB15_176
; %bb.180:                              ;   in Loop: Header=BB15_177 Depth=2
	s_waitcnt lgkmcnt(0)
	v_add_u32_sdwa v8, sext(v7), s85 dst_sel:DWORD dst_unused:UNUSED_PAD src0_sel:BYTE_0 src1_sel:DWORD
	v_and_b32_e32 v8, s82, v8
	v_cmp_eq_u32_e32 vcc, s83, v8
	s_and_b64 exec, exec, vcc
	s_cbranch_execz .LBB15_176
; %bb.181:                              ;   in Loop: Header=BB15_177 Depth=2
	v_lshlrev_b16_e32 v7, 8, v7
	v_or_b32_e32 v7, 1, v7
	ds_write_b16 v13, v7 offset:3072
	s_branch .LBB15_176
.LBB15_182:                             ;   in Loop: Header=BB15_33 Depth=1
	s_or_b64 exec, exec, s[2:3]
	v_lshrrev_b16_e32 v43, 8, v7
	s_and_b64 s[2:3], s[16:17], exec
.LBB15_183:                             ;   in Loop: Header=BB15_33 Depth=1
	s_or_b64 exec, exec, s[8:9]
	s_mov_b64 s[20:21], -1
	s_mov_b64 s[18:19], 0
	s_mov_b64 s[16:17], 0
.LBB15_184:                             ;   in Loop: Header=BB15_33 Depth=1
	s_mov_b64 s[8:9], 0
                                        ; implicit-def: $sgpr43
	s_and_saveexec_b64 s[22:23], s[2:3]
	s_cbranch_execz .LBB15_295
; %bb.185:                              ;   in Loop: Header=BB15_33 Depth=1
	s_xor_b64 s[0:1], s[0:1], -1
	s_andn2_b64 vcc, exec, s[0:1]
	s_mov_b32 s43, 1
	s_cbranch_vccnz .LBB15_196
; %bb.186:                              ;   in Loop: Header=BB15_33 Depth=1
	v_pk_mov_b32 v[2:3], s[24:25], s[24:25] op_sel:[0,1]
	v_cmp_gt_i64_e32 vcc, s[54:55], v[2:3]
	s_mov_b64 s[0:1], -1
                                        ; implicit-def: $sgpr43
                                        ; implicit-def: $sgpr2
                                        ; implicit-def: $sgpr3
	s_cbranch_vccnz .LBB15_192
; %bb.187:                              ;   in Loop: Header=BB15_33 Depth=1
	ds_read_b64 v[2:3], v13 offset:5120
	s_waitcnt lgkmcnt(0)
	v_cmp_ne_u64_e32 vcc, 0, v[2:3]
	s_cbranch_vccnz .LBB15_191
; %bb.188:                              ;   in Loop: Header=BB15_33 Depth=1
	s_mov_b64 s[0:1], exec
	v_readlane_b32 s2, v48, 10
	v_readlane_b32 s3, v48, 11
	s_and_b64 s[2:3], s[0:1], s[2:3]
	s_mov_b64 exec, s[2:3]
	s_cbranch_execz .LBB15_190
; %bb.189:                              ;   in Loop: Header=BB15_33 Depth=1
	v_pk_mov_b32 v[2:3], s[24:25], s[24:25] op_sel:[0,1]
	ds_write_b64 v13, v[2:3] offset:5128
.LBB15_190:                             ;   in Loop: Header=BB15_33 Depth=1
	s_or_b64 exec, exec, s[0:1]
	s_waitcnt lgkmcnt(0)
	s_barrier
.LBB15_191:                             ;   in Loop: Header=BB15_33 Depth=1
	s_lshl_b32 s0, 1, s26
	s_and_b32 s1, s83, s27
	s_or_b32 s2, s1, s0
	s_or_b32 s3, s82, s42
	s_mov_b64 s[0:1], 0
	s_mov_b32 s43, 8
.LBB15_192:                             ;   in Loop: Header=BB15_33 Depth=1
	s_andn2_b64 vcc, exec, s[0:1]
	s_cbranch_vccnz .LBB15_194
; %bb.193:                              ;   in Loop: Header=BB15_33 Depth=1
	s_sub_u32 s54, s54, s24
	s_subb_u32 s55, s55, s25
	s_mov_b64 s[0:1], -1
	s_mov_b32 s43, 0
	s_mov_b32 s2, s83
	;; [unrolled: 1-line block ×3, first 2 shown]
.LBB15_194:                             ;   in Loop: Header=BB15_33 Depth=1
	s_mov_b32 s82, s3
	s_mov_b32 s83, s2
	s_andn2_b64 vcc, exec, s[0:1]
	s_mov_b64 s[8:9], -1
	s_cbranch_vccz .LBB15_197
.LBB15_195:                             ;   in Loop: Header=BB15_33 Depth=1
                                        ; implicit-def: $sgpr24_sgpr25
                                        ; implicit-def: $sgpr28_sgpr29
                                        ; implicit-def: $sgpr0_sgpr1
	s_branch .LBB15_294
.LBB15_196:                             ;   in Loop: Header=BB15_33 Depth=1
	s_mov_b64 s[54:55], 1
	s_mov_b64 s[8:9], -1
	s_cbranch_execnz .LBB15_195
.LBB15_197:                             ;   in Loop: Header=BB15_33 Depth=1
	s_cmp_eq_u64 s[14:15], 1
	s_cselect_b64 s[0:1], -1, 0
	s_cmp_eq_u64 s[54:55], 1
	s_cselect_b64 s[2:3], -1, 0
	s_and_b64 s[34:35], s[0:1], s[2:3]
	s_mov_b64 s[2:3], -1
	s_and_b64 vcc, exec, s[34:35]
	s_cbranch_vccz .LBB15_212
; %bb.198:                              ;   in Loop: Header=BB15_33 Depth=1
	ds_read_b64 v[2:3], v13 offset:5120
	s_waitcnt lgkmcnt(0)
	s_barrier
	v_readfirstlane_b32 s30, v2
	v_readfirstlane_b32 s31, v3
	s_mov_b64 s[0:1], exec
	v_readlane_b32 s2, v48, 12
	v_readlane_b32 s3, v48, 13
	s_and_b64 s[2:3], s[0:1], s[2:3]
	s_mov_b64 exec, s[2:3]
	s_cbranch_execz .LBB15_200
; %bb.199:                              ;   in Loop: Header=BB15_33 Depth=1
	ds_write_b8 v0, v13 offset:3072
.LBB15_200:                             ;   in Loop: Header=BB15_33 Depth=1
	s_or_b64 exec, exec, s[0:1]
	s_lshl_b32 s0, 2, s26
	s_and_b32 s1, s83, s27
	s_or_b32 s83, s1, s0
	v_cmp_gt_i64_e64 s[0:1], s[30:31], 0
	s_or_b32 s82, s82, s42
	s_and_b64 vcc, exec, s[0:1]
	s_waitcnt lgkmcnt(0)
	s_barrier
	s_cbranch_vccnz .LBB15_215
; %bb.201:                              ;   in Loop: Header=BB15_33 Depth=1
	s_mov_b32 s48, s75
	s_cmp_lg_u64 s[48:49], 0
	s_cbranch_scc0 .LBB15_260
; %bb.202:                              ;   in Loop: Header=BB15_33 Depth=1
	v_cvt_f32_u32_e32 v2, s33
	s_sub_u32 s0, 0, s33
	s_subb_u32 s1, 0, 0
	v_mac_f32_e32 v2, 0x4f800000, v42
	v_rcp_f32_e32 v2, v2
	v_mul_f32_e32 v2, 0x5f7ffffc, v2
	v_mul_f32_e32 v3, 0x2f800000, v2
	v_trunc_f32_e32 v3, v3
	v_mac_f32_e32 v2, 0xcf800000, v3
	v_cvt_u32_f32_e32 v3, v3
	v_cvt_u32_f32_e32 v2, v2
	v_readfirstlane_b32 s2, v3
	v_readfirstlane_b32 s3, v2
	s_mul_i32 s8, s0, s2
	s_mul_hi_u32 s24, s0, s3
	s_mul_i32 s9, s1, s3
	s_add_i32 s8, s24, s8
	s_mul_i32 s25, s0, s3
	s_add_i32 s8, s8, s9
	s_mul_hi_u32 s24, s3, s25
	s_mul_hi_u32 s9, s3, s8
	s_mul_i32 s3, s3, s8
	s_add_u32 s3, s24, s3
	s_addc_u32 s9, 0, s9
	s_mul_hi_u32 s28, s2, s25
	s_mul_i32 s25, s2, s25
	s_add_u32 s3, s3, s25
	s_mul_hi_u32 s24, s2, s8
	s_addc_u32 s3, s9, s28
	s_addc_u32 s9, s24, 0
	s_mul_i32 s8, s2, s8
	s_add_u32 s3, s3, s8
	s_addc_u32 s8, 0, s9
	v_add_co_u32_e32 v2, vcc, s3, v2
	s_cmp_lg_u64 vcc, 0
	s_addc_u32 s2, s2, s8
	v_readfirstlane_b32 s8, v2
	s_mul_i32 s3, s0, s2
	s_mul_hi_u32 s9, s0, s8
	s_add_i32 s3, s9, s3
	s_mul_i32 s1, s1, s8
	s_add_i32 s3, s3, s1
	s_mul_i32 s0, s0, s8
	s_mul_hi_u32 s9, s2, s0
	s_mul_i32 s24, s2, s0
	s_mul_i32 s28, s8, s3
	s_mul_hi_u32 s0, s8, s0
	s_mul_hi_u32 s25, s8, s3
	s_add_u32 s0, s0, s28
	s_addc_u32 s8, 0, s25
	s_add_u32 s0, s0, s24
	s_mul_hi_u32 s1, s2, s3
	s_addc_u32 s0, s8, s9
	s_addc_u32 s1, s1, 0
	s_mul_i32 s3, s2, s3
	s_add_u32 s0, s0, s3
	s_addc_u32 s1, 0, s1
	v_add_co_u32_e32 v2, vcc, s0, v2
	s_cmp_lg_u64 vcc, 0
	s_addc_u32 s8, s2, s1
	s_ashr_i32 s0, s49, 31
	s_add_u32 s2, s84, s0
	s_mov_b32 s1, s0
	s_addc_u32 s3, s49, s0
	s_xor_b64 s[2:3], s[2:3], s[0:1]
	v_readfirstlane_b32 s24, v2
	s_mul_i32 s9, s2, s8
	s_mul_hi_u32 s25, s2, s24
	s_mul_hi_u32 s1, s2, s8
	s_add_u32 s9, s25, s9
	s_addc_u32 s1, 0, s1
	s_mul_hi_u32 s28, s3, s24
	s_mul_i32 s24, s3, s24
	s_add_u32 s9, s9, s24
	s_mul_hi_u32 s25, s3, s8
	s_addc_u32 s1, s1, s28
	s_addc_u32 s9, s25, 0
	s_mul_i32 s8, s3, s8
	s_add_u32 s1, s1, s8
	s_addc_u32 s8, 0, s9
	s_mul_hi_u32 s9, s33, s1
	s_mul_i32 s1, s33, s1
	s_mul_i32 s8, s33, s8
	v_mov_b32_e32 v2, s1
	s_add_i32 s9, s9, s8
	v_sub_co_u32_e32 v2, vcc, s2, v2
	s_cmp_lg_u64 vcc, 0
	s_subb_u32 s1, s3, s9
	v_subrev_co_u32_e32 v3, vcc, s33, v2
	s_cmp_lg_u64 vcc, 0
	s_subb_u32 s2, s1, 0
	v_subrev_co_u32_e32 v4, vcc, s33, v3
	s_cmp_lg_u64 vcc, 0
	s_subb_u32 s3, s2, 0
	v_cmp_le_u32_e32 vcc, s33, v3
	s_cmp_eq_u32 s2, 0
	v_cndmask_b32_e64 v5, 0, -1, vcc
	s_cselect_b64 vcc, -1, 0
	v_cndmask_b32_e32 v5, -1, v5, vcc
	v_mov_b32_e32 v6, s2
	v_mov_b32_e32 v7, s3
	v_cmp_ne_u32_e32 vcc, 0, v5
	v_cndmask_b32_e32 v5, v6, v7, vcc
	v_cndmask_b32_e32 v3, v3, v4, vcc
	v_cmp_le_u32_e32 vcc, s33, v2
	s_cmp_eq_u32 s1, 0
	v_cndmask_b32_e64 v4, 0, -1, vcc
	s_cselect_b64 vcc, -1, 0
	v_cndmask_b32_e32 v4, -1, v4, vcc
	v_cmp_ne_u32_e32 vcc, 0, v4
	v_mov_b32_e32 v6, s1
	v_cndmask_b32_e32 v2, v2, v3, vcc
	v_cndmask_b32_e32 v4, v6, v5, vcc
	v_xor_b32_e32 v2, s0, v2
	v_xor_b32_e32 v3, s0, v4
	v_mov_b32_e32 v4, s0
	v_subrev_co_u32_e32 v2, vcc, s0, v2
	v_subb_co_u32_e32 v3, vcc, v3, v4, vcc
	s_cbranch_execnz .LBB15_204
.LBB15_203:                             ;   in Loop: Header=BB15_33 Depth=1
	v_cvt_f32_u32_e32 v2, s33
	s_sub_i32 s0, 0, s33
	v_rcp_iflag_f32_e32 v2, v2
	v_mul_f32_e32 v2, 0x4f7ffffe, v2
	v_cvt_u32_f32_e32 v2, v2
	v_mul_lo_u32 v3, s0, v2
	v_mul_hi_u32 v3, v2, v3
	v_add_u32_e32 v2, v2, v3
	v_mul_hi_u32 v2, s84, v2
	v_mul_lo_u32 v2, v2, s33
	v_sub_u32_e32 v2, s84, v2
	v_subrev_u32_e32 v3, s33, v2
	v_cmp_le_u32_e32 vcc, s33, v2
	v_cndmask_b32_e32 v2, v2, v3, vcc
	v_subrev_u32_e32 v3, s33, v2
	v_cmp_le_u32_e32 vcc, s33, v2
	v_cndmask_b32_e32 v12, v2, v3, vcc
	v_pk_mov_b32 v[2:3], v[12:13], v[12:13] op_sel:[0,1]
.LBB15_204:                             ;   in Loop: Header=BB15_33 Depth=1
	v_mov_b32_e32 v4, s49
	v_sub_co_u32_e32 v2, vcc, s84, v2
	v_subb_co_u32_e32 v3, vcc, v4, v3, vcc
	v_cmp_gt_i64_e32 vcc, v[2:3], v[0:1]
	s_mov_b64 s[2:3], 0
                                        ; implicit-def: $vgpr43
	s_and_saveexec_b64 s[0:1], vcc
	s_cbranch_execz .LBB15_217
; %bb.205:                              ;   in Loop: Header=BB15_33 Depth=1
	v_pk_mov_b32 v[4:5], v[10:11], v[10:11] op_sel:[0,1]
	v_pk_mov_b32 v[6:7], v[0:1], v[0:1] op_sel:[0,1]
                                        ; implicit-def: $sgpr8_sgpr9
	s_branch .LBB15_207
.LBB15_206:                             ;   in Loop: Header=BB15_207 Depth=2
	s_or_b64 exec, exec, s[24:25]
	s_waitcnt lgkmcnt(0)
	s_barrier
	s_waitcnt vmcnt(0)
	ds_read_u16 v8, v13 offset:3072
	v_mov_b32_e32 v9, s92
	v_add_co_u32_e32 v6, vcc, s33, v6
	v_addc_co_u32_e32 v7, vcc, v7, v9, vcc
	s_waitcnt lgkmcnt(0)
	v_cmp_ne_u16_sdwa s[24:25], v8, v13 src0_sel:BYTE_0 src1_sel:DWORD
	v_cmp_ge_i64_e32 vcc, v[6:7], v[2:3]
	s_or_b64 s[28:29], s[24:25], vcc
	s_and_b64 s[28:29], exec, s[28:29]
	s_or_b64 s[2:3], s[28:29], s[2:3]
	v_mov_b32_e32 v9, s93
	v_add_co_u32_e32 v4, vcc, s46, v4
	s_andn2_b64 s[8:9], s[8:9], exec
	s_and_b64 s[24:25], s[24:25], exec
	v_addc_co_u32_e32 v5, vcc, v5, v9, vcc
	s_or_b64 s[8:9], s[8:9], s[24:25]
	s_barrier
	s_andn2_b64 exec, exec, s[2:3]
	s_cbranch_execz .LBB15_216
.LBB15_207:                             ;   Parent Loop BB15_33 Depth=1
                                        ; =>  This Inner Loop Header: Depth=2
	v_cmp_gt_i64_e32 vcc, s[52:53], v[6:7]
	v_mov_b32_e32 v8, 0
	s_and_saveexec_b64 s[24:25], vcc
	s_cbranch_execz .LBB15_209
; %bb.208:                              ;   in Loop: Header=BB15_207 Depth=2
	global_load_ubyte v8, v[4:5], off
.LBB15_209:                             ;   in Loop: Header=BB15_207 Depth=2
	s_or_b64 exec, exec, s[24:25]
	s_and_saveexec_b64 s[24:25], vcc
	s_cbranch_execz .LBB15_206
; %bb.210:                              ;   in Loop: Header=BB15_207 Depth=2
	s_waitcnt vmcnt(0)
	v_add_u32_sdwa v9, sext(v8), s85 dst_sel:DWORD dst_unused:UNUSED_PAD src0_sel:BYTE_0 src1_sel:DWORD
	v_and_b32_e32 v9, s82, v9
	v_cmp_eq_u32_e32 vcc, s83, v9
	s_and_b64 exec, exec, vcc
	s_cbranch_execz .LBB15_206
; %bb.211:                              ;   in Loop: Header=BB15_207 Depth=2
	v_lshlrev_b16_e32 v8, 8, v8
	v_or_b32_e32 v8, 1, v8
	ds_write_b16 v13, v8 offset:3072
	s_branch .LBB15_206
.LBB15_212:                             ;   in Loop: Header=BB15_33 Depth=1
                                        ; implicit-def: $sgpr0_sgpr1
                                        ; implicit-def: $sgpr28_sgpr29
                                        ; implicit-def: $sgpr24_sgpr25
	s_branch .LBB15_231
.LBB15_213:                             ;   in Loop: Header=BB15_33 Depth=1
                                        ; implicit-def: $vgpr2_vgpr3
	s_branch .LBB15_156
.LBB15_214:                             ;   in Loop: Header=BB15_33 Depth=1
                                        ; implicit-def: $vgpr2_vgpr3
	s_branch .LBB15_173
.LBB15_215:                             ;   in Loop: Header=BB15_33 Depth=1
	s_mov_b64 s[0:1], -1
	s_mov_b64 s[2:3], 0
                                        ; implicit-def: $sgpr24_sgpr25
                                        ; implicit-def: $vgpr43
	s_mov_b64 s[28:29], s[0:1]
	s_cbranch_execnz .LBB15_218
	s_branch .LBB15_231
.LBB15_216:                             ;   in Loop: Header=BB15_33 Depth=1
	s_or_b64 exec, exec, s[2:3]
	v_lshrrev_b16_e32 v43, 8, v8
	s_and_b64 s[2:3], s[8:9], exec
.LBB15_217:                             ;   in Loop: Header=BB15_33 Depth=1
	s_or_b64 exec, exec, s[0:1]
	s_mov_b64 s[24:25], -1
	s_mov_b64 s[0:1], 0
	s_mov_b64 s[28:29], s[0:1]
	s_branch .LBB15_231
.LBB15_218:                             ;   in Loop: Header=BB15_33 Depth=1
	v_readlane_b32 s0, v48, 22
	s_add_u32 s8, s0, s30
	v_readlane_b32 s0, v48, 23
	s_addc_u32 s1, s0, s31
	s_mov_b32 s0, s75
	s_cmp_lg_u64 s[0:1], 0
	s_cbranch_scc0 .LBB15_261
; %bb.219:                              ;   in Loop: Header=BB15_33 Depth=1
	v_cvt_f32_u32_e32 v2, s33
	s_sub_u32 s0, 0, s33
	s_subb_u32 s2, 0, 0
	v_mac_f32_e32 v2, 0x4f800000, v42
	v_rcp_f32_e32 v2, v2
	v_mul_f32_e32 v2, 0x5f7ffffc, v2
	v_mul_f32_e32 v3, 0x2f800000, v2
	v_trunc_f32_e32 v3, v3
	v_mac_f32_e32 v2, 0xcf800000, v3
	v_cvt_u32_f32_e32 v3, v3
	v_cvt_u32_f32_e32 v2, v2
	v_readfirstlane_b32 s3, v3
	v_readfirstlane_b32 s9, v2
	s_mul_i32 s24, s0, s3
	s_mul_hi_u32 s28, s0, s9
	s_mul_i32 s25, s2, s9
	s_add_i32 s24, s28, s24
	s_mul_i32 s29, s0, s9
	s_add_i32 s24, s24, s25
	s_mul_hi_u32 s28, s9, s29
	s_mul_hi_u32 s25, s9, s24
	s_mul_i32 s9, s9, s24
	s_add_u32 s9, s28, s9
	s_addc_u32 s25, 0, s25
	s_mul_hi_u32 s36, s3, s29
	s_mul_i32 s29, s3, s29
	s_add_u32 s9, s9, s29
	s_mul_hi_u32 s28, s3, s24
	s_addc_u32 s9, s25, s36
	s_addc_u32 s25, s28, 0
	s_mul_i32 s24, s3, s24
	s_add_u32 s9, s9, s24
	s_addc_u32 s24, 0, s25
	v_add_co_u32_e32 v2, vcc, s9, v2
	s_cmp_lg_u64 vcc, 0
	s_addc_u32 s3, s3, s24
	v_readfirstlane_b32 s24, v2
	s_mul_i32 s9, s0, s3
	s_mul_hi_u32 s25, s0, s24
	s_add_i32 s9, s25, s9
	s_mul_i32 s2, s2, s24
	s_add_i32 s9, s9, s2
	s_mul_i32 s0, s0, s24
	s_mul_hi_u32 s25, s3, s0
	s_mul_i32 s28, s3, s0
	s_mul_i32 s36, s24, s9
	s_mul_hi_u32 s0, s24, s0
	s_mul_hi_u32 s29, s24, s9
	s_add_u32 s0, s0, s36
	s_addc_u32 s24, 0, s29
	s_add_u32 s0, s0, s28
	s_mul_hi_u32 s2, s3, s9
	s_addc_u32 s0, s24, s25
	s_addc_u32 s2, s2, 0
	s_mul_i32 s9, s3, s9
	s_add_u32 s0, s0, s9
	s_addc_u32 s2, 0, s2
	v_add_co_u32_e32 v2, vcc, s0, v2
	s_cmp_lg_u64 vcc, 0
	s_addc_u32 s0, s3, s2
	s_ashr_i32 s2, s1, 31
	s_add_u32 s24, s8, s2
	s_mov_b32 s3, s2
	s_addc_u32 s25, s1, s2
	s_xor_b64 s[24:25], s[24:25], s[2:3]
	v_readfirstlane_b32 s28, v2
	s_mul_i32 s9, s24, s0
	s_mul_hi_u32 s29, s24, s28
	s_mul_hi_u32 s3, s24, s0
	s_add_u32 s9, s29, s9
	s_addc_u32 s3, 0, s3
	s_mul_hi_u32 s36, s25, s28
	s_mul_i32 s28, s25, s28
	s_add_u32 s9, s9, s28
	s_mul_hi_u32 s29, s25, s0
	s_addc_u32 s3, s3, s36
	s_addc_u32 s9, s29, 0
	s_mul_i32 s0, s25, s0
	s_add_u32 s0, s3, s0
	s_addc_u32 s3, 0, s9
	s_mul_hi_u32 s9, s33, s0
	s_mul_i32 s0, s33, s0
	s_mul_i32 s3, s33, s3
	v_mov_b32_e32 v2, s0
	s_add_i32 s9, s9, s3
	v_sub_co_u32_e32 v2, vcc, s24, v2
	s_cmp_lg_u64 vcc, 0
	s_subb_u32 s0, s25, s9
	v_subrev_co_u32_e32 v3, vcc, s33, v2
	s_cmp_lg_u64 vcc, 0
	s_subb_u32 s3, s0, 0
	v_subrev_co_u32_e32 v4, vcc, s33, v3
	s_cmp_lg_u64 vcc, 0
	s_subb_u32 s9, s3, 0
	v_cmp_le_u32_e32 vcc, s33, v3
	s_cmp_eq_u32 s3, 0
	v_cndmask_b32_e64 v5, 0, -1, vcc
	s_cselect_b64 vcc, -1, 0
	v_cndmask_b32_e32 v5, -1, v5, vcc
	v_mov_b32_e32 v6, s3
	v_mov_b32_e32 v7, s9
	v_cmp_ne_u32_e32 vcc, 0, v5
	v_cndmask_b32_e32 v5, v6, v7, vcc
	v_cndmask_b32_e32 v3, v3, v4, vcc
	v_cmp_le_u32_e32 vcc, s33, v2
	s_cmp_eq_u32 s0, 0
	v_cndmask_b32_e64 v4, 0, -1, vcc
	s_cselect_b64 vcc, -1, 0
	v_cndmask_b32_e32 v4, -1, v4, vcc
	v_cmp_ne_u32_e32 vcc, 0, v4
	v_mov_b32_e32 v6, s0
	v_cndmask_b32_e32 v2, v2, v3, vcc
	v_cndmask_b32_e32 v4, v6, v5, vcc
	v_xor_b32_e32 v2, s2, v2
	v_xor_b32_e32 v3, s2, v4
	v_mov_b32_e32 v4, s2
	v_subrev_co_u32_e32 v2, vcc, s2, v2
	v_subb_co_u32_e32 v3, vcc, v3, v4, vcc
	s_cbranch_execnz .LBB15_221
.LBB15_220:                             ;   in Loop: Header=BB15_33 Depth=1
	v_cvt_f32_u32_e32 v2, s33
	s_sub_i32 s0, 0, s33
	v_rcp_iflag_f32_e32 v2, v2
	v_mul_f32_e32 v2, 0x4f7ffffe, v2
	v_cvt_u32_f32_e32 v2, v2
	v_mul_lo_u32 v3, s0, v2
	v_mul_hi_u32 v3, v2, v3
	v_add_u32_e32 v2, v2, v3
	v_mul_hi_u32 v2, s8, v2
	v_mul_lo_u32 v2, v2, s33
	v_sub_u32_e32 v2, s8, v2
	v_subrev_u32_e32 v3, s33, v2
	v_cmp_le_u32_e32 vcc, s33, v2
	v_cndmask_b32_e32 v2, v2, v3, vcc
	v_subrev_u32_e32 v3, s33, v2
	v_cmp_le_u32_e32 vcc, s33, v2
	v_cndmask_b32_e32 v12, v2, v3, vcc
	v_pk_mov_b32 v[2:3], v[12:13], v[12:13] op_sel:[0,1]
.LBB15_221:                             ;   in Loop: Header=BB15_33 Depth=1
	v_mov_b32_e32 v4, s1
	v_sub_co_u32_e32 v2, vcc, s8, v2
	v_subb_co_u32_e32 v3, vcc, v4, v3, vcc
	v_cmp_gt_i64_e32 vcc, v[2:3], v[0:1]
	s_mov_b64 s[2:3], 0
                                        ; implicit-def: $vgpr43
	s_and_saveexec_b64 s[0:1], vcc
	s_cbranch_execz .LBB15_230
; %bb.222:                              ;   in Loop: Header=BB15_33 Depth=1
	v_mov_b32_e32 v6, v0
	v_pk_mov_b32 v[4:5], v[0:1], v[0:1] op_sel:[0,1]
                                        ; implicit-def: $sgpr8_sgpr9
	s_branch .LBB15_224
.LBB15_223:                             ;   in Loop: Header=BB15_224 Depth=2
	s_or_b64 exec, exec, s[24:25]
	s_waitcnt lgkmcnt(0)
	s_barrier
	ds_read_u16 v7, v13 offset:3072
	v_mov_b32_e32 v8, s92
	v_add_co_u32_e32 v4, vcc, s33, v4
	v_addc_co_u32_e32 v5, vcc, v5, v8, vcc
	s_waitcnt lgkmcnt(0)
	v_cmp_ne_u16_sdwa s[24:25], v7, v13 src0_sel:BYTE_0 src1_sel:DWORD
	v_cmp_ge_i64_e32 vcc, v[4:5], v[2:3]
	s_or_b64 s[28:29], s[24:25], vcc
	s_and_b64 s[28:29], exec, s[28:29]
	s_or_b64 s[2:3], s[28:29], s[2:3]
	s_andn2_b64 s[8:9], s[8:9], exec
	s_and_b64 s[24:25], s[24:25], exec
	v_add_u32_e32 v6, s33, v6
	s_or_b64 s[8:9], s[8:9], s[24:25]
	s_barrier
	s_andn2_b64 exec, exec, s[2:3]
	s_cbranch_execz .LBB15_229
.LBB15_224:                             ;   Parent Loop BB15_33 Depth=1
                                        ; =>  This Inner Loop Header: Depth=2
	v_cmp_gt_i64_e32 vcc, s[30:31], v[4:5]
	v_mov_b32_e32 v7, 0
	s_and_saveexec_b64 s[24:25], vcc
	s_cbranch_execz .LBB15_226
; %bb.225:                              ;   in Loop: Header=BB15_224 Depth=2
	ds_read_u8 v7, v6
.LBB15_226:                             ;   in Loop: Header=BB15_224 Depth=2
	s_or_b64 exec, exec, s[24:25]
	s_and_saveexec_b64 s[24:25], vcc
	s_cbranch_execz .LBB15_223
; %bb.227:                              ;   in Loop: Header=BB15_224 Depth=2
	s_waitcnt lgkmcnt(0)
	v_add_u32_sdwa v8, sext(v7), s85 dst_sel:DWORD dst_unused:UNUSED_PAD src0_sel:BYTE_0 src1_sel:DWORD
	v_and_b32_e32 v8, s82, v8
	v_cmp_eq_u32_e32 vcc, s83, v8
	s_and_b64 exec, exec, vcc
	s_cbranch_execz .LBB15_223
; %bb.228:                              ;   in Loop: Header=BB15_224 Depth=2
	v_lshlrev_b16_e32 v7, 8, v7
	v_or_b32_e32 v7, 1, v7
	ds_write_b16 v13, v7 offset:3072
	s_branch .LBB15_223
.LBB15_229:                             ;   in Loop: Header=BB15_33 Depth=1
	s_or_b64 exec, exec, s[2:3]
	v_lshrrev_b16_e32 v43, 8, v7
	s_and_b64 s[2:3], s[8:9], exec
.LBB15_230:                             ;   in Loop: Header=BB15_33 Depth=1
	s_or_b64 exec, exec, s[0:1]
	s_mov_b64 s[28:29], -1
	s_mov_b64 s[0:1], 0
	s_mov_b64 s[24:25], 0
.LBB15_231:                             ;   in Loop: Header=BB15_33 Depth=1
	s_mov_b64 s[8:9], 0
                                        ; implicit-def: $sgpr43
	s_and_saveexec_b64 s[30:31], s[2:3]
	s_cbranch_execz .LBB15_293
; %bb.232:                              ;   in Loop: Header=BB15_33 Depth=1
	s_xor_b64 s[2:3], s[34:35], -1
	s_andn2_b64 vcc, exec, s[2:3]
	s_mov_b32 s43, 1
	s_cbranch_vccnz .LBB15_243
; %bb.233:                              ;   in Loop: Header=BB15_33 Depth=1
	v_pk_mov_b32 v[2:3], s[14:15], s[14:15] op_sel:[0,1]
	v_cmp_gt_i64_e32 vcc, s[54:55], v[2:3]
	s_mov_b64 s[2:3], -1
                                        ; implicit-def: $sgpr43
                                        ; implicit-def: $sgpr8
                                        ; implicit-def: $sgpr9
	s_cbranch_vccnz .LBB15_239
; %bb.234:                              ;   in Loop: Header=BB15_33 Depth=1
	ds_read_b64 v[2:3], v13 offset:5120
	s_waitcnt lgkmcnt(0)
	v_cmp_ne_u64_e32 vcc, 0, v[2:3]
	s_cbranch_vccnz .LBB15_238
; %bb.235:                              ;   in Loop: Header=BB15_33 Depth=1
	s_mov_b64 s[2:3], exec
	v_readlane_b32 s8, v48, 10
	v_readlane_b32 s9, v48, 11
	s_and_b64 s[8:9], s[2:3], s[8:9]
	s_mov_b64 exec, s[8:9]
	s_cbranch_execz .LBB15_237
; %bb.236:                              ;   in Loop: Header=BB15_33 Depth=1
	v_pk_mov_b32 v[2:3], s[14:15], s[14:15] op_sel:[0,1]
	ds_write_b64 v13, v[2:3] offset:5128
.LBB15_237:                             ;   in Loop: Header=BB15_33 Depth=1
	s_or_b64 exec, exec, s[2:3]
	s_waitcnt lgkmcnt(0)
	s_barrier
.LBB15_238:                             ;   in Loop: Header=BB15_33 Depth=1
	s_lshl_b32 s2, 2, s26
	s_and_b32 s3, s83, s27
	s_or_b32 s8, s3, s2
	s_or_b32 s9, s82, s42
	s_mov_b64 s[2:3], 0
	s_mov_b32 s43, 8
.LBB15_239:                             ;   in Loop: Header=BB15_33 Depth=1
	s_andn2_b64 vcc, exec, s[2:3]
	s_cbranch_vccnz .LBB15_241
; %bb.240:                              ;   in Loop: Header=BB15_33 Depth=1
	s_sub_u32 s54, s54, s14
	s_subb_u32 s55, s55, s15
	s_mov_b64 s[2:3], -1
	s_mov_b32 s43, 0
	s_mov_b32 s8, s83
	;; [unrolled: 1-line block ×3, first 2 shown]
.LBB15_241:                             ;   in Loop: Header=BB15_33 Depth=1
	s_mov_b32 s82, s9
	s_mov_b32 s83, s8
	s_andn2_b64 vcc, exec, s[2:3]
	s_mov_b64 s[38:39], -1
	s_cbranch_vccz .LBB15_244
.LBB15_242:                             ;   in Loop: Header=BB15_33 Depth=1
                                        ; implicit-def: $sgpr2_sgpr3
                                        ; implicit-def: $sgpr26_sgpr27
                                        ; implicit-def: $sgpr8_sgpr9
	s_branch .LBB15_292
.LBB15_243:                             ;   in Loop: Header=BB15_33 Depth=1
	s_mov_b64 s[54:55], 1
	s_mov_b64 s[38:39], -1
	s_cbranch_execnz .LBB15_242
.LBB15_244:                             ;   in Loop: Header=BB15_33 Depth=1
	s_cmp_eq_u64 s[6:7], 1
	s_cselect_b64 s[2:3], -1, 0
	s_cmp_eq_u64 s[54:55], 1
	s_cselect_b64 s[8:9], -1, 0
	s_and_b64 s[14:15], s[2:3], s[8:9]
	s_mov_b64 s[36:37], -1
	s_and_b64 vcc, exec, s[14:15]
	s_cbranch_vccz .LBB15_259
; %bb.245:                              ;   in Loop: Header=BB15_33 Depth=1
	ds_read_b64 v[2:3], v13 offset:5120
	s_waitcnt lgkmcnt(0)
	s_barrier
	v_readfirstlane_b32 s34, v2
	v_readfirstlane_b32 s35, v3
	s_mov_b64 s[2:3], exec
	v_readlane_b32 s8, v48, 12
	v_readlane_b32 s9, v48, 13
	s_and_b64 s[8:9], s[2:3], s[8:9]
	s_mov_b64 exec, s[8:9]
	s_cbranch_execz .LBB15_247
; %bb.246:                              ;   in Loop: Header=BB15_33 Depth=1
	ds_write_b8 v0, v13 offset:3072
.LBB15_247:                             ;   in Loop: Header=BB15_33 Depth=1
	s_or_b64 exec, exec, s[2:3]
	v_cmp_gt_i64_e64 s[2:3], s[34:35], 0
	s_or_b32 s83, s83, s42
	s_or_b32 s82, s82, s42
	s_and_b64 vcc, exec, s[2:3]
	s_waitcnt lgkmcnt(0)
	s_barrier
	s_cbranch_vccnz .LBB15_262
; %bb.248:                              ;   in Loop: Header=BB15_33 Depth=1
	s_mov_b32 s48, s75
	s_cmp_lg_u64 s[48:49], 0
	s_cbranch_scc0 .LBB15_298
; %bb.249:                              ;   in Loop: Header=BB15_33 Depth=1
	v_cvt_f32_u32_e32 v2, s33
	s_sub_u32 s2, 0, s33
	s_subb_u32 s3, 0, 0
	v_mac_f32_e32 v2, 0x4f800000, v42
	v_rcp_f32_e32 v2, v2
	v_mul_f32_e32 v2, 0x5f7ffffc, v2
	v_mul_f32_e32 v3, 0x2f800000, v2
	v_trunc_f32_e32 v3, v3
	v_mac_f32_e32 v2, 0xcf800000, v3
	v_cvt_u32_f32_e32 v3, v3
	v_cvt_u32_f32_e32 v2, v2
	v_readfirstlane_b32 s8, v3
	v_readfirstlane_b32 s9, v2
	s_mul_i32 s26, s2, s8
	s_mul_hi_u32 s36, s2, s9
	s_mul_i32 s27, s3, s9
	s_add_i32 s26, s36, s26
	s_mul_i32 s37, s2, s9
	s_add_i32 s26, s26, s27
	s_mul_hi_u32 s36, s9, s37
	s_mul_hi_u32 s27, s9, s26
	s_mul_i32 s9, s9, s26
	s_add_u32 s9, s36, s9
	s_addc_u32 s27, 0, s27
	s_mul_hi_u32 s38, s8, s37
	s_mul_i32 s37, s8, s37
	s_add_u32 s9, s9, s37
	s_mul_hi_u32 s36, s8, s26
	s_addc_u32 s9, s27, s38
	s_addc_u32 s27, s36, 0
	s_mul_i32 s26, s8, s26
	s_add_u32 s9, s9, s26
	s_addc_u32 s26, 0, s27
	v_add_co_u32_e32 v2, vcc, s9, v2
	s_cmp_lg_u64 vcc, 0
	s_addc_u32 s8, s8, s26
	v_readfirstlane_b32 s26, v2
	s_mul_i32 s9, s2, s8
	s_mul_hi_u32 s27, s2, s26
	s_add_i32 s9, s27, s9
	s_mul_i32 s3, s3, s26
	s_add_i32 s9, s9, s3
	s_mul_i32 s2, s2, s26
	s_mul_hi_u32 s27, s8, s2
	s_mul_i32 s36, s8, s2
	s_mul_i32 s38, s26, s9
	s_mul_hi_u32 s2, s26, s2
	s_mul_hi_u32 s37, s26, s9
	s_add_u32 s2, s2, s38
	s_addc_u32 s26, 0, s37
	s_add_u32 s2, s2, s36
	s_mul_hi_u32 s3, s8, s9
	s_addc_u32 s2, s26, s27
	s_addc_u32 s3, s3, 0
	s_mul_i32 s9, s8, s9
	s_add_u32 s2, s2, s9
	s_addc_u32 s3, 0, s3
	v_add_co_u32_e32 v2, vcc, s2, v2
	s_cmp_lg_u64 vcc, 0
	s_addc_u32 s26, s8, s3
	s_ashr_i32 s2, s49, 31
	s_add_u32 s8, s84, s2
	s_mov_b32 s3, s2
	s_addc_u32 s9, s49, s2
	s_xor_b64 s[8:9], s[8:9], s[2:3]
	v_readfirstlane_b32 s36, v2
	s_mul_i32 s27, s8, s26
	s_mul_hi_u32 s37, s8, s36
	s_mul_hi_u32 s3, s8, s26
	s_add_u32 s27, s37, s27
	s_addc_u32 s3, 0, s3
	s_mul_hi_u32 s38, s9, s36
	s_mul_i32 s36, s9, s36
	s_add_u32 s27, s27, s36
	s_mul_hi_u32 s37, s9, s26
	s_addc_u32 s3, s3, s38
	s_addc_u32 s27, s37, 0
	s_mul_i32 s26, s9, s26
	s_add_u32 s3, s3, s26
	s_addc_u32 s26, 0, s27
	s_mul_hi_u32 s27, s33, s3
	s_mul_i32 s3, s33, s3
	s_mul_i32 s26, s33, s26
	v_mov_b32_e32 v2, s3
	s_add_i32 s27, s27, s26
	v_sub_co_u32_e32 v2, vcc, s8, v2
	s_cmp_lg_u64 vcc, 0
	s_subb_u32 s3, s9, s27
	v_subrev_co_u32_e32 v3, vcc, s33, v2
	s_cmp_lg_u64 vcc, 0
	s_subb_u32 s8, s3, 0
	v_subrev_co_u32_e32 v4, vcc, s33, v3
	s_cmp_lg_u64 vcc, 0
	s_subb_u32 s9, s8, 0
	v_cmp_le_u32_e32 vcc, s33, v3
	s_cmp_eq_u32 s8, 0
	v_cndmask_b32_e64 v5, 0, -1, vcc
	s_cselect_b64 vcc, -1, 0
	v_cndmask_b32_e32 v5, -1, v5, vcc
	v_mov_b32_e32 v6, s8
	v_mov_b32_e32 v7, s9
	v_cmp_ne_u32_e32 vcc, 0, v5
	v_cndmask_b32_e32 v5, v6, v7, vcc
	v_cndmask_b32_e32 v3, v3, v4, vcc
	v_cmp_le_u32_e32 vcc, s33, v2
	s_cmp_eq_u32 s3, 0
	v_cndmask_b32_e64 v4, 0, -1, vcc
	s_cselect_b64 vcc, -1, 0
	v_cndmask_b32_e32 v4, -1, v4, vcc
	v_cmp_ne_u32_e32 vcc, 0, v4
	v_mov_b32_e32 v6, s3
	v_cndmask_b32_e32 v2, v2, v3, vcc
	v_cndmask_b32_e32 v4, v6, v5, vcc
	v_xor_b32_e32 v2, s2, v2
	v_xor_b32_e32 v3, s2, v4
	v_mov_b32_e32 v4, s2
	v_subrev_co_u32_e32 v2, vcc, s2, v2
	v_subb_co_u32_e32 v3, vcc, v3, v4, vcc
	s_cbranch_execnz .LBB15_251
.LBB15_250:                             ;   in Loop: Header=BB15_33 Depth=1
	v_cvt_f32_u32_e32 v2, s33
	s_sub_i32 s2, 0, s33
	v_rcp_iflag_f32_e32 v2, v2
	v_mul_f32_e32 v2, 0x4f7ffffe, v2
	v_cvt_u32_f32_e32 v2, v2
	v_mul_lo_u32 v3, s2, v2
	v_mul_hi_u32 v3, v2, v3
	v_add_u32_e32 v2, v2, v3
	v_mul_hi_u32 v2, s84, v2
	v_mul_lo_u32 v2, v2, s33
	v_sub_u32_e32 v2, s84, v2
	v_subrev_u32_e32 v3, s33, v2
	v_cmp_le_u32_e32 vcc, s33, v2
	v_cndmask_b32_e32 v2, v2, v3, vcc
	v_subrev_u32_e32 v3, s33, v2
	v_cmp_le_u32_e32 vcc, s33, v2
	v_cndmask_b32_e32 v12, v2, v3, vcc
	v_pk_mov_b32 v[2:3], v[12:13], v[12:13] op_sel:[0,1]
.LBB15_251:                             ;   in Loop: Header=BB15_33 Depth=1
	v_mov_b32_e32 v4, s49
	v_sub_co_u32_e32 v2, vcc, s84, v2
	v_subb_co_u32_e32 v3, vcc, v4, v3, vcc
	v_cmp_gt_i64_e32 vcc, v[2:3], v[0:1]
	s_mov_b64 s[36:37], 0
                                        ; implicit-def: $vgpr43
	s_and_saveexec_b64 s[2:3], vcc
	s_cbranch_execz .LBB15_264
; %bb.252:                              ;   in Loop: Header=BB15_33 Depth=1
	s_mov_b64 s[8:9], 0
	v_pk_mov_b32 v[4:5], v[10:11], v[10:11] op_sel:[0,1]
	v_pk_mov_b32 v[6:7], v[0:1], v[0:1] op_sel:[0,1]
                                        ; implicit-def: $sgpr26_sgpr27
	s_branch .LBB15_254
.LBB15_253:                             ;   in Loop: Header=BB15_254 Depth=2
	s_or_b64 exec, exec, s[36:37]
	s_waitcnt lgkmcnt(0)
	s_barrier
	s_waitcnt vmcnt(0)
	ds_read_u16 v8, v13 offset:3072
	v_mov_b32_e32 v9, s92
	v_add_co_u32_e32 v6, vcc, s33, v6
	v_addc_co_u32_e32 v7, vcc, v7, v9, vcc
	s_waitcnt lgkmcnt(0)
	v_cmp_ne_u16_sdwa s[36:37], v8, v13 src0_sel:BYTE_0 src1_sel:DWORD
	v_cmp_ge_i64_e32 vcc, v[6:7], v[2:3]
	s_or_b64 s[38:39], s[36:37], vcc
	s_and_b64 s[38:39], exec, s[38:39]
	s_or_b64 s[8:9], s[38:39], s[8:9]
	v_mov_b32_e32 v9, s93
	v_add_co_u32_e32 v4, vcc, s46, v4
	s_andn2_b64 s[26:27], s[26:27], exec
	s_and_b64 s[36:37], s[36:37], exec
	v_addc_co_u32_e32 v5, vcc, v5, v9, vcc
	s_or_b64 s[26:27], s[26:27], s[36:37]
	s_barrier
	s_andn2_b64 exec, exec, s[8:9]
	s_cbranch_execz .LBB15_263
.LBB15_254:                             ;   Parent Loop BB15_33 Depth=1
                                        ; =>  This Inner Loop Header: Depth=2
	v_cmp_gt_i64_e32 vcc, s[52:53], v[6:7]
	v_mov_b32_e32 v8, 0
	s_and_saveexec_b64 s[36:37], vcc
	s_cbranch_execz .LBB15_256
; %bb.255:                              ;   in Loop: Header=BB15_254 Depth=2
	global_load_ubyte v8, v[4:5], off
.LBB15_256:                             ;   in Loop: Header=BB15_254 Depth=2
	s_or_b64 exec, exec, s[36:37]
	s_and_saveexec_b64 s[36:37], vcc
	s_cbranch_execz .LBB15_253
; %bb.257:                              ;   in Loop: Header=BB15_254 Depth=2
	s_waitcnt vmcnt(0)
	v_add_u32_sdwa v9, sext(v8), s85 dst_sel:DWORD dst_unused:UNUSED_PAD src0_sel:BYTE_0 src1_sel:DWORD
	v_and_b32_e32 v9, s82, v9
	v_cmp_eq_u32_e32 vcc, s83, v9
	s_and_b64 exec, exec, vcc
	s_cbranch_execz .LBB15_253
; %bb.258:                              ;   in Loop: Header=BB15_254 Depth=2
	v_lshlrev_b16_e32 v8, 8, v8
	v_or_b32_e32 v8, 1, v8
	ds_write_b16 v13, v8 offset:3072
	s_branch .LBB15_253
.LBB15_259:                             ;   in Loop: Header=BB15_33 Depth=1
                                        ; implicit-def: $sgpr2_sgpr3
                                        ; implicit-def: $sgpr26_sgpr27
                                        ; implicit-def: $sgpr8_sgpr9
	s_branch .LBB15_278
.LBB15_260:                             ;   in Loop: Header=BB15_33 Depth=1
                                        ; implicit-def: $vgpr2_vgpr3
	s_branch .LBB15_203
.LBB15_261:                             ;   in Loop: Header=BB15_33 Depth=1
                                        ; implicit-def: $vgpr2_vgpr3
	s_branch .LBB15_220
.LBB15_262:                             ;   in Loop: Header=BB15_33 Depth=1
	s_mov_b64 s[2:3], -1
	s_mov_b64 s[36:37], 0
                                        ; implicit-def: $sgpr8_sgpr9
                                        ; implicit-def: $vgpr43
	s_mov_b64 s[26:27], s[2:3]
	s_cbranch_execnz .LBB15_265
	s_branch .LBB15_278
.LBB15_263:                             ;   in Loop: Header=BB15_33 Depth=1
	s_or_b64 exec, exec, s[8:9]
	v_lshrrev_b16_e32 v43, 8, v8
	s_and_b64 s[36:37], s[26:27], exec
.LBB15_264:                             ;   in Loop: Header=BB15_33 Depth=1
	s_or_b64 exec, exec, s[2:3]
	s_mov_b64 s[8:9], -1
	s_mov_b64 s[2:3], 0
	s_mov_b64 s[26:27], s[2:3]
	s_branch .LBB15_278
.LBB15_265:                             ;   in Loop: Header=BB15_33 Depth=1
	v_readlane_b32 s2, v48, 22
	s_add_u32 s26, s2, s34
	v_readlane_b32 s2, v48, 23
	s_addc_u32 s3, s2, s35
	s_mov_b32 s2, s75
	s_cmp_lg_u64 s[2:3], 0
	s_cbranch_scc0 .LBB15_299
; %bb.266:                              ;   in Loop: Header=BB15_33 Depth=1
	v_cvt_f32_u32_e32 v2, s33
	s_sub_u32 s2, 0, s33
	s_subb_u32 s8, 0, 0
	v_mac_f32_e32 v2, 0x4f800000, v42
	v_rcp_f32_e32 v2, v2
	v_mul_f32_e32 v2, 0x5f7ffffc, v2
	v_mul_f32_e32 v3, 0x2f800000, v2
	v_trunc_f32_e32 v3, v3
	v_mac_f32_e32 v2, 0xcf800000, v3
	v_cvt_u32_f32_e32 v3, v3
	v_cvt_u32_f32_e32 v2, v2
	v_readfirstlane_b32 s9, v3
	v_readfirstlane_b32 s27, v2
	s_mul_i32 s36, s2, s9
	s_mul_hi_u32 s38, s2, s27
	s_mul_i32 s37, s8, s27
	s_add_i32 s36, s38, s36
	s_mul_i32 s39, s2, s27
	s_add_i32 s36, s36, s37
	s_mul_hi_u32 s38, s27, s39
	s_mul_hi_u32 s37, s27, s36
	s_mul_i32 s27, s27, s36
	s_add_u32 s27, s38, s27
	s_addc_u32 s37, 0, s37
	s_mul_hi_u32 s40, s9, s39
	s_mul_i32 s39, s9, s39
	s_add_u32 s27, s27, s39
	s_mul_hi_u32 s38, s9, s36
	s_addc_u32 s27, s37, s40
	s_addc_u32 s37, s38, 0
	s_mul_i32 s36, s9, s36
	s_add_u32 s27, s27, s36
	s_addc_u32 s36, 0, s37
	v_add_co_u32_e32 v2, vcc, s27, v2
	s_cmp_lg_u64 vcc, 0
	s_addc_u32 s9, s9, s36
	v_readfirstlane_b32 s36, v2
	s_mul_i32 s27, s2, s9
	s_mul_hi_u32 s37, s2, s36
	s_add_i32 s27, s37, s27
	s_mul_i32 s8, s8, s36
	s_add_i32 s27, s27, s8
	s_mul_i32 s2, s2, s36
	s_mul_hi_u32 s37, s9, s2
	s_mul_i32 s38, s9, s2
	s_mul_i32 s40, s36, s27
	s_mul_hi_u32 s2, s36, s2
	s_mul_hi_u32 s39, s36, s27
	s_add_u32 s2, s2, s40
	s_addc_u32 s36, 0, s39
	s_add_u32 s2, s2, s38
	s_mul_hi_u32 s8, s9, s27
	s_addc_u32 s2, s36, s37
	s_addc_u32 s8, s8, 0
	s_mul_i32 s27, s9, s27
	s_add_u32 s2, s2, s27
	s_addc_u32 s8, 0, s8
	v_add_co_u32_e32 v2, vcc, s2, v2
	s_cmp_lg_u64 vcc, 0
	s_addc_u32 s2, s9, s8
	s_ashr_i32 s8, s3, 31
	s_add_u32 s36, s26, s8
	s_mov_b32 s9, s8
	s_addc_u32 s37, s3, s8
	s_xor_b64 s[36:37], s[36:37], s[8:9]
	v_readfirstlane_b32 s38, v2
	s_mul_i32 s27, s36, s2
	s_mul_hi_u32 s39, s36, s38
	s_mul_hi_u32 s9, s36, s2
	s_add_u32 s27, s39, s27
	s_addc_u32 s9, 0, s9
	s_mul_hi_u32 s40, s37, s38
	s_mul_i32 s38, s37, s38
	s_add_u32 s27, s27, s38
	s_mul_hi_u32 s39, s37, s2
	s_addc_u32 s9, s9, s40
	s_addc_u32 s27, s39, 0
	s_mul_i32 s2, s37, s2
	s_add_u32 s2, s9, s2
	s_addc_u32 s9, 0, s27
	s_mul_hi_u32 s27, s33, s2
	s_mul_i32 s2, s33, s2
	s_mul_i32 s9, s33, s9
	v_mov_b32_e32 v2, s2
	s_add_i32 s27, s27, s9
	v_sub_co_u32_e32 v2, vcc, s36, v2
	s_cmp_lg_u64 vcc, 0
	s_subb_u32 s2, s37, s27
	v_subrev_co_u32_e32 v3, vcc, s33, v2
	s_cmp_lg_u64 vcc, 0
	s_subb_u32 s9, s2, 0
	v_subrev_co_u32_e32 v4, vcc, s33, v3
	s_cmp_lg_u64 vcc, 0
	s_subb_u32 s27, s9, 0
	v_cmp_le_u32_e32 vcc, s33, v3
	s_cmp_eq_u32 s9, 0
	v_cndmask_b32_e64 v5, 0, -1, vcc
	s_cselect_b64 vcc, -1, 0
	v_cndmask_b32_e32 v5, -1, v5, vcc
	v_mov_b32_e32 v6, s9
	v_mov_b32_e32 v7, s27
	v_cmp_ne_u32_e32 vcc, 0, v5
	v_cndmask_b32_e32 v5, v6, v7, vcc
	v_cndmask_b32_e32 v3, v3, v4, vcc
	v_cmp_le_u32_e32 vcc, s33, v2
	s_cmp_eq_u32 s2, 0
	v_cndmask_b32_e64 v4, 0, -1, vcc
	s_cselect_b64 vcc, -1, 0
	v_cndmask_b32_e32 v4, -1, v4, vcc
	v_cmp_ne_u32_e32 vcc, 0, v4
	v_mov_b32_e32 v6, s2
	v_cndmask_b32_e32 v2, v2, v3, vcc
	v_cndmask_b32_e32 v4, v6, v5, vcc
	v_xor_b32_e32 v2, s8, v2
	v_xor_b32_e32 v3, s8, v4
	v_mov_b32_e32 v4, s8
	v_subrev_co_u32_e32 v2, vcc, s8, v2
	v_subb_co_u32_e32 v3, vcc, v3, v4, vcc
	s_cbranch_execnz .LBB15_268
.LBB15_267:                             ;   in Loop: Header=BB15_33 Depth=1
	v_cvt_f32_u32_e32 v2, s33
	s_sub_i32 s2, 0, s33
	v_rcp_iflag_f32_e32 v2, v2
	v_mul_f32_e32 v2, 0x4f7ffffe, v2
	v_cvt_u32_f32_e32 v2, v2
	v_mul_lo_u32 v3, s2, v2
	v_mul_hi_u32 v3, v2, v3
	v_add_u32_e32 v2, v2, v3
	v_mul_hi_u32 v2, s26, v2
	v_mul_lo_u32 v2, v2, s33
	v_sub_u32_e32 v2, s26, v2
	v_subrev_u32_e32 v3, s33, v2
	v_cmp_le_u32_e32 vcc, s33, v2
	v_cndmask_b32_e32 v2, v2, v3, vcc
	v_subrev_u32_e32 v3, s33, v2
	v_cmp_le_u32_e32 vcc, s33, v2
	v_cndmask_b32_e32 v12, v2, v3, vcc
	v_pk_mov_b32 v[2:3], v[12:13], v[12:13] op_sel:[0,1]
.LBB15_268:                             ;   in Loop: Header=BB15_33 Depth=1
	v_mov_b32_e32 v4, s3
	v_sub_co_u32_e32 v2, vcc, s26, v2
	v_subb_co_u32_e32 v3, vcc, v4, v3, vcc
	v_cmp_gt_i64_e32 vcc, v[2:3], v[0:1]
	s_mov_b64 s[36:37], 0
                                        ; implicit-def: $vgpr43
	s_and_saveexec_b64 s[2:3], vcc
	s_cbranch_execz .LBB15_277
; %bb.269:                              ;   in Loop: Header=BB15_33 Depth=1
	s_mov_b64 s[8:9], 0
	v_mov_b32_e32 v6, v0
	v_pk_mov_b32 v[4:5], v[0:1], v[0:1] op_sel:[0,1]
                                        ; implicit-def: $sgpr26_sgpr27
	s_branch .LBB15_271
.LBB15_270:                             ;   in Loop: Header=BB15_271 Depth=2
	s_or_b64 exec, exec, s[36:37]
	s_waitcnt lgkmcnt(0)
	s_barrier
	ds_read_u16 v7, v13 offset:3072
	v_mov_b32_e32 v8, s92
	v_add_co_u32_e32 v4, vcc, s33, v4
	v_addc_co_u32_e32 v5, vcc, v5, v8, vcc
	s_waitcnt lgkmcnt(0)
	v_cmp_ne_u16_sdwa s[36:37], v7, v13 src0_sel:BYTE_0 src1_sel:DWORD
	v_cmp_ge_i64_e32 vcc, v[4:5], v[2:3]
	s_or_b64 s[38:39], s[36:37], vcc
	s_and_b64 s[38:39], exec, s[38:39]
	s_or_b64 s[8:9], s[38:39], s[8:9]
	s_andn2_b64 s[26:27], s[26:27], exec
	s_and_b64 s[36:37], s[36:37], exec
	v_add_u32_e32 v6, s33, v6
	s_or_b64 s[26:27], s[26:27], s[36:37]
	s_barrier
	s_andn2_b64 exec, exec, s[8:9]
	s_cbranch_execz .LBB15_276
.LBB15_271:                             ;   Parent Loop BB15_33 Depth=1
                                        ; =>  This Inner Loop Header: Depth=2
	v_cmp_gt_i64_e32 vcc, s[34:35], v[4:5]
	v_mov_b32_e32 v7, 0
	s_and_saveexec_b64 s[36:37], vcc
	s_cbranch_execz .LBB15_273
; %bb.272:                              ;   in Loop: Header=BB15_271 Depth=2
	ds_read_u8 v7, v6
.LBB15_273:                             ;   in Loop: Header=BB15_271 Depth=2
	s_or_b64 exec, exec, s[36:37]
	s_and_saveexec_b64 s[36:37], vcc
	s_cbranch_execz .LBB15_270
; %bb.274:                              ;   in Loop: Header=BB15_271 Depth=2
	s_waitcnt lgkmcnt(0)
	v_add_u32_sdwa v8, sext(v7), s85 dst_sel:DWORD dst_unused:UNUSED_PAD src0_sel:BYTE_0 src1_sel:DWORD
	v_and_b32_e32 v8, s82, v8
	v_cmp_eq_u32_e32 vcc, s83, v8
	s_and_b64 exec, exec, vcc
	s_cbranch_execz .LBB15_270
; %bb.275:                              ;   in Loop: Header=BB15_271 Depth=2
	v_lshlrev_b16_e32 v7, 8, v7
	v_or_b32_e32 v7, 1, v7
	ds_write_b16 v13, v7 offset:3072
	s_branch .LBB15_270
.LBB15_276:                             ;   in Loop: Header=BB15_33 Depth=1
	s_or_b64 exec, exec, s[8:9]
	v_lshrrev_b16_e32 v43, 8, v7
	s_and_b64 s[36:37], s[26:27], exec
.LBB15_277:                             ;   in Loop: Header=BB15_33 Depth=1
	s_or_b64 exec, exec, s[2:3]
	s_mov_b64 s[26:27], -1
	s_mov_b64 s[2:3], 0
	s_mov_b64 s[8:9], 0
.LBB15_278:                             ;   in Loop: Header=BB15_33 Depth=1
	s_mov_b64 s[38:39], 0
                                        ; implicit-def: $sgpr43
                                        ; implicit-def: $sgpr40_sgpr41
	s_and_saveexec_b64 s[34:35], s[36:37]
	s_cbranch_execz .LBB15_291
; %bb.279:                              ;   in Loop: Header=BB15_33 Depth=1
	s_xor_b64 s[14:15], s[14:15], -1
	s_mov_b64 s[40:41], 1
	s_andn2_b64 vcc, exec, s[14:15]
	s_mov_b32 s43, 1
	s_cbranch_vccnz .LBB15_290
; %bb.280:                              ;   in Loop: Header=BB15_33 Depth=1
	v_pk_mov_b32 v[2:3], s[6:7], s[6:7] op_sel:[0,1]
	v_cmp_gt_i64_e32 vcc, s[54:55], v[2:3]
	s_cbranch_vccnz .LBB15_286
; %bb.281:                              ;   in Loop: Header=BB15_33 Depth=1
	ds_read_b64 v[2:3], v13 offset:5120
	s_waitcnt lgkmcnt(0)
	v_cmp_ne_u64_e32 vcc, 0, v[2:3]
	s_cbranch_vccnz .LBB15_285
; %bb.282:                              ;   in Loop: Header=BB15_33 Depth=1
	s_mov_b64 s[14:15], exec
	v_readlane_b32 s36, v48, 10
	v_readlane_b32 s37, v48, 11
	s_and_b64 s[36:37], s[14:15], s[36:37]
	s_mov_b64 exec, s[36:37]
	s_cbranch_execz .LBB15_284
; %bb.283:                              ;   in Loop: Header=BB15_33 Depth=1
	v_pk_mov_b32 v[2:3], s[6:7], s[6:7] op_sel:[0,1]
	ds_write_b64 v13, v[2:3] offset:5128
.LBB15_284:                             ;   in Loop: Header=BB15_33 Depth=1
	s_or_b64 exec, exec, s[14:15]
	s_waitcnt lgkmcnt(0)
	s_barrier
.LBB15_285:                             ;   in Loop: Header=BB15_33 Depth=1
	s_or_b32 s36, s83, s42
	s_or_b32 s37, s82, s42
	s_mov_b64 s[14:15], 0
	s_mov_b32 s43, 8
	s_branch .LBB15_287
.LBB15_286:                             ;   in Loop: Header=BB15_33 Depth=1
	s_mov_b64 s[14:15], -1
                                        ; implicit-def: $sgpr43
                                        ; implicit-def: $sgpr36
                                        ; implicit-def: $sgpr37
.LBB15_287:                             ;   in Loop: Header=BB15_33 Depth=1
	s_andn2_b64 vcc, exec, s[14:15]
	s_cbranch_vccnz .LBB15_289
; %bb.288:                              ;   in Loop: Header=BB15_33 Depth=1
	s_sub_u32 s54, s54, s6
	s_subb_u32 s55, s55, s7
	s_mov_b32 s43, 8
	s_mov_b32 s36, s83
	;; [unrolled: 1-line block ×3, first 2 shown]
.LBB15_289:                             ;   in Loop: Header=BB15_33 Depth=1
	s_mov_b64 s[40:41], s[54:55]
	s_mov_b32 s83, s36
	s_mov_b32 s82, s37
.LBB15_290:                             ;   in Loop: Header=BB15_33 Depth=1
	s_mov_b64 s[38:39], exec
.LBB15_291:                             ;   in Loop: Header=BB15_33 Depth=1
	s_or_b64 exec, exec, s[34:35]
	s_mov_b64 s[54:55], s[40:41]
.LBB15_292:                             ;   in Loop: Header=BB15_33 Depth=1
	s_andn2_b64 s[0:1], s[0:1], exec
	s_and_b64 s[2:3], s[2:3], exec
	s_or_b64 s[0:1], s[0:1], s[2:3]
	s_andn2_b64 s[2:3], s[28:29], exec
	s_and_b64 s[6:7], s[26:27], exec
	s_or_b64 s[28:29], s[2:3], s[6:7]
	;; [unrolled: 3-line block ×3, first 2 shown]
	s_and_b64 s[8:9], s[38:39], exec
.LBB15_293:                             ;   in Loop: Header=BB15_33 Depth=1
	s_or_b64 exec, exec, s[30:31]
.LBB15_294:                             ;   in Loop: Header=BB15_33 Depth=1
	s_andn2_b64 s[2:3], s[18:19], exec
	s_and_b64 s[0:1], s[0:1], exec
	s_or_b64 s[18:19], s[2:3], s[0:1]
	s_andn2_b64 s[0:1], s[20:21], exec
	s_and_b64 s[2:3], s[28:29], exec
	s_or_b64 s[20:21], s[0:1], s[2:3]
	;; [unrolled: 3-line block ×3, first 2 shown]
	s_and_b64 s[8:9], s[8:9], exec
.LBB15_295:                             ;   in Loop: Header=BB15_33 Depth=1
	s_or_b64 exec, exec, s[22:23]
	s_and_saveexec_b64 s[0:1], s[8:9]
	s_xor_b64 s[0:1], exec, s[0:1]
	s_cbranch_execz .LBB15_31
.LBB15_296:                             ;   in Loop: Header=BB15_33 Depth=1
	s_and_b32 s2, s43, -9
	s_cmp_eq_u32 s2, 0
	s_cbranch_scc1 .LBB15_29
; %bb.297:                              ;   in Loop: Header=BB15_33 Depth=1
	s_mov_b64 s[2:3], -1
                                        ; implicit-def: $sgpr82
                                        ; implicit-def: $sgpr47
                                        ; implicit-def: $sgpr60
	s_mov_b64 s[6:7], -1
	s_branch .LBB15_30
.LBB15_298:                             ;   in Loop: Header=BB15_33 Depth=1
                                        ; implicit-def: $vgpr2_vgpr3
	s_branch .LBB15_250
.LBB15_299:                             ;   in Loop: Header=BB15_33 Depth=1
                                        ; implicit-def: $vgpr2_vgpr3
	s_branch .LBB15_267
.LBB15_300:
	s_or_b64 exec, exec, s[94:95]
	s_xor_b64 s[6:7], s[72:73], -1
	s_xor_b64 s[0:1], s[70:71], -1
	;; [unrolled: 1-line block ×3, first 2 shown]
	s_mov_b64 s[2:3], 0
	s_and_saveexec_b64 s[8:9], s[0:1]
	s_xor_b64 s[0:1], exec, s[8:9]
	s_cbranch_execnz .LBB15_305
; %bb.301:
	s_andn2_saveexec_b64 s[0:1], s[0:1]
	s_cbranch_execnz .LBB15_327
.LBB15_302:
	s_or_b64 exec, exec, s[0:1]
	s_and_saveexec_b64 s[0:1], s[2:3]
.LBB15_303:
	; divergent unreachable
.LBB15_304:
	s_endpgm
.LBB15_305:
	s_and_saveexec_b64 s[2:3], s[6:7]
	s_xor_b64 s[2:3], exec, s[2:3]
	s_cbranch_execz .LBB15_325
; %bb.306:
	s_and_saveexec_b64 s[6:7], s[4:5]
	s_xor_b64 s[4:5], exec, s[6:7]
; %bb.307:
	v_xor_b32_e32 v43, 0xffffff80, v2
; %bb.308:
	s_or_b64 exec, exec, s[4:5]
	s_mov_b64 s[4:5], exec
	v_readlane_b32 s6, v48, 10
	v_readlane_b32 s7, v48, 11
	s_and_b64 s[6:7], s[4:5], s[6:7]
	s_mov_b64 exec, s[6:7]
	s_cbranch_execz .LBB15_310
; %bb.309:
	v_mov_b32_e32 v2, 0
	v_mov_b32_e32 v3, s52
	ds_write_b32 v2, v3 offset:5140
.LBB15_310:
	s_or_b64 exec, exec, s[4:5]
	s_waitcnt lgkmcnt(0)
	s_barrier
	s_mov_b64 s[4:5], exec
	v_readlane_b32 s6, v48, 18
	v_readlane_b32 s7, v48, 19
	s_and_b64 s[6:7], s[4:5], s[6:7]
	s_mov_b64 exec, s[6:7]
	s_cbranch_execz .LBB15_322
; %bb.311:
	v_mov_b32_e32 v2, 0
	ds_read_b32 v4, v2 offset:5140
	s_mov_b64 s[6:7], 0
                                        ; implicit-def: $sgpr8_sgpr9
                                        ; implicit-def: $sgpr10_sgpr11
                                        ; implicit-def: $sgpr12_sgpr13
	s_waitcnt lgkmcnt(0)
	v_ashrrev_i32_e32 v5, 31, v4
	s_branch .LBB15_314
.LBB15_312:                             ;   in Loop: Header=BB15_314 Depth=1
	s_or_b64 exec, exec, s[18:19]
	s_andn2_b64 s[12:13], s[12:13], exec
	s_and_b64 s[16:17], s[16:17], exec
	s_or_b64 s[12:13], s[12:13], s[16:17]
	s_andn2_b64 s[10:11], s[10:11], exec
	s_and_b64 s[16:17], s[20:21], exec
	s_or_b64 s[10:11], s[10:11], s[16:17]
.LBB15_313:                             ;   in Loop: Header=BB15_314 Depth=1
	s_or_b64 exec, exec, s[14:15]
	s_and_b64 s[14:15], exec, s[10:11]
	s_or_b64 s[6:7], s[14:15], s[6:7]
	s_andn2_b64 s[8:9], s[8:9], exec
	s_and_b64 s[14:15], s[12:13], exec
	s_or_b64 s[8:9], s[8:9], s[14:15]
	s_andn2_b64 exec, exec, s[6:7]
	s_cbranch_execz .LBB15_317
.LBB15_314:                             ; =>This Inner Loop Header: Depth=1
	v_pk_mov_b32 v[2:3], v[0:1], v[0:1] op_sel:[0,1]
	v_cmp_lt_i64_e32 vcc, v[2:3], v[4:5]
	s_or_b64 s[12:13], s[12:13], exec
	s_or_b64 s[10:11], s[10:11], exec
                                        ; implicit-def: $vgpr0_vgpr1
	s_and_saveexec_b64 s[14:15], vcc
	s_cbranch_execz .LBB15_313
; %bb.315:                              ;   in Loop: Header=BB15_314 Depth=1
	global_load_ubyte v0, v[10:11], off
	s_mov_b64 s[20:21], -1
	s_mov_b64 s[16:17], 0
	s_waitcnt vmcnt(0)
	v_cmp_ne_u16_sdwa s[22:23], v0, v43 src0_sel:DWORD src1_sel:BYTE_0
                                        ; implicit-def: $vgpr0_vgpr1
	s_and_saveexec_b64 s[18:19], s[22:23]
	s_cbranch_execz .LBB15_312
; %bb.316:                              ;   in Loop: Header=BB15_314 Depth=1
	v_mov_b32_e32 v1, s92
	v_add_co_u32_e32 v0, vcc, s33, v2
	v_addc_co_u32_e32 v1, vcc, v3, v1, vcc
	v_mov_b32_e32 v3, s93
	v_add_co_u32_e32 v10, vcc, s46, v10
	v_addc_co_u32_e32 v11, vcc, v11, v3, vcc
	v_cmp_le_i64_e32 vcc, s[52:53], v[0:1]
	s_mov_b64 s[16:17], exec
	s_orn2_b64 s[20:21], vcc, exec
	s_branch .LBB15_312
.LBB15_317:
	s_or_b64 exec, exec, s[6:7]
	s_xor_b64 s[6:7], s[8:9], -1
	s_and_saveexec_b64 s[8:9], s[6:7]
	s_xor_b64 s[8:9], exec, s[8:9]
	s_cbranch_execz .LBB15_322
; %bb.318:
	s_mov_b64 s[6:7], exec
	s_brev_b32 s8, -2
.LBB15_319:                             ; =>This Inner Loop Header: Depth=1
	s_ff1_i32_b64 s9, s[6:7]
	v_readlane_b32 s12, v2, s9
	s_lshl_b64 s[10:11], 1, s9
	s_min_i32 s8, s8, s12
	s_andn2_b64 s[6:7], s[6:7], s[10:11]
	s_cmp_lg_u64 s[6:7], 0
	s_cbranch_scc1 .LBB15_319
; %bb.320:
	v_mbcnt_lo_u32_b32 v0, exec_lo, 0
	v_mbcnt_hi_u32_b32 v0, exec_hi, v0
	v_cmp_eq_u32_e32 vcc, 0, v0
	s_and_saveexec_b64 s[6:7], vcc
	s_xor_b64 s[6:7], exec, s[6:7]
	s_cbranch_execz .LBB15_322
; %bb.321:
	v_mov_b32_e32 v0, 0
	v_mov_b32_e32 v1, s8
	ds_min_i32 v0, v1 offset:5140
.LBB15_322:
	s_or_b64 exec, exec, s[4:5]
	s_waitcnt lgkmcnt(0)
	s_barrier
	s_mov_b64 s[4:5], exec
	v_readlane_b32 s6, v48, 10
	v_readlane_b32 s7, v48, 11
	s_and_b64 s[6:7], s[4:5], s[6:7]
	s_mov_b64 exec, s[6:7]
	s_cbranch_execz .LBB15_324
; %bb.323:
	v_readlane_b32 s12, v48, 0
	v_readlane_b32 s10, v48, 2
	;; [unrolled: 1-line block ×4, first 2 shown]
	s_mul_i32 s6, s10, s13
	s_mul_hi_u32 s7, s10, s12
	s_add_i32 s6, s7, s6
	s_mul_i32 s7, s11, s12
	s_mul_i32 s9, s10, s12
	v_readlane_b32 s10, v48, 6
	s_add_i32 s8, s6, s7
	v_readlane_b32 s11, v48, 7
	s_mul_i32 s6, s10, s67
	s_mul_hi_u32 s7, s10, s66
	s_add_i32 s6, s7, s6
	s_mul_i32 s7, s11, s66
	s_add_i32 s7, s6, s7
	s_mul_i32 s6, s10, s66
	v_readlane_b32 s10, v48, 4
	v_readlane_b32 s11, v48, 5
	s_add_u32 s9, s10, s9
	s_addc_u32 s10, s11, s8
	v_mov_b32_e32 v2, 0
	s_add_u32 s8, s9, s56
	ds_read_b32 v0, v2 offset:5140
	s_addc_u32 s9, s10, s57
	s_lshl_b64 s[6:7], s[6:7], 3
	v_readlane_b32 s10, v48, 8
	v_readlane_b32 s11, v48, 9
	s_add_u32 s10, s10, s6
	s_addc_u32 s11, s11, s7
	s_lshl_b64 s[6:7], s[62:63], 3
	s_add_u32 s6, s10, s6
	s_addc_u32 s7, s11, s7
	s_waitcnt lgkmcnt(0)
	v_ashrrev_i32_e32 v1, 31, v0
	global_store_dwordx2 v2, v[0:1], s[6:7]
	global_store_byte v2, v43, s[8:9]
.LBB15_324:
	s_or_b64 exec, exec, s[4:5]
.LBB15_325:
	s_or_saveexec_b64 s[2:3], s[2:3]
	s_mov_b64 s[4:5], 0
	s_xor_b64 exec, exec, s[2:3]
	s_cbranch_execnz .LBB15_328
.LBB15_326:
	s_or_b64 exec, exec, s[2:3]
	s_and_b64 s[2:3], s[4:5], exec
	s_andn2_saveexec_b64 s[0:1], s[0:1]
	s_cbranch_execz .LBB15_302
.LBB15_327:
	s_or_b64 s[2:3], s[2:3], exec
	s_trap 2
	s_or_b64 exec, exec, s[0:1]
	s_and_saveexec_b64 s[0:1], s[2:3]
	s_cbranch_execnz .LBB15_303
	s_branch .LBB15_304
.LBB15_328:
	s_mov_b64 s[4:5], exec
	s_trap 2
	s_branch .LBB15_326
	.section	.rodata,"a",@progbits
	.p2align	6, 0x0
	.amdhsa_kernel _ZN2at6native12_GLOBAL__N_114gatherKthValueIalLin1EEEvNS_4cuda6detail10TensorInfoIKT_T0_EES8_S8_S8_S8_NS5_IS6_S8_EENS5_IlS8_EE
		.amdhsa_group_segment_fixed_size 5144
		.amdhsa_private_segment_fixed_size 0
		.amdhsa_kernarg_size 1536
		.amdhsa_user_sgpr_count 6
		.amdhsa_user_sgpr_private_segment_buffer 1
		.amdhsa_user_sgpr_dispatch_ptr 0
		.amdhsa_user_sgpr_queue_ptr 0
		.amdhsa_user_sgpr_kernarg_segment_ptr 1
		.amdhsa_user_sgpr_dispatch_id 0
		.amdhsa_user_sgpr_flat_scratch_init 0
		.amdhsa_user_sgpr_kernarg_preload_length 0
		.amdhsa_user_sgpr_kernarg_preload_offset 0
		.amdhsa_user_sgpr_private_segment_size 0
		.amdhsa_uses_dynamic_stack 0
		.amdhsa_system_sgpr_private_segment_wavefront_offset 0
		.amdhsa_system_sgpr_workgroup_id_x 1
		.amdhsa_system_sgpr_workgroup_id_y 1
		.amdhsa_system_sgpr_workgroup_id_z 1
		.amdhsa_system_sgpr_workgroup_info 0
		.amdhsa_system_vgpr_workitem_id 0
		.amdhsa_next_free_vgpr 49
		.amdhsa_next_free_sgpr 96
		.amdhsa_accum_offset 52
		.amdhsa_reserve_vcc 1
		.amdhsa_reserve_flat_scratch 0
		.amdhsa_float_round_mode_32 0
		.amdhsa_float_round_mode_16_64 0
		.amdhsa_float_denorm_mode_32 3
		.amdhsa_float_denorm_mode_16_64 3
		.amdhsa_dx10_clamp 1
		.amdhsa_ieee_mode 1
		.amdhsa_fp16_overflow 0
		.amdhsa_tg_split 0
		.amdhsa_exception_fp_ieee_invalid_op 0
		.amdhsa_exception_fp_denorm_src 0
		.amdhsa_exception_fp_ieee_div_zero 0
		.amdhsa_exception_fp_ieee_overflow 0
		.amdhsa_exception_fp_ieee_underflow 0
		.amdhsa_exception_fp_ieee_inexact 0
		.amdhsa_exception_int_div_zero 0
	.end_amdhsa_kernel
	.section	.text._ZN2at6native12_GLOBAL__N_114gatherKthValueIalLin1EEEvNS_4cuda6detail10TensorInfoIKT_T0_EES8_S8_S8_S8_NS5_IS6_S8_EENS5_IlS8_EE,"axG",@progbits,_ZN2at6native12_GLOBAL__N_114gatherKthValueIalLin1EEEvNS_4cuda6detail10TensorInfoIKT_T0_EES8_S8_S8_S8_NS5_IS6_S8_EENS5_IlS8_EE,comdat
.Lfunc_end15:
	.size	_ZN2at6native12_GLOBAL__N_114gatherKthValueIalLin1EEEvNS_4cuda6detail10TensorInfoIKT_T0_EES8_S8_S8_S8_NS5_IS6_S8_EENS5_IlS8_EE, .Lfunc_end15-_ZN2at6native12_GLOBAL__N_114gatherKthValueIalLin1EEEvNS_4cuda6detail10TensorInfoIKT_T0_EES8_S8_S8_S8_NS5_IS6_S8_EENS5_IlS8_EE
                                        ; -- End function
	.section	.AMDGPU.csdata,"",@progbits
; Kernel info:
; codeLenInByte = 18452
; NumSgprs: 100
; NumVgprs: 49
; NumAgprs: 0
; TotalNumVgprs: 49
; ScratchSize: 0
; MemoryBound: 0
; FloatMode: 240
; IeeeMode: 1
; LDSByteSize: 5144 bytes/workgroup (compile time only)
; SGPRBlocks: 12
; VGPRBlocks: 6
; NumSGPRsForWavesPerEU: 100
; NumVGPRsForWavesPerEU: 49
; AccumOffset: 52
; Occupancy: 8
; WaveLimiterHint : 1
; COMPUTE_PGM_RSRC2:SCRATCH_EN: 0
; COMPUTE_PGM_RSRC2:USER_SGPR: 6
; COMPUTE_PGM_RSRC2:TRAP_HANDLER: 0
; COMPUTE_PGM_RSRC2:TGID_X_EN: 1
; COMPUTE_PGM_RSRC2:TGID_Y_EN: 1
; COMPUTE_PGM_RSRC2:TGID_Z_EN: 1
; COMPUTE_PGM_RSRC2:TIDIG_COMP_CNT: 0
; COMPUTE_PGM_RSRC3_GFX90A:ACCUM_OFFSET: 12
; COMPUTE_PGM_RSRC3_GFX90A:TG_SPLIT: 0
	.section	.text._ZN2at6native12_GLOBAL__N_114gatherKthValueIiiLi1EEEvNS_4cuda6detail10TensorInfoIKT_T0_EES8_S8_S8_S8_NS5_IS6_S8_EENS5_IlS8_EE,"axG",@progbits,_ZN2at6native12_GLOBAL__N_114gatherKthValueIiiLi1EEEvNS_4cuda6detail10TensorInfoIKT_T0_EES8_S8_S8_S8_NS5_IS6_S8_EENS5_IlS8_EE,comdat
	.globl	_ZN2at6native12_GLOBAL__N_114gatherKthValueIiiLi1EEEvNS_4cuda6detail10TensorInfoIKT_T0_EES8_S8_S8_S8_NS5_IS6_S8_EENS5_IlS8_EE ; -- Begin function _ZN2at6native12_GLOBAL__N_114gatherKthValueIiiLi1EEEvNS_4cuda6detail10TensorInfoIKT_T0_EES8_S8_S8_S8_NS5_IS6_S8_EENS5_IlS8_EE
	.p2align	8
	.type	_ZN2at6native12_GLOBAL__N_114gatherKthValueIiiLi1EEEvNS_4cuda6detail10TensorInfoIKT_T0_EES8_S8_S8_S8_NS5_IS6_S8_EENS5_IlS8_EE,@function
_ZN2at6native12_GLOBAL__N_114gatherKthValueIiiLi1EEEvNS_4cuda6detail10TensorInfoIKT_T0_EES8_S8_S8_S8_NS5_IS6_S8_EENS5_IlS8_EE: ; @_ZN2at6native12_GLOBAL__N_114gatherKthValueIiiLi1EEEvNS_4cuda6detail10TensorInfoIKT_T0_EES8_S8_S8_S8_NS5_IS6_S8_EENS5_IlS8_EE
; %bb.0:
	s_load_dwordx2 s[12:13], s[4:5], 0x298
	s_load_dwordx4 s[60:63], s[4:5], 0xd8
	s_add_u32 s10, s4, 0x298
	s_addc_u32 s11, s5, 0
	s_waitcnt lgkmcnt(0)
	s_mul_i32 s0, s13, s8
	s_add_i32 s0, s0, s7
	s_mul_i32 s0, s0, s12
	s_add_i32 s7, s0, s6
	s_cmp_ge_i32 s7, s62
	s_cbranch_scc1 .LBB16_250
; %bb.1:
	s_load_dwordx2 s[0:1], s[4:5], 0x1c0
                                        ; implicit-def: $vgpr50 : SGPR spill to VGPR lane
	s_mov_b32 s68, 0
	v_cmp_eq_u32_e64 s[14:15], 0, v0
	s_waitcnt lgkmcnt(0)
	v_writelane_b32 v50, s0, 0
	v_writelane_b32 v50, s1, 1
	s_load_dwordx2 s[0:1], s[4:5], 0xe8
	s_waitcnt lgkmcnt(0)
	v_writelane_b32 v50, s0, 2
	v_writelane_b32 v50, s1, 3
	s_load_dword s0, s[4:5], 0x6c
	s_load_dwordx2 s[2:3], s[4:5], 0x0
	s_mov_b64 s[8:9], exec
	v_writelane_b32 v50, s14, 4
	v_writelane_b32 v50, s15, 5
	s_and_b64 s[14:15], s[8:9], s[14:15]
	s_mov_b64 exec, s[14:15]
	s_cbranch_execz .LBB16_3
; %bb.2:
	v_mov_b32_e32 v2, 0
	v_mov_b32_e32 v3, s60
	;; [unrolled: 1-line block ×3, first 2 shown]
	ds_write_b96 v2, v[2:4] offset:4096
.LBB16_3:
	s_or_b64 exec, exec, s[8:9]
	s_load_dword s1, s[4:5], 0x22c
                                        ; kill: killed $sgpr4 killed $sgpr5
	s_waitcnt lgkmcnt(0)
	s_barrier
	s_mul_i32 s0, s0, s7
	v_writelane_b32 v50, s1, 6
	s_load_dword s1, s[4:5], 0x154
	v_mbcnt_lo_u32_b32 v1, -1, 0
	s_load_dword s4, s[10:11], 0xc
	v_mbcnt_hi_u32_b32 v13, -1, v1
	v_cmp_gt_u32_e32 vcc, 64, v0
	s_waitcnt lgkmcnt(0)
	v_writelane_b32 v50, s1, 7
	s_ashr_i32 s1, s0, 31
	s_lshl_b64 s[0:1], s[0:1], 2
	s_add_u32 s62, s2, s0
	s_addc_u32 s84, s3, s1
	s_and_b32 s33, s4, 0xffff
	v_cmp_gt_i32_e64 s[2:3], 4, v13
	s_add_i32 s0, s33, -1
	v_writelane_b32 v50, s7, 8
	s_lshl_b32 s85, s33, 2
	s_bfe_u32 s7, s4, 0xa0006
	s_and_b64 s[70:71], vcc, s[2:3]
	s_add_i32 s9, s0, s60
	s_cmpk_gt_i32 s60, 0x300
	v_writelane_b32 v50, s0, 9
	s_cselect_b64 s[0:1], -1, 0
	v_writelane_b32 v50, s0, 10
	s_cmp_gt_u32 s33, 63
	v_writelane_b32 v50, s1, 11
	s_cselect_b64 s[0:1], -1, 0
	v_writelane_b32 v50, s0, 12
	s_cmp_lt_u32 s6, s12
	v_writelane_b32 v50, s1, 13
	s_cselect_b32 s0, 12, 18
	s_add_u32 s0, s10, s0
	s_addc_u32 s1, s11, 0
	v_writelane_b32 v50, s0, 14
	v_writelane_b32 v50, s1, 15
	s_add_i32 s0, s7, -2
	s_lshr_b32 s1, s0, 1
	v_mov_b32_e32 v9, 0
	s_add_i32 s1, s1, 1
	s_cmpk_gt_u32 s33, 0x7f
	v_mul_lo_u32 v6, v0, s63
	v_mov_b32_e32 v7, v9
	s_cselect_b64 s[2:3], -1, 0
	v_lshlrev_b64 v[2:3], 2, v[6:7]
	v_writelane_b32 v50, s2, 16
	v_mov_b32_e32 v7, s84
	v_add_co_u32_e32 v10, vcc, s62, v2
	v_writelane_b32 v50, s3, 17
	v_cmp_gt_u32_e64 s[10:11], s60, v0
	v_addc_co_u32_e32 v11, vcc, v7, v3, vcc
	v_lshlrev_b64 v[2:3], v13, -1
	v_writelane_b32 v50, s10, 18
	v_not_b32_e32 v12, v2
	v_cvt_f32_u32_e32 v2, s85
	v_writelane_b32 v50, s11, 19
	v_cmp_gt_i32_e64 s[10:11], s60, v0
	s_and_b32 s6, s7, 0x3fe
	s_and_b32 s8, s1, 7
	v_writelane_b32 v50, s10, 20
	s_cmp_gt_u32 s0, 13
	v_writelane_b32 v50, s11, 21
	s_cselect_b64 s[10:11], -1, 0
	v_writelane_b32 v50, s10, 22
	v_rcp_iflag_f32_e32 v2, v2
	v_writelane_b32 v50, s11, 23
	s_and_b32 s0, s1, -8
	v_writelane_b32 v50, s0, 24
	s_cmp_lg_u32 s8, 0
	v_writelane_b32 v50, s8, 25
	s_cselect_b64 s[0:1], -1, 0
	v_writelane_b32 v50, s0, 26
	v_mul_f32_e32 v2, 0x4f7ffffe, v2
	v_writelane_b32 v50, s1, 27
	v_cvt_u32_f32_e32 v2, v2
	v_writelane_b32 v50, s7, 28
	s_cmp_lg_u32 s6, s7
	v_writelane_b32 v50, s6, 29
	s_cselect_b64 s[0:1], -1, 0
	v_writelane_b32 v50, s0, 30
	v_writelane_b32 v50, s1, 31
	s_sub_i32 s0, 0, s85
	v_readfirstlane_b32 s1, v2
	s_mul_i32 s0, s0, s1
	s_mul_hi_u32 s0, s1, s0
	s_add_i32 s78, s1, s0
	s_mul_hi_u32 s0, s60, s78
	s_mul_i32 s0, s0, s85
	s_sub_i32 s0, s60, s0
	s_sub_i32 s1, s0, s85
	s_cmp_ge_u32 s0, s85
	s_cselect_b32 s0, s1, s0
	s_sub_i32 s1, s0, s85
	v_cvt_f32_u32_e32 v5, s33
	s_cmp_ge_u32 s0, s85
	s_cselect_b32 s0, s1, s0
	s_sub_i32 s79, s60, s0
	v_add_u32_e32 v28, s79, v0
	v_rcp_iflag_f32_e32 v5, v5
	v_lshrrev_b32_e32 v1, 4, v0
	v_mul_lo_u32 v2, v28, s63
	v_and_b32_e32 v26, 60, v1
	v_not_b32_e32 v1, v3
	v_ashrrev_i32_e32 v3, 31, v2
	v_lshlrev_b64 v[2:3], 2, v[2:3]
	v_add_co_u32_e32 v14, vcc, s62, v2
	v_mul_f32_e32 v2, 0x4f7ffffe, v5
	v_cvt_u32_f32_e32 v2, v2
	s_sub_i32 s7, 0, s33
	s_abs_i32 s6, s9
	s_ashr_i32 s1, s9, 31
	v_readfirstlane_b32 s8, v2
	s_mul_i32 s7, s7, s8
	s_mul_hi_u32 s7, s8, s7
	s_add_i32 s7, s8, s7
	v_writelane_b32 v50, s7, 32
	s_mul_hi_u32 s7, s6, s7
	s_mul_i32 s7, s7, s33
	s_sub_i32 s6, s6, s7
	s_sub_i32 s7, s6, s33
	s_cmp_ge_u32 s6, s33
	s_cselect_b32 s6, s7, s6
	s_sub_i32 s7, s6, s33
	s_cmp_ge_u32 s6, s33
	v_lshlrev_b32_e32 v24, 2, v0
	s_cselect_b32 s6, s7, s6
	s_xor_b32 s6, s6, s1
	v_mul_lo_u32 v2, s63, v24
	s_sub_i32 s1, s1, s6
	v_add_u32_e32 v29, s63, v2
	v_or_b32_e32 v2, 2, v24
	s_add_i32 s9, s9, s1
	v_mul_lo_u32 v30, s63, v2
	v_or_b32_e32 v2, 3, v24
	s_add_i32 s1, s33, s60
	v_mul_lo_u32 v31, s63, v2
	v_add_u32_e32 v2, s1, v0
	v_lshlrev_b32_e32 v4, 2, v13
	v_mov_b32_e32 v8, s84
	v_cmp_gt_i32_e64 s[6:7], s9, v0
	s_mul_i32 s76, s63, s33
	v_subrev_u32_e32 v2, s0, v2
	v_cmp_eq_u32_e64 s[2:3], 0, v13
	v_cmp_gt_u32_e64 s[4:5], 2, v0
	v_add_u32_e32 v25, 0xc00, v24
	v_and_b32_e32 v27, 0x100, v4
	v_cmp_gt_i32_e64 s[10:11], s79, v24
	v_cmp_gt_u32_e64 s[12:13], s60, v28
	v_addc_co_u32_e32 v15, vcc, v8, v3, vcc
	v_cmp_gt_i32_e64 s[14:15], s60, v28
	v_writelane_b32 v50, s6, 33
	s_lshl_b32 s16, s76, 2
	v_lshlrev_b32_e32 v32, 2, v6
	v_mul_lo_u32 v33, s63, v2
	v_lshlrev_b32_e32 v34, 4, v0
	s_lshl_b32 s17, s33, 4
	v_or_b32_e32 v35, 0xc00, v4
	s_mov_b32 s77, 30
	s_mov_b64 s[86:87], 0
	v_mov_b32_e32 v16, 1
	v_mov_b32_e32 v36, 0xc00
	;; [unrolled: 1-line block ×3, first 2 shown]
	s_mov_b32 s8, 0
	s_mov_b32 s1, 0
	;; [unrolled: 1-line block ×3, first 2 shown]
	v_writelane_b32 v50, s7, 34
                                        ; implicit-def: $sgpr88_sgpr89
                                        ; implicit-def: $sgpr92_sgpr93
                                        ; implicit-def: $sgpr90_sgpr91
                                        ; implicit-def: $sgpr94_sgpr95
                                        ; implicit-def: $sgpr64_sgpr65
                                        ; implicit-def: $sgpr66_sgpr67
	s_branch .LBB16_8
.LBB16_4:                               ;   in Loop: Header=BB16_8 Depth=1
	s_xor_b32 s8, s8, 1
	s_add_i32 s6, s77, -2
	s_cmp_eq_u32 s77, 0
	s_mov_b64 s[22:23], 0
	s_cselect_b64 s[30:31], -1, 0
	s_mov_b32 s77, s6
.LBB16_5:                               ;   in Loop: Header=BB16_8 Depth=1
	s_andn2_b64 s[6:7], s[26:27], exec
	s_and_b64 s[22:23], s[22:23], exec
	s_or_b64 s[26:27], s[6:7], s[22:23]
	s_andn2_b64 s[28:29], s[28:29], exec
	s_andn2_b64 s[24:25], s[24:25], exec
	s_orn2_b64 s[22:23], s[30:31], exec
	s_mov_b32 s61, s39
.LBB16_6:                               ;   in Loop: Header=BB16_8 Depth=1
	s_or_b64 exec, exec, s[18:19]
	s_andn2_b64 s[6:7], s[66:67], exec
	s_and_b64 s[18:19], s[26:27], exec
	s_or_b64 s[66:67], s[6:7], s[18:19]
	s_andn2_b64 s[6:7], s[64:65], exec
	s_and_b64 s[18:19], s[28:29], exec
	s_or_b64 s[64:65], s[6:7], s[18:19]
	s_andn2_b64 s[6:7], s[94:95], exec
	s_and_b64 s[18:19], s[24:25], exec
	s_or_b64 s[94:95], s[6:7], s[18:19]
	s_orn2_b64 s[22:23], s[22:23], exec
.LBB16_7:                               ;   in Loop: Header=BB16_8 Depth=1
	s_or_b64 exec, exec, s[20:21]
	s_and_b64 s[6:7], exec, s[22:23]
	s_or_b64 s[86:87], s[6:7], s[86:87]
	s_andn2_b64 s[6:7], s[90:91], exec
	s_and_b64 s[18:19], s[66:67], exec
	s_or_b64 s[90:91], s[6:7], s[18:19]
	s_andn2_b64 s[6:7], s[92:93], exec
	s_and_b64 s[18:19], s[64:65], exec
	;; [unrolled: 3-line block ×3, first 2 shown]
	v_mov_b32_e32 v2, s1
	s_or_b64 s[88:89], s[6:7], s[18:19]
	s_andn2_b64 exec, exec, s[86:87]
	s_cbranch_execz .LBB16_246
.LBB16_8:                               ; =>This Loop Header: Depth=1
                                        ;     Child Loop BB16_16 Depth 2
                                        ;     Child Loop BB16_35 Depth 2
	;; [unrolled: 1-line block ×17, first 2 shown]
	ds_read_b64 v[2:3], v9 offset:4096
	s_waitcnt lgkmcnt(0)
	v_readfirstlane_b32 s69, v2
	s_cmp_gt_i32 s69, 0
	s_cbranch_scc1 .LBB16_42
; %bb.9:                                ;   in Loop: Header=BB16_8 Depth=1
	v_readlane_b32 s6, v50, 10
	v_readlane_b32 s7, v50, 11
	s_and_b64 vcc, exec, s[6:7]
	s_cbranch_vccz .LBB16_24
; %bb.10:                               ;   in Loop: Header=BB16_8 Depth=1
	s_movk_i32 s6, 0x301
	v_cmp_gt_i32_e32 vcc, s6, v3
	s_mov_b64 s[20:21], 0
	s_mov_b64 s[18:19], 0
	s_cbranch_vccz .LBB16_29
; %bb.11:                               ;   in Loop: Header=BB16_8 Depth=1
	v_mov_b32_e32 v2, 0
	s_mov_b64 s[18:19], exec
	v_readlane_b32 s6, v50, 18
	v_readlane_b32 s7, v50, 19
	s_and_b64 s[6:7], s[18:19], s[6:7]
	s_mov_b64 exec, s[6:7]
	s_cbranch_execz .LBB16_13
; %bb.12:                               ;   in Loop: Header=BB16_8 Depth=1
	global_load_dword v2, v[10:11], off
.LBB16_13:                              ;   in Loop: Header=BB16_8 Depth=1
	s_or_b64 exec, exec, s[18:19]
	s_mov_b64 s[22:23], exec
	v_readlane_b32 s6, v50, 18
	v_readlane_b32 s7, v50, 19
	s_and_b64 s[6:7], s[22:23], s[6:7]
	s_mov_b64 exec, s[6:7]
	s_cbranch_execz .LBB16_25
; %bb.14:                               ;   in Loop: Header=BB16_8 Depth=1
	v_readlane_b32 s6, v50, 14
	v_readlane_b32 s7, v50, 15
	s_mov_b64 s[24:25], 0
	s_nop 3
	global_load_ushort v3, v9, s[6:7]
	s_waitcnt vmcnt(0)
	v_add_u32_e32 v5, v0, v3
	v_mul_lo_u32 v4, s63, v3
	v_mul_lo_u32 v8, s63, v5
	v_mov_b32_e32 v5, v0
	s_branch .LBB16_16
.LBB16_15:                              ;   in Loop: Header=BB16_16 Depth=2
	s_or_b64 exec, exec, s[18:19]
	v_cmp_le_i32_e32 vcc, s60, v5
	v_add_u32_e32 v8, v8, v4
	s_or_b64 s[24:25], vcc, s[24:25]
	s_waitcnt vmcnt(0)
	v_mov_b32_e32 v2, v17
	s_andn2_b64 exec, exec, s[24:25]
	s_cbranch_execz .LBB16_25
.LBB16_16:                              ;   Parent Loop BB16_8 Depth=1
                                        ; =>  This Inner Loop Header: Depth=2
	v_add_u32_e32 v5, v5, v3
	v_cmp_gt_u32_e32 vcc, s60, v5
	s_waitcnt lgkmcnt(0)
	v_mov_b32_e32 v18, 0
	v_mov_b32_e32 v17, 0
	s_and_saveexec_b64 s[18:19], vcc
	s_cbranch_execz .LBB16_18
; %bb.17:                               ;   in Loop: Header=BB16_16 Depth=2
	v_lshlrev_b64 v[20:21], 2, v[8:9]
	v_add_co_u32_e32 v20, vcc, s62, v20
	v_addc_co_u32_e32 v21, vcc, v7, v21, vcc
	global_load_dword v17, v[20:21], off
.LBB16_18:                              ;   in Loop: Header=BB16_16 Depth=2
	s_or_b64 exec, exec, s[18:19]
	v_xor_b32_e32 v20, 0x80000000, v2
	v_and_b32_e32 v20, s0, v20
	v_cmp_eq_u32_e32 vcc, s1, v20
	s_cmp_lg_u64 vcc, 0
	s_cselect_b64 s[6:7], -1, 0
	s_and_b64 s[6:7], s[2:3], s[6:7]
	s_and_saveexec_b64 s[26:27], s[6:7]
	s_cbranch_execz .LBB16_22
; %bb.19:                               ;   in Loop: Header=BB16_16 Depth=2
	s_mov_b64 s[30:31], exec
	v_mbcnt_lo_u32_b32 v18, s30, 0
	v_mbcnt_hi_u32_b32 v18, s31, v18
	s_bcnt1_i32_b64 s6, vcc
	v_cmp_eq_u32_e64 s[18:19], 0, v18
                                        ; implicit-def: $vgpr20
	s_and_saveexec_b64 s[28:29], s[18:19]
	s_cbranch_execz .LBB16_21
; %bb.20:                               ;   in Loop: Header=BB16_16 Depth=2
	s_bcnt1_i32_b64 s7, s[30:31]
	s_mul_i32 s7, s6, s7
	v_mov_b32_e32 v20, s7
	ds_add_rtn_u32 v20, v9, v20 offset:4104
.LBB16_21:                              ;   in Loop: Header=BB16_16 Depth=2
	s_or_b64 exec, exec, s[28:29]
	s_waitcnt lgkmcnt(0)
	v_readfirstlane_b32 s7, v20
	v_mov_b32_e32 v20, s7
	v_mad_u32_u24 v18, s6, v18, v20
.LBB16_22:                              ;   in Loop: Header=BB16_16 Depth=2
	s_or_b64 exec, exec, s[26:27]
	ds_bpermute_b32 v18, v27, v18
	s_and_saveexec_b64 s[18:19], vcc
	s_cbranch_execz .LBB16_15
; %bb.23:                               ;   in Loop: Header=BB16_16 Depth=2
	v_and_b32_e32 v21, vcc_lo, v12
	v_and_b32_e32 v20, vcc_hi, v1
	v_bcnt_u32_b32 v21, v21, 0
	v_bcnt_u32_b32 v20, v20, v21
	v_lshlrev_b32_e32 v20, 2, v20
	s_waitcnt lgkmcnt(0)
	v_lshl_add_u32 v18, v18, 2, v20
	ds_write_b32 v18, v2
	s_branch .LBB16_15
.LBB16_24:                              ;   in Loop: Header=BB16_8 Depth=1
	s_mov_b64 s[20:21], -1
	s_mov_b64 s[18:19], 0
	s_branch .LBB16_28
.LBB16_25:                              ;   in Loop: Header=BB16_8 Depth=1
	s_or_b64 exec, exec, s[22:23]
	s_waitcnt lgkmcnt(0)
	s_barrier
	s_mov_b64 s[18:19], exec
	v_readlane_b32 s6, v50, 4
	v_readlane_b32 s7, v50, 5
	s_and_b64 s[6:7], s[18:19], s[6:7]
	s_mov_b64 exec, s[6:7]
	s_cbranch_execz .LBB16_27
; %bb.26:                               ;   in Loop: Header=BB16_8 Depth=1
	s_waitcnt vmcnt(0)
	ds_read_b32 v2, v9 offset:4104
	s_waitcnt lgkmcnt(0)
	ds_write_b32 v9, v2 offset:4096
.LBB16_27:                              ;   in Loop: Header=BB16_8 Depth=1
	s_or_b64 exec, exec, s[18:19]
	s_waitcnt lgkmcnt(0)
	s_barrier
	s_mov_b64 s[18:19], -1
.LBB16_28:                              ;   in Loop: Header=BB16_8 Depth=1
                                        ; implicit-def: $sgpr69
.LBB16_29:                              ;   in Loop: Header=BB16_8 Depth=1
	s_and_b64 vcc, exec, s[20:21]
	s_cbranch_vccz .LBB16_40
; %bb.30:                               ;   in Loop: Header=BB16_8 Depth=1
	s_waitcnt vmcnt(0)
	v_mov_b32_e32 v2, 0
	s_mov_b64 s[18:19], exec
	v_readlane_b32 s6, v50, 18
	v_readlane_b32 s7, v50, 19
	s_and_b64 s[6:7], s[18:19], s[6:7]
	s_mov_b64 exec, s[6:7]
	s_cbranch_execz .LBB16_32
; %bb.31:                               ;   in Loop: Header=BB16_8 Depth=1
	global_load_dword v2, v[10:11], off
.LBB16_32:                              ;   in Loop: Header=BB16_8 Depth=1
	s_or_b64 exec, exec, s[18:19]
	s_mov_b64 s[18:19], exec
	v_readlane_b32 s6, v50, 20
	v_readlane_b32 s7, v50, 21
	s_and_b64 s[6:7], s[18:19], s[6:7]
	s_mov_b64 exec, s[6:7]
	s_cbranch_execz .LBB16_37
; %bb.33:                               ;   in Loop: Header=BB16_8 Depth=1
	v_readlane_b32 s6, v50, 14
	v_readlane_b32 s7, v50, 15
	s_mov_b64 s[20:21], 0
	v_mov_b32_e32 v4, v24
	v_mov_b32_e32 v18, v0
	s_nop 1
	global_load_ushort v3, v9, s[6:7]
	s_waitcnt vmcnt(0)
	v_add_u32_e32 v8, v0, v3
	v_lshlrev_b32_e32 v5, 2, v3
	v_mul_lo_u32 v17, s63, v3
	v_mul_lo_u32 v8, s63, v8
	s_branch .LBB16_35
.LBB16_34:                              ;   in Loop: Header=BB16_35 Depth=2
	s_or_b64 exec, exec, s[22:23]
	v_cmp_le_i32_e32 vcc, s60, v18
	ds_write_b32 v4, v2
	v_add_u32_e32 v4, v4, v5
	v_add_u32_e32 v8, v8, v17
	s_or_b64 s[20:21], vcc, s[20:21]
	s_waitcnt vmcnt(0)
	v_mov_b32_e32 v2, v20
	s_andn2_b64 exec, exec, s[20:21]
	s_cbranch_execz .LBB16_37
.LBB16_35:                              ;   Parent Loop BB16_8 Depth=1
                                        ; =>  This Inner Loop Header: Depth=2
	v_add_u32_e32 v18, v18, v3
	v_cmp_gt_u32_e32 vcc, s60, v18
	v_mov_b32_e32 v20, 0
	s_and_saveexec_b64 s[22:23], vcc
	s_cbranch_execz .LBB16_34
; %bb.36:                               ;   in Loop: Header=BB16_35 Depth=2
	v_lshlrev_b64 v[20:21], 2, v[8:9]
	v_mov_b32_e32 v22, s84
	v_add_co_u32_e32 v20, vcc, s62, v20
	v_addc_co_u32_e32 v21, vcc, v22, v21, vcc
	global_load_dword v20, v[20:21], off
	s_branch .LBB16_34
.LBB16_37:                              ;   in Loop: Header=BB16_8 Depth=1
	s_or_b64 exec, exec, s[18:19]
	s_waitcnt lgkmcnt(0)
	s_barrier
	s_mov_b64 s[18:19], exec
	v_readlane_b32 s6, v50, 4
	v_readlane_b32 s7, v50, 5
	s_and_b64 s[6:7], s[18:19], s[6:7]
	s_mov_b64 exec, s[6:7]
	s_cbranch_execz .LBB16_39
; %bb.38:                               ;   in Loop: Header=BB16_8 Depth=1
	s_waitcnt vmcnt(0)
	v_mov_b32_e32 v2, s60
	ds_write_b32 v9, v2 offset:4096
.LBB16_39:                              ;   in Loop: Header=BB16_8 Depth=1
	s_or_b64 exec, exec, s[18:19]
	s_mov_b64 s[18:19], -1
	s_waitcnt lgkmcnt(0)
	s_barrier
                                        ; implicit-def: $sgpr69
.LBB16_40:                              ;   in Loop: Header=BB16_8 Depth=1
	s_and_b64 vcc, exec, s[18:19]
	s_cbranch_vccz .LBB16_42
; %bb.41:                               ;   in Loop: Header=BB16_8 Depth=1
	s_waitcnt vmcnt(0)
	ds_read_b32 v2, v9 offset:4096
	s_waitcnt lgkmcnt(0)
	v_readfirstlane_b32 s69, v2
.LBB16_42:                              ;   in Loop: Header=BB16_8 Depth=1
	s_cmp_lt_i32 s69, 1
	s_cbranch_scc0 .LBB16_46
; %bb.43:                               ;   in Loop: Header=BB16_8 Depth=1
	s_waitcnt vmcnt(0)
	v_mov_b32_e32 v2, 0
	s_mov_b32 s72, 0
	v_mov_b32_e32 v3, 0
	v_mov_b32_e32 v4, v2
	;; [unrolled: 1-line block ×3, first 2 shown]
	s_and_saveexec_b64 s[80:81], s[10:11]
	s_cbranch_execnz .LBB16_47
; %bb.44:                               ;   in Loop: Header=BB16_8 Depth=1
	s_or_b64 exec, exec, s[80:81]
	v_mov_b32_e32 v17, 0
	s_and_saveexec_b64 s[18:19], s[12:13]
	s_cbranch_execnz .LBB16_50
.LBB16_45:                              ;   in Loop: Header=BB16_8 Depth=1
	s_or_b64 exec, exec, s[18:19]
	s_and_saveexec_b64 s[20:21], s[14:15]
	s_cbranch_execnz .LBB16_51
	s_branch .LBB16_56
.LBB16_46:                              ;   in Loop: Header=BB16_8 Depth=1
                                        ; implicit-def: $vgpr5
	s_cbranch_execnz .LBB16_57
	s_branch .LBB16_66
.LBB16_47:                              ;   in Loop: Header=BB16_8 Depth=1
	s_and_b32 s73, s77, 0xfe
	s_mov_b64 s[82:83], 0
	s_mov_b32 s74, 0
	s_mov_b32 s75, 0
	;; [unrolled: 1-line block ×4, first 2 shown]
	v_mov_b32_e32 v8, v24
.LBB16_48:                              ;   Parent Loop BB16_8 Depth=1
                                        ; =>  This Inner Loop Header: Depth=2
	v_add_u32_e32 v2, s72, v32
	v_ashrrev_i32_e32 v3, 31, v2
	v_add_u32_e32 v4, s72, v29
	v_lshlrev_b64 v[2:3], 2, v[2:3]
	v_mov_b32_e32 v17, s84
	v_ashrrev_i32_e32 v5, 31, v4
	v_add_co_u32_e64 v2, s[18:19], s62, v2
	v_add_u32_e32 v20, s72, v30
	v_lshlrev_b64 v[4:5], 2, v[4:5]
	v_addc_co_u32_e64 v3, s[18:19], v17, v3, s[18:19]
	v_ashrrev_i32_e32 v21, 31, v20
	v_add_co_u32_e64 v4, s[18:19], s62, v4
	v_add_u32_e32 v22, s72, v31
	v_lshlrev_b64 v[20:21], 2, v[20:21]
	v_addc_co_u32_e64 v5, s[18:19], v17, v5, s[18:19]
	v_ashrrev_i32_e32 v23, 31, v22
	v_add_co_u32_e64 v20, s[18:19], s62, v20
	v_lshlrev_b64 v[22:23], 2, v[22:23]
	v_addc_co_u32_e64 v21, s[18:19], v17, v21, s[18:19]
	v_add_co_u32_e64 v22, s[18:19], s62, v22
	v_addc_co_u32_e64 v23, s[18:19], v17, v23, s[18:19]
	global_load_dword v2, v[2:3], off
	s_nop 0
	global_load_dword v3, v[4:5], off
	s_nop 0
	global_load_dword v4, v[20:21], off
	global_load_dword v5, v[22:23], off
	v_add_u32_e32 v8, s85, v8
	s_add_i32 s72, s72, s16
	v_cmp_le_i32_e32 vcc, s79, v8
	s_waitcnt vmcnt(3)
	v_xor_b32_e32 v2, 0x80000000, v2
	s_waitcnt vmcnt(2)
	v_xor_b32_e32 v3, 0x80000000, v3
	v_and_b32_e32 v17, s0, v2
	v_bfe_u32 v2, v2, s73, 2
	s_waitcnt vmcnt(1)
	v_xor_b32_e32 v4, 0x80000000, v4
	v_and_b32_e32 v18, s0, v3
	v_bfe_u32 v3, v3, s73, 2
	v_cmp_eq_u32_e64 s[18:19], s1, v17
	v_cmp_eq_u32_e64 s[26:27], 0, v2
	s_waitcnt vmcnt(0)
	v_xor_b32_e32 v5, 0x80000000, v5
	v_and_b32_e32 v20, s0, v4
	v_bfe_u32 v4, v4, s73, 2
	v_cmp_eq_u32_e64 s[20:21], s1, v18
	v_cmp_eq_u32_e64 s[28:29], 0, v3
	s_and_b64 s[26:27], s[18:19], s[26:27]
	v_and_b32_e32 v21, s0, v5
	v_bfe_u32 v5, v5, s73, 2
	v_cmp_eq_u32_e64 s[22:23], s1, v20
	v_cmp_eq_u32_e64 s[30:31], 0, v4
	;; [unrolled: 1-line block ×5, first 2 shown]
	v_cndmask_b32_e64 v2, 0, 1, s[26:27]
	s_and_b64 s[26:27], s[20:21], s[28:29]
	v_cmp_eq_u32_e64 s[24:25], s1, v21
	v_cmp_eq_u32_e64 s[34:35], 0, v5
	;; [unrolled: 1-line block ×5, first 2 shown]
	v_cndmask_b32_e64 v3, 0, 1, s[26:27]
	s_and_b64 s[26:27], s[22:23], s[30:31]
	v_cmp_eq_u32_e64 s[40:41], 1, v4
	v_cmp_eq_u32_e64 s[48:49], 2, v4
	;; [unrolled: 1-line block ×3, first 2 shown]
	v_cndmask_b32_e64 v4, 0, 1, s[26:27]
	s_and_b64 s[26:27], s[24:25], s[34:35]
	v_cmp_eq_u32_e64 s[42:43], 1, v5
	v_cmp_eq_u32_e64 s[50:51], 2, v5
	;; [unrolled: 1-line block ×3, first 2 shown]
	v_cndmask_b32_e64 v5, 0, 1, s[26:27]
	s_and_b64 s[26:27], s[18:19], s[36:37]
	v_cndmask_b32_e64 v17, 0, 1, s[26:27]
	s_and_b64 s[26:27], s[20:21], s[38:39]
	;; [unrolled: 2-line block ×5, first 2 shown]
	s_and_b64 s[18:19], s[18:19], s[52:53]
	v_cndmask_b32_e64 v22, 0, 1, s[26:27]
	s_and_b64 s[26:27], s[20:21], s[46:47]
	v_cndmask_b32_e64 v39, 0, 1, s[18:19]
	;; [unrolled: 2-line block ×7, first 2 shown]
	v_cndmask_b32_e64 v42, 0, 1, s[18:19]
	v_cmp_ne_u32_e64 s[18:19], 0, v2
	v_cmp_ne_u32_e64 s[20:21], 0, v3
	;; [unrolled: 1-line block ×11, first 2 shown]
	s_bcnt1_i32_b64 s18, s[18:19]
	s_bcnt1_i32_b64 s19, s[20:21]
	;; [unrolled: 1-line block ×8, first 2 shown]
	v_cmp_ne_u32_e64 s[34:35], 0, v21
	v_cmp_ne_u32_e64 s[40:41], 0, v37
	;; [unrolled: 1-line block ×3, first 2 shown]
	s_bcnt1_i32_b64 s23, s[28:29]
	s_bcnt1_i32_b64 s27, s[38:39]
	;; [unrolled: 1-line block ×3, first 2 shown]
	s_add_i32 s7, s7, s18
	s_add_i32 s6, s6, s22
	;; [unrolled: 1-line block ×4, first 2 shown]
	v_cmp_ne_u32_e64 s[42:43], 0, v38
	v_cmp_ne_u32_e64 s[50:51], 0, v42
	s_bcnt1_i32_b64 s25, s[34:35]
	s_bcnt1_i32_b64 s28, s[40:41]
	;; [unrolled: 1-line block ×3, first 2 shown]
	s_add_i32 s7, s7, s19
	s_add_i32 s6, s6, s23
	;; [unrolled: 1-line block ×4, first 2 shown]
	s_bcnt1_i32_b64 s29, s[42:43]
	s_bcnt1_i32_b64 s35, s[50:51]
	s_add_i32 s7, s7, s20
	s_add_i32 s6, s6, s24
	;; [unrolled: 1-line block ×8, first 2 shown]
	s_or_b64 s[82:83], vcc, s[82:83]
	v_mov_b32_e32 v2, s7
	v_mov_b32_e32 v3, s6
	;; [unrolled: 1-line block ×4, first 2 shown]
	s_andn2_b64 exec, exec, s[82:83]
	s_cbranch_execnz .LBB16_48
; %bb.49:                               ;   in Loop: Header=BB16_8 Depth=1
	s_or_b64 exec, exec, s[82:83]
	s_or_b64 exec, exec, s[80:81]
	v_mov_b32_e32 v17, 0
	s_and_saveexec_b64 s[18:19], s[12:13]
	s_cbranch_execz .LBB16_45
.LBB16_50:                              ;   in Loop: Header=BB16_8 Depth=1
	global_load_dword v17, v[14:15], off
	s_or_b64 exec, exec, s[18:19]
	s_and_saveexec_b64 s[20:21], s[14:15]
	s_cbranch_execz .LBB16_56
.LBB16_51:                              ;   in Loop: Header=BB16_8 Depth=1
	s_and_b32 s6, s77, 0xfe
	s_mov_b64 s[22:23], 0
	v_mov_b32_e32 v20, v33
	v_mov_b32_e32 v8, v28
	s_branch .LBB16_53
.LBB16_52:                              ;   in Loop: Header=BB16_53 Depth=2
	s_or_b64 exec, exec, s[18:19]
	s_waitcnt vmcnt(0)
	v_xor_b32_e32 v17, 0x80000000, v17
	v_and_b32_e32 v21, s0, v17
	v_bfe_u32 v17, v17, s6, 2
	v_cmp_eq_u32_e32 vcc, s1, v21
	v_cmp_eq_u32_e64 s[18:19], 0, v17
	s_and_b64 s[18:19], vcc, s[18:19]
	v_cndmask_b32_e64 v21, 0, 1, s[18:19]
	v_cmp_ne_u32_e64 s[18:19], 0, v21
	s_bcnt1_i32_b64 s7, s[18:19]
	v_cmp_eq_u32_e64 s[18:19], 1, v17
	s_and_b64 s[18:19], vcc, s[18:19]
	v_cndmask_b32_e64 v21, 0, 1, s[18:19]
	v_cmp_ne_u32_e64 s[18:19], 0, v21
	v_add_u32_e32 v2, s7, v2
	s_bcnt1_i32_b64 s7, s[18:19]
	v_cmp_eq_u32_e64 s[18:19], 2, v17
	s_and_b64 s[18:19], vcc, s[18:19]
	v_cndmask_b32_e64 v21, 0, 1, s[18:19]
	v_cmp_ne_u32_e64 s[18:19], 0, v21
	v_add_u32_e32 v3, s7, v3
	s_bcnt1_i32_b64 s7, s[18:19]
	v_cmp_eq_u32_e64 s[18:19], 3, v17
	s_and_b64 s[18:19], vcc, s[18:19]
	v_cndmask_b32_e64 v17, 0, 1, s[18:19]
	v_cmp_ne_u32_e32 vcc, 0, v17
	v_add_u32_e32 v4, s7, v4
	s_bcnt1_i32_b64 s7, vcc
	v_cmp_le_i32_e32 vcc, s60, v8
	v_add_u32_e32 v5, s7, v5
	v_add_u32_e32 v20, s76, v20
	s_or_b64 s[22:23], vcc, s[22:23]
	v_mov_b32_e32 v17, v18
	s_andn2_b64 exec, exec, s[22:23]
	s_cbranch_execz .LBB16_55
.LBB16_53:                              ;   Parent Loop BB16_8 Depth=1
                                        ; =>  This Inner Loop Header: Depth=2
	v_add_u32_e32 v8, s33, v8
	v_cmp_gt_u32_e32 vcc, s60, v8
	v_mov_b32_e32 v18, 0
	s_and_saveexec_b64 s[18:19], vcc
	s_cbranch_execz .LBB16_52
; %bb.54:                               ;   in Loop: Header=BB16_53 Depth=2
	v_ashrrev_i32_e32 v21, 31, v20
	v_lshlrev_b64 v[22:23], 2, v[20:21]
	v_mov_b32_e32 v18, s84
	v_add_co_u32_e32 v22, vcc, s62, v22
	v_addc_co_u32_e32 v23, vcc, v18, v23, vcc
	global_load_dword v18, v[22:23], off
	s_branch .LBB16_52
.LBB16_55:                              ;   in Loop: Header=BB16_8 Depth=1
	s_or_b64 exec, exec, s[22:23]
.LBB16_56:                              ;   in Loop: Header=BB16_8 Depth=1
	s_or_b64 exec, exec, s[20:21]
	s_branch .LBB16_66
.LBB16_57:                              ;   in Loop: Header=BB16_8 Depth=1
	s_mul_hi_u32 s6, s69, s78
	s_mul_i32 s6, s6, s85
	s_sub_i32 s6, s69, s6
	s_sub_i32 s7, s6, s85
	s_cmp_ge_u32 s6, s85
	s_cselect_b32 s6, s7, s6
	s_sub_i32 s7, s6, s85
	s_cmp_ge_u32 s6, s85
	s_cselect_b32 s6, s7, s6
	s_sub_i32 s6, s69, s6
	v_cmp_gt_u32_e32 vcc, s6, v24
	s_mov_b32 s72, 0
	s_waitcnt vmcnt(0)
	v_mov_b32_e32 v2, 0
	v_mov_b32_e32 v3, 0
	;; [unrolled: 1-line block ×4, first 2 shown]
	s_and_saveexec_b64 s[80:81], vcc
	s_cbranch_execz .LBB16_61
; %bb.58:                               ;   in Loop: Header=BB16_8 Depth=1
	s_and_b32 s7, s77, 0xfe
	s_mov_b64 s[82:83], 0
	v_mov_b32_e32 v8, v34
	s_mov_b32 s73, 0
	s_mov_b32 s74, 0
	;; [unrolled: 1-line block ×3, first 2 shown]
	v_mov_b32_e32 v17, v24
.LBB16_59:                              ;   Parent Loop BB16_8 Depth=1
                                        ; =>  This Inner Loop Header: Depth=2
	ds_read_b128 v[2:5], v8
	v_add_u32_e32 v17, s85, v17
	v_cmp_le_i32_e32 vcc, s6, v17
	v_add_u32_e32 v8, s17, v8
	s_waitcnt lgkmcnt(0)
	v_xor_b32_e32 v2, 0x80000000, v2
	v_xor_b32_e32 v3, 0x80000000, v3
	v_and_b32_e32 v18, s0, v2
	v_bfe_u32 v2, v2, s7, 2
	v_xor_b32_e32 v4, 0x80000000, v4
	v_and_b32_e32 v20, s0, v3
	v_bfe_u32 v3, v3, s7, 2
	v_cmp_eq_u32_e64 s[18:19], s1, v18
	v_cmp_eq_u32_e64 s[26:27], 0, v2
	v_xor_b32_e32 v5, 0x80000000, v5
	v_and_b32_e32 v21, s0, v4
	v_bfe_u32 v4, v4, s7, 2
	v_cmp_eq_u32_e64 s[20:21], s1, v20
	v_cmp_eq_u32_e64 s[28:29], 0, v3
	s_and_b64 s[26:27], s[18:19], s[26:27]
	v_and_b32_e32 v22, s0, v5
	v_bfe_u32 v5, v5, s7, 2
	v_cmp_eq_u32_e64 s[22:23], s1, v21
	v_cmp_eq_u32_e64 s[30:31], 0, v4
	;; [unrolled: 1-line block ×5, first 2 shown]
	v_cndmask_b32_e64 v2, 0, 1, s[26:27]
	s_and_b64 s[26:27], s[20:21], s[28:29]
	v_cmp_eq_u32_e64 s[24:25], s1, v22
	v_cmp_eq_u32_e64 s[34:35], 0, v5
	v_cmp_eq_u32_e64 s[38:39], 1, v3
	v_cmp_eq_u32_e64 s[46:47], 2, v3
	v_cmp_eq_u32_e64 s[54:55], 3, v3
	v_cndmask_b32_e64 v3, 0, 1, s[26:27]
	s_and_b64 s[26:27], s[22:23], s[30:31]
	v_cmp_eq_u32_e64 s[40:41], 1, v4
	v_cmp_eq_u32_e64 s[48:49], 2, v4
	;; [unrolled: 1-line block ×3, first 2 shown]
	v_cndmask_b32_e64 v4, 0, 1, s[26:27]
	s_and_b64 s[26:27], s[24:25], s[34:35]
	v_cmp_eq_u32_e64 s[42:43], 1, v5
	v_cmp_eq_u32_e64 s[50:51], 2, v5
	;; [unrolled: 1-line block ×3, first 2 shown]
	v_cndmask_b32_e64 v5, 0, 1, s[26:27]
	s_and_b64 s[26:27], s[18:19], s[36:37]
	v_cndmask_b32_e64 v18, 0, 1, s[26:27]
	s_and_b64 s[26:27], s[20:21], s[38:39]
	v_cndmask_b32_e64 v20, 0, 1, s[26:27]
	s_and_b64 s[26:27], s[22:23], s[40:41]
	v_cndmask_b32_e64 v21, 0, 1, s[26:27]
	s_and_b64 s[26:27], s[24:25], s[42:43]
	v_cndmask_b32_e64 v22, 0, 1, s[26:27]
	s_and_b64 s[26:27], s[18:19], s[44:45]
	s_and_b64 s[18:19], s[18:19], s[52:53]
	v_cndmask_b32_e64 v23, 0, 1, s[26:27]
	s_and_b64 s[26:27], s[20:21], s[46:47]
	v_cndmask_b32_e64 v40, 0, 1, s[18:19]
	;; [unrolled: 2-line block ×7, first 2 shown]
	v_cndmask_b32_e64 v43, 0, 1, s[18:19]
	v_cmp_ne_u32_e64 s[18:19], 0, v2
	v_cmp_ne_u32_e64 s[20:21], 0, v3
	;; [unrolled: 1-line block ×11, first 2 shown]
	s_bcnt1_i32_b64 s18, s[18:19]
	s_bcnt1_i32_b64 s19, s[20:21]
	s_bcnt1_i32_b64 s20, s[22:23]
	s_bcnt1_i32_b64 s21, s[24:25]
	s_bcnt1_i32_b64 s22, s[26:27]
	s_bcnt1_i32_b64 s24, s[30:31]
	s_bcnt1_i32_b64 s26, s[36:37]
	s_bcnt1_i32_b64 s30, s[44:45]
	v_cmp_ne_u32_e64 s[34:35], 0, v22
	v_cmp_ne_u32_e64 s[40:41], 0, v38
	;; [unrolled: 1-line block ×3, first 2 shown]
	s_bcnt1_i32_b64 s23, s[28:29]
	s_bcnt1_i32_b64 s27, s[38:39]
	;; [unrolled: 1-line block ×3, first 2 shown]
	s_add_i32 s18, s75, s18
	s_add_i32 s22, s74, s22
	;; [unrolled: 1-line block ×4, first 2 shown]
	v_cmp_ne_u32_e64 s[42:43], 0, v39
	v_cmp_ne_u32_e64 s[50:51], 0, v43
	s_bcnt1_i32_b64 s25, s[34:35]
	s_bcnt1_i32_b64 s28, s[40:41]
	;; [unrolled: 1-line block ×3, first 2 shown]
	s_add_i32 s18, s18, s19
	s_add_i32 s19, s22, s23
	;; [unrolled: 1-line block ×4, first 2 shown]
	s_bcnt1_i32_b64 s29, s[42:43]
	s_bcnt1_i32_b64 s35, s[50:51]
	s_add_i32 s18, s18, s20
	s_add_i32 s19, s19, s24
	;; [unrolled: 1-line block ×8, first 2 shown]
	s_or_b64 s[82:83], vcc, s[82:83]
	v_mov_b32_e32 v2, s75
	v_mov_b32_e32 v3, s74
	;; [unrolled: 1-line block ×4, first 2 shown]
	s_andn2_b64 exec, exec, s[82:83]
	s_cbranch_execnz .LBB16_59
; %bb.60:                               ;   in Loop: Header=BB16_8 Depth=1
	s_or_b64 exec, exec, s[82:83]
.LBB16_61:                              ;   in Loop: Header=BB16_8 Depth=1
	s_or_b64 exec, exec, s[80:81]
	v_add_u32_e32 v8, s6, v0
	v_cmp_gt_i32_e32 vcc, s69, v8
	s_and_saveexec_b64 s[28:29], vcc
	s_cbranch_execz .LBB16_65
; %bb.62:                               ;   in Loop: Header=BB16_8 Depth=1
	s_and_b32 s6, s77, 0xfe
	v_lshlrev_b32_e32 v17, 2, v8
	s_mov_b64 s[30:31], 0
.LBB16_63:                              ;   Parent Loop BB16_8 Depth=1
                                        ; =>  This Inner Loop Header: Depth=2
	ds_read_b32 v18, v17
	v_add_u32_e32 v8, s33, v8
	v_cmp_le_i32_e32 vcc, s69, v8
	v_add_u32_e32 v17, s85, v17
	s_waitcnt lgkmcnt(0)
	v_xor_b32_e32 v18, 0x80000000, v18
	v_and_b32_e32 v20, s0, v18
	v_bfe_u32 v18, v18, s6, 2
	v_cmp_eq_u32_e64 s[18:19], s1, v20
	v_cmp_eq_u32_e64 s[20:21], 0, v18
	;; [unrolled: 1-line block ×3, first 2 shown]
	s_and_b64 s[20:21], s[18:19], s[20:21]
	v_cmp_eq_u32_e64 s[24:25], 2, v18
	v_cmp_eq_u32_e64 s[26:27], 3, v18
	v_cndmask_b32_e64 v18, 0, 1, s[20:21]
	s_and_b64 s[20:21], s[18:19], s[22:23]
	v_cndmask_b32_e64 v20, 0, 1, s[20:21]
	s_and_b64 s[20:21], s[18:19], s[24:25]
	s_and_b64 s[18:19], s[18:19], s[26:27]
	v_cndmask_b32_e64 v21, 0, 1, s[20:21]
	v_cndmask_b32_e64 v22, 0, 1, s[18:19]
	v_cmp_ne_u32_e64 s[18:19], 0, v18
	v_cmp_ne_u32_e64 s[20:21], 0, v20
	;; [unrolled: 1-line block ×4, first 2 shown]
	s_bcnt1_i32_b64 s7, s[18:19]
	s_bcnt1_i32_b64 s18, s[20:21]
	;; [unrolled: 1-line block ×4, first 2 shown]
	v_add_u32_e32 v2, s7, v2
	v_add_u32_e32 v3, s18, v3
	;; [unrolled: 1-line block ×3, first 2 shown]
	s_or_b64 s[30:31], vcc, s[30:31]
	v_add_u32_e32 v5, s20, v5
	s_andn2_b64 exec, exec, s[30:31]
	s_cbranch_execnz .LBB16_63
; %bb.64:                               ;   in Loop: Header=BB16_8 Depth=1
	s_or_b64 exec, exec, s[30:31]
.LBB16_65:                              ;   in Loop: Header=BB16_8 Depth=1
	s_or_b64 exec, exec, s[28:29]
.LBB16_66:                              ;   in Loop: Header=BB16_8 Depth=1
	s_lshl_b32 s6, s8, 6
	s_and_saveexec_b64 s[18:19], s[2:3]
	s_cbranch_execz .LBB16_68
; %bb.67:                               ;   in Loop: Header=BB16_8 Depth=1
	v_or_b32_e32 v8, s6, v26
	v_lshlrev_b32_e32 v8, 2, v8
	s_waitcnt vmcnt(0)
	ds_write_b128 v8, v[2:5] offset:3072
.LBB16_68:                              ;   in Loop: Header=BB16_8 Depth=1
	s_or_b64 exec, exec, s[18:19]
	s_waitcnt lgkmcnt(0)
	s_barrier
	s_and_saveexec_b64 s[18:19], s[70:71]
	s_cbranch_execz .LBB16_82
; %bb.69:                               ;   in Loop: Header=BB16_8 Depth=1
	v_readlane_b32 s20, v50, 12
	v_readlane_b32 s21, v50, 13
	v_add_u32_e32 v4, s6, v13
	s_andn2_b64 vcc, exec, s[20:21]
	s_waitcnt vmcnt(0)
	v_mov_b32_e32 v2, 0
	s_cbranch_vccnz .LBB16_81
; %bb.70:                               ;   in Loop: Header=BB16_8 Depth=1
	v_readlane_b32 s20, v50, 16
	v_readlane_b32 s21, v50, 17
	s_mov_b32 s7, 0
	s_and_b64 vcc, exec, s[20:21]
	v_mov_b32_e32 v2, 0
	s_cbranch_vccz .LBB16_74
; %bb.71:                               ;   in Loop: Header=BB16_8 Depth=1
	v_readlane_b32 s20, v50, 22
	v_readlane_b32 s21, v50, 23
	v_lshl_add_u32 v5, v4, 2, v36
	s_andn2_b64 vcc, exec, s[20:21]
	s_cbranch_vccnz .LBB16_75
; %bb.72:                               ;   in Loop: Header=BB16_8 Depth=1
	s_mov_b32 s21, 1
	s_mov_b32 s20, 0
	v_mov_b32_e32 v2, 0
	v_readlane_b32 s7, v50, 24
	v_mov_b32_e32 v3, 0
.LBB16_73:                              ;   Parent Loop BB16_8 Depth=1
                                        ; =>  This Inner Loop Header: Depth=2
	v_lshl_add_u32 v8, s20, 4, v5
	v_lshl_add_u32 v17, s21, 4, v5
	ds_read2_b32 v[20:21], v8 offset1:8
	ds_read2_b32 v[22:23], v17 offset1:8
	ds_read2_b32 v[38:39], v8 offset0:16 offset1:24
	ds_read2_b32 v[40:41], v17 offset0:16 offset1:24
	;; [unrolled: 1-line block ×6, first 2 shown]
	s_waitcnt lgkmcnt(7)
	v_add3_u32 v2, v20, v2, v21
	s_waitcnt lgkmcnt(6)
	v_add3_u32 v3, v22, v3, v23
	;; [unrolled: 2-line block ×3, first 2 shown]
	v_add3_u32 v2, v38, v2, v39
	s_add_i32 s21, s21, 16
	s_add_i32 s20, s20, 16
	s_add_i32 s7, s7, -8
	s_waitcnt lgkmcnt(3)
	v_add3_u32 v2, v42, v2, v43
	s_waitcnt lgkmcnt(2)
	v_add3_u32 v3, v44, v3, v45
	s_cmp_lg_u32 s7, 0
	s_waitcnt lgkmcnt(0)
	v_add3_u32 v3, v48, v3, v49
	v_add3_u32 v2, v46, v2, v47
	s_cbranch_scc1 .LBB16_73
	s_branch .LBB16_76
.LBB16_74:                              ;   in Loop: Header=BB16_8 Depth=1
	s_cbranch_execnz .LBB16_79
	s_branch .LBB16_81
.LBB16_75:                              ;   in Loop: Header=BB16_8 Depth=1
	s_mov_b32 s69, s68
	v_pk_mov_b32 v[2:3], s[68:69], s[68:69] op_sel:[0,1]
	s_mov_b32 s69, 1
	s_mov_b64 s[20:21], s[68:69]
.LBB16_76:                              ;   in Loop: Header=BB16_8 Depth=1
	v_readlane_b32 s22, v50, 26
	v_readlane_b32 s23, v50, 27
	s_andn2_b64 vcc, exec, s[22:23]
	v_readlane_b32 s7, v50, 25
	s_cbranch_vccnz .LBB16_78
.LBB16_77:                              ;   Parent Loop BB16_8 Depth=1
                                        ; =>  This Inner Loop Header: Depth=2
	v_lshl_add_u32 v8, s20, 4, v5
	v_lshl_add_u32 v17, s21, 4, v5
	ds_read_b32 v17, v17
	ds_read_b32 v8, v8
	s_add_i32 s21, s21, 2
	s_add_i32 s20, s20, 2
	s_add_i32 s7, s7, -1
	s_cmp_lg_u32 s7, 0
	s_waitcnt lgkmcnt(1)
	v_add_u32_e32 v3, v17, v3
	s_waitcnt lgkmcnt(0)
	v_add_u32_e32 v2, v8, v2
	s_cbranch_scc1 .LBB16_77
.LBB16_78:                              ;   in Loop: Header=BB16_8 Depth=1
	v_readlane_b32 s20, v50, 30
	v_add_u32_e32 v2, v2, v3
	v_readlane_b32 s7, v50, 29
	v_readlane_b32 s21, v50, 31
	s_and_b64 vcc, exec, s[20:21]
	s_cbranch_vccz .LBB16_81
.LBB16_79:                              ;   in Loop: Header=BB16_8 Depth=1
	s_lshl_b32 s20, s8, 8
	s_lshl_b32 s21, s7, 4
	s_add_i32 s20, s20, s21
	v_add_u32_e32 v3, s20, v35
	v_readlane_b32 s20, v50, 28
	s_sub_i32 s7, s20, s7
.LBB16_80:                              ;   Parent Loop BB16_8 Depth=1
                                        ; =>  This Inner Loop Header: Depth=2
	ds_read_b32 v5, v3
	s_add_i32 s7, s7, -1
	v_add_u32_e32 v3, 16, v3
	s_cmp_eq_u32 s7, 0
	s_waitcnt lgkmcnt(0)
	v_add_u32_e32 v2, v5, v2
	s_cbranch_scc0 .LBB16_80
.LBB16_81:                              ;   in Loop: Header=BB16_8 Depth=1
	v_lshlrev_b32_e32 v3, 2, v4
	ds_write_b32 v3, v2 offset:3072
.LBB16_82:                              ;   in Loop: Header=BB16_8 Depth=1
	s_or_b64 exec, exec, s[18:19]
	s_lshl_b32 s6, s6, 2
	s_waitcnt vmcnt(0)
	v_mov_b32_e32 v2, s6
	s_waitcnt lgkmcnt(0)
	s_barrier
	ds_read_b128 v[2:5], v2 offset:3072
	s_and_b32 s47, s77, 0xfe
	s_lshl_b32 s55, 3, s47
	s_not_b32 s48, s55
	s_mov_b64 s[22:23], -1
	s_waitcnt lgkmcnt(0)
	v_readfirstlane_b32 s34, v2
	s_cmp_eq_u32 s34, 1
	s_cselect_b64 s[6:7], -1, 0
	s_cmp_eq_u32 s61, 1
	s_cselect_b64 s[18:19], -1, 0
	s_and_b64 s[24:25], s[6:7], s[18:19]
	v_readfirstlane_b32 s38, v3
	v_readfirstlane_b32 s46, v4
	;; [unrolled: 1-line block ×3, first 2 shown]
	s_and_b64 vcc, exec, s[24:25]
	s_cbranch_vccz .LBB16_94
; %bb.83:                               ;   in Loop: Header=BB16_8 Depth=1
	ds_read_b32 v2, v9 offset:4096
	s_waitcnt lgkmcnt(0)
	s_barrier
	v_readfirstlane_b32 s6, v2
	s_and_saveexec_b64 s[18:19], s[4:5]
	s_cbranch_execz .LBB16_85
; %bb.84:                               ;   in Loop: Header=BB16_8 Depth=1
	ds_write_b32 v25, v9
.LBB16_85:                              ;   in Loop: Header=BB16_8 Depth=1
	s_or_b64 exec, exec, s[18:19]
	s_and_b32 s1, s1, s48
	s_or_b32 s0, s0, s55
	s_cmp_lt_i32 s6, 1
	s_waitcnt lgkmcnt(0)
	s_barrier
	s_cbranch_scc0 .LBB16_95
; %bb.86:                               ;   in Loop: Header=BB16_8 Depth=1
	s_mov_b64 s[18:19], 0
                                        ; implicit-def: $vgpr19
	s_mov_b64 s[20:21], exec
	v_readlane_b32 s26, v50, 33
	v_readlane_b32 s27, v50, 34
	s_and_b64 s[26:27], s[20:21], s[26:27]
	s_mov_b64 exec, s[26:27]
	s_cbranch_execz .LBB16_97
; %bb.87:                               ;   in Loop: Header=BB16_8 Depth=1
	s_mov_b64 s[26:27], 0
	v_mov_b32_e32 v2, v6
	v_mov_b32_e32 v4, v0
                                        ; implicit-def: $sgpr28_sgpr29
	s_branch .LBB16_89
.LBB16_88:                              ;   in Loop: Header=BB16_89 Depth=2
	s_or_b64 exec, exec, s[18:19]
	s_waitcnt lgkmcnt(0)
	s_barrier
	ds_read_b64 v[18:19], v9 offset:3072
	v_add_u32_e32 v4, s33, v4
	v_cmp_le_i32_e32 vcc, s9, v4
	v_add_u32_e32 v2, s76, v2
	s_waitcnt lgkmcnt(0)
	v_readfirstlane_b32 s7, v18
	s_cmp_lg_u32 s7, 0
	s_cselect_b64 s[18:19], -1, 0
	s_or_b64 s[30:31], vcc, s[18:19]
	s_and_b64 s[30:31], exec, s[30:31]
	s_or_b64 s[26:27], s[30:31], s[26:27]
	s_andn2_b64 s[28:29], s[28:29], exec
	s_and_b64 s[18:19], s[18:19], exec
	s_or_b64 s[28:29], s[28:29], s[18:19]
	s_barrier
	s_andn2_b64 exec, exec, s[26:27]
	s_cbranch_execz .LBB16_96
.LBB16_89:                              ;   Parent Loop BB16_8 Depth=1
                                        ; =>  This Inner Loop Header: Depth=2
	v_cmp_gt_i32_e32 vcc, s60, v4
	s_waitcnt vmcnt(0)
	v_mov_b32_e32 v17, 0
	s_and_saveexec_b64 s[30:31], vcc
	s_cbranch_execz .LBB16_91
; %bb.90:                               ;   in Loop: Header=BB16_89 Depth=2
	v_ashrrev_i32_e32 v3, 31, v2
	v_lshlrev_b64 v[18:19], 2, v[2:3]
	v_mov_b32_e32 v3, s84
	v_add_co_u32_e64 v18, s[18:19], s62, v18
	v_addc_co_u32_e64 v19, s[18:19], v3, v19, s[18:19]
	global_load_dword v17, v[18:19], off
.LBB16_91:                              ;   in Loop: Header=BB16_89 Depth=2
	s_or_b64 exec, exec, s[30:31]
	s_and_saveexec_b64 s[18:19], vcc
	s_cbranch_execz .LBB16_88
; %bb.92:                               ;   in Loop: Header=BB16_89 Depth=2
	s_waitcnt vmcnt(0)
	v_xor_b32_e32 v3, 0x80000000, v17
	v_and_b32_e32 v3, s0, v3
	v_cmp_eq_u32_e32 vcc, s1, v3
	s_and_b64 exec, exec, vcc
	s_cbranch_execz .LBB16_88
; %bb.93:                               ;   in Loop: Header=BB16_89 Depth=2
	ds_write_b64 v9, v[16:17] offset:3072
	s_branch .LBB16_88
.LBB16_94:                              ;   in Loop: Header=BB16_8 Depth=1
	s_mov_b64 s[18:19], -1
                                        ; implicit-def: $sgpr20_sgpr21
                                        ; implicit-def: $sgpr28_sgpr29
                                        ; implicit-def: $sgpr26_sgpr27
	s_branch .LBB16_108
.LBB16_95:                              ;   in Loop: Header=BB16_8 Depth=1
	s_mov_b64 s[20:21], -1
	s_mov_b64 s[18:19], 0
                                        ; implicit-def: $sgpr26_sgpr27
                                        ; implicit-def: $vgpr19
	s_mov_b64 s[28:29], s[20:21]
	s_cbranch_execnz .LBB16_98
	s_branch .LBB16_108
.LBB16_96:                              ;   in Loop: Header=BB16_8 Depth=1
	s_or_b64 exec, exec, s[26:27]
	s_and_b64 s[18:19], s[28:29], exec
.LBB16_97:                              ;   in Loop: Header=BB16_8 Depth=1
	s_or_b64 exec, exec, s[20:21]
	s_mov_b64 s[26:27], -1
	s_mov_b64 s[20:21], 0
	s_mov_b64 s[28:29], s[20:21]
	s_branch .LBB16_108
.LBB16_98:                              ;   in Loop: Header=BB16_8 Depth=1
	v_readlane_b32 s7, v50, 9
	s_add_i32 s7, s6, s7
	s_abs_i32 s19, s7
	v_readlane_b32 s20, v50, 32
	s_mul_hi_u32 s20, s19, s20
	s_mul_i32 s20, s20, s33
	s_sub_i32 s19, s19, s20
	s_ashr_i32 s18, s7, 31
	s_sub_i32 s20, s19, s33
	s_cmp_ge_u32 s19, s33
	s_cselect_b32 s19, s20, s19
	s_sub_i32 s20, s19, s33
	s_cmp_ge_u32 s19, s33
	s_cselect_b32 s19, s20, s19
	s_xor_b32 s19, s19, s18
	s_sub_i32 s18, s18, s19
	s_add_i32 s7, s7, s18
	v_cmp_gt_i32_e32 vcc, s7, v0
	s_mov_b64 s[18:19], 0
                                        ; implicit-def: $vgpr19
	s_and_saveexec_b64 s[20:21], vcc
	s_cbranch_execz .LBB16_107
; %bb.99:                               ;   in Loop: Header=BB16_8 Depth=1
	v_mov_b32_e32 v2, v24
	v_mov_b32_e32 v3, v0
                                        ; implicit-def: $sgpr26_sgpr27
	s_branch .LBB16_101
.LBB16_100:                             ;   in Loop: Header=BB16_101 Depth=2
	s_or_b64 exec, exec, s[28:29]
	s_waitcnt lgkmcnt(0)
	s_barrier
	ds_read_b64 v[18:19], v9 offset:3072
	v_add_u32_e32 v3, s33, v3
	v_cmp_le_i32_e32 vcc, s7, v3
	v_add_u32_e32 v2, s85, v2
	s_waitcnt lgkmcnt(0)
	v_readfirstlane_b32 s28, v18
	s_cmp_lg_u32 s28, 0
	s_cselect_b64 s[28:29], -1, 0
	s_or_b64 s[30:31], vcc, s[28:29]
	s_and_b64 s[30:31], exec, s[30:31]
	s_or_b64 s[18:19], s[30:31], s[18:19]
	s_andn2_b64 s[26:27], s[26:27], exec
	s_and_b64 s[28:29], s[28:29], exec
	s_or_b64 s[26:27], s[26:27], s[28:29]
	s_barrier
	s_andn2_b64 exec, exec, s[18:19]
	s_cbranch_execz .LBB16_106
.LBB16_101:                             ;   Parent Loop BB16_8 Depth=1
                                        ; =>  This Inner Loop Header: Depth=2
	v_cmp_gt_i32_e32 vcc, s6, v3
	s_waitcnt vmcnt(0)
	v_mov_b32_e32 v17, 0
	s_and_saveexec_b64 s[28:29], vcc
	s_cbranch_execz .LBB16_103
; %bb.102:                              ;   in Loop: Header=BB16_101 Depth=2
	ds_read_b32 v17, v2
.LBB16_103:                             ;   in Loop: Header=BB16_101 Depth=2
	s_or_b64 exec, exec, s[28:29]
	s_and_saveexec_b64 s[28:29], vcc
	s_cbranch_execz .LBB16_100
; %bb.104:                              ;   in Loop: Header=BB16_101 Depth=2
	s_waitcnt lgkmcnt(0)
	v_xor_b32_e32 v4, 0x80000000, v17
	v_and_b32_e32 v4, s0, v4
	v_cmp_eq_u32_e32 vcc, s1, v4
	s_and_b64 exec, exec, vcc
	s_cbranch_execz .LBB16_100
; %bb.105:                              ;   in Loop: Header=BB16_101 Depth=2
	ds_write_b64 v9, v[16:17] offset:3072
	s_branch .LBB16_100
.LBB16_106:                             ;   in Loop: Header=BB16_8 Depth=1
	s_or_b64 exec, exec, s[18:19]
	s_and_b64 s[18:19], s[26:27], exec
.LBB16_107:                             ;   in Loop: Header=BB16_8 Depth=1
	s_or_b64 exec, exec, s[20:21]
	s_mov_b64 s[28:29], -1
	s_mov_b64 s[20:21], 0
	s_mov_b64 s[26:27], 0
.LBB16_108:                             ;   in Loop: Header=BB16_8 Depth=1
	s_andn2_b64 s[6:7], s[66:67], exec
	s_and_b64 s[20:21], s[20:21], exec
	s_or_b64 s[66:67], s[6:7], s[20:21]
	s_andn2_b64 s[6:7], s[64:65], exec
	s_and_b64 s[20:21], s[28:29], exec
	s_or_b64 s[64:65], s[6:7], s[20:21]
	;; [unrolled: 3-line block ×3, first 2 shown]
	s_and_saveexec_b64 s[20:21], s[18:19]
	s_cbranch_execz .LBB16_7
; %bb.109:                              ;   in Loop: Header=BB16_8 Depth=1
	s_xor_b64 s[6:7], s[24:25], -1
	s_mov_b64 s[18:19], 0
	s_andn2_b64 vcc, exec, s[6:7]
	s_mov_b32 s39, 1
	s_cbranch_vccnz .LBB16_120
; %bb.110:                              ;   in Loop: Header=BB16_8 Depth=1
	s_cmp_gt_i32 s61, s34
	s_mov_b64 s[18:19], -1
                                        ; implicit-def: $sgpr57
                                        ; implicit-def: $sgpr6
                                        ; implicit-def: $sgpr7
	s_cbranch_scc1 .LBB16_116
; %bb.111:                              ;   in Loop: Header=BB16_8 Depth=1
	ds_read_b32 v2, v9 offset:4096
	s_waitcnt lgkmcnt(0)
	v_cmp_ne_u32_e32 vcc, 0, v2
	s_cbranch_vccnz .LBB16_115
; %bb.112:                              ;   in Loop: Header=BB16_8 Depth=1
	s_mov_b64 s[18:19], exec
	v_readlane_b32 s6, v50, 4
	v_readlane_b32 s7, v50, 5
	s_and_b64 s[6:7], s[18:19], s[6:7]
	s_mov_b64 exec, s[6:7]
	s_cbranch_execz .LBB16_114
; %bb.113:                              ;   in Loop: Header=BB16_8 Depth=1
	v_mov_b32_e32 v2, s34
	ds_write_b32 v9, v2 offset:4100
.LBB16_114:                             ;   in Loop: Header=BB16_8 Depth=1
	s_or_b64 exec, exec, s[18:19]
	s_waitcnt lgkmcnt(0)
	s_barrier
.LBB16_115:                             ;   in Loop: Header=BB16_8 Depth=1
	s_and_b32 s6, s1, s48
	s_or_b32 s7, s0, s55
	s_mov_b64 s[18:19], 0
	s_mov_b32 s57, 8
.LBB16_116:                             ;   in Loop: Header=BB16_8 Depth=1
	s_andn2_b64 vcc, exec, s[18:19]
	s_cbranch_vccnz .LBB16_118
; %bb.117:                              ;   in Loop: Header=BB16_8 Depth=1
	s_sub_i32 s61, s61, s34
	s_mov_b64 s[18:19], -1
	s_mov_b32 s57, 0
	s_mov_b32 s6, s1
	s_mov_b32 s7, s0
.LBB16_118:                             ;   in Loop: Header=BB16_8 Depth=1
	s_mov_b32 s0, s7
	s_mov_b32 s1, s6
	;; [unrolled: 1-line block ×3, first 2 shown]
	s_mov_b64 s[22:23], -1
	s_and_b64 vcc, exec, s[18:19]
	s_cbranch_vccnz .LBB16_121
.LBB16_119:                             ;   in Loop: Header=BB16_8 Depth=1
	s_mov_b64 s[36:37], -1
                                        ; implicit-def: $sgpr24_sgpr25
                                        ; implicit-def: $sgpr28_sgpr29
                                        ; implicit-def: $sgpr26_sgpr27
	s_and_saveexec_b64 s[6:7], s[36:37]
	s_xor_b64 s[18:19], exec, s[6:7]
	s_cbranch_execz .LBB16_6
	s_branch .LBB16_244
.LBB16_120:                             ;   in Loop: Header=BB16_8 Depth=1
	s_mov_b32 s57, 1
	s_mov_b64 s[22:23], -1
	s_and_b64 vcc, exec, s[18:19]
	s_cbranch_vccz .LBB16_119
.LBB16_121:                             ;   in Loop: Header=BB16_8 Depth=1
	s_cmp_eq_u32 s38, 1
	s_cselect_b64 s[6:7], -1, 0
	s_cmp_eq_u32 s39, 1
	s_cselect_b64 s[18:19], -1, 0
	s_and_b64 s[34:35], s[6:7], s[18:19]
	s_mov_b64 s[18:19], -1
	s_and_b64 vcc, exec, s[34:35]
	s_cbranch_vccz .LBB16_133
; %bb.122:                              ;   in Loop: Header=BB16_8 Depth=1
	ds_read_b32 v2, v9 offset:4096
	s_waitcnt lgkmcnt(0)
	s_barrier
	v_readfirstlane_b32 s6, v2
	s_and_saveexec_b64 s[18:19], s[4:5]
	s_cbranch_execz .LBB16_124
; %bb.123:                              ;   in Loop: Header=BB16_8 Depth=1
	ds_write_b32 v25, v9
.LBB16_124:                             ;   in Loop: Header=BB16_8 Depth=1
	s_or_b64 exec, exec, s[18:19]
	s_lshl_b32 s7, 1, s47
	s_and_b32 s1, s1, s48
	s_or_b32 s1, s1, s7
	s_or_b32 s0, s0, s55
	s_cmp_gt_i32 s6, 0
	s_waitcnt lgkmcnt(0)
	s_barrier
	s_cbranch_scc1 .LBB16_134
; %bb.125:                              ;   in Loop: Header=BB16_8 Depth=1
	s_mov_b64 s[18:19], 0
                                        ; implicit-def: $vgpr19
	s_mov_b64 s[24:25], exec
	v_readlane_b32 s26, v50, 33
	v_readlane_b32 s27, v50, 34
	s_and_b64 s[26:27], s[24:25], s[26:27]
	s_mov_b64 exec, s[26:27]
	s_cbranch_execz .LBB16_136
; %bb.126:                              ;   in Loop: Header=BB16_8 Depth=1
	s_mov_b64 s[26:27], 0
	v_mov_b32_e32 v2, v6
	v_mov_b32_e32 v4, v0
                                        ; implicit-def: $sgpr28_sgpr29
	s_branch .LBB16_128
.LBB16_127:                             ;   in Loop: Header=BB16_128 Depth=2
	s_or_b64 exec, exec, s[18:19]
	s_waitcnt lgkmcnt(0)
	s_barrier
	ds_read_b64 v[18:19], v9 offset:3072
	v_add_u32_e32 v4, s33, v4
	v_cmp_le_i32_e32 vcc, s9, v4
	v_add_u32_e32 v2, s76, v2
	s_waitcnt lgkmcnt(0)
	v_readfirstlane_b32 s7, v18
	s_cmp_lg_u32 s7, 0
	s_cselect_b64 s[18:19], -1, 0
	s_or_b64 s[30:31], vcc, s[18:19]
	s_and_b64 s[30:31], exec, s[30:31]
	s_or_b64 s[26:27], s[30:31], s[26:27]
	s_andn2_b64 s[28:29], s[28:29], exec
	s_and_b64 s[18:19], s[18:19], exec
	s_or_b64 s[28:29], s[28:29], s[18:19]
	s_barrier
	s_andn2_b64 exec, exec, s[26:27]
	s_cbranch_execz .LBB16_135
.LBB16_128:                             ;   Parent Loop BB16_8 Depth=1
                                        ; =>  This Inner Loop Header: Depth=2
	v_cmp_gt_i32_e32 vcc, s60, v4
	s_waitcnt vmcnt(0)
	v_mov_b32_e32 v17, 0
	s_and_saveexec_b64 s[30:31], vcc
	s_cbranch_execz .LBB16_130
; %bb.129:                              ;   in Loop: Header=BB16_128 Depth=2
	v_ashrrev_i32_e32 v3, 31, v2
	v_lshlrev_b64 v[18:19], 2, v[2:3]
	v_mov_b32_e32 v3, s84
	v_add_co_u32_e64 v18, s[18:19], s62, v18
	v_addc_co_u32_e64 v19, s[18:19], v3, v19, s[18:19]
	global_load_dword v17, v[18:19], off
.LBB16_130:                             ;   in Loop: Header=BB16_128 Depth=2
	s_or_b64 exec, exec, s[30:31]
	s_and_saveexec_b64 s[18:19], vcc
	s_cbranch_execz .LBB16_127
; %bb.131:                              ;   in Loop: Header=BB16_128 Depth=2
	s_waitcnt vmcnt(0)
	v_xor_b32_e32 v3, 0x80000000, v17
	v_and_b32_e32 v3, s0, v3
	v_cmp_eq_u32_e32 vcc, s1, v3
	s_and_b64 exec, exec, vcc
	s_cbranch_execz .LBB16_127
; %bb.132:                              ;   in Loop: Header=BB16_128 Depth=2
	ds_write_b64 v9, v[16:17] offset:3072
	s_branch .LBB16_127
.LBB16_133:                             ;   in Loop: Header=BB16_8 Depth=1
                                        ; implicit-def: $sgpr26_sgpr27
                                        ; implicit-def: $sgpr28_sgpr29
                                        ; implicit-def: $sgpr24_sgpr25
	s_branch .LBB16_147
.LBB16_134:                             ;   in Loop: Header=BB16_8 Depth=1
	s_mov_b64 s[26:27], -1
	s_mov_b64 s[18:19], 0
                                        ; implicit-def: $sgpr24_sgpr25
                                        ; implicit-def: $vgpr19
	s_mov_b64 s[28:29], s[26:27]
	s_cbranch_execnz .LBB16_137
	s_branch .LBB16_147
.LBB16_135:                             ;   in Loop: Header=BB16_8 Depth=1
	s_or_b64 exec, exec, s[26:27]
	s_and_b64 s[18:19], s[28:29], exec
.LBB16_136:                             ;   in Loop: Header=BB16_8 Depth=1
	s_or_b64 exec, exec, s[24:25]
	s_mov_b64 s[24:25], -1
	s_mov_b64 s[26:27], 0
	s_mov_b64 s[28:29], s[26:27]
	s_branch .LBB16_147
.LBB16_137:                             ;   in Loop: Header=BB16_8 Depth=1
	v_readlane_b32 s7, v50, 9
	s_add_i32 s7, s6, s7
	s_abs_i32 s19, s7
	v_readlane_b32 s24, v50, 32
	s_mul_hi_u32 s24, s19, s24
	s_mul_i32 s24, s24, s33
	s_sub_i32 s19, s19, s24
	s_ashr_i32 s18, s7, 31
	s_sub_i32 s24, s19, s33
	s_cmp_ge_u32 s19, s33
	s_cselect_b32 s19, s24, s19
	s_sub_i32 s24, s19, s33
	s_cmp_ge_u32 s19, s33
	s_cselect_b32 s19, s24, s19
	s_xor_b32 s19, s19, s18
	s_sub_i32 s18, s18, s19
	s_add_i32 s7, s7, s18
	v_cmp_gt_i32_e32 vcc, s7, v0
	s_mov_b64 s[18:19], 0
                                        ; implicit-def: $vgpr19
	s_and_saveexec_b64 s[24:25], vcc
	s_cbranch_execz .LBB16_146
; %bb.138:                              ;   in Loop: Header=BB16_8 Depth=1
	v_mov_b32_e32 v2, v24
	v_mov_b32_e32 v3, v0
                                        ; implicit-def: $sgpr26_sgpr27
	s_branch .LBB16_140
.LBB16_139:                             ;   in Loop: Header=BB16_140 Depth=2
	s_or_b64 exec, exec, s[28:29]
	s_waitcnt lgkmcnt(0)
	s_barrier
	ds_read_b64 v[18:19], v9 offset:3072
	v_add_u32_e32 v3, s33, v3
	v_cmp_le_i32_e32 vcc, s7, v3
	v_add_u32_e32 v2, s85, v2
	s_waitcnt lgkmcnt(0)
	v_readfirstlane_b32 s28, v18
	s_cmp_lg_u32 s28, 0
	s_cselect_b64 s[28:29], -1, 0
	s_or_b64 s[30:31], vcc, s[28:29]
	s_and_b64 s[30:31], exec, s[30:31]
	s_or_b64 s[18:19], s[30:31], s[18:19]
	s_andn2_b64 s[26:27], s[26:27], exec
	s_and_b64 s[28:29], s[28:29], exec
	s_or_b64 s[26:27], s[26:27], s[28:29]
	s_barrier
	s_andn2_b64 exec, exec, s[18:19]
	s_cbranch_execz .LBB16_145
.LBB16_140:                             ;   Parent Loop BB16_8 Depth=1
                                        ; =>  This Inner Loop Header: Depth=2
	v_cmp_gt_i32_e32 vcc, s6, v3
	s_waitcnt vmcnt(0)
	v_mov_b32_e32 v17, 0
	s_and_saveexec_b64 s[28:29], vcc
	s_cbranch_execz .LBB16_142
; %bb.141:                              ;   in Loop: Header=BB16_140 Depth=2
	ds_read_b32 v17, v2
.LBB16_142:                             ;   in Loop: Header=BB16_140 Depth=2
	s_or_b64 exec, exec, s[28:29]
	s_and_saveexec_b64 s[28:29], vcc
	s_cbranch_execz .LBB16_139
; %bb.143:                              ;   in Loop: Header=BB16_140 Depth=2
	s_waitcnt lgkmcnt(0)
	v_xor_b32_e32 v4, 0x80000000, v17
	v_and_b32_e32 v4, s0, v4
	v_cmp_eq_u32_e32 vcc, s1, v4
	s_and_b64 exec, exec, vcc
	s_cbranch_execz .LBB16_139
; %bb.144:                              ;   in Loop: Header=BB16_140 Depth=2
	ds_write_b64 v9, v[16:17] offset:3072
	s_branch .LBB16_139
.LBB16_145:                             ;   in Loop: Header=BB16_8 Depth=1
	s_or_b64 exec, exec, s[18:19]
	s_and_b64 s[18:19], s[26:27], exec
.LBB16_146:                             ;   in Loop: Header=BB16_8 Depth=1
	s_or_b64 exec, exec, s[24:25]
	s_mov_b64 s[28:29], -1
	s_mov_b64 s[26:27], 0
	s_mov_b64 s[24:25], 0
.LBB16_147:                             ;   in Loop: Header=BB16_8 Depth=1
	s_mov_b64 s[36:37], 0
                                        ; implicit-def: $sgpr57
	s_and_saveexec_b64 s[30:31], s[18:19]
	s_cbranch_execz .LBB16_243
; %bb.148:                              ;   in Loop: Header=BB16_8 Depth=1
	s_xor_b64 s[6:7], s[34:35], -1
	s_mov_b64 s[18:19], 0
	s_andn2_b64 vcc, exec, s[6:7]
	s_mov_b32 s49, 1
	s_cbranch_vccnz .LBB16_159
; %bb.149:                              ;   in Loop: Header=BB16_8 Depth=1
	s_cmp_gt_i32 s39, s38
	s_mov_b64 s[18:19], -1
                                        ; implicit-def: $sgpr57
                                        ; implicit-def: $sgpr6
                                        ; implicit-def: $sgpr7
	s_cbranch_scc1 .LBB16_155
; %bb.150:                              ;   in Loop: Header=BB16_8 Depth=1
	ds_read_b32 v2, v9 offset:4096
	s_waitcnt lgkmcnt(0)
	v_cmp_ne_u32_e32 vcc, 0, v2
	s_cbranch_vccnz .LBB16_154
; %bb.151:                              ;   in Loop: Header=BB16_8 Depth=1
	s_mov_b64 s[18:19], exec
	v_readlane_b32 s6, v50, 4
	v_readlane_b32 s7, v50, 5
	s_and_b64 s[6:7], s[18:19], s[6:7]
	s_mov_b64 exec, s[6:7]
	s_cbranch_execz .LBB16_153
; %bb.152:                              ;   in Loop: Header=BB16_8 Depth=1
	v_mov_b32_e32 v2, s38
	ds_write_b32 v9, v2 offset:4100
.LBB16_153:                             ;   in Loop: Header=BB16_8 Depth=1
	s_or_b64 exec, exec, s[18:19]
	s_waitcnt lgkmcnt(0)
	s_barrier
.LBB16_154:                             ;   in Loop: Header=BB16_8 Depth=1
	s_lshl_b32 s6, 1, s47
	s_and_b32 s7, s1, s48
	s_or_b32 s6, s7, s6
	s_or_b32 s7, s0, s55
	s_mov_b64 s[18:19], 0
	s_mov_b32 s57, 8
.LBB16_155:                             ;   in Loop: Header=BB16_8 Depth=1
	s_andn2_b64 vcc, exec, s[18:19]
	s_cbranch_vccnz .LBB16_157
; %bb.156:                              ;   in Loop: Header=BB16_8 Depth=1
	s_sub_i32 s39, s39, s38
	s_mov_b64 s[18:19], -1
	s_mov_b32 s57, 0
	s_mov_b32 s6, s1
	;; [unrolled: 1-line block ×3, first 2 shown]
.LBB16_157:                             ;   in Loop: Header=BB16_8 Depth=1
	s_mov_b32 s0, s7
	s_mov_b32 s1, s6
	;; [unrolled: 1-line block ×3, first 2 shown]
	s_andn2_b64 vcc, exec, s[18:19]
	s_mov_b64 s[44:45], -1
	s_cbranch_vccz .LBB16_160
.LBB16_158:                             ;   in Loop: Header=BB16_8 Depth=1
                                        ; implicit-def: $sgpr36_sgpr37
                                        ; implicit-def: $sgpr38_sgpr39
                                        ; implicit-def: $sgpr34_sgpr35
	s_branch .LBB16_242
.LBB16_159:                             ;   in Loop: Header=BB16_8 Depth=1
	s_mov_b32 s57, 1
	s_andn2_b64 vcc, exec, s[18:19]
	s_mov_b64 s[44:45], -1
	s_cbranch_vccnz .LBB16_158
.LBB16_160:                             ;   in Loop: Header=BB16_8 Depth=1
	s_cmp_eq_u32 s46, 1
	s_cselect_b64 s[6:7], -1, 0
	s_cmp_eq_u32 s49, 1
	s_cselect_b64 s[18:19], -1, 0
	s_and_b64 s[42:43], s[6:7], s[18:19]
	s_mov_b64 s[18:19], -1
	s_and_b64 vcc, exec, s[42:43]
	s_cbranch_vccz .LBB16_172
; %bb.161:                              ;   in Loop: Header=BB16_8 Depth=1
	ds_read_b32 v2, v9 offset:4096
	s_waitcnt lgkmcnt(0)
	s_barrier
	v_readfirstlane_b32 s6, v2
	s_and_saveexec_b64 s[18:19], s[4:5]
	s_cbranch_execz .LBB16_163
; %bb.162:                              ;   in Loop: Header=BB16_8 Depth=1
	ds_write_b32 v25, v9
.LBB16_163:                             ;   in Loop: Header=BB16_8 Depth=1
	s_or_b64 exec, exec, s[18:19]
	s_lshl_b32 s7, 2, s47
	s_and_b32 s1, s1, s48
	s_or_b32 s1, s1, s7
	s_or_b32 s0, s0, s55
	s_cmp_gt_i32 s6, 0
	s_waitcnt lgkmcnt(0)
	s_barrier
	s_cbranch_scc1 .LBB16_173
; %bb.164:                              ;   in Loop: Header=BB16_8 Depth=1
	s_mov_b64 s[18:19], 0
                                        ; implicit-def: $vgpr19
	s_mov_b64 s[34:35], exec
	v_readlane_b32 s36, v50, 33
	v_readlane_b32 s37, v50, 34
	s_and_b64 s[36:37], s[34:35], s[36:37]
	s_mov_b64 exec, s[36:37]
	s_cbranch_execz .LBB16_175
; %bb.165:                              ;   in Loop: Header=BB16_8 Depth=1
	s_mov_b64 s[36:37], 0
	v_mov_b32_e32 v2, v6
	v_mov_b32_e32 v4, v0
                                        ; implicit-def: $sgpr38_sgpr39
	s_branch .LBB16_167
.LBB16_166:                             ;   in Loop: Header=BB16_167 Depth=2
	s_or_b64 exec, exec, s[18:19]
	s_waitcnt lgkmcnt(0)
	s_barrier
	ds_read_b64 v[18:19], v9 offset:3072
	v_add_u32_e32 v4, s33, v4
	v_cmp_le_i32_e32 vcc, s9, v4
	v_add_u32_e32 v2, s76, v2
	s_waitcnt lgkmcnt(0)
	v_readfirstlane_b32 s7, v18
	s_cmp_lg_u32 s7, 0
	s_cselect_b64 s[18:19], -1, 0
	s_or_b64 s[40:41], vcc, s[18:19]
	s_and_b64 s[40:41], exec, s[40:41]
	s_or_b64 s[36:37], s[40:41], s[36:37]
	s_andn2_b64 s[38:39], s[38:39], exec
	s_and_b64 s[18:19], s[18:19], exec
	s_or_b64 s[38:39], s[38:39], s[18:19]
	s_barrier
	s_andn2_b64 exec, exec, s[36:37]
	s_cbranch_execz .LBB16_174
.LBB16_167:                             ;   Parent Loop BB16_8 Depth=1
                                        ; =>  This Inner Loop Header: Depth=2
	v_cmp_gt_i32_e32 vcc, s60, v4
	s_waitcnt vmcnt(0)
	v_mov_b32_e32 v17, 0
	s_and_saveexec_b64 s[40:41], vcc
	s_cbranch_execz .LBB16_169
; %bb.168:                              ;   in Loop: Header=BB16_167 Depth=2
	v_ashrrev_i32_e32 v3, 31, v2
	v_lshlrev_b64 v[18:19], 2, v[2:3]
	v_mov_b32_e32 v3, s84
	v_add_co_u32_e64 v18, s[18:19], s62, v18
	v_addc_co_u32_e64 v19, s[18:19], v3, v19, s[18:19]
	global_load_dword v17, v[18:19], off
.LBB16_169:                             ;   in Loop: Header=BB16_167 Depth=2
	s_or_b64 exec, exec, s[40:41]
	s_and_saveexec_b64 s[18:19], vcc
	s_cbranch_execz .LBB16_166
; %bb.170:                              ;   in Loop: Header=BB16_167 Depth=2
	s_waitcnt vmcnt(0)
	v_xor_b32_e32 v3, 0x80000000, v17
	v_and_b32_e32 v3, s0, v3
	v_cmp_eq_u32_e32 vcc, s1, v3
	s_and_b64 exec, exec, vcc
	s_cbranch_execz .LBB16_166
; %bb.171:                              ;   in Loop: Header=BB16_167 Depth=2
	ds_write_b64 v9, v[16:17] offset:3072
	s_branch .LBB16_166
.LBB16_172:                             ;   in Loop: Header=BB16_8 Depth=1
                                        ; implicit-def: $sgpr34_sgpr35
                                        ; implicit-def: $sgpr38_sgpr39
                                        ; implicit-def: $sgpr36_sgpr37
	s_branch .LBB16_186
.LBB16_173:                             ;   in Loop: Header=BB16_8 Depth=1
	s_mov_b64 s[34:35], -1
	s_mov_b64 s[18:19], 0
                                        ; implicit-def: $sgpr36_sgpr37
                                        ; implicit-def: $vgpr19
	s_mov_b64 s[38:39], s[34:35]
	s_cbranch_execnz .LBB16_176
	s_branch .LBB16_186
.LBB16_174:                             ;   in Loop: Header=BB16_8 Depth=1
	s_or_b64 exec, exec, s[36:37]
	s_and_b64 s[18:19], s[38:39], exec
.LBB16_175:                             ;   in Loop: Header=BB16_8 Depth=1
	s_or_b64 exec, exec, s[34:35]
	s_mov_b64 s[36:37], -1
	s_mov_b64 s[34:35], 0
	s_mov_b64 s[38:39], s[34:35]
	s_branch .LBB16_186
.LBB16_176:                             ;   in Loop: Header=BB16_8 Depth=1
	v_readlane_b32 s7, v50, 9
	s_add_i32 s7, s6, s7
	s_abs_i32 s19, s7
	v_readlane_b32 s34, v50, 32
	s_mul_hi_u32 s34, s19, s34
	s_mul_i32 s34, s34, s33
	s_sub_i32 s19, s19, s34
	s_ashr_i32 s18, s7, 31
	s_sub_i32 s34, s19, s33
	s_cmp_ge_u32 s19, s33
	s_cselect_b32 s19, s34, s19
	s_sub_i32 s34, s19, s33
	s_cmp_ge_u32 s19, s33
	s_cselect_b32 s19, s34, s19
	s_xor_b32 s19, s19, s18
	s_sub_i32 s18, s18, s19
	s_add_i32 s7, s7, s18
	v_cmp_gt_i32_e32 vcc, s7, v0
	s_mov_b64 s[18:19], 0
                                        ; implicit-def: $vgpr19
	s_and_saveexec_b64 s[34:35], vcc
	s_cbranch_execz .LBB16_185
; %bb.177:                              ;   in Loop: Header=BB16_8 Depth=1
	v_mov_b32_e32 v2, v24
	v_mov_b32_e32 v3, v0
                                        ; implicit-def: $sgpr36_sgpr37
	s_branch .LBB16_179
.LBB16_178:                             ;   in Loop: Header=BB16_179 Depth=2
	s_or_b64 exec, exec, s[38:39]
	s_waitcnt lgkmcnt(0)
	s_barrier
	ds_read_b64 v[18:19], v9 offset:3072
	v_add_u32_e32 v3, s33, v3
	v_cmp_le_i32_e32 vcc, s7, v3
	v_add_u32_e32 v2, s85, v2
	s_waitcnt lgkmcnt(0)
	v_readfirstlane_b32 s38, v18
	s_cmp_lg_u32 s38, 0
	s_cselect_b64 s[38:39], -1, 0
	s_or_b64 s[40:41], vcc, s[38:39]
	s_and_b64 s[40:41], exec, s[40:41]
	s_or_b64 s[18:19], s[40:41], s[18:19]
	s_andn2_b64 s[36:37], s[36:37], exec
	s_and_b64 s[38:39], s[38:39], exec
	s_or_b64 s[36:37], s[36:37], s[38:39]
	s_barrier
	s_andn2_b64 exec, exec, s[18:19]
	s_cbranch_execz .LBB16_184
.LBB16_179:                             ;   Parent Loop BB16_8 Depth=1
                                        ; =>  This Inner Loop Header: Depth=2
	v_cmp_gt_i32_e32 vcc, s6, v3
	s_waitcnt vmcnt(0)
	v_mov_b32_e32 v17, 0
	s_and_saveexec_b64 s[38:39], vcc
	s_cbranch_execz .LBB16_181
; %bb.180:                              ;   in Loop: Header=BB16_179 Depth=2
	ds_read_b32 v17, v2
.LBB16_181:                             ;   in Loop: Header=BB16_179 Depth=2
	s_or_b64 exec, exec, s[38:39]
	s_and_saveexec_b64 s[38:39], vcc
	s_cbranch_execz .LBB16_178
; %bb.182:                              ;   in Loop: Header=BB16_179 Depth=2
	s_waitcnt lgkmcnt(0)
	v_xor_b32_e32 v4, 0x80000000, v17
	v_and_b32_e32 v4, s0, v4
	v_cmp_eq_u32_e32 vcc, s1, v4
	s_and_b64 exec, exec, vcc
	s_cbranch_execz .LBB16_178
; %bb.183:                              ;   in Loop: Header=BB16_179 Depth=2
	ds_write_b64 v9, v[16:17] offset:3072
	s_branch .LBB16_178
.LBB16_184:                             ;   in Loop: Header=BB16_8 Depth=1
	s_or_b64 exec, exec, s[18:19]
	s_and_b64 s[18:19], s[36:37], exec
.LBB16_185:                             ;   in Loop: Header=BB16_8 Depth=1
	s_or_b64 exec, exec, s[34:35]
	s_mov_b64 s[38:39], -1
	s_mov_b64 s[34:35], 0
	s_mov_b64 s[36:37], 0
.LBB16_186:                             ;   in Loop: Header=BB16_8 Depth=1
	s_mov_b64 s[44:45], 0
                                        ; implicit-def: $sgpr57
	s_and_saveexec_b64 s[40:41], s[18:19]
	s_cbranch_execz .LBB16_241
; %bb.187:                              ;   in Loop: Header=BB16_8 Depth=1
	s_xor_b64 s[6:7], s[42:43], -1
	s_mov_b64 s[18:19], 0
	s_andn2_b64 vcc, exec, s[6:7]
	s_mov_b32 s56, 1
	s_cbranch_vccnz .LBB16_198
; %bb.188:                              ;   in Loop: Header=BB16_8 Depth=1
	s_cmp_gt_i32 s49, s46
	s_mov_b64 s[18:19], -1
                                        ; implicit-def: $sgpr57
                                        ; implicit-def: $sgpr6
                                        ; implicit-def: $sgpr7
	s_cbranch_scc1 .LBB16_194
; %bb.189:                              ;   in Loop: Header=BB16_8 Depth=1
	ds_read_b32 v2, v9 offset:4096
	s_waitcnt lgkmcnt(0)
	v_cmp_ne_u32_e32 vcc, 0, v2
	s_cbranch_vccnz .LBB16_193
; %bb.190:                              ;   in Loop: Header=BB16_8 Depth=1
	s_mov_b64 s[18:19], exec
	v_readlane_b32 s6, v50, 4
	v_readlane_b32 s7, v50, 5
	s_and_b64 s[6:7], s[18:19], s[6:7]
	s_mov_b64 exec, s[6:7]
	s_cbranch_execz .LBB16_192
; %bb.191:                              ;   in Loop: Header=BB16_8 Depth=1
	v_mov_b32_e32 v2, s46
	ds_write_b32 v9, v2 offset:4100
.LBB16_192:                             ;   in Loop: Header=BB16_8 Depth=1
	s_or_b64 exec, exec, s[18:19]
	s_waitcnt lgkmcnt(0)
	s_barrier
.LBB16_193:                             ;   in Loop: Header=BB16_8 Depth=1
	s_lshl_b32 s6, 2, s47
	s_and_b32 s7, s1, s48
	s_or_b32 s6, s7, s6
	s_or_b32 s7, s0, s55
	s_mov_b64 s[18:19], 0
	s_mov_b32 s57, 8
.LBB16_194:                             ;   in Loop: Header=BB16_8 Depth=1
	s_andn2_b64 vcc, exec, s[18:19]
	s_cbranch_vccnz .LBB16_196
; %bb.195:                              ;   in Loop: Header=BB16_8 Depth=1
	s_sub_i32 s49, s49, s46
	s_mov_b64 s[18:19], -1
	s_mov_b32 s57, 0
	s_mov_b32 s6, s1
	;; [unrolled: 1-line block ×3, first 2 shown]
.LBB16_196:                             ;   in Loop: Header=BB16_8 Depth=1
	s_mov_b32 s0, s7
	s_mov_b32 s1, s6
	;; [unrolled: 1-line block ×3, first 2 shown]
	s_andn2_b64 vcc, exec, s[18:19]
	s_mov_b64 s[52:53], -1
	s_cbranch_vccz .LBB16_199
.LBB16_197:                             ;   in Loop: Header=BB16_8 Depth=1
                                        ; implicit-def: $sgpr18_sgpr19
                                        ; implicit-def: $sgpr46_sgpr47
                                        ; implicit-def: $sgpr44_sgpr45
	s_branch .LBB16_240
.LBB16_198:                             ;   in Loop: Header=BB16_8 Depth=1
	s_mov_b32 s57, 1
	s_andn2_b64 vcc, exec, s[18:19]
	s_mov_b64 s[52:53], -1
	s_cbranch_vccnz .LBB16_197
.LBB16_199:                             ;   in Loop: Header=BB16_8 Depth=1
	s_cmp_eq_u32 s54, 1
	s_cselect_b64 s[6:7], -1, 0
	s_cmp_eq_u32 s56, 1
	s_cselect_b64 s[18:19], -1, 0
	s_and_b64 s[42:43], s[6:7], s[18:19]
	s_mov_b64 s[48:49], -1
	s_and_b64 vcc, exec, s[42:43]
	s_cbranch_vccz .LBB16_211
; %bb.200:                              ;   in Loop: Header=BB16_8 Depth=1
	ds_read_b32 v2, v9 offset:4096
	s_waitcnt lgkmcnt(0)
	s_barrier
	v_readfirstlane_b32 s6, v2
	s_and_saveexec_b64 s[18:19], s[4:5]
	s_cbranch_execz .LBB16_202
; %bb.201:                              ;   in Loop: Header=BB16_8 Depth=1
	ds_write_b32 v25, v9
.LBB16_202:                             ;   in Loop: Header=BB16_8 Depth=1
	s_or_b64 exec, exec, s[18:19]
	s_or_b32 s1, s1, s55
	s_or_b32 s0, s0, s55
	s_cmp_gt_i32 s6, 0
	s_waitcnt lgkmcnt(0)
	s_barrier
	s_cbranch_scc1 .LBB16_212
; %bb.203:                              ;   in Loop: Header=BB16_8 Depth=1
	s_mov_b64 s[48:49], 0
                                        ; implicit-def: $vgpr19
	s_mov_b64 s[44:45], exec
	v_readlane_b32 s18, v50, 33
	v_readlane_b32 s19, v50, 34
	s_and_b64 s[18:19], s[44:45], s[18:19]
	s_mov_b64 exec, s[18:19]
	s_cbranch_execz .LBB16_214
; %bb.204:                              ;   in Loop: Header=BB16_8 Depth=1
	s_mov_b64 s[46:47], 0
	v_mov_b32_e32 v2, v6
	v_mov_b32_e32 v4, v0
                                        ; implicit-def: $sgpr48_sgpr49
	s_branch .LBB16_206
.LBB16_205:                             ;   in Loop: Header=BB16_206 Depth=2
	s_or_b64 exec, exec, s[18:19]
	s_waitcnt lgkmcnt(0)
	s_barrier
	ds_read_b64 v[18:19], v9 offset:3072
	v_add_u32_e32 v4, s33, v4
	v_cmp_le_i32_e32 vcc, s9, v4
	v_add_u32_e32 v2, s76, v2
	s_waitcnt lgkmcnt(0)
	v_readfirstlane_b32 s7, v18
	s_cmp_lg_u32 s7, 0
	s_cselect_b64 s[18:19], -1, 0
	s_or_b64 s[50:51], vcc, s[18:19]
	s_and_b64 s[50:51], exec, s[50:51]
	s_or_b64 s[46:47], s[50:51], s[46:47]
	s_andn2_b64 s[48:49], s[48:49], exec
	s_and_b64 s[18:19], s[18:19], exec
	s_or_b64 s[48:49], s[48:49], s[18:19]
	s_barrier
	s_andn2_b64 exec, exec, s[46:47]
	s_cbranch_execz .LBB16_213
.LBB16_206:                             ;   Parent Loop BB16_8 Depth=1
                                        ; =>  This Inner Loop Header: Depth=2
	v_cmp_gt_i32_e32 vcc, s60, v4
	s_waitcnt vmcnt(0)
	v_mov_b32_e32 v17, 0
	s_and_saveexec_b64 s[50:51], vcc
	s_cbranch_execz .LBB16_208
; %bb.207:                              ;   in Loop: Header=BB16_206 Depth=2
	v_ashrrev_i32_e32 v3, 31, v2
	v_lshlrev_b64 v[18:19], 2, v[2:3]
	v_mov_b32_e32 v3, s84
	v_add_co_u32_e64 v18, s[18:19], s62, v18
	v_addc_co_u32_e64 v19, s[18:19], v3, v19, s[18:19]
	global_load_dword v17, v[18:19], off
.LBB16_208:                             ;   in Loop: Header=BB16_206 Depth=2
	s_or_b64 exec, exec, s[50:51]
	s_and_saveexec_b64 s[18:19], vcc
	s_cbranch_execz .LBB16_205
; %bb.209:                              ;   in Loop: Header=BB16_206 Depth=2
	s_waitcnt vmcnt(0)
	v_xor_b32_e32 v3, 0x80000000, v17
	v_and_b32_e32 v3, s0, v3
	v_cmp_eq_u32_e32 vcc, s1, v3
	s_and_b64 exec, exec, vcc
	s_cbranch_execz .LBB16_205
; %bb.210:                              ;   in Loop: Header=BB16_206 Depth=2
	ds_write_b64 v9, v[16:17] offset:3072
	s_branch .LBB16_205
.LBB16_211:                             ;   in Loop: Header=BB16_8 Depth=1
                                        ; implicit-def: $sgpr18_sgpr19
                                        ; implicit-def: $sgpr46_sgpr47
                                        ; implicit-def: $sgpr44_sgpr45
	s_branch .LBB16_225
.LBB16_212:                             ;   in Loop: Header=BB16_8 Depth=1
	s_mov_b64 s[18:19], -1
	s_mov_b64 s[48:49], 0
                                        ; implicit-def: $sgpr44_sgpr45
                                        ; implicit-def: $vgpr19
	s_mov_b64 s[46:47], s[18:19]
	s_cbranch_execnz .LBB16_215
	s_branch .LBB16_225
.LBB16_213:                             ;   in Loop: Header=BB16_8 Depth=1
	s_or_b64 exec, exec, s[46:47]
	s_and_b64 s[48:49], s[48:49], exec
.LBB16_214:                             ;   in Loop: Header=BB16_8 Depth=1
	s_or_b64 exec, exec, s[44:45]
	s_mov_b64 s[44:45], -1
	s_mov_b64 s[18:19], 0
	s_mov_b64 s[46:47], s[18:19]
	s_branch .LBB16_225
.LBB16_215:                             ;   in Loop: Header=BB16_8 Depth=1
	v_readlane_b32 s7, v50, 9
	s_add_i32 s7, s6, s7
	s_abs_i32 s19, s7
	v_readlane_b32 s44, v50, 32
	s_mul_hi_u32 s44, s19, s44
	s_mul_i32 s44, s44, s33
	s_sub_i32 s19, s19, s44
	s_ashr_i32 s18, s7, 31
	s_sub_i32 s44, s19, s33
	s_cmp_ge_u32 s19, s33
	s_cselect_b32 s19, s44, s19
	s_sub_i32 s44, s19, s33
	s_cmp_ge_u32 s19, s33
	s_cselect_b32 s19, s44, s19
	s_xor_b32 s19, s19, s18
	s_sub_i32 s18, s18, s19
	s_add_i32 s7, s7, s18
	v_cmp_gt_i32_e32 vcc, s7, v0
	s_mov_b64 s[48:49], 0
                                        ; implicit-def: $vgpr19
	s_and_saveexec_b64 s[18:19], vcc
	s_cbranch_execz .LBB16_224
; %bb.216:                              ;   in Loop: Header=BB16_8 Depth=1
	s_mov_b64 s[44:45], 0
	v_mov_b32_e32 v2, v24
	v_mov_b32_e32 v3, v0
                                        ; implicit-def: $sgpr46_sgpr47
	s_branch .LBB16_218
.LBB16_217:                             ;   in Loop: Header=BB16_218 Depth=2
	s_or_b64 exec, exec, s[48:49]
	s_waitcnt lgkmcnt(0)
	s_barrier
	ds_read_b64 v[18:19], v9 offset:3072
	v_add_u32_e32 v3, s33, v3
	v_cmp_le_i32_e32 vcc, s7, v3
	v_add_u32_e32 v2, s85, v2
	s_waitcnt lgkmcnt(0)
	v_readfirstlane_b32 s48, v18
	s_cmp_lg_u32 s48, 0
	s_cselect_b64 s[48:49], -1, 0
	s_or_b64 s[50:51], vcc, s[48:49]
	s_and_b64 s[50:51], exec, s[50:51]
	s_or_b64 s[44:45], s[50:51], s[44:45]
	s_andn2_b64 s[46:47], s[46:47], exec
	s_and_b64 s[48:49], s[48:49], exec
	s_or_b64 s[46:47], s[46:47], s[48:49]
	s_barrier
	s_andn2_b64 exec, exec, s[44:45]
	s_cbranch_execz .LBB16_223
.LBB16_218:                             ;   Parent Loop BB16_8 Depth=1
                                        ; =>  This Inner Loop Header: Depth=2
	v_cmp_gt_i32_e32 vcc, s6, v3
	s_waitcnt vmcnt(0)
	v_mov_b32_e32 v17, 0
	s_and_saveexec_b64 s[48:49], vcc
	s_cbranch_execz .LBB16_220
; %bb.219:                              ;   in Loop: Header=BB16_218 Depth=2
	ds_read_b32 v17, v2
.LBB16_220:                             ;   in Loop: Header=BB16_218 Depth=2
	s_or_b64 exec, exec, s[48:49]
	s_and_saveexec_b64 s[48:49], vcc
	s_cbranch_execz .LBB16_217
; %bb.221:                              ;   in Loop: Header=BB16_218 Depth=2
	s_waitcnt lgkmcnt(0)
	v_xor_b32_e32 v4, 0x80000000, v17
	v_and_b32_e32 v4, s0, v4
	v_cmp_eq_u32_e32 vcc, s1, v4
	s_and_b64 exec, exec, vcc
	s_cbranch_execz .LBB16_217
; %bb.222:                              ;   in Loop: Header=BB16_218 Depth=2
	ds_write_b64 v9, v[16:17] offset:3072
	s_branch .LBB16_217
.LBB16_223:                             ;   in Loop: Header=BB16_8 Depth=1
	s_or_b64 exec, exec, s[44:45]
	s_and_b64 s[48:49], s[46:47], exec
.LBB16_224:                             ;   in Loop: Header=BB16_8 Depth=1
	s_or_b64 exec, exec, s[18:19]
	s_mov_b64 s[46:47], -1
	s_mov_b64 s[18:19], 0
	s_mov_b64 s[44:45], 0
.LBB16_225:                             ;   in Loop: Header=BB16_8 Depth=1
	s_mov_b64 s[52:53], 0
                                        ; implicit-def: $sgpr57
	s_and_saveexec_b64 s[50:51], s[48:49]
	s_cbranch_execz .LBB16_239
; %bb.226:                              ;   in Loop: Header=BB16_8 Depth=1
	s_xor_b64 s[6:7], s[42:43], -1
	s_andn2_b64 vcc, exec, s[6:7]
	s_mov_b32 s57, 1
	s_cbranch_vccnz .LBB16_233
; %bb.227:                              ;   in Loop: Header=BB16_8 Depth=1
	s_cmp_gt_i32 s56, s54
	s_cbranch_scc1 .LBB16_234
; %bb.228:                              ;   in Loop: Header=BB16_8 Depth=1
	ds_read_b32 v2, v9 offset:4096
	s_waitcnt lgkmcnt(0)
	v_cmp_ne_u32_e32 vcc, 0, v2
	s_cbranch_vccnz .LBB16_232
; %bb.229:                              ;   in Loop: Header=BB16_8 Depth=1
	s_mov_b64 s[42:43], exec
	v_readlane_b32 s6, v50, 4
	v_readlane_b32 s7, v50, 5
	s_and_b64 s[6:7], s[42:43], s[6:7]
	s_mov_b64 exec, s[6:7]
	s_cbranch_execz .LBB16_231
; %bb.230:                              ;   in Loop: Header=BB16_8 Depth=1
	v_mov_b32_e32 v2, s54
	ds_write_b32 v9, v2 offset:4100
.LBB16_231:                             ;   in Loop: Header=BB16_8 Depth=1
	s_or_b64 exec, exec, s[42:43]
	s_waitcnt lgkmcnt(0)
	s_barrier
.LBB16_232:                             ;   in Loop: Header=BB16_8 Depth=1
	s_or_b32 s6, s1, s55
	s_or_b32 s7, s0, s55
	s_mov_b64 s[42:43], 0
	s_mov_b32 s57, 8
	s_branch .LBB16_235
.LBB16_233:                             ;   in Loop: Header=BB16_8 Depth=1
	s_mov_b32 s56, 1
	s_branch .LBB16_238
.LBB16_234:                             ;   in Loop: Header=BB16_8 Depth=1
	s_mov_b64 s[42:43], -1
                                        ; implicit-def: $sgpr57
                                        ; implicit-def: $sgpr6
                                        ; implicit-def: $sgpr7
.LBB16_235:                             ;   in Loop: Header=BB16_8 Depth=1
	s_andn2_b64 vcc, exec, s[42:43]
	s_cbranch_vccnz .LBB16_237
; %bb.236:                              ;   in Loop: Header=BB16_8 Depth=1
	s_sub_i32 s56, s56, s54
	s_mov_b32 s57, 8
	s_mov_b32 s6, s1
	;; [unrolled: 1-line block ×3, first 2 shown]
.LBB16_237:                             ;   in Loop: Header=BB16_8 Depth=1
	s_mov_b32 s1, s6
	s_mov_b32 s0, s7
.LBB16_238:                             ;   in Loop: Header=BB16_8 Depth=1
	s_mov_b64 s[52:53], exec
.LBB16_239:                             ;   in Loop: Header=BB16_8 Depth=1
	s_or_b64 exec, exec, s[50:51]
.LBB16_240:                             ;   in Loop: Header=BB16_8 Depth=1
	s_andn2_b64 s[6:7], s[34:35], exec
	s_and_b64 s[18:19], s[18:19], exec
	s_or_b64 s[34:35], s[6:7], s[18:19]
	s_andn2_b64 s[6:7], s[38:39], exec
	s_and_b64 s[18:19], s[46:47], exec
	s_or_b64 s[38:39], s[6:7], s[18:19]
	;; [unrolled: 3-line block ×3, first 2 shown]
	s_and_b64 s[44:45], s[52:53], exec
	s_mov_b32 s49, s56
.LBB16_241:                             ;   in Loop: Header=BB16_8 Depth=1
	s_or_b64 exec, exec, s[40:41]
.LBB16_242:                             ;   in Loop: Header=BB16_8 Depth=1
	s_andn2_b64 s[6:7], s[26:27], exec
	s_and_b64 s[18:19], s[34:35], exec
	s_or_b64 s[26:27], s[6:7], s[18:19]
	s_andn2_b64 s[6:7], s[28:29], exec
	s_and_b64 s[18:19], s[38:39], exec
	s_or_b64 s[28:29], s[6:7], s[18:19]
	;; [unrolled: 3-line block ×3, first 2 shown]
	s_and_b64 s[36:37], s[44:45], exec
	s_mov_b32 s39, s49
.LBB16_243:                             ;   in Loop: Header=BB16_8 Depth=1
	s_or_b64 exec, exec, s[30:31]
	s_and_saveexec_b64 s[6:7], s[36:37]
	s_xor_b64 s[18:19], exec, s[6:7]
	s_cbranch_execz .LBB16_6
.LBB16_244:                             ;   in Loop: Header=BB16_8 Depth=1
	s_and_b32 s6, s57, -9
	s_cmp_eq_u32 s6, 0
	s_cbranch_scc1 .LBB16_4
; %bb.245:                              ;   in Loop: Header=BB16_8 Depth=1
	s_mov_b64 s[22:23], -1
                                        ; implicit-def: $sgpr0
                                        ; implicit-def: $sgpr39
                                        ; implicit-def: $sgpr77
                                        ; implicit-def: $sgpr8
	s_mov_b64 s[30:31], -1
	s_branch .LBB16_5
.LBB16_246:
	s_or_b64 exec, exec, s[86:87]
	s_xor_b64 s[8:9], s[92:93], -1
	s_xor_b64 s[0:1], s[88:89], -1
	;; [unrolled: 1-line block ×3, first 2 shown]
	s_mov_b64 s[4:5], 0
	s_and_saveexec_b64 s[2:3], s[0:1]
	s_xor_b64 s[2:3], exec, s[2:3]
	s_cbranch_execnz .LBB16_251
; %bb.247:
	s_andn2_saveexec_b64 s[0:1], s[2:3]
	s_cbranch_execnz .LBB16_271
.LBB16_248:
	s_or_b64 exec, exec, s[0:1]
	s_and_saveexec_b64 s[0:1], s[4:5]
.LBB16_249:
	; divergent unreachable
.LBB16_250:
	s_endpgm
.LBB16_251:
	s_and_saveexec_b64 s[0:1], s[8:9]
	s_xor_b64 s[4:5], exec, s[0:1]
	s_cbranch_execz .LBB16_269
; %bb.252:
	s_and_saveexec_b64 s[0:1], s[6:7]
	s_xor_b64 s[6:7], exec, s[0:1]
; %bb.253:
	v_xor_b32_e32 v19, 0x80000000, v2
; %bb.254:
	s_or_b64 exec, exec, s[6:7]
	s_mov_b64 s[6:7], exec
	v_readlane_b32 s0, v50, 4
	v_readlane_b32 s1, v50, 5
	s_and_b64 s[0:1], s[6:7], s[0:1]
	s_mov_b64 exec, s[0:1]
	s_cbranch_execz .LBB16_256
; %bb.255:
	v_mov_b32_e32 v1, 0
	v_mov_b32_e32 v2, s60
	ds_write_b32 v1, v2 offset:4108
.LBB16_256:
	s_or_b64 exec, exec, s[6:7]
	v_mov_b32_e32 v1, 0
	s_waitcnt lgkmcnt(0)
	s_barrier
	ds_read_b32 v1, v1 offset:4108
	s_waitcnt lgkmcnt(0)
	v_min_i32_e32 v1, s60, v1
	v_cmp_lt_i32_e32 vcc, v0, v1
	s_and_saveexec_b64 s[6:7], vcc
	s_cbranch_execz .LBB16_266
; %bb.257:
	s_mov_b64 s[8:9], 0
	v_mov_b32_e32 v3, s84
                                        ; implicit-def: $sgpr10_sgpr11
                                        ; implicit-def: $sgpr14_sgpr15
                                        ; implicit-def: $sgpr12_sgpr13
	s_branch .LBB16_259
.LBB16_258:                             ;   in Loop: Header=BB16_259 Depth=1
	s_or_b64 exec, exec, s[16:17]
	s_and_b64 s[0:1], exec, s[14:15]
	s_or_b64 s[8:9], s[0:1], s[8:9]
	s_andn2_b64 s[0:1], s[10:11], exec
	s_and_b64 s[10:11], s[12:13], exec
	s_or_b64 s[10:11], s[0:1], s[10:11]
	s_andn2_b64 exec, exec, s[8:9]
	s_cbranch_execz .LBB16_261
.LBB16_259:                             ; =>This Inner Loop Header: Depth=1
	v_ashrrev_i32_e32 v7, 31, v6
	v_lshlrev_b64 v[4:5], 2, v[6:7]
	v_add_co_u32_e32 v4, vcc, s62, v4
	v_addc_co_u32_e32 v5, vcc, v3, v5, vcc
	global_load_dword v4, v[4:5], off
	v_mov_b32_e32 v2, v0
	s_or_b64 s[12:13], s[12:13], exec
	s_or_b64 s[14:15], s[14:15], exec
                                        ; implicit-def: $vgpr0
	s_waitcnt vmcnt(0)
	v_cmp_ne_u32_e32 vcc, v4, v19
	s_and_saveexec_b64 s[16:17], vcc
	s_cbranch_execz .LBB16_258
; %bb.260:                              ;   in Loop: Header=BB16_259 Depth=1
	v_add_u32_e32 v0, s33, v2
	v_cmp_ge_i32_e32 vcc, v0, v1
	s_andn2_b64 s[0:1], s[14:15], exec
	s_and_b64 s[14:15], vcc, exec
	v_add_u32_e32 v6, s76, v6
	s_andn2_b64 s[12:13], s[12:13], exec
	s_or_b64 s[14:15], s[0:1], s[14:15]
	s_branch .LBB16_258
.LBB16_261:
	s_or_b64 exec, exec, s[8:9]
	s_and_saveexec_b64 s[0:1], s[10:11]
	s_xor_b64 s[0:1], exec, s[0:1]
	s_cbranch_execz .LBB16_266
; %bb.262:
	s_mov_b64 s[8:9], exec
	s_brev_b32 s0, -2
.LBB16_263:                             ; =>This Inner Loop Header: Depth=1
	s_ff1_i32_b64 s1, s[8:9]
	v_readlane_b32 s12, v2, s1
	s_lshl_b64 s[10:11], 1, s1
	s_min_i32 s0, s0, s12
	s_andn2_b64 s[8:9], s[8:9], s[10:11]
	s_cmp_lg_u64 s[8:9], 0
	s_cbranch_scc1 .LBB16_263
; %bb.264:
	v_mbcnt_lo_u32_b32 v0, exec_lo, 0
	v_mbcnt_hi_u32_b32 v0, exec_hi, v0
	v_cmp_eq_u32_e32 vcc, 0, v0
	s_and_saveexec_b64 s[8:9], vcc
	s_xor_b64 s[8:9], exec, s[8:9]
	s_cbranch_execz .LBB16_266
; %bb.265:
	v_mov_b32_e32 v0, 0
	v_mov_b32_e32 v1, s0
	ds_min_i32 v0, v1 offset:4108
.LBB16_266:
	s_or_b64 exec, exec, s[6:7]
	s_waitcnt lgkmcnt(0)
	s_barrier
	s_mov_b64 s[6:7], exec
	v_readlane_b32 s0, v50, 4
	v_readlane_b32 s1, v50, 5
	s_and_b64 s[0:1], s[6:7], s[0:1]
	s_mov_b64 exec, s[0:1]
	s_cbranch_execz .LBB16_268
; %bb.267:
	v_readlane_b32 s1, v50, 8
	v_readlane_b32 s0, v50, 7
	s_mul_i32 s0, s0, s1
	v_readlane_b32 s8, v50, 6
	s_mul_i32 s8, s8, s1
	s_ashr_i32 s1, s0, 31
	v_mov_b32_e32 v2, 0
	s_lshl_b64 s[0:1], s[0:1], 2
	v_readlane_b32 s10, v50, 2
	ds_read_b32 v0, v2 offset:4108
	v_readlane_b32 s11, v50, 3
	s_add_u32 s0, s10, s0
	s_addc_u32 s1, s11, s1
	s_ashr_i32 s9, s8, 31
	s_lshl_b64 s[8:9], s[8:9], 3
	v_readlane_b32 s10, v50, 0
	v_readlane_b32 s11, v50, 1
	s_add_u32 s8, s10, s8
	s_addc_u32 s9, s11, s9
	s_waitcnt lgkmcnt(0)
	v_ashrrev_i32_e32 v1, 31, v0
	global_store_dwordx2 v2, v[0:1], s[8:9]
	global_store_dword v2, v19, s[0:1]
.LBB16_268:
	s_or_b64 exec, exec, s[6:7]
.LBB16_269:
	s_or_saveexec_b64 s[0:1], s[4:5]
	s_mov_b64 s[4:5], 0
	s_xor_b64 exec, exec, s[0:1]
	s_cbranch_execnz .LBB16_272
.LBB16_270:
	s_or_b64 exec, exec, s[0:1]
	s_and_b64 s[4:5], s[4:5], exec
	s_andn2_saveexec_b64 s[0:1], s[2:3]
	s_cbranch_execz .LBB16_248
.LBB16_271:
	s_or_b64 s[4:5], s[4:5], exec
	s_trap 2
	s_or_b64 exec, exec, s[0:1]
	s_and_saveexec_b64 s[0:1], s[4:5]
	s_cbranch_execnz .LBB16_249
	s_branch .LBB16_250
.LBB16_272:
	s_mov_b64 s[4:5], exec
	s_trap 2
	s_branch .LBB16_270
	.section	.rodata,"a",@progbits
	.p2align	6, 0x0
	.amdhsa_kernel _ZN2at6native12_GLOBAL__N_114gatherKthValueIiiLi1EEEvNS_4cuda6detail10TensorInfoIKT_T0_EES8_S8_S8_S8_NS5_IS6_S8_EENS5_IlS8_EE
		.amdhsa_group_segment_fixed_size 4112
		.amdhsa_private_segment_fixed_size 0
		.amdhsa_kernarg_size 920
		.amdhsa_user_sgpr_count 6
		.amdhsa_user_sgpr_private_segment_buffer 1
		.amdhsa_user_sgpr_dispatch_ptr 0
		.amdhsa_user_sgpr_queue_ptr 0
		.amdhsa_user_sgpr_kernarg_segment_ptr 1
		.amdhsa_user_sgpr_dispatch_id 0
		.amdhsa_user_sgpr_flat_scratch_init 0
		.amdhsa_user_sgpr_kernarg_preload_length 0
		.amdhsa_user_sgpr_kernarg_preload_offset 0
		.amdhsa_user_sgpr_private_segment_size 0
		.amdhsa_uses_dynamic_stack 0
		.amdhsa_system_sgpr_private_segment_wavefront_offset 0
		.amdhsa_system_sgpr_workgroup_id_x 1
		.amdhsa_system_sgpr_workgroup_id_y 1
		.amdhsa_system_sgpr_workgroup_id_z 1
		.amdhsa_system_sgpr_workgroup_info 0
		.amdhsa_system_vgpr_workitem_id 0
		.amdhsa_next_free_vgpr 51
		.amdhsa_next_free_sgpr 96
		.amdhsa_accum_offset 52
		.amdhsa_reserve_vcc 1
		.amdhsa_reserve_flat_scratch 0
		.amdhsa_float_round_mode_32 0
		.amdhsa_float_round_mode_16_64 0
		.amdhsa_float_denorm_mode_32 3
		.amdhsa_float_denorm_mode_16_64 3
		.amdhsa_dx10_clamp 1
		.amdhsa_ieee_mode 1
		.amdhsa_fp16_overflow 0
		.amdhsa_tg_split 0
		.amdhsa_exception_fp_ieee_invalid_op 0
		.amdhsa_exception_fp_denorm_src 0
		.amdhsa_exception_fp_ieee_div_zero 0
		.amdhsa_exception_fp_ieee_overflow 0
		.amdhsa_exception_fp_ieee_underflow 0
		.amdhsa_exception_fp_ieee_inexact 0
		.amdhsa_exception_int_div_zero 0
	.end_amdhsa_kernel
	.section	.text._ZN2at6native12_GLOBAL__N_114gatherKthValueIiiLi1EEEvNS_4cuda6detail10TensorInfoIKT_T0_EES8_S8_S8_S8_NS5_IS6_S8_EENS5_IlS8_EE,"axG",@progbits,_ZN2at6native12_GLOBAL__N_114gatherKthValueIiiLi1EEEvNS_4cuda6detail10TensorInfoIKT_T0_EES8_S8_S8_S8_NS5_IS6_S8_EENS5_IlS8_EE,comdat
.Lfunc_end16:
	.size	_ZN2at6native12_GLOBAL__N_114gatherKthValueIiiLi1EEEvNS_4cuda6detail10TensorInfoIKT_T0_EES8_S8_S8_S8_NS5_IS6_S8_EENS5_IlS8_EE, .Lfunc_end16-_ZN2at6native12_GLOBAL__N_114gatherKthValueIiiLi1EEEvNS_4cuda6detail10TensorInfoIKT_T0_EES8_S8_S8_S8_NS5_IS6_S8_EENS5_IlS8_EE
                                        ; -- End function
	.section	.AMDGPU.csdata,"",@progbits
; Kernel info:
; codeLenInByte = 9800
; NumSgprs: 100
; NumVgprs: 51
; NumAgprs: 0
; TotalNumVgprs: 51
; ScratchSize: 0
; MemoryBound: 0
; FloatMode: 240
; IeeeMode: 1
; LDSByteSize: 4112 bytes/workgroup (compile time only)
; SGPRBlocks: 12
; VGPRBlocks: 6
; NumSGPRsForWavesPerEU: 100
; NumVGPRsForWavesPerEU: 51
; AccumOffset: 52
; Occupancy: 8
; WaveLimiterHint : 1
; COMPUTE_PGM_RSRC2:SCRATCH_EN: 0
; COMPUTE_PGM_RSRC2:USER_SGPR: 6
; COMPUTE_PGM_RSRC2:TRAP_HANDLER: 0
; COMPUTE_PGM_RSRC2:TGID_X_EN: 1
; COMPUTE_PGM_RSRC2:TGID_Y_EN: 1
; COMPUTE_PGM_RSRC2:TGID_Z_EN: 1
; COMPUTE_PGM_RSRC2:TIDIG_COMP_CNT: 0
; COMPUTE_PGM_RSRC3_GFX90A:ACCUM_OFFSET: 12
; COMPUTE_PGM_RSRC3_GFX90A:TG_SPLIT: 0
	.section	.text._ZN2at6native12_GLOBAL__N_114gatherKthValueIiiLi2EEEvNS_4cuda6detail10TensorInfoIKT_T0_EES8_S8_S8_S8_NS5_IS6_S8_EENS5_IlS8_EE,"axG",@progbits,_ZN2at6native12_GLOBAL__N_114gatherKthValueIiiLi2EEEvNS_4cuda6detail10TensorInfoIKT_T0_EES8_S8_S8_S8_NS5_IS6_S8_EENS5_IlS8_EE,comdat
	.globl	_ZN2at6native12_GLOBAL__N_114gatherKthValueIiiLi2EEEvNS_4cuda6detail10TensorInfoIKT_T0_EES8_S8_S8_S8_NS5_IS6_S8_EENS5_IlS8_EE ; -- Begin function _ZN2at6native12_GLOBAL__N_114gatherKthValueIiiLi2EEEvNS_4cuda6detail10TensorInfoIKT_T0_EES8_S8_S8_S8_NS5_IS6_S8_EENS5_IlS8_EE
	.p2align	8
	.type	_ZN2at6native12_GLOBAL__N_114gatherKthValueIiiLi2EEEvNS_4cuda6detail10TensorInfoIKT_T0_EES8_S8_S8_S8_NS5_IS6_S8_EENS5_IlS8_EE,@function
_ZN2at6native12_GLOBAL__N_114gatherKthValueIiiLi2EEEvNS_4cuda6detail10TensorInfoIKT_T0_EES8_S8_S8_S8_NS5_IS6_S8_EENS5_IlS8_EE: ; @_ZN2at6native12_GLOBAL__N_114gatherKthValueIiiLi2EEEvNS_4cuda6detail10TensorInfoIKT_T0_EES8_S8_S8_S8_NS5_IS6_S8_EENS5_IlS8_EE
; %bb.0:
	s_load_dwordx2 s[12:13], s[4:5], 0x298
	s_load_dwordx4 s[60:63], s[4:5], 0xd8
	s_add_u32 s10, s4, 0x298
	s_addc_u32 s11, s5, 0
	s_waitcnt lgkmcnt(0)
	s_mul_i32 s0, s13, s8
	s_add_i32 s0, s0, s7
	s_mul_i32 s0, s0, s12
	s_add_i32 s16, s0, s6
	s_cmp_ge_i32 s16, s62
	s_cbranch_scc1 .LBB17_250
; %bb.1:
	s_load_dword s0, s[4:5], 0xc
	s_load_dwordx2 s[2:3], s[4:5], 0xe8
                                        ; implicit-def: $vgpr50 : SGPR spill to VGPR lane
                                        ; kill: killed $sgpr4 killed $sgpr5
	s_abs_i32 s19, s16
	s_ashr_i32 s18, s16, 31
	s_mov_b32 s72, 0
	s_waitcnt lgkmcnt(0)
	s_abs_i32 s1, s0
	v_writelane_b32 v50, s2, 0
	v_writelane_b32 v50, s3, 1
	s_load_dwordx2 s[8:9], s[4:5], 0x6c
	s_load_dwordx2 s[2:3], s[4:5], 0x0
	;; [unrolled: 1-line block ×3, first 2 shown]
	v_cvt_f32_u32_e32 v1, s1
	s_ashr_i32 s7, s0, 31
	s_load_dword s20, s[4:5], 0xf4
	s_waitcnt lgkmcnt(0)
	v_writelane_b32 v50, s14, 2
	v_writelane_b32 v50, s15, 3
	s_load_dword s17, s[4:5], 0x1cc
	s_load_dwordx2 s[14:15], s[4:5], 0x1c0
	v_rcp_iflag_f32_e32 v1, v1
	s_waitcnt lgkmcnt(0)
	v_writelane_b32 v50, s14, 4
	v_writelane_b32 v50, s15, 5
	s_load_dwordx2 s[14:15], s[4:5], 0x154
	v_mul_f32_e32 v1, 0x4f7ffffe, v1
	v_cvt_u32_f32_e32 v1, v1
	s_sub_i32 s4, 0, s1
	s_waitcnt lgkmcnt(0)
	v_writelane_b32 v50, s14, 6
	v_writelane_b32 v50, s15, 7
	s_abs_i32 s15, s20
	v_cvt_f32_u32_e32 v2, s15
	v_readfirstlane_b32 s5, v1
	s_abs_i32 s14, s17
	s_mul_i32 s4, s4, s5
	v_rcp_iflag_f32_e32 v1, v2
	v_cvt_f32_u32_e32 v2, s14
	s_mul_hi_u32 s4, s5, s4
	s_add_i32 s5, s5, s4
	v_mul_f32_e32 v1, 0x4f7ffffe, v1
	v_cvt_u32_f32_e32 v1, v1
	v_rcp_iflag_f32_e32 v2, v2
	s_mul_hi_u32 s13, s19, s5
	s_sub_i32 s4, 0, s15
	v_readfirstlane_b32 s5, v1
	v_mul_f32_e32 v1, 0x4f7ffffe, v2
	s_mul_i32 s4, s4, s5
	v_cvt_u32_f32_e32 v1, v1
	s_mul_hi_u32 s4, s5, s4
	s_add_i32 s5, s5, s4
	v_writelane_b32 v50, s15, 8
	s_mul_hi_u32 s4, s19, s5
	v_writelane_b32 v50, s4, 9
	s_sub_i32 s4, 0, s14
	v_readfirstlane_b32 s5, v1
	s_mul_i32 s4, s4, s5
	s_mul_hi_u32 s4, s5, s4
	s_add_i32 s5, s5, s4
	v_writelane_b32 v50, s14, 10
	s_mul_hi_u32 s4, s19, s5
	v_writelane_b32 v50, s4, 11
	v_cmp_eq_u32_e64 s[14:15], 0, v0
	s_mov_b64 s[4:5], exec
	v_writelane_b32 v50, s14, 12
	v_writelane_b32 v50, s15, 13
	s_and_b64 s[14:15], s[4:5], s[14:15]
	s_mov_b64 exec, s[14:15]
	s_cbranch_execz .LBB17_3
; %bb.2:
	v_mov_b32_e32 v2, 0
	v_mov_b32_e32 v3, s60
	;; [unrolled: 1-line block ×3, first 2 shown]
	ds_write_b96 v2, v[2:4] offset:4096
.LBB17_3:
	s_or_b64 exec, exec, s[4:5]
	v_writelane_b32 v50, s20, 14
	s_ashr_i32 s4, s20, 31
	v_writelane_b32 v50, s4, 15
	s_mul_i32 s5, s13, s1
	v_writelane_b32 v50, s17, 16
	s_ashr_i32 s4, s17, 31
	s_sub_i32 s5, s19, s5
	v_writelane_b32 v50, s4, 17
	s_xor_b32 s4, s18, s7
	s_add_i32 s7, s13, 1
	s_sub_i32 s14, s5, s1
	s_cmp_ge_u32 s5, s1
	s_cselect_b32 s7, s7, s13
	s_cselect_b32 s5, s14, s5
	s_add_i32 s13, s7, 1
	s_cmp_ge_u32 s5, s1
	s_cselect_b32 s1, s13, s7
	s_xor_b32 s1, s1, s4
	s_sub_i32 s1, s1, s4
	s_mul_i32 s0, s1, s0
	s_sub_i32 s0, s16, s0
	s_mul_i32 s0, s0, s9
	s_mul_i32 s1, s1, s8
	s_waitcnt lgkmcnt(0)
	s_barrier
	s_load_dword s4, s[10:11], 0xc
	s_add_i32 s0, s1, s0
	s_ashr_i32 s1, s0, 31
	s_lshl_b64 s[0:1], s[0:1], 2
	s_add_u32 s62, s2, s0
	v_mbcnt_lo_u32_b32 v1, -1, 0
	s_addc_u32 s89, s3, s1
	s_waitcnt lgkmcnt(0)
	s_and_b32 s88, s4, 0xffff
	v_mbcnt_hi_u32_b32 v13, -1, v1
	v_writelane_b32 v50, s18, 18
	v_cmp_gt_u32_e32 vcc, 64, v0
	v_cmp_gt_i32_e64 s[2:3], 4, v13
	s_add_i32 s0, s88, -1
	v_writelane_b32 v50, s19, 19
	s_lshl_b32 s33, s88, 2
	s_bfe_u32 s7, s4, 0xa0006
	s_and_b64 s[74:75], vcc, s[2:3]
	s_add_i32 s9, s0, s60
	v_writelane_b32 v50, s16, 20
	s_cmpk_gt_i32 s60, 0x300
	v_writelane_b32 v50, s0, 21
	s_cselect_b64 s[0:1], -1, 0
	v_writelane_b32 v50, s0, 22
	s_cmp_gt_u32 s88, 63
	v_writelane_b32 v50, s1, 23
	s_cselect_b64 s[0:1], -1, 0
	v_writelane_b32 v50, s0, 24
	s_cmp_lt_u32 s6, s12
	v_writelane_b32 v50, s1, 25
	s_cselect_b32 s0, 12, 18
	s_add_u32 s0, s10, s0
	s_addc_u32 s1, s11, 0
	v_writelane_b32 v50, s0, 26
	v_writelane_b32 v50, s1, 27
	s_add_i32 s0, s7, -2
	s_lshr_b32 s1, s0, 1
	v_mov_b32_e32 v9, 0
	s_add_i32 s1, s1, 1
	s_cmpk_gt_u32 s88, 0x7f
	v_mul_lo_u32 v6, v0, s63
	v_mov_b32_e32 v7, v9
	s_cselect_b64 s[2:3], -1, 0
	v_lshlrev_b64 v[2:3], 2, v[6:7]
	v_writelane_b32 v50, s2, 28
	v_mov_b32_e32 v7, s89
	v_add_co_u32_e32 v10, vcc, s62, v2
	v_writelane_b32 v50, s3, 29
	v_cmp_gt_u32_e64 s[10:11], s60, v0
	v_addc_co_u32_e32 v11, vcc, v7, v3, vcc
	v_lshlrev_b64 v[2:3], v13, -1
	v_writelane_b32 v50, s10, 30
	v_not_b32_e32 v12, v2
	v_cvt_f32_u32_e32 v2, s33
	v_writelane_b32 v50, s11, 31
	v_cmp_gt_i32_e64 s[10:11], s60, v0
	s_and_b32 s6, s7, 0x3fe
	s_and_b32 s8, s1, 7
	v_writelane_b32 v50, s10, 32
	s_cmp_gt_u32 s0, 13
	v_writelane_b32 v50, s11, 33
	s_cselect_b64 s[10:11], -1, 0
	v_writelane_b32 v50, s10, 34
	v_rcp_iflag_f32_e32 v2, v2
	v_writelane_b32 v50, s11, 35
	s_and_b32 s0, s1, -8
	v_writelane_b32 v50, s0, 36
	s_cmp_lg_u32 s8, 0
	v_writelane_b32 v50, s8, 37
	s_cselect_b64 s[0:1], -1, 0
	v_writelane_b32 v50, s0, 38
	v_mul_f32_e32 v2, 0x4f7ffffe, v2
	v_writelane_b32 v50, s1, 39
	v_cvt_u32_f32_e32 v2, v2
	v_writelane_b32 v50, s7, 40
	s_cmp_lg_u32 s6, s7
	v_writelane_b32 v50, s6, 41
	s_cselect_b64 s[0:1], -1, 0
	v_writelane_b32 v50, s0, 42
	v_writelane_b32 v50, s1, 43
	s_sub_i32 s0, 0, s33
	v_readfirstlane_b32 s1, v2
	s_mul_i32 s0, s0, s1
	s_mul_hi_u32 s0, s1, s0
	s_add_i32 s82, s1, s0
	s_mul_hi_u32 s0, s60, s82
	s_mul_i32 s0, s0, s33
	s_sub_i32 s0, s60, s0
	s_sub_i32 s1, s0, s33
	s_cmp_ge_u32 s0, s33
	s_cselect_b32 s0, s1, s0
	s_sub_i32 s1, s0, s33
	v_cvt_f32_u32_e32 v5, s88
	s_cmp_ge_u32 s0, s33
	s_cselect_b32 s0, s1, s0
	s_sub_i32 s83, s60, s0
	v_add_u32_e32 v28, s83, v0
	v_rcp_iflag_f32_e32 v5, v5
	v_lshrrev_b32_e32 v1, 4, v0
	v_mul_lo_u32 v2, v28, s63
	v_and_b32_e32 v26, 60, v1
	v_not_b32_e32 v1, v3
	v_ashrrev_i32_e32 v3, 31, v2
	v_lshlrev_b64 v[2:3], 2, v[2:3]
	v_add_co_u32_e32 v14, vcc, s62, v2
	v_mul_f32_e32 v2, 0x4f7ffffe, v5
	v_cvt_u32_f32_e32 v2, v2
	s_sub_i32 s7, 0, s88
	s_abs_i32 s6, s9
	s_ashr_i32 s1, s9, 31
	v_readfirstlane_b32 s8, v2
	s_mul_i32 s7, s7, s8
	s_mul_hi_u32 s7, s8, s7
	s_add_i32 s7, s8, s7
	v_writelane_b32 v50, s7, 44
	s_mul_hi_u32 s7, s6, s7
	s_mul_i32 s7, s7, s88
	s_sub_i32 s6, s6, s7
	s_sub_i32 s7, s6, s88
	s_cmp_ge_u32 s6, s88
	s_cselect_b32 s6, s7, s6
	s_sub_i32 s7, s6, s88
	s_cmp_ge_u32 s6, s88
	v_lshlrev_b32_e32 v24, 2, v0
	s_cselect_b32 s6, s7, s6
	s_xor_b32 s6, s6, s1
	v_mul_lo_u32 v2, s63, v24
	s_sub_i32 s1, s1, s6
	v_add_u32_e32 v29, s63, v2
	v_or_b32_e32 v2, 2, v24
	s_add_i32 s9, s9, s1
	v_mul_lo_u32 v30, s63, v2
	v_or_b32_e32 v2, 3, v24
	s_add_i32 s1, s88, s60
	v_mul_lo_u32 v31, s63, v2
	v_add_u32_e32 v2, s1, v0
	v_lshlrev_b32_e32 v4, 2, v13
	v_mov_b32_e32 v8, s89
	v_cmp_gt_i32_e64 s[6:7], s9, v0
	s_mul_i32 s80, s63, s88
	v_subrev_u32_e32 v2, s0, v2
	v_cmp_eq_u32_e64 s[2:3], 0, v13
	v_cmp_gt_u32_e64 s[4:5], 2, v0
	v_add_u32_e32 v25, 0xc00, v24
	v_and_b32_e32 v27, 0x100, v4
	v_cmp_gt_i32_e64 s[10:11], s83, v24
	v_cmp_gt_u32_e64 s[12:13], s60, v28
	v_addc_co_u32_e32 v15, vcc, v8, v3, vcc
	v_cmp_gt_i32_e64 s[14:15], s60, v28
	v_writelane_b32 v50, s6, 45
	s_lshl_b32 s16, s80, 2
	v_lshlrev_b32_e32 v32, 2, v6
	v_mul_lo_u32 v33, s63, v2
	v_lshlrev_b32_e32 v34, 4, v0
	s_lshl_b32 s17, s88, 4
	v_or_b32_e32 v35, 0xc00, v4
	s_mov_b32 s81, 30
	s_mov_b64 s[90:91], 0
	v_mov_b32_e32 v16, 1
	v_mov_b32_e32 v36, 0xc00
	;; [unrolled: 1-line block ×3, first 2 shown]
	s_mov_b32 s8, 0
	s_mov_b32 s1, 0
	;; [unrolled: 1-line block ×3, first 2 shown]
	v_writelane_b32 v50, s7, 46
                                        ; implicit-def: $sgpr92_sgpr93
                                        ; implicit-def: $sgpr64_sgpr65
                                        ; implicit-def: $sgpr94_sgpr95
                                        ; implicit-def: $sgpr66_sgpr67
                                        ; implicit-def: $sgpr68_sgpr69
                                        ; implicit-def: $sgpr70_sgpr71
	s_branch .LBB17_8
.LBB17_4:                               ;   in Loop: Header=BB17_8 Depth=1
	s_xor_b32 s8, s8, 1
	s_add_i32 s6, s81, -2
	s_cmp_eq_u32 s81, 0
	s_mov_b64 s[22:23], 0
	s_cselect_b64 s[30:31], -1, 0
	s_mov_b32 s81, s6
.LBB17_5:                               ;   in Loop: Header=BB17_8 Depth=1
	s_andn2_b64 s[6:7], s[26:27], exec
	s_and_b64 s[22:23], s[22:23], exec
	s_or_b64 s[26:27], s[6:7], s[22:23]
	s_andn2_b64 s[28:29], s[28:29], exec
	s_andn2_b64 s[24:25], s[24:25], exec
	s_orn2_b64 s[22:23], s[30:31], exec
	s_mov_b32 s61, s39
.LBB17_6:                               ;   in Loop: Header=BB17_8 Depth=1
	s_or_b64 exec, exec, s[18:19]
	s_andn2_b64 s[6:7], s[70:71], exec
	s_and_b64 s[18:19], s[26:27], exec
	s_or_b64 s[70:71], s[6:7], s[18:19]
	s_andn2_b64 s[6:7], s[68:69], exec
	s_and_b64 s[18:19], s[28:29], exec
	s_or_b64 s[68:69], s[6:7], s[18:19]
	;; [unrolled: 3-line block ×3, first 2 shown]
	s_orn2_b64 s[22:23], s[22:23], exec
.LBB17_7:                               ;   in Loop: Header=BB17_8 Depth=1
	s_or_b64 exec, exec, s[20:21]
	s_and_b64 s[6:7], exec, s[22:23]
	s_or_b64 s[90:91], s[6:7], s[90:91]
	s_andn2_b64 s[6:7], s[94:95], exec
	s_and_b64 s[18:19], s[70:71], exec
	s_or_b64 s[94:95], s[6:7], s[18:19]
	s_andn2_b64 s[6:7], s[64:65], exec
	s_and_b64 s[18:19], s[68:69], exec
	;; [unrolled: 3-line block ×3, first 2 shown]
	v_mov_b32_e32 v2, s1
	s_or_b64 s[92:93], s[6:7], s[18:19]
	s_andn2_b64 exec, exec, s[90:91]
	s_cbranch_execz .LBB17_246
.LBB17_8:                               ; =>This Loop Header: Depth=1
                                        ;     Child Loop BB17_16 Depth 2
                                        ;     Child Loop BB17_35 Depth 2
	;; [unrolled: 1-line block ×17, first 2 shown]
	ds_read_b64 v[2:3], v9 offset:4096
	s_waitcnt lgkmcnt(0)
	v_readfirstlane_b32 s73, v2
	s_cmp_gt_i32 s73, 0
	s_cbranch_scc1 .LBB17_42
; %bb.9:                                ;   in Loop: Header=BB17_8 Depth=1
	v_readlane_b32 s6, v50, 22
	v_readlane_b32 s7, v50, 23
	s_and_b64 vcc, exec, s[6:7]
	s_cbranch_vccz .LBB17_24
; %bb.10:                               ;   in Loop: Header=BB17_8 Depth=1
	s_movk_i32 s6, 0x301
	v_cmp_gt_i32_e32 vcc, s6, v3
	s_mov_b64 s[20:21], 0
	s_mov_b64 s[18:19], 0
	s_cbranch_vccz .LBB17_29
; %bb.11:                               ;   in Loop: Header=BB17_8 Depth=1
	v_mov_b32_e32 v2, 0
	s_mov_b64 s[18:19], exec
	v_readlane_b32 s6, v50, 30
	v_readlane_b32 s7, v50, 31
	s_and_b64 s[6:7], s[18:19], s[6:7]
	s_mov_b64 exec, s[6:7]
	s_cbranch_execz .LBB17_13
; %bb.12:                               ;   in Loop: Header=BB17_8 Depth=1
	global_load_dword v2, v[10:11], off
.LBB17_13:                              ;   in Loop: Header=BB17_8 Depth=1
	s_or_b64 exec, exec, s[18:19]
	s_mov_b64 s[22:23], exec
	v_readlane_b32 s6, v50, 30
	v_readlane_b32 s7, v50, 31
	s_and_b64 s[6:7], s[22:23], s[6:7]
	s_mov_b64 exec, s[6:7]
	s_cbranch_execz .LBB17_25
; %bb.14:                               ;   in Loop: Header=BB17_8 Depth=1
	v_readlane_b32 s6, v50, 26
	v_readlane_b32 s7, v50, 27
	s_mov_b64 s[24:25], 0
	s_nop 3
	global_load_ushort v3, v9, s[6:7]
	s_waitcnt vmcnt(0)
	v_add_u32_e32 v5, v0, v3
	v_mul_lo_u32 v4, s63, v3
	v_mul_lo_u32 v8, s63, v5
	v_mov_b32_e32 v5, v0
	s_branch .LBB17_16
.LBB17_15:                              ;   in Loop: Header=BB17_16 Depth=2
	s_or_b64 exec, exec, s[18:19]
	v_cmp_le_i32_e32 vcc, s60, v5
	v_add_u32_e32 v8, v8, v4
	s_or_b64 s[24:25], vcc, s[24:25]
	s_waitcnt vmcnt(0)
	v_mov_b32_e32 v2, v17
	s_andn2_b64 exec, exec, s[24:25]
	s_cbranch_execz .LBB17_25
.LBB17_16:                              ;   Parent Loop BB17_8 Depth=1
                                        ; =>  This Inner Loop Header: Depth=2
	v_add_u32_e32 v5, v5, v3
	v_cmp_gt_u32_e32 vcc, s60, v5
	s_waitcnt lgkmcnt(0)
	v_mov_b32_e32 v18, 0
	v_mov_b32_e32 v17, 0
	s_and_saveexec_b64 s[18:19], vcc
	s_cbranch_execz .LBB17_18
; %bb.17:                               ;   in Loop: Header=BB17_16 Depth=2
	v_lshlrev_b64 v[20:21], 2, v[8:9]
	v_add_co_u32_e32 v20, vcc, s62, v20
	v_addc_co_u32_e32 v21, vcc, v7, v21, vcc
	global_load_dword v17, v[20:21], off
.LBB17_18:                              ;   in Loop: Header=BB17_16 Depth=2
	s_or_b64 exec, exec, s[18:19]
	v_xor_b32_e32 v20, 0x80000000, v2
	v_and_b32_e32 v20, s0, v20
	v_cmp_eq_u32_e32 vcc, s1, v20
	s_cmp_lg_u64 vcc, 0
	s_cselect_b64 s[6:7], -1, 0
	s_and_b64 s[6:7], s[2:3], s[6:7]
	s_and_saveexec_b64 s[26:27], s[6:7]
	s_cbranch_execz .LBB17_22
; %bb.19:                               ;   in Loop: Header=BB17_16 Depth=2
	s_mov_b64 s[30:31], exec
	v_mbcnt_lo_u32_b32 v18, s30, 0
	v_mbcnt_hi_u32_b32 v18, s31, v18
	s_bcnt1_i32_b64 s6, vcc
	v_cmp_eq_u32_e64 s[18:19], 0, v18
                                        ; implicit-def: $vgpr20
	s_and_saveexec_b64 s[28:29], s[18:19]
	s_cbranch_execz .LBB17_21
; %bb.20:                               ;   in Loop: Header=BB17_16 Depth=2
	s_bcnt1_i32_b64 s7, s[30:31]
	s_mul_i32 s7, s6, s7
	v_mov_b32_e32 v20, s7
	ds_add_rtn_u32 v20, v9, v20 offset:4104
.LBB17_21:                              ;   in Loop: Header=BB17_16 Depth=2
	s_or_b64 exec, exec, s[28:29]
	s_waitcnt lgkmcnt(0)
	v_readfirstlane_b32 s7, v20
	v_mov_b32_e32 v20, s7
	v_mad_u32_u24 v18, s6, v18, v20
.LBB17_22:                              ;   in Loop: Header=BB17_16 Depth=2
	s_or_b64 exec, exec, s[26:27]
	ds_bpermute_b32 v18, v27, v18
	s_and_saveexec_b64 s[18:19], vcc
	s_cbranch_execz .LBB17_15
; %bb.23:                               ;   in Loop: Header=BB17_16 Depth=2
	v_and_b32_e32 v21, vcc_lo, v12
	v_and_b32_e32 v20, vcc_hi, v1
	v_bcnt_u32_b32 v21, v21, 0
	v_bcnt_u32_b32 v20, v20, v21
	v_lshlrev_b32_e32 v20, 2, v20
	s_waitcnt lgkmcnt(0)
	v_lshl_add_u32 v18, v18, 2, v20
	ds_write_b32 v18, v2
	s_branch .LBB17_15
.LBB17_24:                              ;   in Loop: Header=BB17_8 Depth=1
	s_mov_b64 s[20:21], -1
	s_mov_b64 s[18:19], 0
	s_branch .LBB17_28
.LBB17_25:                              ;   in Loop: Header=BB17_8 Depth=1
	s_or_b64 exec, exec, s[22:23]
	s_waitcnt lgkmcnt(0)
	s_barrier
	s_mov_b64 s[18:19], exec
	v_readlane_b32 s6, v50, 12
	v_readlane_b32 s7, v50, 13
	s_and_b64 s[6:7], s[18:19], s[6:7]
	s_mov_b64 exec, s[6:7]
	s_cbranch_execz .LBB17_27
; %bb.26:                               ;   in Loop: Header=BB17_8 Depth=1
	s_waitcnt vmcnt(0)
	ds_read_b32 v2, v9 offset:4104
	s_waitcnt lgkmcnt(0)
	ds_write_b32 v9, v2 offset:4096
.LBB17_27:                              ;   in Loop: Header=BB17_8 Depth=1
	s_or_b64 exec, exec, s[18:19]
	s_waitcnt lgkmcnt(0)
	s_barrier
	s_mov_b64 s[18:19], -1
.LBB17_28:                              ;   in Loop: Header=BB17_8 Depth=1
                                        ; implicit-def: $sgpr73
.LBB17_29:                              ;   in Loop: Header=BB17_8 Depth=1
	s_and_b64 vcc, exec, s[20:21]
	s_cbranch_vccz .LBB17_40
; %bb.30:                               ;   in Loop: Header=BB17_8 Depth=1
	s_waitcnt vmcnt(0)
	v_mov_b32_e32 v2, 0
	s_mov_b64 s[18:19], exec
	v_readlane_b32 s6, v50, 30
	v_readlane_b32 s7, v50, 31
	s_and_b64 s[6:7], s[18:19], s[6:7]
	s_mov_b64 exec, s[6:7]
	s_cbranch_execz .LBB17_32
; %bb.31:                               ;   in Loop: Header=BB17_8 Depth=1
	global_load_dword v2, v[10:11], off
.LBB17_32:                              ;   in Loop: Header=BB17_8 Depth=1
	s_or_b64 exec, exec, s[18:19]
	s_mov_b64 s[18:19], exec
	v_readlane_b32 s6, v50, 32
	v_readlane_b32 s7, v50, 33
	s_and_b64 s[6:7], s[18:19], s[6:7]
	s_mov_b64 exec, s[6:7]
	s_cbranch_execz .LBB17_37
; %bb.33:                               ;   in Loop: Header=BB17_8 Depth=1
	v_readlane_b32 s6, v50, 26
	v_readlane_b32 s7, v50, 27
	s_mov_b64 s[20:21], 0
	v_mov_b32_e32 v4, v24
	v_mov_b32_e32 v18, v0
	s_nop 1
	global_load_ushort v3, v9, s[6:7]
	s_waitcnt vmcnt(0)
	v_add_u32_e32 v8, v0, v3
	v_lshlrev_b32_e32 v5, 2, v3
	v_mul_lo_u32 v17, s63, v3
	v_mul_lo_u32 v8, s63, v8
	s_branch .LBB17_35
.LBB17_34:                              ;   in Loop: Header=BB17_35 Depth=2
	s_or_b64 exec, exec, s[22:23]
	v_cmp_le_i32_e32 vcc, s60, v18
	ds_write_b32 v4, v2
	v_add_u32_e32 v4, v4, v5
	v_add_u32_e32 v8, v8, v17
	s_or_b64 s[20:21], vcc, s[20:21]
	s_waitcnt vmcnt(0)
	v_mov_b32_e32 v2, v20
	s_andn2_b64 exec, exec, s[20:21]
	s_cbranch_execz .LBB17_37
.LBB17_35:                              ;   Parent Loop BB17_8 Depth=1
                                        ; =>  This Inner Loop Header: Depth=2
	v_add_u32_e32 v18, v18, v3
	v_cmp_gt_u32_e32 vcc, s60, v18
	v_mov_b32_e32 v20, 0
	s_and_saveexec_b64 s[22:23], vcc
	s_cbranch_execz .LBB17_34
; %bb.36:                               ;   in Loop: Header=BB17_35 Depth=2
	v_lshlrev_b64 v[20:21], 2, v[8:9]
	v_mov_b32_e32 v22, s89
	v_add_co_u32_e32 v20, vcc, s62, v20
	v_addc_co_u32_e32 v21, vcc, v22, v21, vcc
	global_load_dword v20, v[20:21], off
	s_branch .LBB17_34
.LBB17_37:                              ;   in Loop: Header=BB17_8 Depth=1
	s_or_b64 exec, exec, s[18:19]
	s_waitcnt lgkmcnt(0)
	s_barrier
	s_mov_b64 s[18:19], exec
	v_readlane_b32 s6, v50, 12
	v_readlane_b32 s7, v50, 13
	s_and_b64 s[6:7], s[18:19], s[6:7]
	s_mov_b64 exec, s[6:7]
	s_cbranch_execz .LBB17_39
; %bb.38:                               ;   in Loop: Header=BB17_8 Depth=1
	s_waitcnt vmcnt(0)
	v_mov_b32_e32 v2, s60
	ds_write_b32 v9, v2 offset:4096
.LBB17_39:                              ;   in Loop: Header=BB17_8 Depth=1
	s_or_b64 exec, exec, s[18:19]
	s_mov_b64 s[18:19], -1
	s_waitcnt lgkmcnt(0)
	s_barrier
                                        ; implicit-def: $sgpr73
.LBB17_40:                              ;   in Loop: Header=BB17_8 Depth=1
	s_and_b64 vcc, exec, s[18:19]
	s_cbranch_vccz .LBB17_42
; %bb.41:                               ;   in Loop: Header=BB17_8 Depth=1
	s_waitcnt vmcnt(0)
	ds_read_b32 v2, v9 offset:4096
	s_waitcnt lgkmcnt(0)
	v_readfirstlane_b32 s73, v2
.LBB17_42:                              ;   in Loop: Header=BB17_8 Depth=1
	s_cmp_lt_i32 s73, 1
	s_cbranch_scc0 .LBB17_46
; %bb.43:                               ;   in Loop: Header=BB17_8 Depth=1
	s_waitcnt vmcnt(0)
	v_mov_b32_e32 v2, 0
	s_mov_b32 s76, 0
	v_mov_b32_e32 v3, 0
	v_mov_b32_e32 v4, v2
	;; [unrolled: 1-line block ×3, first 2 shown]
	s_and_saveexec_b64 s[84:85], s[10:11]
	s_cbranch_execnz .LBB17_47
; %bb.44:                               ;   in Loop: Header=BB17_8 Depth=1
	s_or_b64 exec, exec, s[84:85]
	v_mov_b32_e32 v17, 0
	s_and_saveexec_b64 s[18:19], s[12:13]
	s_cbranch_execnz .LBB17_50
.LBB17_45:                              ;   in Loop: Header=BB17_8 Depth=1
	s_or_b64 exec, exec, s[18:19]
	s_and_saveexec_b64 s[20:21], s[14:15]
	s_cbranch_execnz .LBB17_51
	s_branch .LBB17_56
.LBB17_46:                              ;   in Loop: Header=BB17_8 Depth=1
                                        ; implicit-def: $vgpr5
	s_cbranch_execnz .LBB17_57
	s_branch .LBB17_66
.LBB17_47:                              ;   in Loop: Header=BB17_8 Depth=1
	s_and_b32 s77, s81, 0xfe
	s_mov_b64 s[86:87], 0
	s_mov_b32 s78, 0
	s_mov_b32 s79, 0
	;; [unrolled: 1-line block ×4, first 2 shown]
	v_mov_b32_e32 v8, v24
.LBB17_48:                              ;   Parent Loop BB17_8 Depth=1
                                        ; =>  This Inner Loop Header: Depth=2
	v_add_u32_e32 v2, s76, v32
	v_ashrrev_i32_e32 v3, 31, v2
	v_add_u32_e32 v4, s76, v29
	v_lshlrev_b64 v[2:3], 2, v[2:3]
	v_mov_b32_e32 v17, s89
	v_ashrrev_i32_e32 v5, 31, v4
	v_add_co_u32_e64 v2, s[18:19], s62, v2
	v_add_u32_e32 v20, s76, v30
	v_lshlrev_b64 v[4:5], 2, v[4:5]
	v_addc_co_u32_e64 v3, s[18:19], v17, v3, s[18:19]
	v_ashrrev_i32_e32 v21, 31, v20
	v_add_co_u32_e64 v4, s[18:19], s62, v4
	v_add_u32_e32 v22, s76, v31
	v_lshlrev_b64 v[20:21], 2, v[20:21]
	v_addc_co_u32_e64 v5, s[18:19], v17, v5, s[18:19]
	v_ashrrev_i32_e32 v23, 31, v22
	v_add_co_u32_e64 v20, s[18:19], s62, v20
	v_lshlrev_b64 v[22:23], 2, v[22:23]
	v_addc_co_u32_e64 v21, s[18:19], v17, v21, s[18:19]
	v_add_co_u32_e64 v22, s[18:19], s62, v22
	v_addc_co_u32_e64 v23, s[18:19], v17, v23, s[18:19]
	global_load_dword v2, v[2:3], off
	s_nop 0
	global_load_dword v3, v[4:5], off
	s_nop 0
	global_load_dword v4, v[20:21], off
	global_load_dword v5, v[22:23], off
	v_add_u32_e32 v8, s33, v8
	s_add_i32 s76, s76, s16
	v_cmp_le_i32_e32 vcc, s83, v8
	s_waitcnt vmcnt(3)
	v_xor_b32_e32 v2, 0x80000000, v2
	s_waitcnt vmcnt(2)
	v_xor_b32_e32 v3, 0x80000000, v3
	v_and_b32_e32 v17, s0, v2
	v_bfe_u32 v2, v2, s77, 2
	s_waitcnt vmcnt(1)
	v_xor_b32_e32 v4, 0x80000000, v4
	v_and_b32_e32 v18, s0, v3
	v_bfe_u32 v3, v3, s77, 2
	v_cmp_eq_u32_e64 s[18:19], s1, v17
	v_cmp_eq_u32_e64 s[26:27], 0, v2
	s_waitcnt vmcnt(0)
	v_xor_b32_e32 v5, 0x80000000, v5
	v_and_b32_e32 v20, s0, v4
	v_bfe_u32 v4, v4, s77, 2
	v_cmp_eq_u32_e64 s[20:21], s1, v18
	v_cmp_eq_u32_e64 s[28:29], 0, v3
	s_and_b64 s[26:27], s[18:19], s[26:27]
	v_and_b32_e32 v21, s0, v5
	v_bfe_u32 v5, v5, s77, 2
	v_cmp_eq_u32_e64 s[22:23], s1, v20
	v_cmp_eq_u32_e64 s[30:31], 0, v4
	;; [unrolled: 1-line block ×5, first 2 shown]
	v_cndmask_b32_e64 v2, 0, 1, s[26:27]
	s_and_b64 s[26:27], s[20:21], s[28:29]
	v_cmp_eq_u32_e64 s[24:25], s1, v21
	v_cmp_eq_u32_e64 s[34:35], 0, v5
	v_cmp_eq_u32_e64 s[38:39], 1, v3
	v_cmp_eq_u32_e64 s[46:47], 2, v3
	v_cmp_eq_u32_e64 s[54:55], 3, v3
	v_cndmask_b32_e64 v3, 0, 1, s[26:27]
	s_and_b64 s[26:27], s[22:23], s[30:31]
	v_cmp_eq_u32_e64 s[40:41], 1, v4
	v_cmp_eq_u32_e64 s[48:49], 2, v4
	;; [unrolled: 1-line block ×3, first 2 shown]
	v_cndmask_b32_e64 v4, 0, 1, s[26:27]
	s_and_b64 s[26:27], s[24:25], s[34:35]
	v_cmp_eq_u32_e64 s[42:43], 1, v5
	v_cmp_eq_u32_e64 s[50:51], 2, v5
	;; [unrolled: 1-line block ×3, first 2 shown]
	v_cndmask_b32_e64 v5, 0, 1, s[26:27]
	s_and_b64 s[26:27], s[18:19], s[36:37]
	v_cndmask_b32_e64 v17, 0, 1, s[26:27]
	s_and_b64 s[26:27], s[20:21], s[38:39]
	;; [unrolled: 2-line block ×5, first 2 shown]
	s_and_b64 s[18:19], s[18:19], s[52:53]
	v_cndmask_b32_e64 v22, 0, 1, s[26:27]
	s_and_b64 s[26:27], s[20:21], s[46:47]
	v_cndmask_b32_e64 v39, 0, 1, s[18:19]
	s_and_b64 s[18:19], s[20:21], s[54:55]
	v_cndmask_b32_e64 v23, 0, 1, s[26:27]
	s_and_b64 s[26:27], s[22:23], s[48:49]
	v_cndmask_b32_e64 v40, 0, 1, s[18:19]
	s_and_b64 s[18:19], s[22:23], s[56:57]
	v_cndmask_b32_e64 v37, 0, 1, s[26:27]
	s_and_b64 s[26:27], s[24:25], s[50:51]
	v_cndmask_b32_e64 v41, 0, 1, s[18:19]
	s_and_b64 s[18:19], s[24:25], s[58:59]
	v_cndmask_b32_e64 v38, 0, 1, s[26:27]
	v_cndmask_b32_e64 v42, 0, 1, s[18:19]
	v_cmp_ne_u32_e64 s[18:19], 0, v2
	v_cmp_ne_u32_e64 s[20:21], 0, v3
	v_cmp_ne_u32_e64 s[22:23], 0, v4
	v_cmp_ne_u32_e64 s[24:25], 0, v5
	v_cmp_ne_u32_e64 s[26:27], 0, v17
	v_cmp_ne_u32_e64 s[30:31], 0, v20
	v_cmp_ne_u32_e64 s[36:37], 0, v22
	v_cmp_ne_u32_e64 s[44:45], 0, v39
	v_cmp_ne_u32_e64 s[28:29], 0, v18
	v_cmp_ne_u32_e64 s[38:39], 0, v23
	v_cmp_ne_u32_e64 s[46:47], 0, v40
	s_bcnt1_i32_b64 s18, s[18:19]
	s_bcnt1_i32_b64 s19, s[20:21]
	;; [unrolled: 1-line block ×8, first 2 shown]
	v_cmp_ne_u32_e64 s[34:35], 0, v21
	v_cmp_ne_u32_e64 s[40:41], 0, v37
	;; [unrolled: 1-line block ×3, first 2 shown]
	s_bcnt1_i32_b64 s23, s[28:29]
	s_bcnt1_i32_b64 s27, s[38:39]
	;; [unrolled: 1-line block ×3, first 2 shown]
	s_add_i32 s7, s7, s18
	s_add_i32 s6, s6, s22
	;; [unrolled: 1-line block ×4, first 2 shown]
	v_cmp_ne_u32_e64 s[42:43], 0, v38
	v_cmp_ne_u32_e64 s[50:51], 0, v42
	s_bcnt1_i32_b64 s25, s[34:35]
	s_bcnt1_i32_b64 s28, s[40:41]
	;; [unrolled: 1-line block ×3, first 2 shown]
	s_add_i32 s7, s7, s19
	s_add_i32 s6, s6, s23
	;; [unrolled: 1-line block ×4, first 2 shown]
	s_bcnt1_i32_b64 s29, s[42:43]
	s_bcnt1_i32_b64 s35, s[50:51]
	s_add_i32 s7, s7, s20
	s_add_i32 s6, s6, s24
	;; [unrolled: 1-line block ×8, first 2 shown]
	s_or_b64 s[86:87], vcc, s[86:87]
	v_mov_b32_e32 v2, s7
	v_mov_b32_e32 v3, s6
	;; [unrolled: 1-line block ×4, first 2 shown]
	s_andn2_b64 exec, exec, s[86:87]
	s_cbranch_execnz .LBB17_48
; %bb.49:                               ;   in Loop: Header=BB17_8 Depth=1
	s_or_b64 exec, exec, s[86:87]
	s_or_b64 exec, exec, s[84:85]
	v_mov_b32_e32 v17, 0
	s_and_saveexec_b64 s[18:19], s[12:13]
	s_cbranch_execz .LBB17_45
.LBB17_50:                              ;   in Loop: Header=BB17_8 Depth=1
	global_load_dword v17, v[14:15], off
	s_or_b64 exec, exec, s[18:19]
	s_and_saveexec_b64 s[20:21], s[14:15]
	s_cbranch_execz .LBB17_56
.LBB17_51:                              ;   in Loop: Header=BB17_8 Depth=1
	s_and_b32 s6, s81, 0xfe
	s_mov_b64 s[22:23], 0
	v_mov_b32_e32 v20, v33
	v_mov_b32_e32 v8, v28
	s_branch .LBB17_53
.LBB17_52:                              ;   in Loop: Header=BB17_53 Depth=2
	s_or_b64 exec, exec, s[18:19]
	s_waitcnt vmcnt(0)
	v_xor_b32_e32 v17, 0x80000000, v17
	v_and_b32_e32 v21, s0, v17
	v_bfe_u32 v17, v17, s6, 2
	v_cmp_eq_u32_e32 vcc, s1, v21
	v_cmp_eq_u32_e64 s[18:19], 0, v17
	s_and_b64 s[18:19], vcc, s[18:19]
	v_cndmask_b32_e64 v21, 0, 1, s[18:19]
	v_cmp_ne_u32_e64 s[18:19], 0, v21
	s_bcnt1_i32_b64 s7, s[18:19]
	v_cmp_eq_u32_e64 s[18:19], 1, v17
	s_and_b64 s[18:19], vcc, s[18:19]
	v_cndmask_b32_e64 v21, 0, 1, s[18:19]
	v_cmp_ne_u32_e64 s[18:19], 0, v21
	v_add_u32_e32 v2, s7, v2
	s_bcnt1_i32_b64 s7, s[18:19]
	v_cmp_eq_u32_e64 s[18:19], 2, v17
	s_and_b64 s[18:19], vcc, s[18:19]
	v_cndmask_b32_e64 v21, 0, 1, s[18:19]
	v_cmp_ne_u32_e64 s[18:19], 0, v21
	v_add_u32_e32 v3, s7, v3
	s_bcnt1_i32_b64 s7, s[18:19]
	v_cmp_eq_u32_e64 s[18:19], 3, v17
	s_and_b64 s[18:19], vcc, s[18:19]
	v_cndmask_b32_e64 v17, 0, 1, s[18:19]
	v_cmp_ne_u32_e32 vcc, 0, v17
	v_add_u32_e32 v4, s7, v4
	s_bcnt1_i32_b64 s7, vcc
	v_cmp_le_i32_e32 vcc, s60, v8
	v_add_u32_e32 v5, s7, v5
	v_add_u32_e32 v20, s80, v20
	s_or_b64 s[22:23], vcc, s[22:23]
	v_mov_b32_e32 v17, v18
	s_andn2_b64 exec, exec, s[22:23]
	s_cbranch_execz .LBB17_55
.LBB17_53:                              ;   Parent Loop BB17_8 Depth=1
                                        ; =>  This Inner Loop Header: Depth=2
	v_add_u32_e32 v8, s88, v8
	v_cmp_gt_u32_e32 vcc, s60, v8
	v_mov_b32_e32 v18, 0
	s_and_saveexec_b64 s[18:19], vcc
	s_cbranch_execz .LBB17_52
; %bb.54:                               ;   in Loop: Header=BB17_53 Depth=2
	v_ashrrev_i32_e32 v21, 31, v20
	v_lshlrev_b64 v[22:23], 2, v[20:21]
	v_mov_b32_e32 v18, s89
	v_add_co_u32_e32 v22, vcc, s62, v22
	v_addc_co_u32_e32 v23, vcc, v18, v23, vcc
	global_load_dword v18, v[22:23], off
	s_branch .LBB17_52
.LBB17_55:                              ;   in Loop: Header=BB17_8 Depth=1
	s_or_b64 exec, exec, s[22:23]
.LBB17_56:                              ;   in Loop: Header=BB17_8 Depth=1
	s_or_b64 exec, exec, s[20:21]
	s_branch .LBB17_66
.LBB17_57:                              ;   in Loop: Header=BB17_8 Depth=1
	s_mul_hi_u32 s6, s73, s82
	s_mul_i32 s6, s6, s33
	s_sub_i32 s6, s73, s6
	s_sub_i32 s7, s6, s33
	s_cmp_ge_u32 s6, s33
	s_cselect_b32 s6, s7, s6
	s_sub_i32 s7, s6, s33
	s_cmp_ge_u32 s6, s33
	s_cselect_b32 s6, s7, s6
	s_sub_i32 s6, s73, s6
	v_cmp_gt_u32_e32 vcc, s6, v24
	s_mov_b32 s76, 0
	s_waitcnt vmcnt(0)
	v_mov_b32_e32 v2, 0
	v_mov_b32_e32 v3, 0
	v_mov_b32_e32 v4, 0
	v_mov_b32_e32 v5, 0
	s_and_saveexec_b64 s[84:85], vcc
	s_cbranch_execz .LBB17_61
; %bb.58:                               ;   in Loop: Header=BB17_8 Depth=1
	s_and_b32 s7, s81, 0xfe
	s_mov_b64 s[86:87], 0
	v_mov_b32_e32 v8, v34
	s_mov_b32 s77, 0
	s_mov_b32 s78, 0
	;; [unrolled: 1-line block ×3, first 2 shown]
	v_mov_b32_e32 v17, v24
.LBB17_59:                              ;   Parent Loop BB17_8 Depth=1
                                        ; =>  This Inner Loop Header: Depth=2
	ds_read_b128 v[2:5], v8
	v_add_u32_e32 v17, s33, v17
	v_cmp_le_i32_e32 vcc, s6, v17
	v_add_u32_e32 v8, s17, v8
	s_waitcnt lgkmcnt(0)
	v_xor_b32_e32 v2, 0x80000000, v2
	v_xor_b32_e32 v3, 0x80000000, v3
	v_and_b32_e32 v18, s0, v2
	v_bfe_u32 v2, v2, s7, 2
	v_xor_b32_e32 v4, 0x80000000, v4
	v_and_b32_e32 v20, s0, v3
	v_bfe_u32 v3, v3, s7, 2
	v_cmp_eq_u32_e64 s[18:19], s1, v18
	v_cmp_eq_u32_e64 s[26:27], 0, v2
	v_xor_b32_e32 v5, 0x80000000, v5
	v_and_b32_e32 v21, s0, v4
	v_bfe_u32 v4, v4, s7, 2
	v_cmp_eq_u32_e64 s[20:21], s1, v20
	v_cmp_eq_u32_e64 s[28:29], 0, v3
	s_and_b64 s[26:27], s[18:19], s[26:27]
	v_and_b32_e32 v22, s0, v5
	v_bfe_u32 v5, v5, s7, 2
	v_cmp_eq_u32_e64 s[22:23], s1, v21
	v_cmp_eq_u32_e64 s[30:31], 0, v4
	;; [unrolled: 1-line block ×5, first 2 shown]
	v_cndmask_b32_e64 v2, 0, 1, s[26:27]
	s_and_b64 s[26:27], s[20:21], s[28:29]
	v_cmp_eq_u32_e64 s[24:25], s1, v22
	v_cmp_eq_u32_e64 s[34:35], 0, v5
	;; [unrolled: 1-line block ×5, first 2 shown]
	v_cndmask_b32_e64 v3, 0, 1, s[26:27]
	s_and_b64 s[26:27], s[22:23], s[30:31]
	v_cmp_eq_u32_e64 s[40:41], 1, v4
	v_cmp_eq_u32_e64 s[48:49], 2, v4
	;; [unrolled: 1-line block ×3, first 2 shown]
	v_cndmask_b32_e64 v4, 0, 1, s[26:27]
	s_and_b64 s[26:27], s[24:25], s[34:35]
	v_cmp_eq_u32_e64 s[42:43], 1, v5
	v_cmp_eq_u32_e64 s[50:51], 2, v5
	;; [unrolled: 1-line block ×3, first 2 shown]
	v_cndmask_b32_e64 v5, 0, 1, s[26:27]
	s_and_b64 s[26:27], s[18:19], s[36:37]
	v_cndmask_b32_e64 v18, 0, 1, s[26:27]
	s_and_b64 s[26:27], s[20:21], s[38:39]
	;; [unrolled: 2-line block ×5, first 2 shown]
	s_and_b64 s[18:19], s[18:19], s[52:53]
	v_cndmask_b32_e64 v23, 0, 1, s[26:27]
	s_and_b64 s[26:27], s[20:21], s[46:47]
	v_cndmask_b32_e64 v40, 0, 1, s[18:19]
	;; [unrolled: 2-line block ×7, first 2 shown]
	v_cndmask_b32_e64 v43, 0, 1, s[18:19]
	v_cmp_ne_u32_e64 s[18:19], 0, v2
	v_cmp_ne_u32_e64 s[20:21], 0, v3
	;; [unrolled: 1-line block ×11, first 2 shown]
	s_bcnt1_i32_b64 s18, s[18:19]
	s_bcnt1_i32_b64 s19, s[20:21]
	;; [unrolled: 1-line block ×8, first 2 shown]
	v_cmp_ne_u32_e64 s[34:35], 0, v22
	v_cmp_ne_u32_e64 s[40:41], 0, v38
	;; [unrolled: 1-line block ×3, first 2 shown]
	s_bcnt1_i32_b64 s23, s[28:29]
	s_bcnt1_i32_b64 s27, s[38:39]
	;; [unrolled: 1-line block ×3, first 2 shown]
	s_add_i32 s18, s79, s18
	s_add_i32 s22, s78, s22
	;; [unrolled: 1-line block ×4, first 2 shown]
	v_cmp_ne_u32_e64 s[42:43], 0, v39
	v_cmp_ne_u32_e64 s[50:51], 0, v43
	s_bcnt1_i32_b64 s25, s[34:35]
	s_bcnt1_i32_b64 s28, s[40:41]
	;; [unrolled: 1-line block ×3, first 2 shown]
	s_add_i32 s18, s18, s19
	s_add_i32 s19, s22, s23
	;; [unrolled: 1-line block ×4, first 2 shown]
	s_bcnt1_i32_b64 s29, s[42:43]
	s_bcnt1_i32_b64 s35, s[50:51]
	s_add_i32 s18, s18, s20
	s_add_i32 s19, s19, s24
	;; [unrolled: 1-line block ×8, first 2 shown]
	s_or_b64 s[86:87], vcc, s[86:87]
	v_mov_b32_e32 v2, s79
	v_mov_b32_e32 v3, s78
	;; [unrolled: 1-line block ×4, first 2 shown]
	s_andn2_b64 exec, exec, s[86:87]
	s_cbranch_execnz .LBB17_59
; %bb.60:                               ;   in Loop: Header=BB17_8 Depth=1
	s_or_b64 exec, exec, s[86:87]
.LBB17_61:                              ;   in Loop: Header=BB17_8 Depth=1
	s_or_b64 exec, exec, s[84:85]
	v_add_u32_e32 v8, s6, v0
	v_cmp_gt_i32_e32 vcc, s73, v8
	s_and_saveexec_b64 s[28:29], vcc
	s_cbranch_execz .LBB17_65
; %bb.62:                               ;   in Loop: Header=BB17_8 Depth=1
	s_and_b32 s6, s81, 0xfe
	v_lshlrev_b32_e32 v17, 2, v8
	s_mov_b64 s[30:31], 0
.LBB17_63:                              ;   Parent Loop BB17_8 Depth=1
                                        ; =>  This Inner Loop Header: Depth=2
	ds_read_b32 v18, v17
	v_add_u32_e32 v8, s88, v8
	v_cmp_le_i32_e32 vcc, s73, v8
	v_add_u32_e32 v17, s33, v17
	s_waitcnt lgkmcnt(0)
	v_xor_b32_e32 v18, 0x80000000, v18
	v_and_b32_e32 v20, s0, v18
	v_bfe_u32 v18, v18, s6, 2
	v_cmp_eq_u32_e64 s[18:19], s1, v20
	v_cmp_eq_u32_e64 s[20:21], 0, v18
	;; [unrolled: 1-line block ×3, first 2 shown]
	s_and_b64 s[20:21], s[18:19], s[20:21]
	v_cmp_eq_u32_e64 s[24:25], 2, v18
	v_cmp_eq_u32_e64 s[26:27], 3, v18
	v_cndmask_b32_e64 v18, 0, 1, s[20:21]
	s_and_b64 s[20:21], s[18:19], s[22:23]
	v_cndmask_b32_e64 v20, 0, 1, s[20:21]
	s_and_b64 s[20:21], s[18:19], s[24:25]
	s_and_b64 s[18:19], s[18:19], s[26:27]
	v_cndmask_b32_e64 v21, 0, 1, s[20:21]
	v_cndmask_b32_e64 v22, 0, 1, s[18:19]
	v_cmp_ne_u32_e64 s[18:19], 0, v18
	v_cmp_ne_u32_e64 s[20:21], 0, v20
	;; [unrolled: 1-line block ×4, first 2 shown]
	s_bcnt1_i32_b64 s7, s[18:19]
	s_bcnt1_i32_b64 s18, s[20:21]
	;; [unrolled: 1-line block ×4, first 2 shown]
	v_add_u32_e32 v2, s7, v2
	v_add_u32_e32 v3, s18, v3
	;; [unrolled: 1-line block ×3, first 2 shown]
	s_or_b64 s[30:31], vcc, s[30:31]
	v_add_u32_e32 v5, s20, v5
	s_andn2_b64 exec, exec, s[30:31]
	s_cbranch_execnz .LBB17_63
; %bb.64:                               ;   in Loop: Header=BB17_8 Depth=1
	s_or_b64 exec, exec, s[30:31]
.LBB17_65:                              ;   in Loop: Header=BB17_8 Depth=1
	s_or_b64 exec, exec, s[28:29]
.LBB17_66:                              ;   in Loop: Header=BB17_8 Depth=1
	s_lshl_b32 s6, s8, 6
	s_and_saveexec_b64 s[18:19], s[2:3]
	s_cbranch_execz .LBB17_68
; %bb.67:                               ;   in Loop: Header=BB17_8 Depth=1
	v_or_b32_e32 v8, s6, v26
	v_lshlrev_b32_e32 v8, 2, v8
	s_waitcnt vmcnt(0)
	ds_write_b128 v8, v[2:5] offset:3072
.LBB17_68:                              ;   in Loop: Header=BB17_8 Depth=1
	s_or_b64 exec, exec, s[18:19]
	s_waitcnt lgkmcnt(0)
	s_barrier
	s_and_saveexec_b64 s[18:19], s[74:75]
	s_cbranch_execz .LBB17_82
; %bb.69:                               ;   in Loop: Header=BB17_8 Depth=1
	v_readlane_b32 s20, v50, 24
	v_readlane_b32 s21, v50, 25
	v_add_u32_e32 v4, s6, v13
	s_andn2_b64 vcc, exec, s[20:21]
	s_waitcnt vmcnt(0)
	v_mov_b32_e32 v2, 0
	s_cbranch_vccnz .LBB17_81
; %bb.70:                               ;   in Loop: Header=BB17_8 Depth=1
	v_readlane_b32 s20, v50, 28
	v_readlane_b32 s21, v50, 29
	s_mov_b32 s7, 0
	s_and_b64 vcc, exec, s[20:21]
	v_mov_b32_e32 v2, 0
	s_cbranch_vccz .LBB17_74
; %bb.71:                               ;   in Loop: Header=BB17_8 Depth=1
	v_readlane_b32 s20, v50, 34
	v_readlane_b32 s21, v50, 35
	v_lshl_add_u32 v5, v4, 2, v36
	s_andn2_b64 vcc, exec, s[20:21]
	s_cbranch_vccnz .LBB17_75
; %bb.72:                               ;   in Loop: Header=BB17_8 Depth=1
	s_mov_b32 s21, 1
	s_mov_b32 s20, 0
	v_mov_b32_e32 v2, 0
	v_readlane_b32 s7, v50, 36
	v_mov_b32_e32 v3, 0
.LBB17_73:                              ;   Parent Loop BB17_8 Depth=1
                                        ; =>  This Inner Loop Header: Depth=2
	v_lshl_add_u32 v8, s20, 4, v5
	v_lshl_add_u32 v17, s21, 4, v5
	ds_read2_b32 v[20:21], v8 offset1:8
	ds_read2_b32 v[22:23], v17 offset1:8
	ds_read2_b32 v[38:39], v8 offset0:16 offset1:24
	ds_read2_b32 v[40:41], v17 offset0:16 offset1:24
	;; [unrolled: 1-line block ×6, first 2 shown]
	s_waitcnt lgkmcnt(7)
	v_add3_u32 v2, v20, v2, v21
	s_waitcnt lgkmcnt(6)
	v_add3_u32 v3, v22, v3, v23
	;; [unrolled: 2-line block ×3, first 2 shown]
	v_add3_u32 v2, v38, v2, v39
	s_add_i32 s21, s21, 16
	s_add_i32 s20, s20, 16
	s_add_i32 s7, s7, -8
	s_waitcnt lgkmcnt(3)
	v_add3_u32 v2, v42, v2, v43
	s_waitcnt lgkmcnt(2)
	v_add3_u32 v3, v44, v3, v45
	s_cmp_lg_u32 s7, 0
	s_waitcnt lgkmcnt(0)
	v_add3_u32 v3, v48, v3, v49
	v_add3_u32 v2, v46, v2, v47
	s_cbranch_scc1 .LBB17_73
	s_branch .LBB17_76
.LBB17_74:                              ;   in Loop: Header=BB17_8 Depth=1
	s_cbranch_execnz .LBB17_79
	s_branch .LBB17_81
.LBB17_75:                              ;   in Loop: Header=BB17_8 Depth=1
	s_mov_b32 s73, s72
	v_pk_mov_b32 v[2:3], s[72:73], s[72:73] op_sel:[0,1]
	s_mov_b32 s73, 1
	s_mov_b64 s[20:21], s[72:73]
.LBB17_76:                              ;   in Loop: Header=BB17_8 Depth=1
	v_readlane_b32 s22, v50, 38
	v_readlane_b32 s23, v50, 39
	s_andn2_b64 vcc, exec, s[22:23]
	v_readlane_b32 s7, v50, 37
	s_cbranch_vccnz .LBB17_78
.LBB17_77:                              ;   Parent Loop BB17_8 Depth=1
                                        ; =>  This Inner Loop Header: Depth=2
	v_lshl_add_u32 v8, s20, 4, v5
	v_lshl_add_u32 v17, s21, 4, v5
	ds_read_b32 v17, v17
	ds_read_b32 v8, v8
	s_add_i32 s21, s21, 2
	s_add_i32 s20, s20, 2
	s_add_i32 s7, s7, -1
	s_cmp_lg_u32 s7, 0
	s_waitcnt lgkmcnt(1)
	v_add_u32_e32 v3, v17, v3
	s_waitcnt lgkmcnt(0)
	v_add_u32_e32 v2, v8, v2
	s_cbranch_scc1 .LBB17_77
.LBB17_78:                              ;   in Loop: Header=BB17_8 Depth=1
	v_readlane_b32 s20, v50, 42
	v_add_u32_e32 v2, v2, v3
	v_readlane_b32 s7, v50, 41
	v_readlane_b32 s21, v50, 43
	s_and_b64 vcc, exec, s[20:21]
	s_cbranch_vccz .LBB17_81
.LBB17_79:                              ;   in Loop: Header=BB17_8 Depth=1
	s_lshl_b32 s20, s8, 8
	s_lshl_b32 s21, s7, 4
	s_add_i32 s20, s20, s21
	v_add_u32_e32 v3, s20, v35
	v_readlane_b32 s20, v50, 40
	s_sub_i32 s7, s20, s7
.LBB17_80:                              ;   Parent Loop BB17_8 Depth=1
                                        ; =>  This Inner Loop Header: Depth=2
	ds_read_b32 v5, v3
	s_add_i32 s7, s7, -1
	v_add_u32_e32 v3, 16, v3
	s_cmp_eq_u32 s7, 0
	s_waitcnt lgkmcnt(0)
	v_add_u32_e32 v2, v5, v2
	s_cbranch_scc0 .LBB17_80
.LBB17_81:                              ;   in Loop: Header=BB17_8 Depth=1
	v_lshlrev_b32_e32 v3, 2, v4
	ds_write_b32 v3, v2 offset:3072
.LBB17_82:                              ;   in Loop: Header=BB17_8 Depth=1
	s_or_b64 exec, exec, s[18:19]
	s_lshl_b32 s6, s6, 2
	s_waitcnt vmcnt(0)
	v_mov_b32_e32 v2, s6
	s_waitcnt lgkmcnt(0)
	s_barrier
	ds_read_b128 v[2:5], v2 offset:3072
	s_and_b32 s47, s81, 0xfe
	s_lshl_b32 s55, 3, s47
	s_not_b32 s48, s55
	s_mov_b64 s[22:23], -1
	s_waitcnt lgkmcnt(0)
	v_readfirstlane_b32 s34, v2
	s_cmp_eq_u32 s34, 1
	s_cselect_b64 s[6:7], -1, 0
	s_cmp_eq_u32 s61, 1
	s_cselect_b64 s[18:19], -1, 0
	s_and_b64 s[24:25], s[6:7], s[18:19]
	v_readfirstlane_b32 s38, v3
	v_readfirstlane_b32 s46, v4
	;; [unrolled: 1-line block ×3, first 2 shown]
	s_and_b64 vcc, exec, s[24:25]
	s_cbranch_vccz .LBB17_94
; %bb.83:                               ;   in Loop: Header=BB17_8 Depth=1
	ds_read_b32 v2, v9 offset:4096
	s_waitcnt lgkmcnt(0)
	s_barrier
	v_readfirstlane_b32 s6, v2
	s_and_saveexec_b64 s[18:19], s[4:5]
	s_cbranch_execz .LBB17_85
; %bb.84:                               ;   in Loop: Header=BB17_8 Depth=1
	ds_write_b32 v25, v9
.LBB17_85:                              ;   in Loop: Header=BB17_8 Depth=1
	s_or_b64 exec, exec, s[18:19]
	s_and_b32 s1, s1, s48
	s_or_b32 s0, s0, s55
	s_cmp_lt_i32 s6, 1
	s_waitcnt lgkmcnt(0)
	s_barrier
	s_cbranch_scc0 .LBB17_95
; %bb.86:                               ;   in Loop: Header=BB17_8 Depth=1
	s_mov_b64 s[18:19], 0
                                        ; implicit-def: $vgpr19
	s_mov_b64 s[20:21], exec
	v_readlane_b32 s26, v50, 45
	v_readlane_b32 s27, v50, 46
	s_and_b64 s[26:27], s[20:21], s[26:27]
	s_mov_b64 exec, s[26:27]
	s_cbranch_execz .LBB17_97
; %bb.87:                               ;   in Loop: Header=BB17_8 Depth=1
	s_mov_b64 s[26:27], 0
	v_mov_b32_e32 v2, v6
	v_mov_b32_e32 v4, v0
                                        ; implicit-def: $sgpr28_sgpr29
	s_branch .LBB17_89
.LBB17_88:                              ;   in Loop: Header=BB17_89 Depth=2
	s_or_b64 exec, exec, s[18:19]
	s_waitcnt lgkmcnt(0)
	s_barrier
	ds_read_b64 v[18:19], v9 offset:3072
	v_add_u32_e32 v4, s88, v4
	v_cmp_le_i32_e32 vcc, s9, v4
	v_add_u32_e32 v2, s80, v2
	s_waitcnt lgkmcnt(0)
	v_readfirstlane_b32 s7, v18
	s_cmp_lg_u32 s7, 0
	s_cselect_b64 s[18:19], -1, 0
	s_or_b64 s[30:31], vcc, s[18:19]
	s_and_b64 s[30:31], exec, s[30:31]
	s_or_b64 s[26:27], s[30:31], s[26:27]
	s_andn2_b64 s[28:29], s[28:29], exec
	s_and_b64 s[18:19], s[18:19], exec
	s_or_b64 s[28:29], s[28:29], s[18:19]
	s_barrier
	s_andn2_b64 exec, exec, s[26:27]
	s_cbranch_execz .LBB17_96
.LBB17_89:                              ;   Parent Loop BB17_8 Depth=1
                                        ; =>  This Inner Loop Header: Depth=2
	v_cmp_gt_i32_e32 vcc, s60, v4
	s_waitcnt vmcnt(0)
	v_mov_b32_e32 v17, 0
	s_and_saveexec_b64 s[30:31], vcc
	s_cbranch_execz .LBB17_91
; %bb.90:                               ;   in Loop: Header=BB17_89 Depth=2
	v_ashrrev_i32_e32 v3, 31, v2
	v_lshlrev_b64 v[18:19], 2, v[2:3]
	v_mov_b32_e32 v3, s89
	v_add_co_u32_e64 v18, s[18:19], s62, v18
	v_addc_co_u32_e64 v19, s[18:19], v3, v19, s[18:19]
	global_load_dword v17, v[18:19], off
.LBB17_91:                              ;   in Loop: Header=BB17_89 Depth=2
	s_or_b64 exec, exec, s[30:31]
	s_and_saveexec_b64 s[18:19], vcc
	s_cbranch_execz .LBB17_88
; %bb.92:                               ;   in Loop: Header=BB17_89 Depth=2
	s_waitcnt vmcnt(0)
	v_xor_b32_e32 v3, 0x80000000, v17
	v_and_b32_e32 v3, s0, v3
	v_cmp_eq_u32_e32 vcc, s1, v3
	s_and_b64 exec, exec, vcc
	s_cbranch_execz .LBB17_88
; %bb.93:                               ;   in Loop: Header=BB17_89 Depth=2
	ds_write_b64 v9, v[16:17] offset:3072
	s_branch .LBB17_88
.LBB17_94:                              ;   in Loop: Header=BB17_8 Depth=1
	s_mov_b64 s[18:19], -1
                                        ; implicit-def: $sgpr20_sgpr21
                                        ; implicit-def: $sgpr28_sgpr29
                                        ; implicit-def: $sgpr26_sgpr27
	s_branch .LBB17_108
.LBB17_95:                              ;   in Loop: Header=BB17_8 Depth=1
	s_mov_b64 s[20:21], -1
	s_mov_b64 s[18:19], 0
                                        ; implicit-def: $sgpr26_sgpr27
                                        ; implicit-def: $vgpr19
	s_mov_b64 s[28:29], s[20:21]
	s_cbranch_execnz .LBB17_98
	s_branch .LBB17_108
.LBB17_96:                              ;   in Loop: Header=BB17_8 Depth=1
	s_or_b64 exec, exec, s[26:27]
	s_and_b64 s[18:19], s[28:29], exec
.LBB17_97:                              ;   in Loop: Header=BB17_8 Depth=1
	s_or_b64 exec, exec, s[20:21]
	s_mov_b64 s[26:27], -1
	s_mov_b64 s[20:21], 0
	s_mov_b64 s[28:29], s[20:21]
	s_branch .LBB17_108
.LBB17_98:                              ;   in Loop: Header=BB17_8 Depth=1
	v_readlane_b32 s7, v50, 21
	s_add_i32 s7, s6, s7
	s_abs_i32 s19, s7
	v_readlane_b32 s20, v50, 44
	s_mul_hi_u32 s20, s19, s20
	s_mul_i32 s20, s20, s88
	s_sub_i32 s19, s19, s20
	s_ashr_i32 s18, s7, 31
	s_sub_i32 s20, s19, s88
	s_cmp_ge_u32 s19, s88
	s_cselect_b32 s19, s20, s19
	s_sub_i32 s20, s19, s88
	s_cmp_ge_u32 s19, s88
	s_cselect_b32 s19, s20, s19
	s_xor_b32 s19, s19, s18
	s_sub_i32 s18, s18, s19
	s_add_i32 s7, s7, s18
	v_cmp_gt_i32_e32 vcc, s7, v0
	s_mov_b64 s[18:19], 0
                                        ; implicit-def: $vgpr19
	s_and_saveexec_b64 s[20:21], vcc
	s_cbranch_execz .LBB17_107
; %bb.99:                               ;   in Loop: Header=BB17_8 Depth=1
	v_mov_b32_e32 v2, v24
	v_mov_b32_e32 v3, v0
                                        ; implicit-def: $sgpr26_sgpr27
	s_branch .LBB17_101
.LBB17_100:                             ;   in Loop: Header=BB17_101 Depth=2
	s_or_b64 exec, exec, s[28:29]
	s_waitcnt lgkmcnt(0)
	s_barrier
	ds_read_b64 v[18:19], v9 offset:3072
	v_add_u32_e32 v3, s88, v3
	v_cmp_le_i32_e32 vcc, s7, v3
	v_add_u32_e32 v2, s33, v2
	s_waitcnt lgkmcnt(0)
	v_readfirstlane_b32 s28, v18
	s_cmp_lg_u32 s28, 0
	s_cselect_b64 s[28:29], -1, 0
	s_or_b64 s[30:31], vcc, s[28:29]
	s_and_b64 s[30:31], exec, s[30:31]
	s_or_b64 s[18:19], s[30:31], s[18:19]
	s_andn2_b64 s[26:27], s[26:27], exec
	s_and_b64 s[28:29], s[28:29], exec
	s_or_b64 s[26:27], s[26:27], s[28:29]
	s_barrier
	s_andn2_b64 exec, exec, s[18:19]
	s_cbranch_execz .LBB17_106
.LBB17_101:                             ;   Parent Loop BB17_8 Depth=1
                                        ; =>  This Inner Loop Header: Depth=2
	v_cmp_gt_i32_e32 vcc, s6, v3
	s_waitcnt vmcnt(0)
	v_mov_b32_e32 v17, 0
	s_and_saveexec_b64 s[28:29], vcc
	s_cbranch_execz .LBB17_103
; %bb.102:                              ;   in Loop: Header=BB17_101 Depth=2
	ds_read_b32 v17, v2
.LBB17_103:                             ;   in Loop: Header=BB17_101 Depth=2
	s_or_b64 exec, exec, s[28:29]
	s_and_saveexec_b64 s[28:29], vcc
	s_cbranch_execz .LBB17_100
; %bb.104:                              ;   in Loop: Header=BB17_101 Depth=2
	s_waitcnt lgkmcnt(0)
	v_xor_b32_e32 v4, 0x80000000, v17
	v_and_b32_e32 v4, s0, v4
	v_cmp_eq_u32_e32 vcc, s1, v4
	s_and_b64 exec, exec, vcc
	s_cbranch_execz .LBB17_100
; %bb.105:                              ;   in Loop: Header=BB17_101 Depth=2
	ds_write_b64 v9, v[16:17] offset:3072
	s_branch .LBB17_100
.LBB17_106:                             ;   in Loop: Header=BB17_8 Depth=1
	s_or_b64 exec, exec, s[18:19]
	s_and_b64 s[18:19], s[26:27], exec
.LBB17_107:                             ;   in Loop: Header=BB17_8 Depth=1
	s_or_b64 exec, exec, s[20:21]
	s_mov_b64 s[28:29], -1
	s_mov_b64 s[20:21], 0
	s_mov_b64 s[26:27], 0
.LBB17_108:                             ;   in Loop: Header=BB17_8 Depth=1
	s_andn2_b64 s[6:7], s[70:71], exec
	s_and_b64 s[20:21], s[20:21], exec
	s_or_b64 s[70:71], s[6:7], s[20:21]
	s_andn2_b64 s[6:7], s[68:69], exec
	s_and_b64 s[20:21], s[28:29], exec
	s_or_b64 s[68:69], s[6:7], s[20:21]
	;; [unrolled: 3-line block ×3, first 2 shown]
	s_and_saveexec_b64 s[20:21], s[18:19]
	s_cbranch_execz .LBB17_7
; %bb.109:                              ;   in Loop: Header=BB17_8 Depth=1
	s_xor_b64 s[6:7], s[24:25], -1
	s_mov_b64 s[18:19], 0
	s_andn2_b64 vcc, exec, s[6:7]
	s_mov_b32 s39, 1
	s_cbranch_vccnz .LBB17_120
; %bb.110:                              ;   in Loop: Header=BB17_8 Depth=1
	s_cmp_gt_i32 s61, s34
	s_mov_b64 s[18:19], -1
                                        ; implicit-def: $sgpr57
                                        ; implicit-def: $sgpr6
                                        ; implicit-def: $sgpr7
	s_cbranch_scc1 .LBB17_116
; %bb.111:                              ;   in Loop: Header=BB17_8 Depth=1
	ds_read_b32 v2, v9 offset:4096
	s_waitcnt lgkmcnt(0)
	v_cmp_ne_u32_e32 vcc, 0, v2
	s_cbranch_vccnz .LBB17_115
; %bb.112:                              ;   in Loop: Header=BB17_8 Depth=1
	s_mov_b64 s[18:19], exec
	v_readlane_b32 s6, v50, 12
	v_readlane_b32 s7, v50, 13
	s_and_b64 s[6:7], s[18:19], s[6:7]
	s_mov_b64 exec, s[6:7]
	s_cbranch_execz .LBB17_114
; %bb.113:                              ;   in Loop: Header=BB17_8 Depth=1
	v_mov_b32_e32 v2, s34
	ds_write_b32 v9, v2 offset:4100
.LBB17_114:                             ;   in Loop: Header=BB17_8 Depth=1
	s_or_b64 exec, exec, s[18:19]
	s_waitcnt lgkmcnt(0)
	s_barrier
.LBB17_115:                             ;   in Loop: Header=BB17_8 Depth=1
	s_and_b32 s6, s1, s48
	s_or_b32 s7, s0, s55
	s_mov_b64 s[18:19], 0
	s_mov_b32 s57, 8
.LBB17_116:                             ;   in Loop: Header=BB17_8 Depth=1
	s_andn2_b64 vcc, exec, s[18:19]
	s_cbranch_vccnz .LBB17_118
; %bb.117:                              ;   in Loop: Header=BB17_8 Depth=1
	s_sub_i32 s61, s61, s34
	s_mov_b64 s[18:19], -1
	s_mov_b32 s57, 0
	s_mov_b32 s6, s1
	;; [unrolled: 1-line block ×3, first 2 shown]
.LBB17_118:                             ;   in Loop: Header=BB17_8 Depth=1
	s_mov_b32 s0, s7
	s_mov_b32 s1, s6
	;; [unrolled: 1-line block ×3, first 2 shown]
	s_mov_b64 s[22:23], -1
	s_and_b64 vcc, exec, s[18:19]
	s_cbranch_vccnz .LBB17_121
.LBB17_119:                             ;   in Loop: Header=BB17_8 Depth=1
	s_mov_b64 s[36:37], -1
                                        ; implicit-def: $sgpr24_sgpr25
                                        ; implicit-def: $sgpr28_sgpr29
                                        ; implicit-def: $sgpr26_sgpr27
	s_and_saveexec_b64 s[6:7], s[36:37]
	s_xor_b64 s[18:19], exec, s[6:7]
	s_cbranch_execz .LBB17_6
	s_branch .LBB17_244
.LBB17_120:                             ;   in Loop: Header=BB17_8 Depth=1
	s_mov_b32 s57, 1
	s_mov_b64 s[22:23], -1
	s_and_b64 vcc, exec, s[18:19]
	s_cbranch_vccz .LBB17_119
.LBB17_121:                             ;   in Loop: Header=BB17_8 Depth=1
	s_cmp_eq_u32 s38, 1
	s_cselect_b64 s[6:7], -1, 0
	s_cmp_eq_u32 s39, 1
	s_cselect_b64 s[18:19], -1, 0
	s_and_b64 s[34:35], s[6:7], s[18:19]
	s_mov_b64 s[18:19], -1
	s_and_b64 vcc, exec, s[34:35]
	s_cbranch_vccz .LBB17_133
; %bb.122:                              ;   in Loop: Header=BB17_8 Depth=1
	ds_read_b32 v2, v9 offset:4096
	s_waitcnt lgkmcnt(0)
	s_barrier
	v_readfirstlane_b32 s6, v2
	s_and_saveexec_b64 s[18:19], s[4:5]
	s_cbranch_execz .LBB17_124
; %bb.123:                              ;   in Loop: Header=BB17_8 Depth=1
	ds_write_b32 v25, v9
.LBB17_124:                             ;   in Loop: Header=BB17_8 Depth=1
	s_or_b64 exec, exec, s[18:19]
	s_lshl_b32 s7, 1, s47
	s_and_b32 s1, s1, s48
	s_or_b32 s1, s1, s7
	s_or_b32 s0, s0, s55
	s_cmp_gt_i32 s6, 0
	s_waitcnt lgkmcnt(0)
	s_barrier
	s_cbranch_scc1 .LBB17_134
; %bb.125:                              ;   in Loop: Header=BB17_8 Depth=1
	s_mov_b64 s[18:19], 0
                                        ; implicit-def: $vgpr19
	s_mov_b64 s[24:25], exec
	v_readlane_b32 s26, v50, 45
	v_readlane_b32 s27, v50, 46
	s_and_b64 s[26:27], s[24:25], s[26:27]
	s_mov_b64 exec, s[26:27]
	s_cbranch_execz .LBB17_136
; %bb.126:                              ;   in Loop: Header=BB17_8 Depth=1
	s_mov_b64 s[26:27], 0
	v_mov_b32_e32 v2, v6
	v_mov_b32_e32 v4, v0
                                        ; implicit-def: $sgpr28_sgpr29
	s_branch .LBB17_128
.LBB17_127:                             ;   in Loop: Header=BB17_128 Depth=2
	s_or_b64 exec, exec, s[18:19]
	s_waitcnt lgkmcnt(0)
	s_barrier
	ds_read_b64 v[18:19], v9 offset:3072
	v_add_u32_e32 v4, s88, v4
	v_cmp_le_i32_e32 vcc, s9, v4
	v_add_u32_e32 v2, s80, v2
	s_waitcnt lgkmcnt(0)
	v_readfirstlane_b32 s7, v18
	s_cmp_lg_u32 s7, 0
	s_cselect_b64 s[18:19], -1, 0
	s_or_b64 s[30:31], vcc, s[18:19]
	s_and_b64 s[30:31], exec, s[30:31]
	s_or_b64 s[26:27], s[30:31], s[26:27]
	s_andn2_b64 s[28:29], s[28:29], exec
	s_and_b64 s[18:19], s[18:19], exec
	s_or_b64 s[28:29], s[28:29], s[18:19]
	s_barrier
	s_andn2_b64 exec, exec, s[26:27]
	s_cbranch_execz .LBB17_135
.LBB17_128:                             ;   Parent Loop BB17_8 Depth=1
                                        ; =>  This Inner Loop Header: Depth=2
	v_cmp_gt_i32_e32 vcc, s60, v4
	s_waitcnt vmcnt(0)
	v_mov_b32_e32 v17, 0
	s_and_saveexec_b64 s[30:31], vcc
	s_cbranch_execz .LBB17_130
; %bb.129:                              ;   in Loop: Header=BB17_128 Depth=2
	v_ashrrev_i32_e32 v3, 31, v2
	v_lshlrev_b64 v[18:19], 2, v[2:3]
	v_mov_b32_e32 v3, s89
	v_add_co_u32_e64 v18, s[18:19], s62, v18
	v_addc_co_u32_e64 v19, s[18:19], v3, v19, s[18:19]
	global_load_dword v17, v[18:19], off
.LBB17_130:                             ;   in Loop: Header=BB17_128 Depth=2
	s_or_b64 exec, exec, s[30:31]
	s_and_saveexec_b64 s[18:19], vcc
	s_cbranch_execz .LBB17_127
; %bb.131:                              ;   in Loop: Header=BB17_128 Depth=2
	s_waitcnt vmcnt(0)
	v_xor_b32_e32 v3, 0x80000000, v17
	v_and_b32_e32 v3, s0, v3
	v_cmp_eq_u32_e32 vcc, s1, v3
	s_and_b64 exec, exec, vcc
	s_cbranch_execz .LBB17_127
; %bb.132:                              ;   in Loop: Header=BB17_128 Depth=2
	ds_write_b64 v9, v[16:17] offset:3072
	s_branch .LBB17_127
.LBB17_133:                             ;   in Loop: Header=BB17_8 Depth=1
                                        ; implicit-def: $sgpr26_sgpr27
                                        ; implicit-def: $sgpr28_sgpr29
                                        ; implicit-def: $sgpr24_sgpr25
	s_branch .LBB17_147
.LBB17_134:                             ;   in Loop: Header=BB17_8 Depth=1
	s_mov_b64 s[26:27], -1
	s_mov_b64 s[18:19], 0
                                        ; implicit-def: $sgpr24_sgpr25
                                        ; implicit-def: $vgpr19
	s_mov_b64 s[28:29], s[26:27]
	s_cbranch_execnz .LBB17_137
	s_branch .LBB17_147
.LBB17_135:                             ;   in Loop: Header=BB17_8 Depth=1
	s_or_b64 exec, exec, s[26:27]
	s_and_b64 s[18:19], s[28:29], exec
.LBB17_136:                             ;   in Loop: Header=BB17_8 Depth=1
	s_or_b64 exec, exec, s[24:25]
	s_mov_b64 s[24:25], -1
	s_mov_b64 s[26:27], 0
	s_mov_b64 s[28:29], s[26:27]
	s_branch .LBB17_147
.LBB17_137:                             ;   in Loop: Header=BB17_8 Depth=1
	v_readlane_b32 s7, v50, 21
	s_add_i32 s7, s6, s7
	s_abs_i32 s19, s7
	v_readlane_b32 s24, v50, 44
	s_mul_hi_u32 s24, s19, s24
	s_mul_i32 s24, s24, s88
	s_sub_i32 s19, s19, s24
	s_ashr_i32 s18, s7, 31
	s_sub_i32 s24, s19, s88
	s_cmp_ge_u32 s19, s88
	s_cselect_b32 s19, s24, s19
	s_sub_i32 s24, s19, s88
	s_cmp_ge_u32 s19, s88
	s_cselect_b32 s19, s24, s19
	s_xor_b32 s19, s19, s18
	s_sub_i32 s18, s18, s19
	s_add_i32 s7, s7, s18
	v_cmp_gt_i32_e32 vcc, s7, v0
	s_mov_b64 s[18:19], 0
                                        ; implicit-def: $vgpr19
	s_and_saveexec_b64 s[24:25], vcc
	s_cbranch_execz .LBB17_146
; %bb.138:                              ;   in Loop: Header=BB17_8 Depth=1
	v_mov_b32_e32 v2, v24
	v_mov_b32_e32 v3, v0
                                        ; implicit-def: $sgpr26_sgpr27
	s_branch .LBB17_140
.LBB17_139:                             ;   in Loop: Header=BB17_140 Depth=2
	s_or_b64 exec, exec, s[28:29]
	s_waitcnt lgkmcnt(0)
	s_barrier
	ds_read_b64 v[18:19], v9 offset:3072
	v_add_u32_e32 v3, s88, v3
	v_cmp_le_i32_e32 vcc, s7, v3
	v_add_u32_e32 v2, s33, v2
	s_waitcnt lgkmcnt(0)
	v_readfirstlane_b32 s28, v18
	s_cmp_lg_u32 s28, 0
	s_cselect_b64 s[28:29], -1, 0
	s_or_b64 s[30:31], vcc, s[28:29]
	s_and_b64 s[30:31], exec, s[30:31]
	s_or_b64 s[18:19], s[30:31], s[18:19]
	s_andn2_b64 s[26:27], s[26:27], exec
	s_and_b64 s[28:29], s[28:29], exec
	s_or_b64 s[26:27], s[26:27], s[28:29]
	s_barrier
	s_andn2_b64 exec, exec, s[18:19]
	s_cbranch_execz .LBB17_145
.LBB17_140:                             ;   Parent Loop BB17_8 Depth=1
                                        ; =>  This Inner Loop Header: Depth=2
	v_cmp_gt_i32_e32 vcc, s6, v3
	s_waitcnt vmcnt(0)
	v_mov_b32_e32 v17, 0
	s_and_saveexec_b64 s[28:29], vcc
	s_cbranch_execz .LBB17_142
; %bb.141:                              ;   in Loop: Header=BB17_140 Depth=2
	ds_read_b32 v17, v2
.LBB17_142:                             ;   in Loop: Header=BB17_140 Depth=2
	s_or_b64 exec, exec, s[28:29]
	s_and_saveexec_b64 s[28:29], vcc
	s_cbranch_execz .LBB17_139
; %bb.143:                              ;   in Loop: Header=BB17_140 Depth=2
	s_waitcnt lgkmcnt(0)
	v_xor_b32_e32 v4, 0x80000000, v17
	v_and_b32_e32 v4, s0, v4
	v_cmp_eq_u32_e32 vcc, s1, v4
	s_and_b64 exec, exec, vcc
	s_cbranch_execz .LBB17_139
; %bb.144:                              ;   in Loop: Header=BB17_140 Depth=2
	ds_write_b64 v9, v[16:17] offset:3072
	s_branch .LBB17_139
.LBB17_145:                             ;   in Loop: Header=BB17_8 Depth=1
	s_or_b64 exec, exec, s[18:19]
	s_and_b64 s[18:19], s[26:27], exec
.LBB17_146:                             ;   in Loop: Header=BB17_8 Depth=1
	s_or_b64 exec, exec, s[24:25]
	s_mov_b64 s[28:29], -1
	s_mov_b64 s[26:27], 0
	s_mov_b64 s[24:25], 0
.LBB17_147:                             ;   in Loop: Header=BB17_8 Depth=1
	s_mov_b64 s[36:37], 0
                                        ; implicit-def: $sgpr57
	s_and_saveexec_b64 s[30:31], s[18:19]
	s_cbranch_execz .LBB17_243
; %bb.148:                              ;   in Loop: Header=BB17_8 Depth=1
	s_xor_b64 s[6:7], s[34:35], -1
	s_mov_b64 s[18:19], 0
	s_andn2_b64 vcc, exec, s[6:7]
	s_mov_b32 s49, 1
	s_cbranch_vccnz .LBB17_159
; %bb.149:                              ;   in Loop: Header=BB17_8 Depth=1
	s_cmp_gt_i32 s39, s38
	s_mov_b64 s[18:19], -1
                                        ; implicit-def: $sgpr57
                                        ; implicit-def: $sgpr6
                                        ; implicit-def: $sgpr7
	s_cbranch_scc1 .LBB17_155
; %bb.150:                              ;   in Loop: Header=BB17_8 Depth=1
	ds_read_b32 v2, v9 offset:4096
	s_waitcnt lgkmcnt(0)
	v_cmp_ne_u32_e32 vcc, 0, v2
	s_cbranch_vccnz .LBB17_154
; %bb.151:                              ;   in Loop: Header=BB17_8 Depth=1
	s_mov_b64 s[18:19], exec
	v_readlane_b32 s6, v50, 12
	v_readlane_b32 s7, v50, 13
	s_and_b64 s[6:7], s[18:19], s[6:7]
	s_mov_b64 exec, s[6:7]
	s_cbranch_execz .LBB17_153
; %bb.152:                              ;   in Loop: Header=BB17_8 Depth=1
	v_mov_b32_e32 v2, s38
	ds_write_b32 v9, v2 offset:4100
.LBB17_153:                             ;   in Loop: Header=BB17_8 Depth=1
	s_or_b64 exec, exec, s[18:19]
	s_waitcnt lgkmcnt(0)
	s_barrier
.LBB17_154:                             ;   in Loop: Header=BB17_8 Depth=1
	s_lshl_b32 s6, 1, s47
	s_and_b32 s7, s1, s48
	s_or_b32 s6, s7, s6
	s_or_b32 s7, s0, s55
	s_mov_b64 s[18:19], 0
	s_mov_b32 s57, 8
.LBB17_155:                             ;   in Loop: Header=BB17_8 Depth=1
	s_andn2_b64 vcc, exec, s[18:19]
	s_cbranch_vccnz .LBB17_157
; %bb.156:                              ;   in Loop: Header=BB17_8 Depth=1
	s_sub_i32 s39, s39, s38
	s_mov_b64 s[18:19], -1
	s_mov_b32 s57, 0
	s_mov_b32 s6, s1
	;; [unrolled: 1-line block ×3, first 2 shown]
.LBB17_157:                             ;   in Loop: Header=BB17_8 Depth=1
	s_mov_b32 s0, s7
	s_mov_b32 s1, s6
	;; [unrolled: 1-line block ×3, first 2 shown]
	s_andn2_b64 vcc, exec, s[18:19]
	s_mov_b64 s[44:45], -1
	s_cbranch_vccz .LBB17_160
.LBB17_158:                             ;   in Loop: Header=BB17_8 Depth=1
                                        ; implicit-def: $sgpr36_sgpr37
                                        ; implicit-def: $sgpr38_sgpr39
                                        ; implicit-def: $sgpr34_sgpr35
	s_branch .LBB17_242
.LBB17_159:                             ;   in Loop: Header=BB17_8 Depth=1
	s_mov_b32 s57, 1
	s_andn2_b64 vcc, exec, s[18:19]
	s_mov_b64 s[44:45], -1
	s_cbranch_vccnz .LBB17_158
.LBB17_160:                             ;   in Loop: Header=BB17_8 Depth=1
	s_cmp_eq_u32 s46, 1
	s_cselect_b64 s[6:7], -1, 0
	s_cmp_eq_u32 s49, 1
	s_cselect_b64 s[18:19], -1, 0
	s_and_b64 s[42:43], s[6:7], s[18:19]
	s_mov_b64 s[18:19], -1
	s_and_b64 vcc, exec, s[42:43]
	s_cbranch_vccz .LBB17_172
; %bb.161:                              ;   in Loop: Header=BB17_8 Depth=1
	ds_read_b32 v2, v9 offset:4096
	s_waitcnt lgkmcnt(0)
	s_barrier
	v_readfirstlane_b32 s6, v2
	s_and_saveexec_b64 s[18:19], s[4:5]
	s_cbranch_execz .LBB17_163
; %bb.162:                              ;   in Loop: Header=BB17_8 Depth=1
	ds_write_b32 v25, v9
.LBB17_163:                             ;   in Loop: Header=BB17_8 Depth=1
	s_or_b64 exec, exec, s[18:19]
	s_lshl_b32 s7, 2, s47
	s_and_b32 s1, s1, s48
	s_or_b32 s1, s1, s7
	s_or_b32 s0, s0, s55
	s_cmp_gt_i32 s6, 0
	s_waitcnt lgkmcnt(0)
	s_barrier
	s_cbranch_scc1 .LBB17_173
; %bb.164:                              ;   in Loop: Header=BB17_8 Depth=1
	s_mov_b64 s[18:19], 0
                                        ; implicit-def: $vgpr19
	s_mov_b64 s[34:35], exec
	v_readlane_b32 s36, v50, 45
	v_readlane_b32 s37, v50, 46
	s_and_b64 s[36:37], s[34:35], s[36:37]
	s_mov_b64 exec, s[36:37]
	s_cbranch_execz .LBB17_175
; %bb.165:                              ;   in Loop: Header=BB17_8 Depth=1
	s_mov_b64 s[36:37], 0
	v_mov_b32_e32 v2, v6
	v_mov_b32_e32 v4, v0
                                        ; implicit-def: $sgpr38_sgpr39
	s_branch .LBB17_167
.LBB17_166:                             ;   in Loop: Header=BB17_167 Depth=2
	s_or_b64 exec, exec, s[18:19]
	s_waitcnt lgkmcnt(0)
	s_barrier
	ds_read_b64 v[18:19], v9 offset:3072
	v_add_u32_e32 v4, s88, v4
	v_cmp_le_i32_e32 vcc, s9, v4
	v_add_u32_e32 v2, s80, v2
	s_waitcnt lgkmcnt(0)
	v_readfirstlane_b32 s7, v18
	s_cmp_lg_u32 s7, 0
	s_cselect_b64 s[18:19], -1, 0
	s_or_b64 s[40:41], vcc, s[18:19]
	s_and_b64 s[40:41], exec, s[40:41]
	s_or_b64 s[36:37], s[40:41], s[36:37]
	s_andn2_b64 s[38:39], s[38:39], exec
	s_and_b64 s[18:19], s[18:19], exec
	s_or_b64 s[38:39], s[38:39], s[18:19]
	s_barrier
	s_andn2_b64 exec, exec, s[36:37]
	s_cbranch_execz .LBB17_174
.LBB17_167:                             ;   Parent Loop BB17_8 Depth=1
                                        ; =>  This Inner Loop Header: Depth=2
	v_cmp_gt_i32_e32 vcc, s60, v4
	s_waitcnt vmcnt(0)
	v_mov_b32_e32 v17, 0
	s_and_saveexec_b64 s[40:41], vcc
	s_cbranch_execz .LBB17_169
; %bb.168:                              ;   in Loop: Header=BB17_167 Depth=2
	v_ashrrev_i32_e32 v3, 31, v2
	v_lshlrev_b64 v[18:19], 2, v[2:3]
	v_mov_b32_e32 v3, s89
	v_add_co_u32_e64 v18, s[18:19], s62, v18
	v_addc_co_u32_e64 v19, s[18:19], v3, v19, s[18:19]
	global_load_dword v17, v[18:19], off
.LBB17_169:                             ;   in Loop: Header=BB17_167 Depth=2
	s_or_b64 exec, exec, s[40:41]
	s_and_saveexec_b64 s[18:19], vcc
	s_cbranch_execz .LBB17_166
; %bb.170:                              ;   in Loop: Header=BB17_167 Depth=2
	s_waitcnt vmcnt(0)
	v_xor_b32_e32 v3, 0x80000000, v17
	v_and_b32_e32 v3, s0, v3
	v_cmp_eq_u32_e32 vcc, s1, v3
	s_and_b64 exec, exec, vcc
	s_cbranch_execz .LBB17_166
; %bb.171:                              ;   in Loop: Header=BB17_167 Depth=2
	ds_write_b64 v9, v[16:17] offset:3072
	s_branch .LBB17_166
.LBB17_172:                             ;   in Loop: Header=BB17_8 Depth=1
                                        ; implicit-def: $sgpr34_sgpr35
                                        ; implicit-def: $sgpr38_sgpr39
                                        ; implicit-def: $sgpr36_sgpr37
	s_branch .LBB17_186
.LBB17_173:                             ;   in Loop: Header=BB17_8 Depth=1
	s_mov_b64 s[34:35], -1
	s_mov_b64 s[18:19], 0
                                        ; implicit-def: $sgpr36_sgpr37
                                        ; implicit-def: $vgpr19
	s_mov_b64 s[38:39], s[34:35]
	s_cbranch_execnz .LBB17_176
	s_branch .LBB17_186
.LBB17_174:                             ;   in Loop: Header=BB17_8 Depth=1
	s_or_b64 exec, exec, s[36:37]
	s_and_b64 s[18:19], s[38:39], exec
.LBB17_175:                             ;   in Loop: Header=BB17_8 Depth=1
	s_or_b64 exec, exec, s[34:35]
	s_mov_b64 s[36:37], -1
	s_mov_b64 s[34:35], 0
	s_mov_b64 s[38:39], s[34:35]
	s_branch .LBB17_186
.LBB17_176:                             ;   in Loop: Header=BB17_8 Depth=1
	v_readlane_b32 s7, v50, 21
	s_add_i32 s7, s6, s7
	s_abs_i32 s19, s7
	v_readlane_b32 s34, v50, 44
	s_mul_hi_u32 s34, s19, s34
	s_mul_i32 s34, s34, s88
	s_sub_i32 s19, s19, s34
	s_ashr_i32 s18, s7, 31
	s_sub_i32 s34, s19, s88
	s_cmp_ge_u32 s19, s88
	s_cselect_b32 s19, s34, s19
	s_sub_i32 s34, s19, s88
	s_cmp_ge_u32 s19, s88
	s_cselect_b32 s19, s34, s19
	s_xor_b32 s19, s19, s18
	s_sub_i32 s18, s18, s19
	s_add_i32 s7, s7, s18
	v_cmp_gt_i32_e32 vcc, s7, v0
	s_mov_b64 s[18:19], 0
                                        ; implicit-def: $vgpr19
	s_and_saveexec_b64 s[34:35], vcc
	s_cbranch_execz .LBB17_185
; %bb.177:                              ;   in Loop: Header=BB17_8 Depth=1
	v_mov_b32_e32 v2, v24
	v_mov_b32_e32 v3, v0
                                        ; implicit-def: $sgpr36_sgpr37
	s_branch .LBB17_179
.LBB17_178:                             ;   in Loop: Header=BB17_179 Depth=2
	s_or_b64 exec, exec, s[38:39]
	s_waitcnt lgkmcnt(0)
	s_barrier
	ds_read_b64 v[18:19], v9 offset:3072
	v_add_u32_e32 v3, s88, v3
	v_cmp_le_i32_e32 vcc, s7, v3
	v_add_u32_e32 v2, s33, v2
	s_waitcnt lgkmcnt(0)
	v_readfirstlane_b32 s38, v18
	s_cmp_lg_u32 s38, 0
	s_cselect_b64 s[38:39], -1, 0
	s_or_b64 s[40:41], vcc, s[38:39]
	s_and_b64 s[40:41], exec, s[40:41]
	s_or_b64 s[18:19], s[40:41], s[18:19]
	s_andn2_b64 s[36:37], s[36:37], exec
	s_and_b64 s[38:39], s[38:39], exec
	s_or_b64 s[36:37], s[36:37], s[38:39]
	s_barrier
	s_andn2_b64 exec, exec, s[18:19]
	s_cbranch_execz .LBB17_184
.LBB17_179:                             ;   Parent Loop BB17_8 Depth=1
                                        ; =>  This Inner Loop Header: Depth=2
	v_cmp_gt_i32_e32 vcc, s6, v3
	s_waitcnt vmcnt(0)
	v_mov_b32_e32 v17, 0
	s_and_saveexec_b64 s[38:39], vcc
	s_cbranch_execz .LBB17_181
; %bb.180:                              ;   in Loop: Header=BB17_179 Depth=2
	ds_read_b32 v17, v2
.LBB17_181:                             ;   in Loop: Header=BB17_179 Depth=2
	s_or_b64 exec, exec, s[38:39]
	s_and_saveexec_b64 s[38:39], vcc
	s_cbranch_execz .LBB17_178
; %bb.182:                              ;   in Loop: Header=BB17_179 Depth=2
	s_waitcnt lgkmcnt(0)
	v_xor_b32_e32 v4, 0x80000000, v17
	v_and_b32_e32 v4, s0, v4
	v_cmp_eq_u32_e32 vcc, s1, v4
	s_and_b64 exec, exec, vcc
	s_cbranch_execz .LBB17_178
; %bb.183:                              ;   in Loop: Header=BB17_179 Depth=2
	ds_write_b64 v9, v[16:17] offset:3072
	s_branch .LBB17_178
.LBB17_184:                             ;   in Loop: Header=BB17_8 Depth=1
	s_or_b64 exec, exec, s[18:19]
	s_and_b64 s[18:19], s[36:37], exec
.LBB17_185:                             ;   in Loop: Header=BB17_8 Depth=1
	s_or_b64 exec, exec, s[34:35]
	s_mov_b64 s[38:39], -1
	s_mov_b64 s[34:35], 0
	s_mov_b64 s[36:37], 0
.LBB17_186:                             ;   in Loop: Header=BB17_8 Depth=1
	s_mov_b64 s[44:45], 0
                                        ; implicit-def: $sgpr57
	s_and_saveexec_b64 s[40:41], s[18:19]
	s_cbranch_execz .LBB17_241
; %bb.187:                              ;   in Loop: Header=BB17_8 Depth=1
	s_xor_b64 s[6:7], s[42:43], -1
	s_mov_b64 s[18:19], 0
	s_andn2_b64 vcc, exec, s[6:7]
	s_mov_b32 s56, 1
	s_cbranch_vccnz .LBB17_198
; %bb.188:                              ;   in Loop: Header=BB17_8 Depth=1
	s_cmp_gt_i32 s49, s46
	s_mov_b64 s[18:19], -1
                                        ; implicit-def: $sgpr57
                                        ; implicit-def: $sgpr6
                                        ; implicit-def: $sgpr7
	s_cbranch_scc1 .LBB17_194
; %bb.189:                              ;   in Loop: Header=BB17_8 Depth=1
	ds_read_b32 v2, v9 offset:4096
	s_waitcnt lgkmcnt(0)
	v_cmp_ne_u32_e32 vcc, 0, v2
	s_cbranch_vccnz .LBB17_193
; %bb.190:                              ;   in Loop: Header=BB17_8 Depth=1
	s_mov_b64 s[18:19], exec
	v_readlane_b32 s6, v50, 12
	v_readlane_b32 s7, v50, 13
	s_and_b64 s[6:7], s[18:19], s[6:7]
	s_mov_b64 exec, s[6:7]
	s_cbranch_execz .LBB17_192
; %bb.191:                              ;   in Loop: Header=BB17_8 Depth=1
	v_mov_b32_e32 v2, s46
	ds_write_b32 v9, v2 offset:4100
.LBB17_192:                             ;   in Loop: Header=BB17_8 Depth=1
	s_or_b64 exec, exec, s[18:19]
	s_waitcnt lgkmcnt(0)
	s_barrier
.LBB17_193:                             ;   in Loop: Header=BB17_8 Depth=1
	s_lshl_b32 s6, 2, s47
	s_and_b32 s7, s1, s48
	s_or_b32 s6, s7, s6
	s_or_b32 s7, s0, s55
	s_mov_b64 s[18:19], 0
	s_mov_b32 s57, 8
.LBB17_194:                             ;   in Loop: Header=BB17_8 Depth=1
	s_andn2_b64 vcc, exec, s[18:19]
	s_cbranch_vccnz .LBB17_196
; %bb.195:                              ;   in Loop: Header=BB17_8 Depth=1
	s_sub_i32 s49, s49, s46
	s_mov_b64 s[18:19], -1
	s_mov_b32 s57, 0
	s_mov_b32 s6, s1
	;; [unrolled: 1-line block ×3, first 2 shown]
.LBB17_196:                             ;   in Loop: Header=BB17_8 Depth=1
	s_mov_b32 s0, s7
	s_mov_b32 s1, s6
	;; [unrolled: 1-line block ×3, first 2 shown]
	s_andn2_b64 vcc, exec, s[18:19]
	s_mov_b64 s[52:53], -1
	s_cbranch_vccz .LBB17_199
.LBB17_197:                             ;   in Loop: Header=BB17_8 Depth=1
                                        ; implicit-def: $sgpr18_sgpr19
                                        ; implicit-def: $sgpr46_sgpr47
                                        ; implicit-def: $sgpr44_sgpr45
	s_branch .LBB17_240
.LBB17_198:                             ;   in Loop: Header=BB17_8 Depth=1
	s_mov_b32 s57, 1
	s_andn2_b64 vcc, exec, s[18:19]
	s_mov_b64 s[52:53], -1
	s_cbranch_vccnz .LBB17_197
.LBB17_199:                             ;   in Loop: Header=BB17_8 Depth=1
	s_cmp_eq_u32 s54, 1
	s_cselect_b64 s[6:7], -1, 0
	s_cmp_eq_u32 s56, 1
	s_cselect_b64 s[18:19], -1, 0
	s_and_b64 s[42:43], s[6:7], s[18:19]
	s_mov_b64 s[48:49], -1
	s_and_b64 vcc, exec, s[42:43]
	s_cbranch_vccz .LBB17_211
; %bb.200:                              ;   in Loop: Header=BB17_8 Depth=1
	ds_read_b32 v2, v9 offset:4096
	s_waitcnt lgkmcnt(0)
	s_barrier
	v_readfirstlane_b32 s6, v2
	s_and_saveexec_b64 s[18:19], s[4:5]
	s_cbranch_execz .LBB17_202
; %bb.201:                              ;   in Loop: Header=BB17_8 Depth=1
	ds_write_b32 v25, v9
.LBB17_202:                             ;   in Loop: Header=BB17_8 Depth=1
	s_or_b64 exec, exec, s[18:19]
	s_or_b32 s1, s1, s55
	s_or_b32 s0, s0, s55
	s_cmp_gt_i32 s6, 0
	s_waitcnt lgkmcnt(0)
	s_barrier
	s_cbranch_scc1 .LBB17_212
; %bb.203:                              ;   in Loop: Header=BB17_8 Depth=1
	s_mov_b64 s[48:49], 0
                                        ; implicit-def: $vgpr19
	s_mov_b64 s[44:45], exec
	v_readlane_b32 s18, v50, 45
	v_readlane_b32 s19, v50, 46
	s_and_b64 s[18:19], s[44:45], s[18:19]
	s_mov_b64 exec, s[18:19]
	s_cbranch_execz .LBB17_214
; %bb.204:                              ;   in Loop: Header=BB17_8 Depth=1
	s_mov_b64 s[46:47], 0
	v_mov_b32_e32 v2, v6
	v_mov_b32_e32 v4, v0
                                        ; implicit-def: $sgpr48_sgpr49
	s_branch .LBB17_206
.LBB17_205:                             ;   in Loop: Header=BB17_206 Depth=2
	s_or_b64 exec, exec, s[18:19]
	s_waitcnt lgkmcnt(0)
	s_barrier
	ds_read_b64 v[18:19], v9 offset:3072
	v_add_u32_e32 v4, s88, v4
	v_cmp_le_i32_e32 vcc, s9, v4
	v_add_u32_e32 v2, s80, v2
	s_waitcnt lgkmcnt(0)
	v_readfirstlane_b32 s7, v18
	s_cmp_lg_u32 s7, 0
	s_cselect_b64 s[18:19], -1, 0
	s_or_b64 s[50:51], vcc, s[18:19]
	s_and_b64 s[50:51], exec, s[50:51]
	s_or_b64 s[46:47], s[50:51], s[46:47]
	s_andn2_b64 s[48:49], s[48:49], exec
	s_and_b64 s[18:19], s[18:19], exec
	s_or_b64 s[48:49], s[48:49], s[18:19]
	s_barrier
	s_andn2_b64 exec, exec, s[46:47]
	s_cbranch_execz .LBB17_213
.LBB17_206:                             ;   Parent Loop BB17_8 Depth=1
                                        ; =>  This Inner Loop Header: Depth=2
	v_cmp_gt_i32_e32 vcc, s60, v4
	s_waitcnt vmcnt(0)
	v_mov_b32_e32 v17, 0
	s_and_saveexec_b64 s[50:51], vcc
	s_cbranch_execz .LBB17_208
; %bb.207:                              ;   in Loop: Header=BB17_206 Depth=2
	v_ashrrev_i32_e32 v3, 31, v2
	v_lshlrev_b64 v[18:19], 2, v[2:3]
	v_mov_b32_e32 v3, s89
	v_add_co_u32_e64 v18, s[18:19], s62, v18
	v_addc_co_u32_e64 v19, s[18:19], v3, v19, s[18:19]
	global_load_dword v17, v[18:19], off
.LBB17_208:                             ;   in Loop: Header=BB17_206 Depth=2
	s_or_b64 exec, exec, s[50:51]
	s_and_saveexec_b64 s[18:19], vcc
	s_cbranch_execz .LBB17_205
; %bb.209:                              ;   in Loop: Header=BB17_206 Depth=2
	s_waitcnt vmcnt(0)
	v_xor_b32_e32 v3, 0x80000000, v17
	v_and_b32_e32 v3, s0, v3
	v_cmp_eq_u32_e32 vcc, s1, v3
	s_and_b64 exec, exec, vcc
	s_cbranch_execz .LBB17_205
; %bb.210:                              ;   in Loop: Header=BB17_206 Depth=2
	ds_write_b64 v9, v[16:17] offset:3072
	s_branch .LBB17_205
.LBB17_211:                             ;   in Loop: Header=BB17_8 Depth=1
                                        ; implicit-def: $sgpr18_sgpr19
                                        ; implicit-def: $sgpr46_sgpr47
                                        ; implicit-def: $sgpr44_sgpr45
	s_branch .LBB17_225
.LBB17_212:                             ;   in Loop: Header=BB17_8 Depth=1
	s_mov_b64 s[18:19], -1
	s_mov_b64 s[48:49], 0
                                        ; implicit-def: $sgpr44_sgpr45
                                        ; implicit-def: $vgpr19
	s_mov_b64 s[46:47], s[18:19]
	s_cbranch_execnz .LBB17_215
	s_branch .LBB17_225
.LBB17_213:                             ;   in Loop: Header=BB17_8 Depth=1
	s_or_b64 exec, exec, s[46:47]
	s_and_b64 s[48:49], s[48:49], exec
.LBB17_214:                             ;   in Loop: Header=BB17_8 Depth=1
	s_or_b64 exec, exec, s[44:45]
	s_mov_b64 s[44:45], -1
	s_mov_b64 s[18:19], 0
	s_mov_b64 s[46:47], s[18:19]
	s_branch .LBB17_225
.LBB17_215:                             ;   in Loop: Header=BB17_8 Depth=1
	v_readlane_b32 s7, v50, 21
	s_add_i32 s7, s6, s7
	s_abs_i32 s19, s7
	v_readlane_b32 s44, v50, 44
	s_mul_hi_u32 s44, s19, s44
	s_mul_i32 s44, s44, s88
	s_sub_i32 s19, s19, s44
	s_ashr_i32 s18, s7, 31
	s_sub_i32 s44, s19, s88
	s_cmp_ge_u32 s19, s88
	s_cselect_b32 s19, s44, s19
	s_sub_i32 s44, s19, s88
	s_cmp_ge_u32 s19, s88
	s_cselect_b32 s19, s44, s19
	s_xor_b32 s19, s19, s18
	s_sub_i32 s18, s18, s19
	s_add_i32 s7, s7, s18
	v_cmp_gt_i32_e32 vcc, s7, v0
	s_mov_b64 s[48:49], 0
                                        ; implicit-def: $vgpr19
	s_and_saveexec_b64 s[18:19], vcc
	s_cbranch_execz .LBB17_224
; %bb.216:                              ;   in Loop: Header=BB17_8 Depth=1
	s_mov_b64 s[44:45], 0
	v_mov_b32_e32 v2, v24
	v_mov_b32_e32 v3, v0
                                        ; implicit-def: $sgpr46_sgpr47
	s_branch .LBB17_218
.LBB17_217:                             ;   in Loop: Header=BB17_218 Depth=2
	s_or_b64 exec, exec, s[48:49]
	s_waitcnt lgkmcnt(0)
	s_barrier
	ds_read_b64 v[18:19], v9 offset:3072
	v_add_u32_e32 v3, s88, v3
	v_cmp_le_i32_e32 vcc, s7, v3
	v_add_u32_e32 v2, s33, v2
	s_waitcnt lgkmcnt(0)
	v_readfirstlane_b32 s48, v18
	s_cmp_lg_u32 s48, 0
	s_cselect_b64 s[48:49], -1, 0
	s_or_b64 s[50:51], vcc, s[48:49]
	s_and_b64 s[50:51], exec, s[50:51]
	s_or_b64 s[44:45], s[50:51], s[44:45]
	s_andn2_b64 s[46:47], s[46:47], exec
	s_and_b64 s[48:49], s[48:49], exec
	s_or_b64 s[46:47], s[46:47], s[48:49]
	s_barrier
	s_andn2_b64 exec, exec, s[44:45]
	s_cbranch_execz .LBB17_223
.LBB17_218:                             ;   Parent Loop BB17_8 Depth=1
                                        ; =>  This Inner Loop Header: Depth=2
	v_cmp_gt_i32_e32 vcc, s6, v3
	s_waitcnt vmcnt(0)
	v_mov_b32_e32 v17, 0
	s_and_saveexec_b64 s[48:49], vcc
	s_cbranch_execz .LBB17_220
; %bb.219:                              ;   in Loop: Header=BB17_218 Depth=2
	ds_read_b32 v17, v2
.LBB17_220:                             ;   in Loop: Header=BB17_218 Depth=2
	s_or_b64 exec, exec, s[48:49]
	s_and_saveexec_b64 s[48:49], vcc
	s_cbranch_execz .LBB17_217
; %bb.221:                              ;   in Loop: Header=BB17_218 Depth=2
	s_waitcnt lgkmcnt(0)
	v_xor_b32_e32 v4, 0x80000000, v17
	v_and_b32_e32 v4, s0, v4
	v_cmp_eq_u32_e32 vcc, s1, v4
	s_and_b64 exec, exec, vcc
	s_cbranch_execz .LBB17_217
; %bb.222:                              ;   in Loop: Header=BB17_218 Depth=2
	ds_write_b64 v9, v[16:17] offset:3072
	s_branch .LBB17_217
.LBB17_223:                             ;   in Loop: Header=BB17_8 Depth=1
	s_or_b64 exec, exec, s[44:45]
	s_and_b64 s[48:49], s[46:47], exec
.LBB17_224:                             ;   in Loop: Header=BB17_8 Depth=1
	s_or_b64 exec, exec, s[18:19]
	s_mov_b64 s[46:47], -1
	s_mov_b64 s[18:19], 0
	s_mov_b64 s[44:45], 0
.LBB17_225:                             ;   in Loop: Header=BB17_8 Depth=1
	s_mov_b64 s[52:53], 0
                                        ; implicit-def: $sgpr57
	s_and_saveexec_b64 s[50:51], s[48:49]
	s_cbranch_execz .LBB17_239
; %bb.226:                              ;   in Loop: Header=BB17_8 Depth=1
	s_xor_b64 s[6:7], s[42:43], -1
	s_andn2_b64 vcc, exec, s[6:7]
	s_mov_b32 s57, 1
	s_cbranch_vccnz .LBB17_233
; %bb.227:                              ;   in Loop: Header=BB17_8 Depth=1
	s_cmp_gt_i32 s56, s54
	s_cbranch_scc1 .LBB17_234
; %bb.228:                              ;   in Loop: Header=BB17_8 Depth=1
	ds_read_b32 v2, v9 offset:4096
	s_waitcnt lgkmcnt(0)
	v_cmp_ne_u32_e32 vcc, 0, v2
	s_cbranch_vccnz .LBB17_232
; %bb.229:                              ;   in Loop: Header=BB17_8 Depth=1
	s_mov_b64 s[42:43], exec
	v_readlane_b32 s6, v50, 12
	v_readlane_b32 s7, v50, 13
	s_and_b64 s[6:7], s[42:43], s[6:7]
	s_mov_b64 exec, s[6:7]
	s_cbranch_execz .LBB17_231
; %bb.230:                              ;   in Loop: Header=BB17_8 Depth=1
	v_mov_b32_e32 v2, s54
	ds_write_b32 v9, v2 offset:4100
.LBB17_231:                             ;   in Loop: Header=BB17_8 Depth=1
	s_or_b64 exec, exec, s[42:43]
	s_waitcnt lgkmcnt(0)
	s_barrier
.LBB17_232:                             ;   in Loop: Header=BB17_8 Depth=1
	s_or_b32 s6, s1, s55
	s_or_b32 s7, s0, s55
	s_mov_b64 s[42:43], 0
	s_mov_b32 s57, 8
	s_branch .LBB17_235
.LBB17_233:                             ;   in Loop: Header=BB17_8 Depth=1
	s_mov_b32 s56, 1
	s_branch .LBB17_238
.LBB17_234:                             ;   in Loop: Header=BB17_8 Depth=1
	s_mov_b64 s[42:43], -1
                                        ; implicit-def: $sgpr57
                                        ; implicit-def: $sgpr6
                                        ; implicit-def: $sgpr7
.LBB17_235:                             ;   in Loop: Header=BB17_8 Depth=1
	s_andn2_b64 vcc, exec, s[42:43]
	s_cbranch_vccnz .LBB17_237
; %bb.236:                              ;   in Loop: Header=BB17_8 Depth=1
	s_sub_i32 s56, s56, s54
	s_mov_b32 s57, 8
	s_mov_b32 s6, s1
	;; [unrolled: 1-line block ×3, first 2 shown]
.LBB17_237:                             ;   in Loop: Header=BB17_8 Depth=1
	s_mov_b32 s1, s6
	s_mov_b32 s0, s7
.LBB17_238:                             ;   in Loop: Header=BB17_8 Depth=1
	s_mov_b64 s[52:53], exec
.LBB17_239:                             ;   in Loop: Header=BB17_8 Depth=1
	s_or_b64 exec, exec, s[50:51]
.LBB17_240:                             ;   in Loop: Header=BB17_8 Depth=1
	s_andn2_b64 s[6:7], s[34:35], exec
	s_and_b64 s[18:19], s[18:19], exec
	s_or_b64 s[34:35], s[6:7], s[18:19]
	s_andn2_b64 s[6:7], s[38:39], exec
	s_and_b64 s[18:19], s[46:47], exec
	s_or_b64 s[38:39], s[6:7], s[18:19]
	s_andn2_b64 s[6:7], s[36:37], exec
	s_and_b64 s[18:19], s[44:45], exec
	s_or_b64 s[36:37], s[6:7], s[18:19]
	s_and_b64 s[44:45], s[52:53], exec
	s_mov_b32 s49, s56
.LBB17_241:                             ;   in Loop: Header=BB17_8 Depth=1
	s_or_b64 exec, exec, s[40:41]
.LBB17_242:                             ;   in Loop: Header=BB17_8 Depth=1
	s_andn2_b64 s[6:7], s[26:27], exec
	s_and_b64 s[18:19], s[34:35], exec
	s_or_b64 s[26:27], s[6:7], s[18:19]
	s_andn2_b64 s[6:7], s[28:29], exec
	s_and_b64 s[18:19], s[38:39], exec
	s_or_b64 s[28:29], s[6:7], s[18:19]
	;; [unrolled: 3-line block ×3, first 2 shown]
	s_and_b64 s[36:37], s[44:45], exec
	s_mov_b32 s39, s49
.LBB17_243:                             ;   in Loop: Header=BB17_8 Depth=1
	s_or_b64 exec, exec, s[30:31]
	s_and_saveexec_b64 s[6:7], s[36:37]
	s_xor_b64 s[18:19], exec, s[6:7]
	s_cbranch_execz .LBB17_6
.LBB17_244:                             ;   in Loop: Header=BB17_8 Depth=1
	s_and_b32 s6, s57, -9
	s_cmp_eq_u32 s6, 0
	s_cbranch_scc1 .LBB17_4
; %bb.245:                              ;   in Loop: Header=BB17_8 Depth=1
	s_mov_b64 s[22:23], -1
                                        ; implicit-def: $sgpr0
                                        ; implicit-def: $sgpr39
                                        ; implicit-def: $sgpr81
                                        ; implicit-def: $sgpr8
	s_mov_b64 s[30:31], -1
	s_branch .LBB17_5
.LBB17_246:
	s_or_b64 exec, exec, s[90:91]
	s_xor_b64 s[8:9], s[64:65], -1
	s_xor_b64 s[0:1], s[92:93], -1
	s_xor_b64 s[6:7], s[94:95], -1
	s_mov_b64 s[4:5], 0
	s_and_saveexec_b64 s[2:3], s[0:1]
	s_xor_b64 s[2:3], exec, s[2:3]
	s_cbranch_execnz .LBB17_251
; %bb.247:
	s_andn2_saveexec_b64 s[0:1], s[2:3]
	s_cbranch_execnz .LBB17_271
.LBB17_248:
	s_or_b64 exec, exec, s[0:1]
	s_and_saveexec_b64 s[0:1], s[4:5]
.LBB17_249:
	; divergent unreachable
.LBB17_250:
	s_endpgm
.LBB17_251:
	s_and_saveexec_b64 s[0:1], s[8:9]
	s_xor_b64 s[4:5], exec, s[0:1]
	s_cbranch_execz .LBB17_269
; %bb.252:
	s_and_saveexec_b64 s[0:1], s[6:7]
	s_xor_b64 s[6:7], exec, s[0:1]
; %bb.253:
	v_xor_b32_e32 v19, 0x80000000, v2
; %bb.254:
	s_or_b64 exec, exec, s[6:7]
	s_mov_b64 s[6:7], exec
	v_readlane_b32 s0, v50, 12
	v_readlane_b32 s1, v50, 13
	s_and_b64 s[0:1], s[6:7], s[0:1]
	v_readlane_b32 s18, v50, 20
	v_readlane_b32 s19, v50, 16
	;; [unrolled: 1-line block ×5, first 2 shown]
	s_mov_b64 exec, s[0:1]
	s_cbranch_execz .LBB17_256
; %bb.255:
	v_mov_b32_e32 v1, 0
	v_mov_b32_e32 v2, s60
	ds_write_b32 v1, v2 offset:4108
.LBB17_256:
	s_or_b64 exec, exec, s[6:7]
	v_mov_b32_e32 v1, 0
	s_waitcnt lgkmcnt(0)
	s_barrier
	ds_read_b32 v1, v1 offset:4108
	s_waitcnt lgkmcnt(0)
	v_min_i32_e32 v1, s60, v1
	v_cmp_lt_i32_e32 vcc, v0, v1
	s_and_saveexec_b64 s[6:7], vcc
	s_cbranch_execz .LBB17_266
; %bb.257:
	s_mov_b64 s[8:9], 0
	v_mov_b32_e32 v3, s89
                                        ; implicit-def: $sgpr10_sgpr11
                                        ; implicit-def: $sgpr14_sgpr15
                                        ; implicit-def: $sgpr12_sgpr13
	s_branch .LBB17_259
.LBB17_258:                             ;   in Loop: Header=BB17_259 Depth=1
	s_or_b64 exec, exec, s[16:17]
	s_and_b64 s[0:1], exec, s[14:15]
	s_or_b64 s[8:9], s[0:1], s[8:9]
	s_andn2_b64 s[0:1], s[10:11], exec
	s_and_b64 s[10:11], s[12:13], exec
	s_or_b64 s[10:11], s[0:1], s[10:11]
	s_andn2_b64 exec, exec, s[8:9]
	s_cbranch_execz .LBB17_261
.LBB17_259:                             ; =>This Inner Loop Header: Depth=1
	v_ashrrev_i32_e32 v7, 31, v6
	v_lshlrev_b64 v[4:5], 2, v[6:7]
	v_add_co_u32_e32 v4, vcc, s62, v4
	v_addc_co_u32_e32 v5, vcc, v3, v5, vcc
	global_load_dword v4, v[4:5], off
	v_mov_b32_e32 v2, v0
	s_or_b64 s[12:13], s[12:13], exec
	s_or_b64 s[14:15], s[14:15], exec
                                        ; implicit-def: $vgpr0
	s_waitcnt vmcnt(0)
	v_cmp_ne_u32_e32 vcc, v4, v19
	s_and_saveexec_b64 s[16:17], vcc
	s_cbranch_execz .LBB17_258
; %bb.260:                              ;   in Loop: Header=BB17_259 Depth=1
	v_add_u32_e32 v0, s88, v2
	v_cmp_ge_i32_e32 vcc, v0, v1
	s_andn2_b64 s[0:1], s[14:15], exec
	s_and_b64 s[14:15], vcc, exec
	v_add_u32_e32 v6, s80, v6
	s_andn2_b64 s[12:13], s[12:13], exec
	s_or_b64 s[14:15], s[0:1], s[14:15]
	s_branch .LBB17_258
.LBB17_261:
	s_or_b64 exec, exec, s[8:9]
	s_and_saveexec_b64 s[0:1], s[10:11]
	s_xor_b64 s[0:1], exec, s[0:1]
	s_cbranch_execz .LBB17_266
; %bb.262:
	s_mov_b64 s[8:9], exec
	s_brev_b32 s0, -2
.LBB17_263:                             ; =>This Inner Loop Header: Depth=1
	s_ff1_i32_b64 s1, s[8:9]
	v_readlane_b32 s12, v2, s1
	s_lshl_b64 s[10:11], 1, s1
	s_min_i32 s0, s0, s12
	s_andn2_b64 s[8:9], s[8:9], s[10:11]
	s_cmp_lg_u64 s[8:9], 0
	s_cbranch_scc1 .LBB17_263
; %bb.264:
	v_mbcnt_lo_u32_b32 v0, exec_lo, 0
	v_mbcnt_hi_u32_b32 v0, exec_hi, v0
	v_cmp_eq_u32_e32 vcc, 0, v0
	s_and_saveexec_b64 s[8:9], vcc
	s_xor_b64 s[8:9], exec, s[8:9]
	s_cbranch_execz .LBB17_266
; %bb.265:
	v_mov_b32_e32 v0, 0
	v_mov_b32_e32 v1, s0
	ds_min_i32 v0, v1 offset:4108
.LBB17_266:
	s_or_b64 exec, exec, s[6:7]
	s_waitcnt lgkmcnt(0)
	s_barrier
	s_mov_b64 s[6:7], exec
	v_readlane_b32 s0, v50, 12
	v_readlane_b32 s1, v50, 13
	s_and_b64 s[0:1], s[6:7], s[0:1]
	s_mov_b64 exec, s[0:1]
	s_cbranch_execz .LBB17_268
; %bb.267:
	v_readlane_b32 s10, v50, 8
	v_readlane_b32 s11, v50, 9
	s_mul_i32 s1, s11, s10
	v_readlane_b32 s0, v50, 15
	s_sub_i32 s1, s21, s1
	s_xor_b32 s0, s20, s0
	s_add_i32 s8, s11, 1
	s_sub_i32 s9, s1, s10
	s_cmp_ge_u32 s1, s10
	s_cselect_b32 s8, s8, s11
	s_cselect_b32 s1, s9, s1
	s_add_i32 s9, s8, 1
	s_cmp_ge_u32 s1, s10
	s_cselect_b32 s1, s9, s8
	s_xor_b32 s1, s1, s0
	s_sub_i32 s0, s1, s0
	s_mul_i32 s1, s0, s22
	v_readlane_b32 s8, v50, 6
	s_sub_i32 s1, s18, s1
	v_readlane_b32 s9, v50, 7
	v_readlane_b32 s11, v50, 10
	;; [unrolled: 1-line block ×3, first 2 shown]
	s_mul_i32 s1, s1, s9
	s_mul_i32 s0, s0, s8
	;; [unrolled: 1-line block ×3, first 2 shown]
	s_add_i32 s0, s0, s1
	v_readlane_b32 s1, v50, 17
	s_sub_i32 s8, s21, s8
	s_xor_b32 s1, s20, s1
	s_add_i32 s9, s12, 1
	s_sub_i32 s10, s8, s11
	s_cmp_ge_u32 s8, s11
	s_cselect_b32 s9, s9, s12
	s_cselect_b32 s8, s10, s8
	s_add_i32 s10, s9, 1
	s_cmp_ge_u32 s8, s11
	s_cselect_b32 s8, s10, s9
	s_xor_b32 s8, s8, s1
	s_sub_i32 s1, s8, s1
	s_mul_i32 s8, s1, s19
	v_readlane_b32 s10, v50, 2
	s_sub_i32 s8, s18, s8
	v_readlane_b32 s11, v50, 3
	s_mul_i32 s8, s8, s11
	s_mul_i32 s1, s1, s10
	s_add_i32 s8, s1, s8
	s_ashr_i32 s1, s0, 31
	v_mov_b32_e32 v2, 0
	s_lshl_b64 s[0:1], s[0:1], 2
	v_readlane_b32 s10, v50, 0
	ds_read_b32 v0, v2 offset:4108
	v_readlane_b32 s11, v50, 1
	s_add_u32 s0, s10, s0
	s_addc_u32 s1, s11, s1
	s_ashr_i32 s9, s8, 31
	s_lshl_b64 s[8:9], s[8:9], 3
	v_readlane_b32 s10, v50, 4
	v_readlane_b32 s11, v50, 5
	s_add_u32 s8, s10, s8
	s_addc_u32 s9, s11, s9
	s_waitcnt lgkmcnt(0)
	v_ashrrev_i32_e32 v1, 31, v0
	global_store_dwordx2 v2, v[0:1], s[8:9]
	global_store_dword v2, v19, s[0:1]
.LBB17_268:
	s_or_b64 exec, exec, s[6:7]
.LBB17_269:
	s_or_saveexec_b64 s[0:1], s[4:5]
	s_mov_b64 s[4:5], 0
	s_xor_b64 exec, exec, s[0:1]
	s_cbranch_execnz .LBB17_272
.LBB17_270:
	s_or_b64 exec, exec, s[0:1]
	s_and_b64 s[4:5], s[4:5], exec
	s_andn2_saveexec_b64 s[0:1], s[2:3]
	s_cbranch_execz .LBB17_248
.LBB17_271:
	s_or_b64 s[4:5], s[4:5], exec
	s_trap 2
	s_or_b64 exec, exec, s[0:1]
	s_and_saveexec_b64 s[0:1], s[4:5]
	s_cbranch_execnz .LBB17_249
	s_branch .LBB17_250
.LBB17_272:
	s_mov_b64 s[4:5], exec
	s_trap 2
	s_branch .LBB17_270
	.section	.rodata,"a",@progbits
	.p2align	6, 0x0
	.amdhsa_kernel _ZN2at6native12_GLOBAL__N_114gatherKthValueIiiLi2EEEvNS_4cuda6detail10TensorInfoIKT_T0_EES8_S8_S8_S8_NS5_IS6_S8_EENS5_IlS8_EE
		.amdhsa_group_segment_fixed_size 4112
		.amdhsa_private_segment_fixed_size 0
		.amdhsa_kernarg_size 920
		.amdhsa_user_sgpr_count 6
		.amdhsa_user_sgpr_private_segment_buffer 1
		.amdhsa_user_sgpr_dispatch_ptr 0
		.amdhsa_user_sgpr_queue_ptr 0
		.amdhsa_user_sgpr_kernarg_segment_ptr 1
		.amdhsa_user_sgpr_dispatch_id 0
		.amdhsa_user_sgpr_flat_scratch_init 0
		.amdhsa_user_sgpr_kernarg_preload_length 0
		.amdhsa_user_sgpr_kernarg_preload_offset 0
		.amdhsa_user_sgpr_private_segment_size 0
		.amdhsa_uses_dynamic_stack 0
		.amdhsa_system_sgpr_private_segment_wavefront_offset 0
		.amdhsa_system_sgpr_workgroup_id_x 1
		.amdhsa_system_sgpr_workgroup_id_y 1
		.amdhsa_system_sgpr_workgroup_id_z 1
		.amdhsa_system_sgpr_workgroup_info 0
		.amdhsa_system_vgpr_workitem_id 0
		.amdhsa_next_free_vgpr 51
		.amdhsa_next_free_sgpr 96
		.amdhsa_accum_offset 52
		.amdhsa_reserve_vcc 1
		.amdhsa_reserve_flat_scratch 0
		.amdhsa_float_round_mode_32 0
		.amdhsa_float_round_mode_16_64 0
		.amdhsa_float_denorm_mode_32 3
		.amdhsa_float_denorm_mode_16_64 3
		.amdhsa_dx10_clamp 1
		.amdhsa_ieee_mode 1
		.amdhsa_fp16_overflow 0
		.amdhsa_tg_split 0
		.amdhsa_exception_fp_ieee_invalid_op 0
		.amdhsa_exception_fp_denorm_src 0
		.amdhsa_exception_fp_ieee_div_zero 0
		.amdhsa_exception_fp_ieee_overflow 0
		.amdhsa_exception_fp_ieee_underflow 0
		.amdhsa_exception_fp_ieee_inexact 0
		.amdhsa_exception_int_div_zero 0
	.end_amdhsa_kernel
	.section	.text._ZN2at6native12_GLOBAL__N_114gatherKthValueIiiLi2EEEvNS_4cuda6detail10TensorInfoIKT_T0_EES8_S8_S8_S8_NS5_IS6_S8_EENS5_IlS8_EE,"axG",@progbits,_ZN2at6native12_GLOBAL__N_114gatherKthValueIiiLi2EEEvNS_4cuda6detail10TensorInfoIKT_T0_EES8_S8_S8_S8_NS5_IS6_S8_EENS5_IlS8_EE,comdat
.Lfunc_end17:
	.size	_ZN2at6native12_GLOBAL__N_114gatherKthValueIiiLi2EEEvNS_4cuda6detail10TensorInfoIKT_T0_EES8_S8_S8_S8_NS5_IS6_S8_EENS5_IlS8_EE, .Lfunc_end17-_ZN2at6native12_GLOBAL__N_114gatherKthValueIiiLi2EEEvNS_4cuda6detail10TensorInfoIKT_T0_EES8_S8_S8_S8_NS5_IS6_S8_EENS5_IlS8_EE
                                        ; -- End function
	.section	.AMDGPU.csdata,"",@progbits
; Kernel info:
; codeLenInByte = 10392
; NumSgprs: 100
; NumVgprs: 51
; NumAgprs: 0
; TotalNumVgprs: 51
; ScratchSize: 0
; MemoryBound: 0
; FloatMode: 240
; IeeeMode: 1
; LDSByteSize: 4112 bytes/workgroup (compile time only)
; SGPRBlocks: 12
; VGPRBlocks: 6
; NumSGPRsForWavesPerEU: 100
; NumVGPRsForWavesPerEU: 51
; AccumOffset: 52
; Occupancy: 8
; WaveLimiterHint : 1
; COMPUTE_PGM_RSRC2:SCRATCH_EN: 0
; COMPUTE_PGM_RSRC2:USER_SGPR: 6
; COMPUTE_PGM_RSRC2:TRAP_HANDLER: 0
; COMPUTE_PGM_RSRC2:TGID_X_EN: 1
; COMPUTE_PGM_RSRC2:TGID_Y_EN: 1
; COMPUTE_PGM_RSRC2:TGID_Z_EN: 1
; COMPUTE_PGM_RSRC2:TIDIG_COMP_CNT: 0
; COMPUTE_PGM_RSRC3_GFX90A:ACCUM_OFFSET: 12
; COMPUTE_PGM_RSRC3_GFX90A:TG_SPLIT: 0
	.section	.text._ZN2at6native12_GLOBAL__N_114gatherKthValueIiiLi3EEEvNS_4cuda6detail10TensorInfoIKT_T0_EES8_S8_S8_S8_NS5_IS6_S8_EENS5_IlS8_EE,"axG",@progbits,_ZN2at6native12_GLOBAL__N_114gatherKthValueIiiLi3EEEvNS_4cuda6detail10TensorInfoIKT_T0_EES8_S8_S8_S8_NS5_IS6_S8_EENS5_IlS8_EE,comdat
	.globl	_ZN2at6native12_GLOBAL__N_114gatherKthValueIiiLi3EEEvNS_4cuda6detail10TensorInfoIKT_T0_EES8_S8_S8_S8_NS5_IS6_S8_EENS5_IlS8_EE ; -- Begin function _ZN2at6native12_GLOBAL__N_114gatherKthValueIiiLi3EEEvNS_4cuda6detail10TensorInfoIKT_T0_EES8_S8_S8_S8_NS5_IS6_S8_EENS5_IlS8_EE
	.p2align	8
	.type	_ZN2at6native12_GLOBAL__N_114gatherKthValueIiiLi3EEEvNS_4cuda6detail10TensorInfoIKT_T0_EES8_S8_S8_S8_NS5_IS6_S8_EENS5_IlS8_EE,@function
_ZN2at6native12_GLOBAL__N_114gatherKthValueIiiLi3EEEvNS_4cuda6detail10TensorInfoIKT_T0_EES8_S8_S8_S8_NS5_IS6_S8_EENS5_IlS8_EE: ; @_ZN2at6native12_GLOBAL__N_114gatherKthValueIiiLi3EEEvNS_4cuda6detail10TensorInfoIKT_T0_EES8_S8_S8_S8_NS5_IS6_S8_EENS5_IlS8_EE
; %bb.0:
	s_load_dwordx2 s[14:15], s[4:5], 0x298
	s_load_dwordx4 s[68:71], s[4:5], 0xd8
	s_add_u32 s12, s4, 0x298
	s_addc_u32 s13, s5, 0
	s_waitcnt lgkmcnt(0)
	s_mul_i32 s0, s15, s8
	s_add_i32 s0, s0, s7
	s_mul_i32 s0, s0, s14
	s_add_i32 s23, s0, s6
	s_cmp_ge_i32 s23, s70
	s_cbranch_scc1 .LBB18_250
; %bb.1:
	s_load_dwordx2 s[2:3], s[4:5], 0xc
	s_load_dwordx2 s[24:25], s[4:5], 0xf4
	s_ashr_i32 s8, s23, 31
	s_abs_i32 s9, s23
	s_load_dwordx4 s[28:31], s[4:5], 0x154
	s_waitcnt lgkmcnt(0)
	s_ashr_i32 s0, s3, 31
	s_add_i32 s1, s3, s0
	s_xor_b32 s1, s1, s0
	v_cvt_f32_u32_e32 v1, s1
	s_xor_b32 s7, s8, s0
	s_sub_i32 s0, 0, s1
                                        ; implicit-def: $vgpr50 : SGPR spill to VGPR lane
                                        ; kill: killed $sgpr4 killed $sgpr5
	s_mov_b32 s80, 0
	v_rcp_iflag_f32_e32 v1, v1
	v_writelane_b32 v50, s28, 0
	v_writelane_b32 v50, s29, 1
	;; [unrolled: 1-line block ×3, first 2 shown]
	v_mul_f32_e32 v1, 0x4f7ffffe, v1
	v_cvt_u32_f32_e32 v1, v1
	v_writelane_b32 v50, s31, 3
	v_readfirstlane_b32 s10, v1
	s_mul_i32 s0, s0, s10
	s_mul_hi_u32 s0, s10, s0
	s_add_i32 s10, s10, s0
	s_mul_hi_u32 s0, s9, s10
	s_mul_i32 s10, s0, s1
	s_sub_i32 s10, s9, s10
	s_add_i32 s11, s0, 1
	s_sub_i32 s15, s10, s1
	s_cmp_ge_u32 s10, s1
	s_cselect_b32 s0, s11, s0
	s_cselect_b32 s10, s15, s10
	s_add_i32 s11, s0, 1
	s_cmp_ge_u32 s10, s1
	s_cselect_b32 s10, s11, s0
	s_abs_i32 s0, s2
	s_ashr_i32 s11, s25, 31
	v_cvt_f32_u32_e32 v1, s0
	s_add_i32 s15, s25, s11
	s_xor_b32 s19, s8, s11
	s_xor_b32 s11, s15, s11
	v_cvt_f32_u32_e32 v2, s11
	v_rcp_iflag_f32_e32 v1, v1
	s_xor_b32 s10, s10, s7
	s_sub_i32 s16, 0, s0
	v_rcp_iflag_f32_e32 v2, v2
	v_mul_f32_e32 v1, 0x4f7ffffe, v1
	v_cvt_u32_f32_e32 v1, v1
	s_sub_i32 s7, s10, s7
	v_mul_f32_e32 v2, 0x4f7ffffe, v2
	v_cvt_u32_f32_e32 v2, v2
	v_readfirstlane_b32 s10, v1
	s_mul_i32 s16, s16, s10
	s_mul_hi_u32 s16, s10, s16
	s_add_i32 s20, s10, s16
	s_sub_i32 s10, 0, s11
	v_readfirstlane_b32 s16, v2
	s_mul_i32 s10, s10, s16
	s_mul_hi_u32 s10, s16, s10
	s_add_i32 s16, s16, s10
	s_mul_hi_u32 s10, s9, s16
	s_mul_i32 s16, s10, s11
	s_sub_i32 s16, s9, s16
	s_ashr_i32 s1, s2, 31
	s_ashr_i32 s15, s7, 31
	s_abs_i32 s18, s7
	s_add_i32 s17, s10, 1
	s_sub_i32 s21, s16, s11
	s_cmp_ge_u32 s16, s11
	s_cselect_b32 s10, s17, s10
	s_cselect_b32 s16, s21, s16
	s_add_i32 s17, s10, 1
	s_cmp_ge_u32 s16, s11
	s_cselect_b32 s10, s17, s10
	s_load_dwordx2 s[16:17], s[4:5], 0x0
	s_load_dwordx4 s[28:31], s[4:5], 0x22c
	s_abs_i32 s21, s24
	v_cvt_f32_u32_e32 v1, s21
	s_xor_b32 s10, s10, s19
	s_waitcnt lgkmcnt(0)
	v_writelane_b32 v50, s28, 4
	v_writelane_b32 v50, s29, 5
	;; [unrolled: 1-line block ×4, first 2 shown]
	s_load_dwordx2 s[28:29], s[4:5], 0x1cc
	s_load_dwordx2 s[26:27], s[4:5], 0x1c0
	v_rcp_iflag_f32_e32 v1, v1
	s_waitcnt lgkmcnt(0)
	v_writelane_b32 v50, s26, 8
	v_writelane_b32 v50, s27, 9
	s_sub_i32 s26, s10, s19
	s_ashr_i32 s10, s29, 31
	s_add_i32 s11, s29, s10
	s_xor_b32 s11, s11, s10
	v_cvt_f32_u32_e32 v2, s11
	v_mul_f32_e32 v1, 0x4f7ffffe, v1
	v_cvt_u32_f32_e32 v1, v1
	v_writelane_b32 v50, s21, 10
	v_rcp_iflag_f32_e32 v2, v2
	s_sub_i32 s19, 0, s21
	v_readfirstlane_b32 s21, v1
	s_mul_i32 s19, s19, s21
	v_mul_f32_e32 v1, 0x4f7ffffe, v2
	v_cvt_u32_f32_e32 v1, v1
	s_mul_hi_u32 s19, s21, s19
	s_add_i32 s21, s21, s19
	s_xor_b32 s19, s8, s10
	s_sub_i32 s8, 0, s11
	v_readfirstlane_b32 s10, v1
	s_mul_i32 s8, s8, s10
	s_mul_hi_u32 s8, s10, s8
	s_add_i32 s10, s10, s8
	s_mul_hi_u32 s8, s9, s10
	s_mul_i32 s10, s8, s11
	s_sub_i32 s9, s9, s10
	s_abs_i32 s27, s26
	s_add_i32 s10, s8, 1
	s_sub_i32 s22, s9, s11
	s_cmp_ge_u32 s9, s11
	s_cselect_b32 s8, s10, s8
	s_cselect_b32 s9, s22, s9
	s_add_i32 s10, s8, 1
	s_cmp_ge_u32 s9, s11
	s_cselect_b32 s22, s10, s8
	s_abs_i32 s30, s28
	v_cvt_f32_u32_e32 v1, s30
	s_load_dwordx2 s[8:9], s[4:5], 0xe8
	v_rcp_iflag_f32_e32 v1, v1
	s_waitcnt lgkmcnt(0)
	v_writelane_b32 v50, s8, 11
	v_writelane_b32 v50, s9, 12
	v_mul_f32_e32 v1, 0x4f7ffffe, v1
	v_cvt_u32_f32_e32 v1, v1
	s_load_dwordx4 s[8:11], s[4:5], 0x6c
	v_writelane_b32 v50, s27, 13
	s_mul_hi_u32 s4, s27, s21
	v_writelane_b32 v50, s4, 14
	s_xor_b32 s4, s22, s19
	s_sub_i32 s19, s4, s19
	s_sub_i32 s4, 0, s30
	v_readfirstlane_b32 s5, v1
	s_mul_i32 s4, s4, s5
	s_mul_hi_u32 s4, s5, s4
	s_waitcnt lgkmcnt(0)
	s_mul_hi_u32 s11, s18, s20
	s_abs_i32 s20, s19
	v_writelane_b32 v50, s30, 15
	s_add_i32 s5, s5, s4
	v_writelane_b32 v50, s20, 16
	s_mul_hi_u32 s4, s20, s5
	v_writelane_b32 v50, s4, 17
	v_cmp_eq_u32_e64 s[20:21], 0, v0
	s_mov_b64 s[4:5], exec
	v_writelane_b32 v50, s20, 18
	v_writelane_b32 v50, s21, 19
	s_and_b64 s[20:21], s[4:5], s[20:21]
	s_mov_b64 exec, s[20:21]
	s_cbranch_execz .LBB18_3
; %bb.2:
	v_mov_b32_e32 v2, 0
	v_mov_b32_e32 v3, s68
	;; [unrolled: 1-line block ×3, first 2 shown]
	ds_write_b96 v2, v[2:4] offset:4096
.LBB18_3:
	s_or_b64 exec, exec, s[4:5]
	v_writelane_b32 v50, s26, 20
	s_ashr_i32 s4, s26, 31
	v_writelane_b32 v50, s4, 21
	v_writelane_b32 v50, s24, 22
	;; [unrolled: 1-line block ×3, first 2 shown]
	s_ashr_i32 s4, s24, 31
	v_writelane_b32 v50, s4, 24
	v_writelane_b32 v50, s19, 25
	s_ashr_i32 s4, s19, 31
	v_writelane_b32 v50, s4, 26
	v_writelane_b32 v50, s28, 27
	;; [unrolled: 1-line block ×3, first 2 shown]
	s_ashr_i32 s4, s28, 31
	v_writelane_b32 v50, s4, 29
	s_mul_i32 s3, s7, s3
	s_mul_i32 s4, s11, s0
	s_sub_i32 s3, s23, s3
	s_sub_i32 s4, s18, s4
	s_mul_i32 s3, s3, s10
	s_xor_b32 s1, s15, s1
	s_add_i32 s5, s11, 1
	s_sub_i32 s10, s4, s0
	s_cmp_ge_u32 s4, s0
	s_cselect_b32 s5, s5, s11
	s_cselect_b32 s4, s10, s4
	s_add_i32 s10, s5, 1
	s_cmp_ge_u32 s4, s0
	s_cselect_b32 s0, s10, s5
	s_xor_b32 s0, s0, s1
	s_sub_i32 s0, s0, s1
	s_mul_i32 s1, s0, s2
	s_sub_i32 s1, s7, s1
	s_mul_i32 s1, s1, s9
	s_add_i32 s1, s1, s3
	s_mul_i32 s0, s0, s8
	s_waitcnt lgkmcnt(0)
	s_barrier
	s_load_dword s2, s[12:13], 0xc
	s_add_i32 s0, s1, s0
	s_ashr_i32 s1, s0, 31
	s_lshl_b64 s[0:1], s[0:1], 2
	s_add_u32 s70, s16, s0
	v_mbcnt_lo_u32_b32 v1, -1, 0
	s_addc_u32 s75, s17, s1
	s_waitcnt lgkmcnt(0)
	s_and_b32 s74, s2, 0xffff
	v_mbcnt_hi_u32_b32 v13, -1, v1
	s_bfe_u32 s7, s2, 0xa0006
	v_cmp_gt_u32_e32 vcc, 64, v0
	v_cmp_gt_i32_e64 s[2:3], 4, v13
	s_add_i32 s0, s74, -1
	s_lshl_b32 s33, s74, 2
	s_and_b64 s[82:83], vcc, s[2:3]
	s_add_i32 s9, s0, s68
	v_writelane_b32 v50, s23, 30
	s_cmpk_gt_i32 s68, 0x300
	v_writelane_b32 v50, s0, 31
	s_cselect_b64 s[0:1], -1, 0
	v_writelane_b32 v50, s0, 32
	s_cmp_gt_u32 s74, 63
	v_writelane_b32 v50, s1, 33
	s_cselect_b64 s[0:1], -1, 0
	v_writelane_b32 v50, s0, 34
	s_cmp_lt_u32 s6, s14
	v_writelane_b32 v50, s1, 35
	s_cselect_b32 s0, 12, 18
	s_add_u32 s0, s12, s0
	s_addc_u32 s1, s13, 0
	v_writelane_b32 v50, s0, 36
	v_writelane_b32 v50, s1, 37
	s_add_i32 s0, s7, -2
	s_lshr_b32 s1, s0, 1
	v_mov_b32_e32 v9, 0
	s_add_i32 s1, s1, 1
	s_cmpk_gt_u32 s74, 0x7f
	v_mul_lo_u32 v6, v0, s71
	v_mov_b32_e32 v7, v9
	s_cselect_b64 s[2:3], -1, 0
	v_lshlrev_b64 v[2:3], 2, v[6:7]
	v_writelane_b32 v50, s2, 38
	v_mov_b32_e32 v7, s75
	v_add_co_u32_e32 v10, vcc, s70, v2
	v_writelane_b32 v50, s3, 39
	v_cmp_gt_u32_e64 s[10:11], s68, v0
	v_addc_co_u32_e32 v11, vcc, v7, v3, vcc
	v_lshlrev_b64 v[2:3], v13, -1
	v_writelane_b32 v50, s10, 40
	v_not_b32_e32 v12, v2
	v_cvt_f32_u32_e32 v2, s33
	v_writelane_b32 v50, s11, 41
	v_cmp_gt_i32_e64 s[10:11], s68, v0
	s_and_b32 s6, s7, 0x3fe
	s_and_b32 s8, s1, 7
	v_writelane_b32 v50, s10, 42
	s_cmp_gt_u32 s0, 13
	v_writelane_b32 v50, s11, 43
	s_cselect_b64 s[10:11], -1, 0
	v_writelane_b32 v50, s10, 44
	v_rcp_iflag_f32_e32 v2, v2
	v_writelane_b32 v50, s11, 45
	s_and_b32 s0, s1, -8
	v_writelane_b32 v50, s0, 46
	s_cmp_lg_u32 s8, 0
	v_writelane_b32 v50, s8, 47
	s_cselect_b64 s[0:1], -1, 0
	v_writelane_b32 v50, s0, 48
	v_mul_f32_e32 v2, 0x4f7ffffe, v2
	v_writelane_b32 v50, s1, 49
	v_cvt_u32_f32_e32 v2, v2
	v_writelane_b32 v50, s7, 50
	s_cmp_lg_u32 s6, s7
	v_writelane_b32 v50, s6, 51
	s_cselect_b64 s[0:1], -1, 0
	v_writelane_b32 v50, s0, 52
	v_writelane_b32 v50, s1, 53
	s_sub_i32 s0, 0, s33
	v_readfirstlane_b32 s1, v2
	s_mul_i32 s0, s0, s1
	s_mul_hi_u32 s0, s1, s0
	s_add_i32 s90, s1, s0
	s_mul_hi_u32 s0, s68, s90
	s_mul_i32 s0, s0, s33
	s_sub_i32 s0, s68, s0
	s_sub_i32 s1, s0, s33
	s_cmp_ge_u32 s0, s33
	s_cselect_b32 s0, s1, s0
	s_sub_i32 s1, s0, s33
	v_cvt_f32_u32_e32 v5, s74
	s_cmp_ge_u32 s0, s33
	s_cselect_b32 s0, s1, s0
	s_sub_i32 s91, s68, s0
	v_add_u32_e32 v28, s91, v0
	v_rcp_iflag_f32_e32 v5, v5
	v_lshrrev_b32_e32 v1, 4, v0
	v_mul_lo_u32 v2, v28, s71
	v_and_b32_e32 v26, 60, v1
	v_not_b32_e32 v1, v3
	v_ashrrev_i32_e32 v3, 31, v2
	v_lshlrev_b64 v[2:3], 2, v[2:3]
	v_add_co_u32_e32 v14, vcc, s70, v2
	v_mul_f32_e32 v2, 0x4f7ffffe, v5
	v_cvt_u32_f32_e32 v2, v2
	s_sub_i32 s7, 0, s74
	s_abs_i32 s6, s9
	s_ashr_i32 s1, s9, 31
	v_readfirstlane_b32 s8, v2
	s_mul_i32 s7, s7, s8
	s_mul_hi_u32 s7, s8, s7
	s_add_i32 s7, s8, s7
	v_writelane_b32 v50, s7, 54
	s_mul_hi_u32 s7, s6, s7
	s_mul_i32 s7, s7, s74
	s_sub_i32 s6, s6, s7
	s_sub_i32 s7, s6, s74
	s_cmp_ge_u32 s6, s74
	s_cselect_b32 s6, s7, s6
	s_sub_i32 s7, s6, s74
	s_cmp_ge_u32 s6, s74
	v_lshlrev_b32_e32 v24, 2, v0
	s_cselect_b32 s6, s7, s6
	s_xor_b32 s6, s6, s1
	v_mul_lo_u32 v2, s71, v24
	s_sub_i32 s1, s1, s6
	v_add_u32_e32 v29, s71, v2
	v_or_b32_e32 v2, 2, v24
	s_add_i32 s9, s9, s1
	v_mul_lo_u32 v30, s71, v2
	v_or_b32_e32 v2, 3, v24
	s_add_i32 s1, s74, s68
	v_mul_lo_u32 v31, s71, v2
	v_add_u32_e32 v2, s1, v0
	v_lshlrev_b32_e32 v4, 2, v13
	v_mov_b32_e32 v8, s75
	v_cmp_gt_i32_e64 s[6:7], s9, v0
	s_mul_i32 s88, s71, s74
	v_subrev_u32_e32 v2, s0, v2
	v_cmp_eq_u32_e64 s[2:3], 0, v13
	v_cmp_gt_u32_e64 s[4:5], 2, v0
	v_add_u32_e32 v25, 0xc00, v24
	v_and_b32_e32 v27, 0x100, v4
	v_cmp_gt_i32_e64 s[10:11], s91, v24
	v_cmp_gt_u32_e64 s[12:13], s68, v28
	v_addc_co_u32_e32 v15, vcc, v8, v3, vcc
	v_cmp_gt_i32_e64 s[14:15], s68, v28
	v_writelane_b32 v50, s6, 55
	s_lshl_b32 s16, s88, 2
	v_lshlrev_b32_e32 v32, 2, v6
	v_mul_lo_u32 v33, s71, v2
	v_lshlrev_b32_e32 v34, 4, v0
	s_lshl_b32 s17, s74, 4
	v_or_b32_e32 v35, 0xc00, v4
	s_mov_b32 s89, 30
	s_mov_b64 s[78:79], 0
	v_mov_b32_e32 v16, 1
	v_mov_b32_e32 v36, 0xc00
	;; [unrolled: 1-line block ×3, first 2 shown]
	s_mov_b32 s8, 0
	s_mov_b32 s1, 0
	;; [unrolled: 1-line block ×3, first 2 shown]
	v_writelane_b32 v50, s7, 56
                                        ; implicit-def: $sgpr60_sgpr61
                                        ; implicit-def: $sgpr64_sgpr65
                                        ; implicit-def: $sgpr62_sgpr63
                                        ; implicit-def: $sgpr66_sgpr67
                                        ; implicit-def: $sgpr72_sgpr73
                                        ; implicit-def: $sgpr76_sgpr77
	s_branch .LBB18_8
.LBB18_4:                               ;   in Loop: Header=BB18_8 Depth=1
	s_xor_b32 s8, s8, 1
	s_add_i32 s6, s89, -2
	s_cmp_eq_u32 s89, 0
	s_mov_b64 s[22:23], 0
	s_cselect_b64 s[30:31], -1, 0
	s_mov_b32 s89, s6
.LBB18_5:                               ;   in Loop: Header=BB18_8 Depth=1
	s_andn2_b64 s[6:7], s[26:27], exec
	s_and_b64 s[22:23], s[22:23], exec
	s_or_b64 s[26:27], s[6:7], s[22:23]
	s_andn2_b64 s[28:29], s[28:29], exec
	s_andn2_b64 s[24:25], s[24:25], exec
	s_orn2_b64 s[22:23], s[30:31], exec
	s_mov_b32 s69, s39
.LBB18_6:                               ;   in Loop: Header=BB18_8 Depth=1
	s_or_b64 exec, exec, s[18:19]
	s_andn2_b64 s[6:7], s[76:77], exec
	s_and_b64 s[18:19], s[26:27], exec
	s_or_b64 s[76:77], s[6:7], s[18:19]
	s_andn2_b64 s[6:7], s[72:73], exec
	s_and_b64 s[18:19], s[28:29], exec
	s_or_b64 s[72:73], s[6:7], s[18:19]
	;; [unrolled: 3-line block ×3, first 2 shown]
	s_orn2_b64 s[22:23], s[22:23], exec
.LBB18_7:                               ;   in Loop: Header=BB18_8 Depth=1
	s_or_b64 exec, exec, s[20:21]
	s_and_b64 s[6:7], exec, s[22:23]
	s_or_b64 s[78:79], s[6:7], s[78:79]
	s_andn2_b64 s[6:7], s[62:63], exec
	s_and_b64 s[18:19], s[76:77], exec
	s_or_b64 s[62:63], s[6:7], s[18:19]
	s_andn2_b64 s[6:7], s[64:65], exec
	s_and_b64 s[18:19], s[72:73], exec
	s_or_b64 s[64:65], s[6:7], s[18:19]
	s_andn2_b64 s[6:7], s[60:61], exec
	s_and_b64 s[18:19], s[66:67], exec
	v_mov_b32_e32 v2, s1
	s_or_b64 s[60:61], s[6:7], s[18:19]
	s_andn2_b64 exec, exec, s[78:79]
	s_cbranch_execz .LBB18_246
.LBB18_8:                               ; =>This Loop Header: Depth=1
                                        ;     Child Loop BB18_16 Depth 2
                                        ;     Child Loop BB18_35 Depth 2
	;; [unrolled: 1-line block ×17, first 2 shown]
	ds_read_b64 v[2:3], v9 offset:4096
	s_waitcnt lgkmcnt(0)
	v_readfirstlane_b32 s81, v2
	s_cmp_gt_i32 s81, 0
	s_cbranch_scc1 .LBB18_42
; %bb.9:                                ;   in Loop: Header=BB18_8 Depth=1
	v_readlane_b32 s6, v50, 32
	v_readlane_b32 s7, v50, 33
	s_and_b64 vcc, exec, s[6:7]
	s_cbranch_vccz .LBB18_24
; %bb.10:                               ;   in Loop: Header=BB18_8 Depth=1
	s_movk_i32 s6, 0x301
	v_cmp_gt_i32_e32 vcc, s6, v3
	s_mov_b64 s[20:21], 0
	s_mov_b64 s[18:19], 0
	s_cbranch_vccz .LBB18_29
; %bb.11:                               ;   in Loop: Header=BB18_8 Depth=1
	v_mov_b32_e32 v2, 0
	s_mov_b64 s[18:19], exec
	v_readlane_b32 s6, v50, 40
	v_readlane_b32 s7, v50, 41
	s_and_b64 s[6:7], s[18:19], s[6:7]
	s_mov_b64 exec, s[6:7]
	s_cbranch_execz .LBB18_13
; %bb.12:                               ;   in Loop: Header=BB18_8 Depth=1
	global_load_dword v2, v[10:11], off
.LBB18_13:                              ;   in Loop: Header=BB18_8 Depth=1
	s_or_b64 exec, exec, s[18:19]
	s_mov_b64 s[22:23], exec
	v_readlane_b32 s6, v50, 40
	v_readlane_b32 s7, v50, 41
	s_and_b64 s[6:7], s[22:23], s[6:7]
	s_mov_b64 exec, s[6:7]
	s_cbranch_execz .LBB18_25
; %bb.14:                               ;   in Loop: Header=BB18_8 Depth=1
	v_readlane_b32 s6, v50, 36
	v_readlane_b32 s7, v50, 37
	s_mov_b64 s[24:25], 0
	s_nop 3
	global_load_ushort v3, v9, s[6:7]
	s_waitcnt vmcnt(0)
	v_add_u32_e32 v5, v0, v3
	v_mul_lo_u32 v4, s71, v3
	v_mul_lo_u32 v8, s71, v5
	v_mov_b32_e32 v5, v0
	s_branch .LBB18_16
.LBB18_15:                              ;   in Loop: Header=BB18_16 Depth=2
	s_or_b64 exec, exec, s[18:19]
	v_cmp_le_i32_e32 vcc, s68, v5
	v_add_u32_e32 v8, v8, v4
	s_or_b64 s[24:25], vcc, s[24:25]
	s_waitcnt vmcnt(0)
	v_mov_b32_e32 v2, v17
	s_andn2_b64 exec, exec, s[24:25]
	s_cbranch_execz .LBB18_25
.LBB18_16:                              ;   Parent Loop BB18_8 Depth=1
                                        ; =>  This Inner Loop Header: Depth=2
	v_add_u32_e32 v5, v5, v3
	v_cmp_gt_u32_e32 vcc, s68, v5
	s_waitcnt lgkmcnt(0)
	v_mov_b32_e32 v18, 0
	v_mov_b32_e32 v17, 0
	s_and_saveexec_b64 s[18:19], vcc
	s_cbranch_execz .LBB18_18
; %bb.17:                               ;   in Loop: Header=BB18_16 Depth=2
	v_lshlrev_b64 v[20:21], 2, v[8:9]
	v_add_co_u32_e32 v20, vcc, s70, v20
	v_addc_co_u32_e32 v21, vcc, v7, v21, vcc
	global_load_dword v17, v[20:21], off
.LBB18_18:                              ;   in Loop: Header=BB18_16 Depth=2
	s_or_b64 exec, exec, s[18:19]
	v_xor_b32_e32 v20, 0x80000000, v2
	v_and_b32_e32 v20, s0, v20
	v_cmp_eq_u32_e32 vcc, s1, v20
	s_cmp_lg_u64 vcc, 0
	s_cselect_b64 s[6:7], -1, 0
	s_and_b64 s[6:7], s[2:3], s[6:7]
	s_and_saveexec_b64 s[26:27], s[6:7]
	s_cbranch_execz .LBB18_22
; %bb.19:                               ;   in Loop: Header=BB18_16 Depth=2
	s_mov_b64 s[30:31], exec
	v_mbcnt_lo_u32_b32 v18, s30, 0
	v_mbcnt_hi_u32_b32 v18, s31, v18
	s_bcnt1_i32_b64 s6, vcc
	v_cmp_eq_u32_e64 s[18:19], 0, v18
                                        ; implicit-def: $vgpr20
	s_and_saveexec_b64 s[28:29], s[18:19]
	s_cbranch_execz .LBB18_21
; %bb.20:                               ;   in Loop: Header=BB18_16 Depth=2
	s_bcnt1_i32_b64 s7, s[30:31]
	s_mul_i32 s7, s6, s7
	v_mov_b32_e32 v20, s7
	ds_add_rtn_u32 v20, v9, v20 offset:4104
.LBB18_21:                              ;   in Loop: Header=BB18_16 Depth=2
	s_or_b64 exec, exec, s[28:29]
	s_waitcnt lgkmcnt(0)
	v_readfirstlane_b32 s7, v20
	v_mov_b32_e32 v20, s7
	v_mad_u32_u24 v18, s6, v18, v20
.LBB18_22:                              ;   in Loop: Header=BB18_16 Depth=2
	s_or_b64 exec, exec, s[26:27]
	ds_bpermute_b32 v18, v27, v18
	s_and_saveexec_b64 s[18:19], vcc
	s_cbranch_execz .LBB18_15
; %bb.23:                               ;   in Loop: Header=BB18_16 Depth=2
	v_and_b32_e32 v21, vcc_lo, v12
	v_and_b32_e32 v20, vcc_hi, v1
	v_bcnt_u32_b32 v21, v21, 0
	v_bcnt_u32_b32 v20, v20, v21
	v_lshlrev_b32_e32 v20, 2, v20
	s_waitcnt lgkmcnt(0)
	v_lshl_add_u32 v18, v18, 2, v20
	ds_write_b32 v18, v2
	s_branch .LBB18_15
.LBB18_24:                              ;   in Loop: Header=BB18_8 Depth=1
	s_mov_b64 s[20:21], -1
	s_mov_b64 s[18:19], 0
	s_branch .LBB18_28
.LBB18_25:                              ;   in Loop: Header=BB18_8 Depth=1
	s_or_b64 exec, exec, s[22:23]
	s_waitcnt lgkmcnt(0)
	s_barrier
	s_mov_b64 s[18:19], exec
	v_readlane_b32 s6, v50, 18
	v_readlane_b32 s7, v50, 19
	s_and_b64 s[6:7], s[18:19], s[6:7]
	s_mov_b64 exec, s[6:7]
	s_cbranch_execz .LBB18_27
; %bb.26:                               ;   in Loop: Header=BB18_8 Depth=1
	s_waitcnt vmcnt(0)
	ds_read_b32 v2, v9 offset:4104
	s_waitcnt lgkmcnt(0)
	ds_write_b32 v9, v2 offset:4096
.LBB18_27:                              ;   in Loop: Header=BB18_8 Depth=1
	s_or_b64 exec, exec, s[18:19]
	s_waitcnt lgkmcnt(0)
	s_barrier
	s_mov_b64 s[18:19], -1
.LBB18_28:                              ;   in Loop: Header=BB18_8 Depth=1
                                        ; implicit-def: $sgpr81
.LBB18_29:                              ;   in Loop: Header=BB18_8 Depth=1
	s_and_b64 vcc, exec, s[20:21]
	s_cbranch_vccz .LBB18_40
; %bb.30:                               ;   in Loop: Header=BB18_8 Depth=1
	s_waitcnt vmcnt(0)
	v_mov_b32_e32 v2, 0
	s_mov_b64 s[18:19], exec
	v_readlane_b32 s6, v50, 40
	v_readlane_b32 s7, v50, 41
	s_and_b64 s[6:7], s[18:19], s[6:7]
	s_mov_b64 exec, s[6:7]
	s_cbranch_execz .LBB18_32
; %bb.31:                               ;   in Loop: Header=BB18_8 Depth=1
	global_load_dword v2, v[10:11], off
.LBB18_32:                              ;   in Loop: Header=BB18_8 Depth=1
	s_or_b64 exec, exec, s[18:19]
	s_mov_b64 s[18:19], exec
	v_readlane_b32 s6, v50, 42
	v_readlane_b32 s7, v50, 43
	s_and_b64 s[6:7], s[18:19], s[6:7]
	s_mov_b64 exec, s[6:7]
	s_cbranch_execz .LBB18_37
; %bb.33:                               ;   in Loop: Header=BB18_8 Depth=1
	v_readlane_b32 s6, v50, 36
	v_readlane_b32 s7, v50, 37
	s_mov_b64 s[20:21], 0
	v_mov_b32_e32 v4, v24
	v_mov_b32_e32 v18, v0
	s_nop 1
	global_load_ushort v3, v9, s[6:7]
	s_waitcnt vmcnt(0)
	v_add_u32_e32 v8, v0, v3
	v_lshlrev_b32_e32 v5, 2, v3
	v_mul_lo_u32 v17, s71, v3
	v_mul_lo_u32 v8, s71, v8
	s_branch .LBB18_35
.LBB18_34:                              ;   in Loop: Header=BB18_35 Depth=2
	s_or_b64 exec, exec, s[22:23]
	v_cmp_le_i32_e32 vcc, s68, v18
	ds_write_b32 v4, v2
	v_add_u32_e32 v4, v4, v5
	v_add_u32_e32 v8, v8, v17
	s_or_b64 s[20:21], vcc, s[20:21]
	s_waitcnt vmcnt(0)
	v_mov_b32_e32 v2, v20
	s_andn2_b64 exec, exec, s[20:21]
	s_cbranch_execz .LBB18_37
.LBB18_35:                              ;   Parent Loop BB18_8 Depth=1
                                        ; =>  This Inner Loop Header: Depth=2
	v_add_u32_e32 v18, v18, v3
	v_cmp_gt_u32_e32 vcc, s68, v18
	v_mov_b32_e32 v20, 0
	s_and_saveexec_b64 s[22:23], vcc
	s_cbranch_execz .LBB18_34
; %bb.36:                               ;   in Loop: Header=BB18_35 Depth=2
	v_lshlrev_b64 v[20:21], 2, v[8:9]
	v_mov_b32_e32 v22, s75
	v_add_co_u32_e32 v20, vcc, s70, v20
	v_addc_co_u32_e32 v21, vcc, v22, v21, vcc
	global_load_dword v20, v[20:21], off
	s_branch .LBB18_34
.LBB18_37:                              ;   in Loop: Header=BB18_8 Depth=1
	s_or_b64 exec, exec, s[18:19]
	s_waitcnt lgkmcnt(0)
	s_barrier
	s_mov_b64 s[18:19], exec
	v_readlane_b32 s6, v50, 18
	v_readlane_b32 s7, v50, 19
	s_and_b64 s[6:7], s[18:19], s[6:7]
	s_mov_b64 exec, s[6:7]
	s_cbranch_execz .LBB18_39
; %bb.38:                               ;   in Loop: Header=BB18_8 Depth=1
	s_waitcnt vmcnt(0)
	v_mov_b32_e32 v2, s68
	ds_write_b32 v9, v2 offset:4096
.LBB18_39:                              ;   in Loop: Header=BB18_8 Depth=1
	s_or_b64 exec, exec, s[18:19]
	s_mov_b64 s[18:19], -1
	s_waitcnt lgkmcnt(0)
	s_barrier
                                        ; implicit-def: $sgpr81
.LBB18_40:                              ;   in Loop: Header=BB18_8 Depth=1
	s_and_b64 vcc, exec, s[18:19]
	s_cbranch_vccz .LBB18_42
; %bb.41:                               ;   in Loop: Header=BB18_8 Depth=1
	s_waitcnt vmcnt(0)
	ds_read_b32 v2, v9 offset:4096
	s_waitcnt lgkmcnt(0)
	v_readfirstlane_b32 s81, v2
.LBB18_42:                              ;   in Loop: Header=BB18_8 Depth=1
	s_cmp_lt_i32 s81, 1
	s_cbranch_scc0 .LBB18_46
; %bb.43:                               ;   in Loop: Header=BB18_8 Depth=1
	s_waitcnt vmcnt(0)
	v_mov_b32_e32 v2, 0
	s_mov_b32 s84, 0
	v_mov_b32_e32 v3, 0
	v_mov_b32_e32 v4, v2
	;; [unrolled: 1-line block ×3, first 2 shown]
	s_and_saveexec_b64 s[92:93], s[10:11]
	s_cbranch_execnz .LBB18_47
; %bb.44:                               ;   in Loop: Header=BB18_8 Depth=1
	s_or_b64 exec, exec, s[92:93]
	v_mov_b32_e32 v17, 0
	s_and_saveexec_b64 s[18:19], s[12:13]
	s_cbranch_execnz .LBB18_50
.LBB18_45:                              ;   in Loop: Header=BB18_8 Depth=1
	s_or_b64 exec, exec, s[18:19]
	s_and_saveexec_b64 s[20:21], s[14:15]
	s_cbranch_execnz .LBB18_51
	s_branch .LBB18_56
.LBB18_46:                              ;   in Loop: Header=BB18_8 Depth=1
                                        ; implicit-def: $vgpr5
	s_cbranch_execnz .LBB18_57
	s_branch .LBB18_66
.LBB18_47:                              ;   in Loop: Header=BB18_8 Depth=1
	s_and_b32 s85, s89, 0xfe
	s_mov_b64 s[94:95], 0
	s_mov_b32 s86, 0
	s_mov_b32 s87, 0
	;; [unrolled: 1-line block ×4, first 2 shown]
	v_mov_b32_e32 v8, v24
.LBB18_48:                              ;   Parent Loop BB18_8 Depth=1
                                        ; =>  This Inner Loop Header: Depth=2
	v_add_u32_e32 v2, s84, v32
	v_ashrrev_i32_e32 v3, 31, v2
	v_add_u32_e32 v4, s84, v29
	v_lshlrev_b64 v[2:3], 2, v[2:3]
	v_mov_b32_e32 v17, s75
	v_ashrrev_i32_e32 v5, 31, v4
	v_add_co_u32_e64 v2, s[18:19], s70, v2
	v_add_u32_e32 v20, s84, v30
	v_lshlrev_b64 v[4:5], 2, v[4:5]
	v_addc_co_u32_e64 v3, s[18:19], v17, v3, s[18:19]
	v_ashrrev_i32_e32 v21, 31, v20
	v_add_co_u32_e64 v4, s[18:19], s70, v4
	v_add_u32_e32 v22, s84, v31
	v_lshlrev_b64 v[20:21], 2, v[20:21]
	v_addc_co_u32_e64 v5, s[18:19], v17, v5, s[18:19]
	v_ashrrev_i32_e32 v23, 31, v22
	v_add_co_u32_e64 v20, s[18:19], s70, v20
	v_lshlrev_b64 v[22:23], 2, v[22:23]
	v_addc_co_u32_e64 v21, s[18:19], v17, v21, s[18:19]
	v_add_co_u32_e64 v22, s[18:19], s70, v22
	v_addc_co_u32_e64 v23, s[18:19], v17, v23, s[18:19]
	global_load_dword v2, v[2:3], off
	s_nop 0
	global_load_dword v3, v[4:5], off
	s_nop 0
	global_load_dword v4, v[20:21], off
	global_load_dword v5, v[22:23], off
	v_add_u32_e32 v8, s33, v8
	s_add_i32 s84, s84, s16
	v_cmp_le_i32_e32 vcc, s91, v8
	s_waitcnt vmcnt(3)
	v_xor_b32_e32 v2, 0x80000000, v2
	s_waitcnt vmcnt(2)
	v_xor_b32_e32 v3, 0x80000000, v3
	v_and_b32_e32 v17, s0, v2
	v_bfe_u32 v2, v2, s85, 2
	s_waitcnt vmcnt(1)
	v_xor_b32_e32 v4, 0x80000000, v4
	v_and_b32_e32 v18, s0, v3
	v_bfe_u32 v3, v3, s85, 2
	v_cmp_eq_u32_e64 s[18:19], s1, v17
	v_cmp_eq_u32_e64 s[26:27], 0, v2
	s_waitcnt vmcnt(0)
	v_xor_b32_e32 v5, 0x80000000, v5
	v_and_b32_e32 v20, s0, v4
	v_bfe_u32 v4, v4, s85, 2
	v_cmp_eq_u32_e64 s[20:21], s1, v18
	v_cmp_eq_u32_e64 s[28:29], 0, v3
	s_and_b64 s[26:27], s[18:19], s[26:27]
	v_and_b32_e32 v21, s0, v5
	v_bfe_u32 v5, v5, s85, 2
	v_cmp_eq_u32_e64 s[22:23], s1, v20
	v_cmp_eq_u32_e64 s[30:31], 0, v4
	;; [unrolled: 1-line block ×5, first 2 shown]
	v_cndmask_b32_e64 v2, 0, 1, s[26:27]
	s_and_b64 s[26:27], s[20:21], s[28:29]
	v_cmp_eq_u32_e64 s[24:25], s1, v21
	v_cmp_eq_u32_e64 s[34:35], 0, v5
	;; [unrolled: 1-line block ×5, first 2 shown]
	v_cndmask_b32_e64 v3, 0, 1, s[26:27]
	s_and_b64 s[26:27], s[22:23], s[30:31]
	v_cmp_eq_u32_e64 s[40:41], 1, v4
	v_cmp_eq_u32_e64 s[48:49], 2, v4
	;; [unrolled: 1-line block ×3, first 2 shown]
	v_cndmask_b32_e64 v4, 0, 1, s[26:27]
	s_and_b64 s[26:27], s[24:25], s[34:35]
	v_cmp_eq_u32_e64 s[42:43], 1, v5
	v_cmp_eq_u32_e64 s[50:51], 2, v5
	;; [unrolled: 1-line block ×3, first 2 shown]
	v_cndmask_b32_e64 v5, 0, 1, s[26:27]
	s_and_b64 s[26:27], s[18:19], s[36:37]
	v_cndmask_b32_e64 v17, 0, 1, s[26:27]
	s_and_b64 s[26:27], s[20:21], s[38:39]
	;; [unrolled: 2-line block ×5, first 2 shown]
	s_and_b64 s[18:19], s[18:19], s[52:53]
	v_cndmask_b32_e64 v22, 0, 1, s[26:27]
	s_and_b64 s[26:27], s[20:21], s[46:47]
	v_cndmask_b32_e64 v39, 0, 1, s[18:19]
	;; [unrolled: 2-line block ×7, first 2 shown]
	v_cndmask_b32_e64 v42, 0, 1, s[18:19]
	v_cmp_ne_u32_e64 s[18:19], 0, v2
	v_cmp_ne_u32_e64 s[20:21], 0, v3
	;; [unrolled: 1-line block ×11, first 2 shown]
	s_bcnt1_i32_b64 s18, s[18:19]
	s_bcnt1_i32_b64 s19, s[20:21]
	;; [unrolled: 1-line block ×8, first 2 shown]
	v_cmp_ne_u32_e64 s[34:35], 0, v21
	v_cmp_ne_u32_e64 s[40:41], 0, v37
	;; [unrolled: 1-line block ×3, first 2 shown]
	s_bcnt1_i32_b64 s23, s[28:29]
	s_bcnt1_i32_b64 s27, s[38:39]
	;; [unrolled: 1-line block ×3, first 2 shown]
	s_add_i32 s7, s7, s18
	s_add_i32 s6, s6, s22
	;; [unrolled: 1-line block ×4, first 2 shown]
	v_cmp_ne_u32_e64 s[42:43], 0, v38
	v_cmp_ne_u32_e64 s[50:51], 0, v42
	s_bcnt1_i32_b64 s25, s[34:35]
	s_bcnt1_i32_b64 s28, s[40:41]
	;; [unrolled: 1-line block ×3, first 2 shown]
	s_add_i32 s7, s7, s19
	s_add_i32 s6, s6, s23
	;; [unrolled: 1-line block ×4, first 2 shown]
	s_bcnt1_i32_b64 s29, s[42:43]
	s_bcnt1_i32_b64 s35, s[50:51]
	s_add_i32 s7, s7, s20
	s_add_i32 s6, s6, s24
	s_add_i32 s18, s18, s28
	s_add_i32 s19, s19, s34
	s_add_i32 s7, s7, s21
	s_add_i32 s6, s6, s25
	s_add_i32 s87, s18, s29
	s_add_i32 s86, s19, s35
	s_or_b64 s[94:95], vcc, s[94:95]
	v_mov_b32_e32 v2, s7
	v_mov_b32_e32 v3, s6
	;; [unrolled: 1-line block ×4, first 2 shown]
	s_andn2_b64 exec, exec, s[94:95]
	s_cbranch_execnz .LBB18_48
; %bb.49:                               ;   in Loop: Header=BB18_8 Depth=1
	s_or_b64 exec, exec, s[94:95]
	s_or_b64 exec, exec, s[92:93]
	v_mov_b32_e32 v17, 0
	s_and_saveexec_b64 s[18:19], s[12:13]
	s_cbranch_execz .LBB18_45
.LBB18_50:                              ;   in Loop: Header=BB18_8 Depth=1
	global_load_dword v17, v[14:15], off
	s_or_b64 exec, exec, s[18:19]
	s_and_saveexec_b64 s[20:21], s[14:15]
	s_cbranch_execz .LBB18_56
.LBB18_51:                              ;   in Loop: Header=BB18_8 Depth=1
	s_and_b32 s6, s89, 0xfe
	s_mov_b64 s[22:23], 0
	v_mov_b32_e32 v20, v33
	v_mov_b32_e32 v8, v28
	s_branch .LBB18_53
.LBB18_52:                              ;   in Loop: Header=BB18_53 Depth=2
	s_or_b64 exec, exec, s[18:19]
	s_waitcnt vmcnt(0)
	v_xor_b32_e32 v17, 0x80000000, v17
	v_and_b32_e32 v21, s0, v17
	v_bfe_u32 v17, v17, s6, 2
	v_cmp_eq_u32_e32 vcc, s1, v21
	v_cmp_eq_u32_e64 s[18:19], 0, v17
	s_and_b64 s[18:19], vcc, s[18:19]
	v_cndmask_b32_e64 v21, 0, 1, s[18:19]
	v_cmp_ne_u32_e64 s[18:19], 0, v21
	s_bcnt1_i32_b64 s7, s[18:19]
	v_cmp_eq_u32_e64 s[18:19], 1, v17
	s_and_b64 s[18:19], vcc, s[18:19]
	v_cndmask_b32_e64 v21, 0, 1, s[18:19]
	v_cmp_ne_u32_e64 s[18:19], 0, v21
	v_add_u32_e32 v2, s7, v2
	s_bcnt1_i32_b64 s7, s[18:19]
	v_cmp_eq_u32_e64 s[18:19], 2, v17
	s_and_b64 s[18:19], vcc, s[18:19]
	v_cndmask_b32_e64 v21, 0, 1, s[18:19]
	v_cmp_ne_u32_e64 s[18:19], 0, v21
	v_add_u32_e32 v3, s7, v3
	s_bcnt1_i32_b64 s7, s[18:19]
	v_cmp_eq_u32_e64 s[18:19], 3, v17
	s_and_b64 s[18:19], vcc, s[18:19]
	v_cndmask_b32_e64 v17, 0, 1, s[18:19]
	v_cmp_ne_u32_e32 vcc, 0, v17
	v_add_u32_e32 v4, s7, v4
	s_bcnt1_i32_b64 s7, vcc
	v_cmp_le_i32_e32 vcc, s68, v8
	v_add_u32_e32 v5, s7, v5
	v_add_u32_e32 v20, s88, v20
	s_or_b64 s[22:23], vcc, s[22:23]
	v_mov_b32_e32 v17, v18
	s_andn2_b64 exec, exec, s[22:23]
	s_cbranch_execz .LBB18_55
.LBB18_53:                              ;   Parent Loop BB18_8 Depth=1
                                        ; =>  This Inner Loop Header: Depth=2
	v_add_u32_e32 v8, s74, v8
	v_cmp_gt_u32_e32 vcc, s68, v8
	v_mov_b32_e32 v18, 0
	s_and_saveexec_b64 s[18:19], vcc
	s_cbranch_execz .LBB18_52
; %bb.54:                               ;   in Loop: Header=BB18_53 Depth=2
	v_ashrrev_i32_e32 v21, 31, v20
	v_lshlrev_b64 v[22:23], 2, v[20:21]
	v_mov_b32_e32 v18, s75
	v_add_co_u32_e32 v22, vcc, s70, v22
	v_addc_co_u32_e32 v23, vcc, v18, v23, vcc
	global_load_dword v18, v[22:23], off
	s_branch .LBB18_52
.LBB18_55:                              ;   in Loop: Header=BB18_8 Depth=1
	s_or_b64 exec, exec, s[22:23]
.LBB18_56:                              ;   in Loop: Header=BB18_8 Depth=1
	s_or_b64 exec, exec, s[20:21]
	s_branch .LBB18_66
.LBB18_57:                              ;   in Loop: Header=BB18_8 Depth=1
	s_mul_hi_u32 s6, s81, s90
	s_mul_i32 s6, s6, s33
	s_sub_i32 s6, s81, s6
	s_sub_i32 s7, s6, s33
	s_cmp_ge_u32 s6, s33
	s_cselect_b32 s6, s7, s6
	s_sub_i32 s7, s6, s33
	s_cmp_ge_u32 s6, s33
	s_cselect_b32 s6, s7, s6
	s_sub_i32 s6, s81, s6
	v_cmp_gt_u32_e32 vcc, s6, v24
	s_mov_b32 s84, 0
	s_waitcnt vmcnt(0)
	v_mov_b32_e32 v2, 0
	v_mov_b32_e32 v3, 0
	;; [unrolled: 1-line block ×4, first 2 shown]
	s_and_saveexec_b64 s[92:93], vcc
	s_cbranch_execz .LBB18_61
; %bb.58:                               ;   in Loop: Header=BB18_8 Depth=1
	s_and_b32 s7, s89, 0xfe
	s_mov_b64 s[94:95], 0
	v_mov_b32_e32 v8, v34
	s_mov_b32 s85, 0
	s_mov_b32 s86, 0
	;; [unrolled: 1-line block ×3, first 2 shown]
	v_mov_b32_e32 v17, v24
.LBB18_59:                              ;   Parent Loop BB18_8 Depth=1
                                        ; =>  This Inner Loop Header: Depth=2
	ds_read_b128 v[2:5], v8
	v_add_u32_e32 v17, s33, v17
	v_cmp_le_i32_e32 vcc, s6, v17
	v_add_u32_e32 v8, s17, v8
	s_waitcnt lgkmcnt(0)
	v_xor_b32_e32 v2, 0x80000000, v2
	v_xor_b32_e32 v3, 0x80000000, v3
	v_and_b32_e32 v18, s0, v2
	v_bfe_u32 v2, v2, s7, 2
	v_xor_b32_e32 v4, 0x80000000, v4
	v_and_b32_e32 v20, s0, v3
	v_bfe_u32 v3, v3, s7, 2
	v_cmp_eq_u32_e64 s[18:19], s1, v18
	v_cmp_eq_u32_e64 s[26:27], 0, v2
	v_xor_b32_e32 v5, 0x80000000, v5
	v_and_b32_e32 v21, s0, v4
	v_bfe_u32 v4, v4, s7, 2
	v_cmp_eq_u32_e64 s[20:21], s1, v20
	v_cmp_eq_u32_e64 s[28:29], 0, v3
	s_and_b64 s[26:27], s[18:19], s[26:27]
	v_and_b32_e32 v22, s0, v5
	v_bfe_u32 v5, v5, s7, 2
	v_cmp_eq_u32_e64 s[22:23], s1, v21
	v_cmp_eq_u32_e64 s[30:31], 0, v4
	;; [unrolled: 1-line block ×5, first 2 shown]
	v_cndmask_b32_e64 v2, 0, 1, s[26:27]
	s_and_b64 s[26:27], s[20:21], s[28:29]
	v_cmp_eq_u32_e64 s[24:25], s1, v22
	v_cmp_eq_u32_e64 s[34:35], 0, v5
	;; [unrolled: 1-line block ×5, first 2 shown]
	v_cndmask_b32_e64 v3, 0, 1, s[26:27]
	s_and_b64 s[26:27], s[22:23], s[30:31]
	v_cmp_eq_u32_e64 s[40:41], 1, v4
	v_cmp_eq_u32_e64 s[48:49], 2, v4
	;; [unrolled: 1-line block ×3, first 2 shown]
	v_cndmask_b32_e64 v4, 0, 1, s[26:27]
	s_and_b64 s[26:27], s[24:25], s[34:35]
	v_cmp_eq_u32_e64 s[42:43], 1, v5
	v_cmp_eq_u32_e64 s[50:51], 2, v5
	;; [unrolled: 1-line block ×3, first 2 shown]
	v_cndmask_b32_e64 v5, 0, 1, s[26:27]
	s_and_b64 s[26:27], s[18:19], s[36:37]
	v_cndmask_b32_e64 v18, 0, 1, s[26:27]
	s_and_b64 s[26:27], s[20:21], s[38:39]
	;; [unrolled: 2-line block ×5, first 2 shown]
	s_and_b64 s[18:19], s[18:19], s[52:53]
	v_cndmask_b32_e64 v23, 0, 1, s[26:27]
	s_and_b64 s[26:27], s[20:21], s[46:47]
	v_cndmask_b32_e64 v40, 0, 1, s[18:19]
	;; [unrolled: 2-line block ×7, first 2 shown]
	v_cndmask_b32_e64 v43, 0, 1, s[18:19]
	v_cmp_ne_u32_e64 s[18:19], 0, v2
	v_cmp_ne_u32_e64 s[20:21], 0, v3
	;; [unrolled: 1-line block ×11, first 2 shown]
	s_bcnt1_i32_b64 s18, s[18:19]
	s_bcnt1_i32_b64 s19, s[20:21]
	;; [unrolled: 1-line block ×8, first 2 shown]
	v_cmp_ne_u32_e64 s[34:35], 0, v22
	v_cmp_ne_u32_e64 s[40:41], 0, v38
	v_cmp_ne_u32_e64 s[48:49], 0, v42
	s_bcnt1_i32_b64 s23, s[28:29]
	s_bcnt1_i32_b64 s27, s[38:39]
	;; [unrolled: 1-line block ×3, first 2 shown]
	s_add_i32 s18, s87, s18
	s_add_i32 s22, s86, s22
	;; [unrolled: 1-line block ×4, first 2 shown]
	v_cmp_ne_u32_e64 s[42:43], 0, v39
	v_cmp_ne_u32_e64 s[50:51], 0, v43
	s_bcnt1_i32_b64 s25, s[34:35]
	s_bcnt1_i32_b64 s28, s[40:41]
	;; [unrolled: 1-line block ×3, first 2 shown]
	s_add_i32 s18, s18, s19
	s_add_i32 s19, s22, s23
	;; [unrolled: 1-line block ×4, first 2 shown]
	s_bcnt1_i32_b64 s29, s[42:43]
	s_bcnt1_i32_b64 s35, s[50:51]
	s_add_i32 s18, s18, s20
	s_add_i32 s19, s19, s24
	s_add_i32 s20, s22, s28
	s_add_i32 s22, s23, s34
	s_add_i32 s87, s18, s21
	s_add_i32 s86, s19, s25
	s_add_i32 s85, s20, s29
	s_add_i32 s84, s22, s35
	s_or_b64 s[94:95], vcc, s[94:95]
	v_mov_b32_e32 v2, s87
	v_mov_b32_e32 v3, s86
	;; [unrolled: 1-line block ×4, first 2 shown]
	s_andn2_b64 exec, exec, s[94:95]
	s_cbranch_execnz .LBB18_59
; %bb.60:                               ;   in Loop: Header=BB18_8 Depth=1
	s_or_b64 exec, exec, s[94:95]
.LBB18_61:                              ;   in Loop: Header=BB18_8 Depth=1
	s_or_b64 exec, exec, s[92:93]
	v_add_u32_e32 v8, s6, v0
	v_cmp_gt_i32_e32 vcc, s81, v8
	s_and_saveexec_b64 s[28:29], vcc
	s_cbranch_execz .LBB18_65
; %bb.62:                               ;   in Loop: Header=BB18_8 Depth=1
	s_and_b32 s6, s89, 0xfe
	v_lshlrev_b32_e32 v17, 2, v8
	s_mov_b64 s[30:31], 0
.LBB18_63:                              ;   Parent Loop BB18_8 Depth=1
                                        ; =>  This Inner Loop Header: Depth=2
	ds_read_b32 v18, v17
	v_add_u32_e32 v8, s74, v8
	v_cmp_le_i32_e32 vcc, s81, v8
	v_add_u32_e32 v17, s33, v17
	s_waitcnt lgkmcnt(0)
	v_xor_b32_e32 v18, 0x80000000, v18
	v_and_b32_e32 v20, s0, v18
	v_bfe_u32 v18, v18, s6, 2
	v_cmp_eq_u32_e64 s[18:19], s1, v20
	v_cmp_eq_u32_e64 s[20:21], 0, v18
	;; [unrolled: 1-line block ×3, first 2 shown]
	s_and_b64 s[20:21], s[18:19], s[20:21]
	v_cmp_eq_u32_e64 s[24:25], 2, v18
	v_cmp_eq_u32_e64 s[26:27], 3, v18
	v_cndmask_b32_e64 v18, 0, 1, s[20:21]
	s_and_b64 s[20:21], s[18:19], s[22:23]
	v_cndmask_b32_e64 v20, 0, 1, s[20:21]
	s_and_b64 s[20:21], s[18:19], s[24:25]
	s_and_b64 s[18:19], s[18:19], s[26:27]
	v_cndmask_b32_e64 v21, 0, 1, s[20:21]
	v_cndmask_b32_e64 v22, 0, 1, s[18:19]
	v_cmp_ne_u32_e64 s[18:19], 0, v18
	v_cmp_ne_u32_e64 s[20:21], 0, v20
	;; [unrolled: 1-line block ×4, first 2 shown]
	s_bcnt1_i32_b64 s7, s[18:19]
	s_bcnt1_i32_b64 s18, s[20:21]
	s_bcnt1_i32_b64 s19, s[22:23]
	s_bcnt1_i32_b64 s20, s[24:25]
	v_add_u32_e32 v2, s7, v2
	v_add_u32_e32 v3, s18, v3
	;; [unrolled: 1-line block ×3, first 2 shown]
	s_or_b64 s[30:31], vcc, s[30:31]
	v_add_u32_e32 v5, s20, v5
	s_andn2_b64 exec, exec, s[30:31]
	s_cbranch_execnz .LBB18_63
; %bb.64:                               ;   in Loop: Header=BB18_8 Depth=1
	s_or_b64 exec, exec, s[30:31]
.LBB18_65:                              ;   in Loop: Header=BB18_8 Depth=1
	s_or_b64 exec, exec, s[28:29]
.LBB18_66:                              ;   in Loop: Header=BB18_8 Depth=1
	s_lshl_b32 s6, s8, 6
	s_and_saveexec_b64 s[18:19], s[2:3]
	s_cbranch_execz .LBB18_68
; %bb.67:                               ;   in Loop: Header=BB18_8 Depth=1
	v_or_b32_e32 v8, s6, v26
	v_lshlrev_b32_e32 v8, 2, v8
	s_waitcnt vmcnt(0)
	ds_write_b128 v8, v[2:5] offset:3072
.LBB18_68:                              ;   in Loop: Header=BB18_8 Depth=1
	s_or_b64 exec, exec, s[18:19]
	s_waitcnt lgkmcnt(0)
	s_barrier
	s_and_saveexec_b64 s[18:19], s[82:83]
	s_cbranch_execz .LBB18_82
; %bb.69:                               ;   in Loop: Header=BB18_8 Depth=1
	v_readlane_b32 s20, v50, 34
	v_readlane_b32 s21, v50, 35
	v_add_u32_e32 v4, s6, v13
	s_andn2_b64 vcc, exec, s[20:21]
	s_waitcnt vmcnt(0)
	v_mov_b32_e32 v2, 0
	s_cbranch_vccnz .LBB18_81
; %bb.70:                               ;   in Loop: Header=BB18_8 Depth=1
	v_readlane_b32 s20, v50, 38
	v_readlane_b32 s21, v50, 39
	s_mov_b32 s7, 0
	s_and_b64 vcc, exec, s[20:21]
	v_mov_b32_e32 v2, 0
	s_cbranch_vccz .LBB18_74
; %bb.71:                               ;   in Loop: Header=BB18_8 Depth=1
	v_readlane_b32 s20, v50, 44
	v_readlane_b32 s21, v50, 45
	v_lshl_add_u32 v5, v4, 2, v36
	s_andn2_b64 vcc, exec, s[20:21]
	s_cbranch_vccnz .LBB18_75
; %bb.72:                               ;   in Loop: Header=BB18_8 Depth=1
	s_mov_b32 s21, 1
	s_mov_b32 s20, 0
	v_mov_b32_e32 v2, 0
	v_readlane_b32 s7, v50, 46
	v_mov_b32_e32 v3, 0
.LBB18_73:                              ;   Parent Loop BB18_8 Depth=1
                                        ; =>  This Inner Loop Header: Depth=2
	v_lshl_add_u32 v8, s20, 4, v5
	v_lshl_add_u32 v17, s21, 4, v5
	ds_read2_b32 v[20:21], v8 offset1:8
	ds_read2_b32 v[22:23], v17 offset1:8
	ds_read2_b32 v[38:39], v8 offset0:16 offset1:24
	ds_read2_b32 v[40:41], v17 offset0:16 offset1:24
	;; [unrolled: 1-line block ×6, first 2 shown]
	s_waitcnt lgkmcnt(7)
	v_add3_u32 v2, v20, v2, v21
	s_waitcnt lgkmcnt(6)
	v_add3_u32 v3, v22, v3, v23
	;; [unrolled: 2-line block ×3, first 2 shown]
	v_add3_u32 v2, v38, v2, v39
	s_add_i32 s21, s21, 16
	s_add_i32 s20, s20, 16
	s_add_i32 s7, s7, -8
	s_waitcnt lgkmcnt(3)
	v_add3_u32 v2, v42, v2, v43
	s_waitcnt lgkmcnt(2)
	v_add3_u32 v3, v44, v3, v45
	s_cmp_lg_u32 s7, 0
	s_waitcnt lgkmcnt(0)
	v_add3_u32 v3, v48, v3, v49
	v_add3_u32 v2, v46, v2, v47
	s_cbranch_scc1 .LBB18_73
	s_branch .LBB18_76
.LBB18_74:                              ;   in Loop: Header=BB18_8 Depth=1
	s_cbranch_execnz .LBB18_79
	s_branch .LBB18_81
.LBB18_75:                              ;   in Loop: Header=BB18_8 Depth=1
	s_mov_b32 s81, s80
	v_pk_mov_b32 v[2:3], s[80:81], s[80:81] op_sel:[0,1]
	s_mov_b32 s81, 1
	s_mov_b64 s[20:21], s[80:81]
.LBB18_76:                              ;   in Loop: Header=BB18_8 Depth=1
	v_readlane_b32 s22, v50, 48
	v_readlane_b32 s23, v50, 49
	s_andn2_b64 vcc, exec, s[22:23]
	v_readlane_b32 s7, v50, 47
	s_cbranch_vccnz .LBB18_78
.LBB18_77:                              ;   Parent Loop BB18_8 Depth=1
                                        ; =>  This Inner Loop Header: Depth=2
	v_lshl_add_u32 v8, s20, 4, v5
	v_lshl_add_u32 v17, s21, 4, v5
	ds_read_b32 v17, v17
	ds_read_b32 v8, v8
	s_add_i32 s21, s21, 2
	s_add_i32 s20, s20, 2
	s_add_i32 s7, s7, -1
	s_cmp_lg_u32 s7, 0
	s_waitcnt lgkmcnt(1)
	v_add_u32_e32 v3, v17, v3
	s_waitcnt lgkmcnt(0)
	v_add_u32_e32 v2, v8, v2
	s_cbranch_scc1 .LBB18_77
.LBB18_78:                              ;   in Loop: Header=BB18_8 Depth=1
	v_readlane_b32 s20, v50, 52
	v_add_u32_e32 v2, v2, v3
	v_readlane_b32 s7, v50, 51
	v_readlane_b32 s21, v50, 53
	s_and_b64 vcc, exec, s[20:21]
	s_cbranch_vccz .LBB18_81
.LBB18_79:                              ;   in Loop: Header=BB18_8 Depth=1
	s_lshl_b32 s20, s8, 8
	s_lshl_b32 s21, s7, 4
	s_add_i32 s20, s20, s21
	v_add_u32_e32 v3, s20, v35
	v_readlane_b32 s20, v50, 50
	s_sub_i32 s7, s20, s7
.LBB18_80:                              ;   Parent Loop BB18_8 Depth=1
                                        ; =>  This Inner Loop Header: Depth=2
	ds_read_b32 v5, v3
	s_add_i32 s7, s7, -1
	v_add_u32_e32 v3, 16, v3
	s_cmp_eq_u32 s7, 0
	s_waitcnt lgkmcnt(0)
	v_add_u32_e32 v2, v5, v2
	s_cbranch_scc0 .LBB18_80
.LBB18_81:                              ;   in Loop: Header=BB18_8 Depth=1
	v_lshlrev_b32_e32 v3, 2, v4
	ds_write_b32 v3, v2 offset:3072
.LBB18_82:                              ;   in Loop: Header=BB18_8 Depth=1
	s_or_b64 exec, exec, s[18:19]
	s_lshl_b32 s6, s6, 2
	s_waitcnt vmcnt(0)
	v_mov_b32_e32 v2, s6
	s_waitcnt lgkmcnt(0)
	s_barrier
	ds_read_b128 v[2:5], v2 offset:3072
	s_and_b32 s47, s89, 0xfe
	s_lshl_b32 s55, 3, s47
	s_not_b32 s48, s55
	s_mov_b64 s[22:23], -1
	s_waitcnt lgkmcnt(0)
	v_readfirstlane_b32 s34, v2
	s_cmp_eq_u32 s34, 1
	s_cselect_b64 s[6:7], -1, 0
	s_cmp_eq_u32 s69, 1
	s_cselect_b64 s[18:19], -1, 0
	s_and_b64 s[24:25], s[6:7], s[18:19]
	v_readfirstlane_b32 s38, v3
	v_readfirstlane_b32 s46, v4
	;; [unrolled: 1-line block ×3, first 2 shown]
	s_and_b64 vcc, exec, s[24:25]
	s_cbranch_vccz .LBB18_94
; %bb.83:                               ;   in Loop: Header=BB18_8 Depth=1
	ds_read_b32 v2, v9 offset:4096
	s_waitcnt lgkmcnt(0)
	s_barrier
	v_readfirstlane_b32 s6, v2
	s_and_saveexec_b64 s[18:19], s[4:5]
	s_cbranch_execz .LBB18_85
; %bb.84:                               ;   in Loop: Header=BB18_8 Depth=1
	ds_write_b32 v25, v9
.LBB18_85:                              ;   in Loop: Header=BB18_8 Depth=1
	s_or_b64 exec, exec, s[18:19]
	s_and_b32 s1, s1, s48
	s_or_b32 s0, s0, s55
	s_cmp_lt_i32 s6, 1
	s_waitcnt lgkmcnt(0)
	s_barrier
	s_cbranch_scc0 .LBB18_95
; %bb.86:                               ;   in Loop: Header=BB18_8 Depth=1
	s_mov_b64 s[18:19], 0
                                        ; implicit-def: $vgpr19
	s_mov_b64 s[20:21], exec
	v_readlane_b32 s26, v50, 55
	v_readlane_b32 s27, v50, 56
	s_and_b64 s[26:27], s[20:21], s[26:27]
	s_mov_b64 exec, s[26:27]
	s_cbranch_execz .LBB18_97
; %bb.87:                               ;   in Loop: Header=BB18_8 Depth=1
	s_mov_b64 s[26:27], 0
	v_mov_b32_e32 v2, v6
	v_mov_b32_e32 v4, v0
                                        ; implicit-def: $sgpr28_sgpr29
	s_branch .LBB18_89
.LBB18_88:                              ;   in Loop: Header=BB18_89 Depth=2
	s_or_b64 exec, exec, s[18:19]
	s_waitcnt lgkmcnt(0)
	s_barrier
	ds_read_b64 v[18:19], v9 offset:3072
	v_add_u32_e32 v4, s74, v4
	v_cmp_le_i32_e32 vcc, s9, v4
	v_add_u32_e32 v2, s88, v2
	s_waitcnt lgkmcnt(0)
	v_readfirstlane_b32 s7, v18
	s_cmp_lg_u32 s7, 0
	s_cselect_b64 s[18:19], -1, 0
	s_or_b64 s[30:31], vcc, s[18:19]
	s_and_b64 s[30:31], exec, s[30:31]
	s_or_b64 s[26:27], s[30:31], s[26:27]
	s_andn2_b64 s[28:29], s[28:29], exec
	s_and_b64 s[18:19], s[18:19], exec
	s_or_b64 s[28:29], s[28:29], s[18:19]
	s_barrier
	s_andn2_b64 exec, exec, s[26:27]
	s_cbranch_execz .LBB18_96
.LBB18_89:                              ;   Parent Loop BB18_8 Depth=1
                                        ; =>  This Inner Loop Header: Depth=2
	v_cmp_gt_i32_e32 vcc, s68, v4
	s_waitcnt vmcnt(0)
	v_mov_b32_e32 v17, 0
	s_and_saveexec_b64 s[30:31], vcc
	s_cbranch_execz .LBB18_91
; %bb.90:                               ;   in Loop: Header=BB18_89 Depth=2
	v_ashrrev_i32_e32 v3, 31, v2
	v_lshlrev_b64 v[18:19], 2, v[2:3]
	v_mov_b32_e32 v3, s75
	v_add_co_u32_e64 v18, s[18:19], s70, v18
	v_addc_co_u32_e64 v19, s[18:19], v3, v19, s[18:19]
	global_load_dword v17, v[18:19], off
.LBB18_91:                              ;   in Loop: Header=BB18_89 Depth=2
	s_or_b64 exec, exec, s[30:31]
	s_and_saveexec_b64 s[18:19], vcc
	s_cbranch_execz .LBB18_88
; %bb.92:                               ;   in Loop: Header=BB18_89 Depth=2
	s_waitcnt vmcnt(0)
	v_xor_b32_e32 v3, 0x80000000, v17
	v_and_b32_e32 v3, s0, v3
	v_cmp_eq_u32_e32 vcc, s1, v3
	s_and_b64 exec, exec, vcc
	s_cbranch_execz .LBB18_88
; %bb.93:                               ;   in Loop: Header=BB18_89 Depth=2
	ds_write_b64 v9, v[16:17] offset:3072
	s_branch .LBB18_88
.LBB18_94:                              ;   in Loop: Header=BB18_8 Depth=1
	s_mov_b64 s[18:19], -1
                                        ; implicit-def: $sgpr20_sgpr21
                                        ; implicit-def: $sgpr28_sgpr29
                                        ; implicit-def: $sgpr26_sgpr27
	s_branch .LBB18_108
.LBB18_95:                              ;   in Loop: Header=BB18_8 Depth=1
	s_mov_b64 s[20:21], -1
	s_mov_b64 s[18:19], 0
                                        ; implicit-def: $sgpr26_sgpr27
                                        ; implicit-def: $vgpr19
	s_mov_b64 s[28:29], s[20:21]
	s_cbranch_execnz .LBB18_98
	s_branch .LBB18_108
.LBB18_96:                              ;   in Loop: Header=BB18_8 Depth=1
	s_or_b64 exec, exec, s[26:27]
	s_and_b64 s[18:19], s[28:29], exec
.LBB18_97:                              ;   in Loop: Header=BB18_8 Depth=1
	s_or_b64 exec, exec, s[20:21]
	s_mov_b64 s[26:27], -1
	s_mov_b64 s[20:21], 0
	s_mov_b64 s[28:29], s[20:21]
	s_branch .LBB18_108
.LBB18_98:                              ;   in Loop: Header=BB18_8 Depth=1
	v_readlane_b32 s7, v50, 31
	s_add_i32 s7, s6, s7
	s_abs_i32 s19, s7
	v_readlane_b32 s20, v50, 54
	s_mul_hi_u32 s20, s19, s20
	s_mul_i32 s20, s20, s74
	s_sub_i32 s19, s19, s20
	s_ashr_i32 s18, s7, 31
	s_sub_i32 s20, s19, s74
	s_cmp_ge_u32 s19, s74
	s_cselect_b32 s19, s20, s19
	s_sub_i32 s20, s19, s74
	s_cmp_ge_u32 s19, s74
	s_cselect_b32 s19, s20, s19
	s_xor_b32 s19, s19, s18
	s_sub_i32 s18, s18, s19
	s_add_i32 s7, s7, s18
	v_cmp_gt_i32_e32 vcc, s7, v0
	s_mov_b64 s[18:19], 0
                                        ; implicit-def: $vgpr19
	s_and_saveexec_b64 s[20:21], vcc
	s_cbranch_execz .LBB18_107
; %bb.99:                               ;   in Loop: Header=BB18_8 Depth=1
	v_mov_b32_e32 v2, v24
	v_mov_b32_e32 v3, v0
                                        ; implicit-def: $sgpr26_sgpr27
	s_branch .LBB18_101
.LBB18_100:                             ;   in Loop: Header=BB18_101 Depth=2
	s_or_b64 exec, exec, s[28:29]
	s_waitcnt lgkmcnt(0)
	s_barrier
	ds_read_b64 v[18:19], v9 offset:3072
	v_add_u32_e32 v3, s74, v3
	v_cmp_le_i32_e32 vcc, s7, v3
	v_add_u32_e32 v2, s33, v2
	s_waitcnt lgkmcnt(0)
	v_readfirstlane_b32 s28, v18
	s_cmp_lg_u32 s28, 0
	s_cselect_b64 s[28:29], -1, 0
	s_or_b64 s[30:31], vcc, s[28:29]
	s_and_b64 s[30:31], exec, s[30:31]
	s_or_b64 s[18:19], s[30:31], s[18:19]
	s_andn2_b64 s[26:27], s[26:27], exec
	s_and_b64 s[28:29], s[28:29], exec
	s_or_b64 s[26:27], s[26:27], s[28:29]
	s_barrier
	s_andn2_b64 exec, exec, s[18:19]
	s_cbranch_execz .LBB18_106
.LBB18_101:                             ;   Parent Loop BB18_8 Depth=1
                                        ; =>  This Inner Loop Header: Depth=2
	v_cmp_gt_i32_e32 vcc, s6, v3
	s_waitcnt vmcnt(0)
	v_mov_b32_e32 v17, 0
	s_and_saveexec_b64 s[28:29], vcc
	s_cbranch_execz .LBB18_103
; %bb.102:                              ;   in Loop: Header=BB18_101 Depth=2
	ds_read_b32 v17, v2
.LBB18_103:                             ;   in Loop: Header=BB18_101 Depth=2
	s_or_b64 exec, exec, s[28:29]
	s_and_saveexec_b64 s[28:29], vcc
	s_cbranch_execz .LBB18_100
; %bb.104:                              ;   in Loop: Header=BB18_101 Depth=2
	s_waitcnt lgkmcnt(0)
	v_xor_b32_e32 v4, 0x80000000, v17
	v_and_b32_e32 v4, s0, v4
	v_cmp_eq_u32_e32 vcc, s1, v4
	s_and_b64 exec, exec, vcc
	s_cbranch_execz .LBB18_100
; %bb.105:                              ;   in Loop: Header=BB18_101 Depth=2
	ds_write_b64 v9, v[16:17] offset:3072
	s_branch .LBB18_100
.LBB18_106:                             ;   in Loop: Header=BB18_8 Depth=1
	s_or_b64 exec, exec, s[18:19]
	s_and_b64 s[18:19], s[26:27], exec
.LBB18_107:                             ;   in Loop: Header=BB18_8 Depth=1
	s_or_b64 exec, exec, s[20:21]
	s_mov_b64 s[28:29], -1
	s_mov_b64 s[20:21], 0
	s_mov_b64 s[26:27], 0
.LBB18_108:                             ;   in Loop: Header=BB18_8 Depth=1
	s_andn2_b64 s[6:7], s[76:77], exec
	s_and_b64 s[20:21], s[20:21], exec
	s_or_b64 s[76:77], s[6:7], s[20:21]
	s_andn2_b64 s[6:7], s[72:73], exec
	s_and_b64 s[20:21], s[28:29], exec
	s_or_b64 s[72:73], s[6:7], s[20:21]
	;; [unrolled: 3-line block ×3, first 2 shown]
	s_and_saveexec_b64 s[20:21], s[18:19]
	s_cbranch_execz .LBB18_7
; %bb.109:                              ;   in Loop: Header=BB18_8 Depth=1
	s_xor_b64 s[6:7], s[24:25], -1
	s_mov_b64 s[18:19], 0
	s_andn2_b64 vcc, exec, s[6:7]
	s_mov_b32 s39, 1
	s_cbranch_vccnz .LBB18_120
; %bb.110:                              ;   in Loop: Header=BB18_8 Depth=1
	s_cmp_gt_i32 s69, s34
	s_mov_b64 s[18:19], -1
                                        ; implicit-def: $sgpr57
                                        ; implicit-def: $sgpr6
                                        ; implicit-def: $sgpr7
	s_cbranch_scc1 .LBB18_116
; %bb.111:                              ;   in Loop: Header=BB18_8 Depth=1
	ds_read_b32 v2, v9 offset:4096
	s_waitcnt lgkmcnt(0)
	v_cmp_ne_u32_e32 vcc, 0, v2
	s_cbranch_vccnz .LBB18_115
; %bb.112:                              ;   in Loop: Header=BB18_8 Depth=1
	s_mov_b64 s[18:19], exec
	v_readlane_b32 s6, v50, 18
	v_readlane_b32 s7, v50, 19
	s_and_b64 s[6:7], s[18:19], s[6:7]
	s_mov_b64 exec, s[6:7]
	s_cbranch_execz .LBB18_114
; %bb.113:                              ;   in Loop: Header=BB18_8 Depth=1
	v_mov_b32_e32 v2, s34
	ds_write_b32 v9, v2 offset:4100
.LBB18_114:                             ;   in Loop: Header=BB18_8 Depth=1
	s_or_b64 exec, exec, s[18:19]
	s_waitcnt lgkmcnt(0)
	s_barrier
.LBB18_115:                             ;   in Loop: Header=BB18_8 Depth=1
	s_and_b32 s6, s1, s48
	s_or_b32 s7, s0, s55
	s_mov_b64 s[18:19], 0
	s_mov_b32 s57, 8
.LBB18_116:                             ;   in Loop: Header=BB18_8 Depth=1
	s_andn2_b64 vcc, exec, s[18:19]
	s_cbranch_vccnz .LBB18_118
; %bb.117:                              ;   in Loop: Header=BB18_8 Depth=1
	s_sub_i32 s69, s69, s34
	s_mov_b64 s[18:19], -1
	s_mov_b32 s57, 0
	s_mov_b32 s6, s1
	;; [unrolled: 1-line block ×3, first 2 shown]
.LBB18_118:                             ;   in Loop: Header=BB18_8 Depth=1
	s_mov_b32 s0, s7
	s_mov_b32 s1, s6
	s_mov_b32 s39, s69
	s_mov_b64 s[22:23], -1
	s_and_b64 vcc, exec, s[18:19]
	s_cbranch_vccnz .LBB18_121
.LBB18_119:                             ;   in Loop: Header=BB18_8 Depth=1
	s_mov_b64 s[36:37], -1
                                        ; implicit-def: $sgpr24_sgpr25
                                        ; implicit-def: $sgpr28_sgpr29
                                        ; implicit-def: $sgpr26_sgpr27
	s_and_saveexec_b64 s[6:7], s[36:37]
	s_xor_b64 s[18:19], exec, s[6:7]
	s_cbranch_execz .LBB18_6
	s_branch .LBB18_244
.LBB18_120:                             ;   in Loop: Header=BB18_8 Depth=1
	s_mov_b32 s57, 1
	s_mov_b64 s[22:23], -1
	s_and_b64 vcc, exec, s[18:19]
	s_cbranch_vccz .LBB18_119
.LBB18_121:                             ;   in Loop: Header=BB18_8 Depth=1
	s_cmp_eq_u32 s38, 1
	s_cselect_b64 s[6:7], -1, 0
	s_cmp_eq_u32 s39, 1
	s_cselect_b64 s[18:19], -1, 0
	s_and_b64 s[34:35], s[6:7], s[18:19]
	s_mov_b64 s[18:19], -1
	s_and_b64 vcc, exec, s[34:35]
	s_cbranch_vccz .LBB18_133
; %bb.122:                              ;   in Loop: Header=BB18_8 Depth=1
	ds_read_b32 v2, v9 offset:4096
	s_waitcnt lgkmcnt(0)
	s_barrier
	v_readfirstlane_b32 s6, v2
	s_and_saveexec_b64 s[18:19], s[4:5]
	s_cbranch_execz .LBB18_124
; %bb.123:                              ;   in Loop: Header=BB18_8 Depth=1
	ds_write_b32 v25, v9
.LBB18_124:                             ;   in Loop: Header=BB18_8 Depth=1
	s_or_b64 exec, exec, s[18:19]
	s_lshl_b32 s7, 1, s47
	s_and_b32 s1, s1, s48
	s_or_b32 s1, s1, s7
	s_or_b32 s0, s0, s55
	s_cmp_gt_i32 s6, 0
	s_waitcnt lgkmcnt(0)
	s_barrier
	s_cbranch_scc1 .LBB18_134
; %bb.125:                              ;   in Loop: Header=BB18_8 Depth=1
	s_mov_b64 s[18:19], 0
                                        ; implicit-def: $vgpr19
	s_mov_b64 s[24:25], exec
	v_readlane_b32 s26, v50, 55
	v_readlane_b32 s27, v50, 56
	s_and_b64 s[26:27], s[24:25], s[26:27]
	s_mov_b64 exec, s[26:27]
	s_cbranch_execz .LBB18_136
; %bb.126:                              ;   in Loop: Header=BB18_8 Depth=1
	s_mov_b64 s[26:27], 0
	v_mov_b32_e32 v2, v6
	v_mov_b32_e32 v4, v0
                                        ; implicit-def: $sgpr28_sgpr29
	s_branch .LBB18_128
.LBB18_127:                             ;   in Loop: Header=BB18_128 Depth=2
	s_or_b64 exec, exec, s[18:19]
	s_waitcnt lgkmcnt(0)
	s_barrier
	ds_read_b64 v[18:19], v9 offset:3072
	v_add_u32_e32 v4, s74, v4
	v_cmp_le_i32_e32 vcc, s9, v4
	v_add_u32_e32 v2, s88, v2
	s_waitcnt lgkmcnt(0)
	v_readfirstlane_b32 s7, v18
	s_cmp_lg_u32 s7, 0
	s_cselect_b64 s[18:19], -1, 0
	s_or_b64 s[30:31], vcc, s[18:19]
	s_and_b64 s[30:31], exec, s[30:31]
	s_or_b64 s[26:27], s[30:31], s[26:27]
	s_andn2_b64 s[28:29], s[28:29], exec
	s_and_b64 s[18:19], s[18:19], exec
	s_or_b64 s[28:29], s[28:29], s[18:19]
	s_barrier
	s_andn2_b64 exec, exec, s[26:27]
	s_cbranch_execz .LBB18_135
.LBB18_128:                             ;   Parent Loop BB18_8 Depth=1
                                        ; =>  This Inner Loop Header: Depth=2
	v_cmp_gt_i32_e32 vcc, s68, v4
	s_waitcnt vmcnt(0)
	v_mov_b32_e32 v17, 0
	s_and_saveexec_b64 s[30:31], vcc
	s_cbranch_execz .LBB18_130
; %bb.129:                              ;   in Loop: Header=BB18_128 Depth=2
	v_ashrrev_i32_e32 v3, 31, v2
	v_lshlrev_b64 v[18:19], 2, v[2:3]
	v_mov_b32_e32 v3, s75
	v_add_co_u32_e64 v18, s[18:19], s70, v18
	v_addc_co_u32_e64 v19, s[18:19], v3, v19, s[18:19]
	global_load_dword v17, v[18:19], off
.LBB18_130:                             ;   in Loop: Header=BB18_128 Depth=2
	s_or_b64 exec, exec, s[30:31]
	s_and_saveexec_b64 s[18:19], vcc
	s_cbranch_execz .LBB18_127
; %bb.131:                              ;   in Loop: Header=BB18_128 Depth=2
	s_waitcnt vmcnt(0)
	v_xor_b32_e32 v3, 0x80000000, v17
	v_and_b32_e32 v3, s0, v3
	v_cmp_eq_u32_e32 vcc, s1, v3
	s_and_b64 exec, exec, vcc
	s_cbranch_execz .LBB18_127
; %bb.132:                              ;   in Loop: Header=BB18_128 Depth=2
	ds_write_b64 v9, v[16:17] offset:3072
	s_branch .LBB18_127
.LBB18_133:                             ;   in Loop: Header=BB18_8 Depth=1
                                        ; implicit-def: $sgpr26_sgpr27
                                        ; implicit-def: $sgpr28_sgpr29
                                        ; implicit-def: $sgpr24_sgpr25
	s_branch .LBB18_147
.LBB18_134:                             ;   in Loop: Header=BB18_8 Depth=1
	s_mov_b64 s[26:27], -1
	s_mov_b64 s[18:19], 0
                                        ; implicit-def: $sgpr24_sgpr25
                                        ; implicit-def: $vgpr19
	s_mov_b64 s[28:29], s[26:27]
	s_cbranch_execnz .LBB18_137
	s_branch .LBB18_147
.LBB18_135:                             ;   in Loop: Header=BB18_8 Depth=1
	s_or_b64 exec, exec, s[26:27]
	s_and_b64 s[18:19], s[28:29], exec
.LBB18_136:                             ;   in Loop: Header=BB18_8 Depth=1
	s_or_b64 exec, exec, s[24:25]
	s_mov_b64 s[24:25], -1
	s_mov_b64 s[26:27], 0
	s_mov_b64 s[28:29], s[26:27]
	s_branch .LBB18_147
.LBB18_137:                             ;   in Loop: Header=BB18_8 Depth=1
	v_readlane_b32 s7, v50, 31
	s_add_i32 s7, s6, s7
	s_abs_i32 s19, s7
	v_readlane_b32 s24, v50, 54
	s_mul_hi_u32 s24, s19, s24
	s_mul_i32 s24, s24, s74
	s_sub_i32 s19, s19, s24
	s_ashr_i32 s18, s7, 31
	s_sub_i32 s24, s19, s74
	s_cmp_ge_u32 s19, s74
	s_cselect_b32 s19, s24, s19
	s_sub_i32 s24, s19, s74
	s_cmp_ge_u32 s19, s74
	s_cselect_b32 s19, s24, s19
	s_xor_b32 s19, s19, s18
	s_sub_i32 s18, s18, s19
	s_add_i32 s7, s7, s18
	v_cmp_gt_i32_e32 vcc, s7, v0
	s_mov_b64 s[18:19], 0
                                        ; implicit-def: $vgpr19
	s_and_saveexec_b64 s[24:25], vcc
	s_cbranch_execz .LBB18_146
; %bb.138:                              ;   in Loop: Header=BB18_8 Depth=1
	v_mov_b32_e32 v2, v24
	v_mov_b32_e32 v3, v0
                                        ; implicit-def: $sgpr26_sgpr27
	s_branch .LBB18_140
.LBB18_139:                             ;   in Loop: Header=BB18_140 Depth=2
	s_or_b64 exec, exec, s[28:29]
	s_waitcnt lgkmcnt(0)
	s_barrier
	ds_read_b64 v[18:19], v9 offset:3072
	v_add_u32_e32 v3, s74, v3
	v_cmp_le_i32_e32 vcc, s7, v3
	v_add_u32_e32 v2, s33, v2
	s_waitcnt lgkmcnt(0)
	v_readfirstlane_b32 s28, v18
	s_cmp_lg_u32 s28, 0
	s_cselect_b64 s[28:29], -1, 0
	s_or_b64 s[30:31], vcc, s[28:29]
	s_and_b64 s[30:31], exec, s[30:31]
	s_or_b64 s[18:19], s[30:31], s[18:19]
	s_andn2_b64 s[26:27], s[26:27], exec
	s_and_b64 s[28:29], s[28:29], exec
	s_or_b64 s[26:27], s[26:27], s[28:29]
	s_barrier
	s_andn2_b64 exec, exec, s[18:19]
	s_cbranch_execz .LBB18_145
.LBB18_140:                             ;   Parent Loop BB18_8 Depth=1
                                        ; =>  This Inner Loop Header: Depth=2
	v_cmp_gt_i32_e32 vcc, s6, v3
	s_waitcnt vmcnt(0)
	v_mov_b32_e32 v17, 0
	s_and_saveexec_b64 s[28:29], vcc
	s_cbranch_execz .LBB18_142
; %bb.141:                              ;   in Loop: Header=BB18_140 Depth=2
	ds_read_b32 v17, v2
.LBB18_142:                             ;   in Loop: Header=BB18_140 Depth=2
	s_or_b64 exec, exec, s[28:29]
	s_and_saveexec_b64 s[28:29], vcc
	s_cbranch_execz .LBB18_139
; %bb.143:                              ;   in Loop: Header=BB18_140 Depth=2
	s_waitcnt lgkmcnt(0)
	v_xor_b32_e32 v4, 0x80000000, v17
	v_and_b32_e32 v4, s0, v4
	v_cmp_eq_u32_e32 vcc, s1, v4
	s_and_b64 exec, exec, vcc
	s_cbranch_execz .LBB18_139
; %bb.144:                              ;   in Loop: Header=BB18_140 Depth=2
	ds_write_b64 v9, v[16:17] offset:3072
	s_branch .LBB18_139
.LBB18_145:                             ;   in Loop: Header=BB18_8 Depth=1
	s_or_b64 exec, exec, s[18:19]
	s_and_b64 s[18:19], s[26:27], exec
.LBB18_146:                             ;   in Loop: Header=BB18_8 Depth=1
	s_or_b64 exec, exec, s[24:25]
	s_mov_b64 s[28:29], -1
	s_mov_b64 s[26:27], 0
	s_mov_b64 s[24:25], 0
.LBB18_147:                             ;   in Loop: Header=BB18_8 Depth=1
	s_mov_b64 s[36:37], 0
                                        ; implicit-def: $sgpr57
	s_and_saveexec_b64 s[30:31], s[18:19]
	s_cbranch_execz .LBB18_243
; %bb.148:                              ;   in Loop: Header=BB18_8 Depth=1
	s_xor_b64 s[6:7], s[34:35], -1
	s_mov_b64 s[18:19], 0
	s_andn2_b64 vcc, exec, s[6:7]
	s_mov_b32 s49, 1
	s_cbranch_vccnz .LBB18_159
; %bb.149:                              ;   in Loop: Header=BB18_8 Depth=1
	s_cmp_gt_i32 s39, s38
	s_mov_b64 s[18:19], -1
                                        ; implicit-def: $sgpr57
                                        ; implicit-def: $sgpr6
                                        ; implicit-def: $sgpr7
	s_cbranch_scc1 .LBB18_155
; %bb.150:                              ;   in Loop: Header=BB18_8 Depth=1
	ds_read_b32 v2, v9 offset:4096
	s_waitcnt lgkmcnt(0)
	v_cmp_ne_u32_e32 vcc, 0, v2
	s_cbranch_vccnz .LBB18_154
; %bb.151:                              ;   in Loop: Header=BB18_8 Depth=1
	s_mov_b64 s[18:19], exec
	v_readlane_b32 s6, v50, 18
	v_readlane_b32 s7, v50, 19
	s_and_b64 s[6:7], s[18:19], s[6:7]
	s_mov_b64 exec, s[6:7]
	s_cbranch_execz .LBB18_153
; %bb.152:                              ;   in Loop: Header=BB18_8 Depth=1
	v_mov_b32_e32 v2, s38
	ds_write_b32 v9, v2 offset:4100
.LBB18_153:                             ;   in Loop: Header=BB18_8 Depth=1
	s_or_b64 exec, exec, s[18:19]
	s_waitcnt lgkmcnt(0)
	s_barrier
.LBB18_154:                             ;   in Loop: Header=BB18_8 Depth=1
	s_lshl_b32 s6, 1, s47
	s_and_b32 s7, s1, s48
	s_or_b32 s6, s7, s6
	s_or_b32 s7, s0, s55
	s_mov_b64 s[18:19], 0
	s_mov_b32 s57, 8
.LBB18_155:                             ;   in Loop: Header=BB18_8 Depth=1
	s_andn2_b64 vcc, exec, s[18:19]
	s_cbranch_vccnz .LBB18_157
; %bb.156:                              ;   in Loop: Header=BB18_8 Depth=1
	s_sub_i32 s39, s39, s38
	s_mov_b64 s[18:19], -1
	s_mov_b32 s57, 0
	s_mov_b32 s6, s1
	;; [unrolled: 1-line block ×3, first 2 shown]
.LBB18_157:                             ;   in Loop: Header=BB18_8 Depth=1
	s_mov_b32 s0, s7
	s_mov_b32 s1, s6
	;; [unrolled: 1-line block ×3, first 2 shown]
	s_andn2_b64 vcc, exec, s[18:19]
	s_mov_b64 s[44:45], -1
	s_cbranch_vccz .LBB18_160
.LBB18_158:                             ;   in Loop: Header=BB18_8 Depth=1
                                        ; implicit-def: $sgpr36_sgpr37
                                        ; implicit-def: $sgpr38_sgpr39
                                        ; implicit-def: $sgpr34_sgpr35
	s_branch .LBB18_242
.LBB18_159:                             ;   in Loop: Header=BB18_8 Depth=1
	s_mov_b32 s57, 1
	s_andn2_b64 vcc, exec, s[18:19]
	s_mov_b64 s[44:45], -1
	s_cbranch_vccnz .LBB18_158
.LBB18_160:                             ;   in Loop: Header=BB18_8 Depth=1
	s_cmp_eq_u32 s46, 1
	s_cselect_b64 s[6:7], -1, 0
	s_cmp_eq_u32 s49, 1
	s_cselect_b64 s[18:19], -1, 0
	s_and_b64 s[42:43], s[6:7], s[18:19]
	s_mov_b64 s[18:19], -1
	s_and_b64 vcc, exec, s[42:43]
	s_cbranch_vccz .LBB18_172
; %bb.161:                              ;   in Loop: Header=BB18_8 Depth=1
	ds_read_b32 v2, v9 offset:4096
	s_waitcnt lgkmcnt(0)
	s_barrier
	v_readfirstlane_b32 s6, v2
	s_and_saveexec_b64 s[18:19], s[4:5]
	s_cbranch_execz .LBB18_163
; %bb.162:                              ;   in Loop: Header=BB18_8 Depth=1
	ds_write_b32 v25, v9
.LBB18_163:                             ;   in Loop: Header=BB18_8 Depth=1
	s_or_b64 exec, exec, s[18:19]
	s_lshl_b32 s7, 2, s47
	s_and_b32 s1, s1, s48
	s_or_b32 s1, s1, s7
	s_or_b32 s0, s0, s55
	s_cmp_gt_i32 s6, 0
	s_waitcnt lgkmcnt(0)
	s_barrier
	s_cbranch_scc1 .LBB18_173
; %bb.164:                              ;   in Loop: Header=BB18_8 Depth=1
	s_mov_b64 s[18:19], 0
                                        ; implicit-def: $vgpr19
	s_mov_b64 s[34:35], exec
	v_readlane_b32 s36, v50, 55
	v_readlane_b32 s37, v50, 56
	s_and_b64 s[36:37], s[34:35], s[36:37]
	s_mov_b64 exec, s[36:37]
	s_cbranch_execz .LBB18_175
; %bb.165:                              ;   in Loop: Header=BB18_8 Depth=1
	s_mov_b64 s[36:37], 0
	v_mov_b32_e32 v2, v6
	v_mov_b32_e32 v4, v0
                                        ; implicit-def: $sgpr38_sgpr39
	s_branch .LBB18_167
.LBB18_166:                             ;   in Loop: Header=BB18_167 Depth=2
	s_or_b64 exec, exec, s[18:19]
	s_waitcnt lgkmcnt(0)
	s_barrier
	ds_read_b64 v[18:19], v9 offset:3072
	v_add_u32_e32 v4, s74, v4
	v_cmp_le_i32_e32 vcc, s9, v4
	v_add_u32_e32 v2, s88, v2
	s_waitcnt lgkmcnt(0)
	v_readfirstlane_b32 s7, v18
	s_cmp_lg_u32 s7, 0
	s_cselect_b64 s[18:19], -1, 0
	s_or_b64 s[40:41], vcc, s[18:19]
	s_and_b64 s[40:41], exec, s[40:41]
	s_or_b64 s[36:37], s[40:41], s[36:37]
	s_andn2_b64 s[38:39], s[38:39], exec
	s_and_b64 s[18:19], s[18:19], exec
	s_or_b64 s[38:39], s[38:39], s[18:19]
	s_barrier
	s_andn2_b64 exec, exec, s[36:37]
	s_cbranch_execz .LBB18_174
.LBB18_167:                             ;   Parent Loop BB18_8 Depth=1
                                        ; =>  This Inner Loop Header: Depth=2
	v_cmp_gt_i32_e32 vcc, s68, v4
	s_waitcnt vmcnt(0)
	v_mov_b32_e32 v17, 0
	s_and_saveexec_b64 s[40:41], vcc
	s_cbranch_execz .LBB18_169
; %bb.168:                              ;   in Loop: Header=BB18_167 Depth=2
	v_ashrrev_i32_e32 v3, 31, v2
	v_lshlrev_b64 v[18:19], 2, v[2:3]
	v_mov_b32_e32 v3, s75
	v_add_co_u32_e64 v18, s[18:19], s70, v18
	v_addc_co_u32_e64 v19, s[18:19], v3, v19, s[18:19]
	global_load_dword v17, v[18:19], off
.LBB18_169:                             ;   in Loop: Header=BB18_167 Depth=2
	s_or_b64 exec, exec, s[40:41]
	s_and_saveexec_b64 s[18:19], vcc
	s_cbranch_execz .LBB18_166
; %bb.170:                              ;   in Loop: Header=BB18_167 Depth=2
	s_waitcnt vmcnt(0)
	v_xor_b32_e32 v3, 0x80000000, v17
	v_and_b32_e32 v3, s0, v3
	v_cmp_eq_u32_e32 vcc, s1, v3
	s_and_b64 exec, exec, vcc
	s_cbranch_execz .LBB18_166
; %bb.171:                              ;   in Loop: Header=BB18_167 Depth=2
	ds_write_b64 v9, v[16:17] offset:3072
	s_branch .LBB18_166
.LBB18_172:                             ;   in Loop: Header=BB18_8 Depth=1
                                        ; implicit-def: $sgpr34_sgpr35
                                        ; implicit-def: $sgpr38_sgpr39
                                        ; implicit-def: $sgpr36_sgpr37
	s_branch .LBB18_186
.LBB18_173:                             ;   in Loop: Header=BB18_8 Depth=1
	s_mov_b64 s[34:35], -1
	s_mov_b64 s[18:19], 0
                                        ; implicit-def: $sgpr36_sgpr37
                                        ; implicit-def: $vgpr19
	s_mov_b64 s[38:39], s[34:35]
	s_cbranch_execnz .LBB18_176
	s_branch .LBB18_186
.LBB18_174:                             ;   in Loop: Header=BB18_8 Depth=1
	s_or_b64 exec, exec, s[36:37]
	s_and_b64 s[18:19], s[38:39], exec
.LBB18_175:                             ;   in Loop: Header=BB18_8 Depth=1
	s_or_b64 exec, exec, s[34:35]
	s_mov_b64 s[36:37], -1
	s_mov_b64 s[34:35], 0
	s_mov_b64 s[38:39], s[34:35]
	s_branch .LBB18_186
.LBB18_176:                             ;   in Loop: Header=BB18_8 Depth=1
	v_readlane_b32 s7, v50, 31
	s_add_i32 s7, s6, s7
	s_abs_i32 s19, s7
	v_readlane_b32 s34, v50, 54
	s_mul_hi_u32 s34, s19, s34
	s_mul_i32 s34, s34, s74
	s_sub_i32 s19, s19, s34
	s_ashr_i32 s18, s7, 31
	s_sub_i32 s34, s19, s74
	s_cmp_ge_u32 s19, s74
	s_cselect_b32 s19, s34, s19
	s_sub_i32 s34, s19, s74
	s_cmp_ge_u32 s19, s74
	s_cselect_b32 s19, s34, s19
	s_xor_b32 s19, s19, s18
	s_sub_i32 s18, s18, s19
	s_add_i32 s7, s7, s18
	v_cmp_gt_i32_e32 vcc, s7, v0
	s_mov_b64 s[18:19], 0
                                        ; implicit-def: $vgpr19
	s_and_saveexec_b64 s[34:35], vcc
	s_cbranch_execz .LBB18_185
; %bb.177:                              ;   in Loop: Header=BB18_8 Depth=1
	v_mov_b32_e32 v2, v24
	v_mov_b32_e32 v3, v0
                                        ; implicit-def: $sgpr36_sgpr37
	s_branch .LBB18_179
.LBB18_178:                             ;   in Loop: Header=BB18_179 Depth=2
	s_or_b64 exec, exec, s[38:39]
	s_waitcnt lgkmcnt(0)
	s_barrier
	ds_read_b64 v[18:19], v9 offset:3072
	v_add_u32_e32 v3, s74, v3
	v_cmp_le_i32_e32 vcc, s7, v3
	v_add_u32_e32 v2, s33, v2
	s_waitcnt lgkmcnt(0)
	v_readfirstlane_b32 s38, v18
	s_cmp_lg_u32 s38, 0
	s_cselect_b64 s[38:39], -1, 0
	s_or_b64 s[40:41], vcc, s[38:39]
	s_and_b64 s[40:41], exec, s[40:41]
	s_or_b64 s[18:19], s[40:41], s[18:19]
	s_andn2_b64 s[36:37], s[36:37], exec
	s_and_b64 s[38:39], s[38:39], exec
	s_or_b64 s[36:37], s[36:37], s[38:39]
	s_barrier
	s_andn2_b64 exec, exec, s[18:19]
	s_cbranch_execz .LBB18_184
.LBB18_179:                             ;   Parent Loop BB18_8 Depth=1
                                        ; =>  This Inner Loop Header: Depth=2
	v_cmp_gt_i32_e32 vcc, s6, v3
	s_waitcnt vmcnt(0)
	v_mov_b32_e32 v17, 0
	s_and_saveexec_b64 s[38:39], vcc
	s_cbranch_execz .LBB18_181
; %bb.180:                              ;   in Loop: Header=BB18_179 Depth=2
	ds_read_b32 v17, v2
.LBB18_181:                             ;   in Loop: Header=BB18_179 Depth=2
	s_or_b64 exec, exec, s[38:39]
	s_and_saveexec_b64 s[38:39], vcc
	s_cbranch_execz .LBB18_178
; %bb.182:                              ;   in Loop: Header=BB18_179 Depth=2
	s_waitcnt lgkmcnt(0)
	v_xor_b32_e32 v4, 0x80000000, v17
	v_and_b32_e32 v4, s0, v4
	v_cmp_eq_u32_e32 vcc, s1, v4
	s_and_b64 exec, exec, vcc
	s_cbranch_execz .LBB18_178
; %bb.183:                              ;   in Loop: Header=BB18_179 Depth=2
	ds_write_b64 v9, v[16:17] offset:3072
	s_branch .LBB18_178
.LBB18_184:                             ;   in Loop: Header=BB18_8 Depth=1
	s_or_b64 exec, exec, s[18:19]
	s_and_b64 s[18:19], s[36:37], exec
.LBB18_185:                             ;   in Loop: Header=BB18_8 Depth=1
	s_or_b64 exec, exec, s[34:35]
	s_mov_b64 s[38:39], -1
	s_mov_b64 s[34:35], 0
	s_mov_b64 s[36:37], 0
.LBB18_186:                             ;   in Loop: Header=BB18_8 Depth=1
	s_mov_b64 s[44:45], 0
                                        ; implicit-def: $sgpr57
	s_and_saveexec_b64 s[40:41], s[18:19]
	s_cbranch_execz .LBB18_241
; %bb.187:                              ;   in Loop: Header=BB18_8 Depth=1
	s_xor_b64 s[6:7], s[42:43], -1
	s_mov_b64 s[18:19], 0
	s_andn2_b64 vcc, exec, s[6:7]
	s_mov_b32 s56, 1
	s_cbranch_vccnz .LBB18_198
; %bb.188:                              ;   in Loop: Header=BB18_8 Depth=1
	s_cmp_gt_i32 s49, s46
	s_mov_b64 s[18:19], -1
                                        ; implicit-def: $sgpr57
                                        ; implicit-def: $sgpr6
                                        ; implicit-def: $sgpr7
	s_cbranch_scc1 .LBB18_194
; %bb.189:                              ;   in Loop: Header=BB18_8 Depth=1
	ds_read_b32 v2, v9 offset:4096
	s_waitcnt lgkmcnt(0)
	v_cmp_ne_u32_e32 vcc, 0, v2
	s_cbranch_vccnz .LBB18_193
; %bb.190:                              ;   in Loop: Header=BB18_8 Depth=1
	s_mov_b64 s[18:19], exec
	v_readlane_b32 s6, v50, 18
	v_readlane_b32 s7, v50, 19
	s_and_b64 s[6:7], s[18:19], s[6:7]
	s_mov_b64 exec, s[6:7]
	s_cbranch_execz .LBB18_192
; %bb.191:                              ;   in Loop: Header=BB18_8 Depth=1
	v_mov_b32_e32 v2, s46
	ds_write_b32 v9, v2 offset:4100
.LBB18_192:                             ;   in Loop: Header=BB18_8 Depth=1
	s_or_b64 exec, exec, s[18:19]
	s_waitcnt lgkmcnt(0)
	s_barrier
.LBB18_193:                             ;   in Loop: Header=BB18_8 Depth=1
	s_lshl_b32 s6, 2, s47
	s_and_b32 s7, s1, s48
	s_or_b32 s6, s7, s6
	s_or_b32 s7, s0, s55
	s_mov_b64 s[18:19], 0
	s_mov_b32 s57, 8
.LBB18_194:                             ;   in Loop: Header=BB18_8 Depth=1
	s_andn2_b64 vcc, exec, s[18:19]
	s_cbranch_vccnz .LBB18_196
; %bb.195:                              ;   in Loop: Header=BB18_8 Depth=1
	s_sub_i32 s49, s49, s46
	s_mov_b64 s[18:19], -1
	s_mov_b32 s57, 0
	s_mov_b32 s6, s1
	;; [unrolled: 1-line block ×3, first 2 shown]
.LBB18_196:                             ;   in Loop: Header=BB18_8 Depth=1
	s_mov_b32 s0, s7
	s_mov_b32 s1, s6
	;; [unrolled: 1-line block ×3, first 2 shown]
	s_andn2_b64 vcc, exec, s[18:19]
	s_mov_b64 s[52:53], -1
	s_cbranch_vccz .LBB18_199
.LBB18_197:                             ;   in Loop: Header=BB18_8 Depth=1
                                        ; implicit-def: $sgpr18_sgpr19
                                        ; implicit-def: $sgpr46_sgpr47
                                        ; implicit-def: $sgpr44_sgpr45
	s_branch .LBB18_240
.LBB18_198:                             ;   in Loop: Header=BB18_8 Depth=1
	s_mov_b32 s57, 1
	s_andn2_b64 vcc, exec, s[18:19]
	s_mov_b64 s[52:53], -1
	s_cbranch_vccnz .LBB18_197
.LBB18_199:                             ;   in Loop: Header=BB18_8 Depth=1
	s_cmp_eq_u32 s54, 1
	s_cselect_b64 s[6:7], -1, 0
	s_cmp_eq_u32 s56, 1
	s_cselect_b64 s[18:19], -1, 0
	s_and_b64 s[42:43], s[6:7], s[18:19]
	s_mov_b64 s[48:49], -1
	s_and_b64 vcc, exec, s[42:43]
	s_cbranch_vccz .LBB18_211
; %bb.200:                              ;   in Loop: Header=BB18_8 Depth=1
	ds_read_b32 v2, v9 offset:4096
	s_waitcnt lgkmcnt(0)
	s_barrier
	v_readfirstlane_b32 s6, v2
	s_and_saveexec_b64 s[18:19], s[4:5]
	s_cbranch_execz .LBB18_202
; %bb.201:                              ;   in Loop: Header=BB18_8 Depth=1
	ds_write_b32 v25, v9
.LBB18_202:                             ;   in Loop: Header=BB18_8 Depth=1
	s_or_b64 exec, exec, s[18:19]
	s_or_b32 s1, s1, s55
	s_or_b32 s0, s0, s55
	s_cmp_gt_i32 s6, 0
	s_waitcnt lgkmcnt(0)
	s_barrier
	s_cbranch_scc1 .LBB18_212
; %bb.203:                              ;   in Loop: Header=BB18_8 Depth=1
	s_mov_b64 s[48:49], 0
                                        ; implicit-def: $vgpr19
	s_mov_b64 s[44:45], exec
	v_readlane_b32 s18, v50, 55
	v_readlane_b32 s19, v50, 56
	s_and_b64 s[18:19], s[44:45], s[18:19]
	s_mov_b64 exec, s[18:19]
	s_cbranch_execz .LBB18_214
; %bb.204:                              ;   in Loop: Header=BB18_8 Depth=1
	s_mov_b64 s[46:47], 0
	v_mov_b32_e32 v2, v6
	v_mov_b32_e32 v4, v0
                                        ; implicit-def: $sgpr48_sgpr49
	s_branch .LBB18_206
.LBB18_205:                             ;   in Loop: Header=BB18_206 Depth=2
	s_or_b64 exec, exec, s[18:19]
	s_waitcnt lgkmcnt(0)
	s_barrier
	ds_read_b64 v[18:19], v9 offset:3072
	v_add_u32_e32 v4, s74, v4
	v_cmp_le_i32_e32 vcc, s9, v4
	v_add_u32_e32 v2, s88, v2
	s_waitcnt lgkmcnt(0)
	v_readfirstlane_b32 s7, v18
	s_cmp_lg_u32 s7, 0
	s_cselect_b64 s[18:19], -1, 0
	s_or_b64 s[50:51], vcc, s[18:19]
	s_and_b64 s[50:51], exec, s[50:51]
	s_or_b64 s[46:47], s[50:51], s[46:47]
	s_andn2_b64 s[48:49], s[48:49], exec
	s_and_b64 s[18:19], s[18:19], exec
	s_or_b64 s[48:49], s[48:49], s[18:19]
	s_barrier
	s_andn2_b64 exec, exec, s[46:47]
	s_cbranch_execz .LBB18_213
.LBB18_206:                             ;   Parent Loop BB18_8 Depth=1
                                        ; =>  This Inner Loop Header: Depth=2
	v_cmp_gt_i32_e32 vcc, s68, v4
	s_waitcnt vmcnt(0)
	v_mov_b32_e32 v17, 0
	s_and_saveexec_b64 s[50:51], vcc
	s_cbranch_execz .LBB18_208
; %bb.207:                              ;   in Loop: Header=BB18_206 Depth=2
	v_ashrrev_i32_e32 v3, 31, v2
	v_lshlrev_b64 v[18:19], 2, v[2:3]
	v_mov_b32_e32 v3, s75
	v_add_co_u32_e64 v18, s[18:19], s70, v18
	v_addc_co_u32_e64 v19, s[18:19], v3, v19, s[18:19]
	global_load_dword v17, v[18:19], off
.LBB18_208:                             ;   in Loop: Header=BB18_206 Depth=2
	s_or_b64 exec, exec, s[50:51]
	s_and_saveexec_b64 s[18:19], vcc
	s_cbranch_execz .LBB18_205
; %bb.209:                              ;   in Loop: Header=BB18_206 Depth=2
	s_waitcnt vmcnt(0)
	v_xor_b32_e32 v3, 0x80000000, v17
	v_and_b32_e32 v3, s0, v3
	v_cmp_eq_u32_e32 vcc, s1, v3
	s_and_b64 exec, exec, vcc
	s_cbranch_execz .LBB18_205
; %bb.210:                              ;   in Loop: Header=BB18_206 Depth=2
	ds_write_b64 v9, v[16:17] offset:3072
	s_branch .LBB18_205
.LBB18_211:                             ;   in Loop: Header=BB18_8 Depth=1
                                        ; implicit-def: $sgpr18_sgpr19
                                        ; implicit-def: $sgpr46_sgpr47
                                        ; implicit-def: $sgpr44_sgpr45
	s_branch .LBB18_225
.LBB18_212:                             ;   in Loop: Header=BB18_8 Depth=1
	s_mov_b64 s[18:19], -1
	s_mov_b64 s[48:49], 0
                                        ; implicit-def: $sgpr44_sgpr45
                                        ; implicit-def: $vgpr19
	s_mov_b64 s[46:47], s[18:19]
	s_cbranch_execnz .LBB18_215
	s_branch .LBB18_225
.LBB18_213:                             ;   in Loop: Header=BB18_8 Depth=1
	s_or_b64 exec, exec, s[46:47]
	s_and_b64 s[48:49], s[48:49], exec
.LBB18_214:                             ;   in Loop: Header=BB18_8 Depth=1
	s_or_b64 exec, exec, s[44:45]
	s_mov_b64 s[44:45], -1
	s_mov_b64 s[18:19], 0
	s_mov_b64 s[46:47], s[18:19]
	s_branch .LBB18_225
.LBB18_215:                             ;   in Loop: Header=BB18_8 Depth=1
	v_readlane_b32 s7, v50, 31
	s_add_i32 s7, s6, s7
	s_abs_i32 s19, s7
	v_readlane_b32 s44, v50, 54
	s_mul_hi_u32 s44, s19, s44
	s_mul_i32 s44, s44, s74
	s_sub_i32 s19, s19, s44
	s_ashr_i32 s18, s7, 31
	s_sub_i32 s44, s19, s74
	s_cmp_ge_u32 s19, s74
	s_cselect_b32 s19, s44, s19
	s_sub_i32 s44, s19, s74
	s_cmp_ge_u32 s19, s74
	s_cselect_b32 s19, s44, s19
	s_xor_b32 s19, s19, s18
	s_sub_i32 s18, s18, s19
	s_add_i32 s7, s7, s18
	v_cmp_gt_i32_e32 vcc, s7, v0
	s_mov_b64 s[48:49], 0
                                        ; implicit-def: $vgpr19
	s_and_saveexec_b64 s[18:19], vcc
	s_cbranch_execz .LBB18_224
; %bb.216:                              ;   in Loop: Header=BB18_8 Depth=1
	s_mov_b64 s[44:45], 0
	v_mov_b32_e32 v2, v24
	v_mov_b32_e32 v3, v0
                                        ; implicit-def: $sgpr46_sgpr47
	s_branch .LBB18_218
.LBB18_217:                             ;   in Loop: Header=BB18_218 Depth=2
	s_or_b64 exec, exec, s[48:49]
	s_waitcnt lgkmcnt(0)
	s_barrier
	ds_read_b64 v[18:19], v9 offset:3072
	v_add_u32_e32 v3, s74, v3
	v_cmp_le_i32_e32 vcc, s7, v3
	v_add_u32_e32 v2, s33, v2
	s_waitcnt lgkmcnt(0)
	v_readfirstlane_b32 s48, v18
	s_cmp_lg_u32 s48, 0
	s_cselect_b64 s[48:49], -1, 0
	s_or_b64 s[50:51], vcc, s[48:49]
	s_and_b64 s[50:51], exec, s[50:51]
	s_or_b64 s[44:45], s[50:51], s[44:45]
	s_andn2_b64 s[46:47], s[46:47], exec
	s_and_b64 s[48:49], s[48:49], exec
	s_or_b64 s[46:47], s[46:47], s[48:49]
	s_barrier
	s_andn2_b64 exec, exec, s[44:45]
	s_cbranch_execz .LBB18_223
.LBB18_218:                             ;   Parent Loop BB18_8 Depth=1
                                        ; =>  This Inner Loop Header: Depth=2
	v_cmp_gt_i32_e32 vcc, s6, v3
	s_waitcnt vmcnt(0)
	v_mov_b32_e32 v17, 0
	s_and_saveexec_b64 s[48:49], vcc
	s_cbranch_execz .LBB18_220
; %bb.219:                              ;   in Loop: Header=BB18_218 Depth=2
	ds_read_b32 v17, v2
.LBB18_220:                             ;   in Loop: Header=BB18_218 Depth=2
	s_or_b64 exec, exec, s[48:49]
	s_and_saveexec_b64 s[48:49], vcc
	s_cbranch_execz .LBB18_217
; %bb.221:                              ;   in Loop: Header=BB18_218 Depth=2
	s_waitcnt lgkmcnt(0)
	v_xor_b32_e32 v4, 0x80000000, v17
	v_and_b32_e32 v4, s0, v4
	v_cmp_eq_u32_e32 vcc, s1, v4
	s_and_b64 exec, exec, vcc
	s_cbranch_execz .LBB18_217
; %bb.222:                              ;   in Loop: Header=BB18_218 Depth=2
	ds_write_b64 v9, v[16:17] offset:3072
	s_branch .LBB18_217
.LBB18_223:                             ;   in Loop: Header=BB18_8 Depth=1
	s_or_b64 exec, exec, s[44:45]
	s_and_b64 s[48:49], s[46:47], exec
.LBB18_224:                             ;   in Loop: Header=BB18_8 Depth=1
	s_or_b64 exec, exec, s[18:19]
	s_mov_b64 s[46:47], -1
	s_mov_b64 s[18:19], 0
	s_mov_b64 s[44:45], 0
.LBB18_225:                             ;   in Loop: Header=BB18_8 Depth=1
	s_mov_b64 s[52:53], 0
                                        ; implicit-def: $sgpr57
	s_and_saveexec_b64 s[50:51], s[48:49]
	s_cbranch_execz .LBB18_239
; %bb.226:                              ;   in Loop: Header=BB18_8 Depth=1
	s_xor_b64 s[6:7], s[42:43], -1
	s_andn2_b64 vcc, exec, s[6:7]
	s_mov_b32 s57, 1
	s_cbranch_vccnz .LBB18_233
; %bb.227:                              ;   in Loop: Header=BB18_8 Depth=1
	s_cmp_gt_i32 s56, s54
	s_cbranch_scc1 .LBB18_234
; %bb.228:                              ;   in Loop: Header=BB18_8 Depth=1
	ds_read_b32 v2, v9 offset:4096
	s_waitcnt lgkmcnt(0)
	v_cmp_ne_u32_e32 vcc, 0, v2
	s_cbranch_vccnz .LBB18_232
; %bb.229:                              ;   in Loop: Header=BB18_8 Depth=1
	s_mov_b64 s[42:43], exec
	v_readlane_b32 s6, v50, 18
	v_readlane_b32 s7, v50, 19
	s_and_b64 s[6:7], s[42:43], s[6:7]
	s_mov_b64 exec, s[6:7]
	s_cbranch_execz .LBB18_231
; %bb.230:                              ;   in Loop: Header=BB18_8 Depth=1
	v_mov_b32_e32 v2, s54
	ds_write_b32 v9, v2 offset:4100
.LBB18_231:                             ;   in Loop: Header=BB18_8 Depth=1
	s_or_b64 exec, exec, s[42:43]
	s_waitcnt lgkmcnt(0)
	s_barrier
.LBB18_232:                             ;   in Loop: Header=BB18_8 Depth=1
	s_or_b32 s6, s1, s55
	s_or_b32 s7, s0, s55
	s_mov_b64 s[42:43], 0
	s_mov_b32 s57, 8
	s_branch .LBB18_235
.LBB18_233:                             ;   in Loop: Header=BB18_8 Depth=1
	s_mov_b32 s56, 1
	s_branch .LBB18_238
.LBB18_234:                             ;   in Loop: Header=BB18_8 Depth=1
	s_mov_b64 s[42:43], -1
                                        ; implicit-def: $sgpr57
                                        ; implicit-def: $sgpr6
                                        ; implicit-def: $sgpr7
.LBB18_235:                             ;   in Loop: Header=BB18_8 Depth=1
	s_andn2_b64 vcc, exec, s[42:43]
	s_cbranch_vccnz .LBB18_237
; %bb.236:                              ;   in Loop: Header=BB18_8 Depth=1
	s_sub_i32 s56, s56, s54
	s_mov_b32 s57, 8
	s_mov_b32 s6, s1
	;; [unrolled: 1-line block ×3, first 2 shown]
.LBB18_237:                             ;   in Loop: Header=BB18_8 Depth=1
	s_mov_b32 s1, s6
	s_mov_b32 s0, s7
.LBB18_238:                             ;   in Loop: Header=BB18_8 Depth=1
	s_mov_b64 s[52:53], exec
.LBB18_239:                             ;   in Loop: Header=BB18_8 Depth=1
	s_or_b64 exec, exec, s[50:51]
.LBB18_240:                             ;   in Loop: Header=BB18_8 Depth=1
	s_andn2_b64 s[6:7], s[34:35], exec
	s_and_b64 s[18:19], s[18:19], exec
	s_or_b64 s[34:35], s[6:7], s[18:19]
	s_andn2_b64 s[6:7], s[38:39], exec
	s_and_b64 s[18:19], s[46:47], exec
	s_or_b64 s[38:39], s[6:7], s[18:19]
	;; [unrolled: 3-line block ×3, first 2 shown]
	s_and_b64 s[44:45], s[52:53], exec
	s_mov_b32 s49, s56
.LBB18_241:                             ;   in Loop: Header=BB18_8 Depth=1
	s_or_b64 exec, exec, s[40:41]
.LBB18_242:                             ;   in Loop: Header=BB18_8 Depth=1
	s_andn2_b64 s[6:7], s[26:27], exec
	s_and_b64 s[18:19], s[34:35], exec
	s_or_b64 s[26:27], s[6:7], s[18:19]
	s_andn2_b64 s[6:7], s[28:29], exec
	s_and_b64 s[18:19], s[38:39], exec
	s_or_b64 s[28:29], s[6:7], s[18:19]
	;; [unrolled: 3-line block ×3, first 2 shown]
	s_and_b64 s[36:37], s[44:45], exec
	s_mov_b32 s39, s49
.LBB18_243:                             ;   in Loop: Header=BB18_8 Depth=1
	s_or_b64 exec, exec, s[30:31]
	s_and_saveexec_b64 s[6:7], s[36:37]
	s_xor_b64 s[18:19], exec, s[6:7]
	s_cbranch_execz .LBB18_6
.LBB18_244:                             ;   in Loop: Header=BB18_8 Depth=1
	s_and_b32 s6, s57, -9
	s_cmp_eq_u32 s6, 0
	s_cbranch_scc1 .LBB18_4
; %bb.245:                              ;   in Loop: Header=BB18_8 Depth=1
	s_mov_b64 s[22:23], -1
                                        ; implicit-def: $sgpr0
                                        ; implicit-def: $sgpr39
                                        ; implicit-def: $sgpr89
                                        ; implicit-def: $sgpr8
	s_mov_b64 s[30:31], -1
	s_branch .LBB18_5
.LBB18_246:
	s_or_b64 exec, exec, s[78:79]
	s_xor_b64 s[8:9], s[64:65], -1
	s_xor_b64 s[0:1], s[60:61], -1
	;; [unrolled: 1-line block ×3, first 2 shown]
	s_mov_b64 s[4:5], 0
	s_and_saveexec_b64 s[2:3], s[0:1]
	s_xor_b64 s[2:3], exec, s[2:3]
	s_cbranch_execnz .LBB18_251
; %bb.247:
	s_andn2_saveexec_b64 s[0:1], s[2:3]
	s_cbranch_execnz .LBB18_271
.LBB18_248:
	s_or_b64 exec, exec, s[0:1]
	s_and_saveexec_b64 s[0:1], s[4:5]
.LBB18_249:
	; divergent unreachable
.LBB18_250:
	s_endpgm
.LBB18_251:
	s_and_saveexec_b64 s[0:1], s[8:9]
	s_xor_b64 s[4:5], exec, s[0:1]
	s_cbranch_execz .LBB18_269
; %bb.252:
	s_and_saveexec_b64 s[0:1], s[6:7]
	s_xor_b64 s[6:7], exec, s[0:1]
; %bb.253:
	v_xor_b32_e32 v19, 0x80000000, v2
; %bb.254:
	s_or_b64 exec, exec, s[6:7]
	s_mov_b64 s[6:7], exec
	v_readlane_b32 s0, v50, 18
	v_readlane_b32 s1, v50, 19
	;; [unrolled: 1-line block ×4, first 2 shown]
	s_and_b64 s[0:1], s[6:7], s[0:1]
	v_readlane_b32 s18, v50, 30
	v_readlane_b32 s21, v50, 23
	v_readlane_b32 s23, v50, 28
	v_readlane_b32 s19, v50, 20
	v_readlane_b32 s24, v50, 25
	s_mov_b64 exec, s[0:1]
	s_cbranch_execz .LBB18_256
; %bb.255:
	v_mov_b32_e32 v1, 0
	v_mov_b32_e32 v2, s68
	ds_write_b32 v1, v2 offset:4108
.LBB18_256:
	s_or_b64 exec, exec, s[6:7]
	v_mov_b32_e32 v1, 0
	s_waitcnt lgkmcnt(0)
	s_barrier
	ds_read_b32 v1, v1 offset:4108
	s_waitcnt lgkmcnt(0)
	v_min_i32_e32 v1, s68, v1
	v_cmp_lt_i32_e32 vcc, v0, v1
	s_and_saveexec_b64 s[6:7], vcc
	s_cbranch_execz .LBB18_266
; %bb.257:
	s_mov_b64 s[8:9], 0
	v_mov_b32_e32 v3, s75
                                        ; implicit-def: $sgpr10_sgpr11
                                        ; implicit-def: $sgpr14_sgpr15
                                        ; implicit-def: $sgpr12_sgpr13
	s_branch .LBB18_259
.LBB18_258:                             ;   in Loop: Header=BB18_259 Depth=1
	s_or_b64 exec, exec, s[16:17]
	s_and_b64 s[0:1], exec, s[14:15]
	s_or_b64 s[8:9], s[0:1], s[8:9]
	s_andn2_b64 s[0:1], s[10:11], exec
	s_and_b64 s[10:11], s[12:13], exec
	s_or_b64 s[10:11], s[0:1], s[10:11]
	s_andn2_b64 exec, exec, s[8:9]
	s_cbranch_execz .LBB18_261
.LBB18_259:                             ; =>This Inner Loop Header: Depth=1
	v_ashrrev_i32_e32 v7, 31, v6
	v_lshlrev_b64 v[4:5], 2, v[6:7]
	v_add_co_u32_e32 v4, vcc, s70, v4
	v_addc_co_u32_e32 v5, vcc, v3, v5, vcc
	global_load_dword v4, v[4:5], off
	v_mov_b32_e32 v2, v0
	s_or_b64 s[12:13], s[12:13], exec
	s_or_b64 s[14:15], s[14:15], exec
                                        ; implicit-def: $vgpr0
	s_waitcnt vmcnt(0)
	v_cmp_ne_u32_e32 vcc, v4, v19
	s_and_saveexec_b64 s[16:17], vcc
	s_cbranch_execz .LBB18_258
; %bb.260:                              ;   in Loop: Header=BB18_259 Depth=1
	v_add_u32_e32 v0, s74, v2
	v_cmp_ge_i32_e32 vcc, v0, v1
	s_andn2_b64 s[0:1], s[14:15], exec
	s_and_b64 s[14:15], vcc, exec
	v_add_u32_e32 v6, s88, v6
	s_andn2_b64 s[12:13], s[12:13], exec
	s_or_b64 s[14:15], s[0:1], s[14:15]
	s_branch .LBB18_258
.LBB18_261:
	s_or_b64 exec, exec, s[8:9]
	s_and_saveexec_b64 s[0:1], s[10:11]
	s_xor_b64 s[0:1], exec, s[0:1]
	s_cbranch_execz .LBB18_266
; %bb.262:
	s_mov_b64 s[8:9], exec
	s_brev_b32 s0, -2
.LBB18_263:                             ; =>This Inner Loop Header: Depth=1
	s_ff1_i32_b64 s1, s[8:9]
	v_readlane_b32 s12, v2, s1
	s_lshl_b64 s[10:11], 1, s1
	s_min_i32 s0, s0, s12
	s_andn2_b64 s[8:9], s[8:9], s[10:11]
	s_cmp_lg_u64 s[8:9], 0
	s_cbranch_scc1 .LBB18_263
; %bb.264:
	v_mbcnt_lo_u32_b32 v0, exec_lo, 0
	v_mbcnt_hi_u32_b32 v0, exec_hi, v0
	v_cmp_eq_u32_e32 vcc, 0, v0
	s_and_saveexec_b64 s[8:9], vcc
	s_xor_b64 s[8:9], exec, s[8:9]
	s_cbranch_execz .LBB18_266
; %bb.265:
	v_mov_b32_e32 v0, 0
	v_mov_b32_e32 v1, s0
	ds_min_i32 v0, v1 offset:4108
.LBB18_266:
	s_or_b64 exec, exec, s[6:7]
	s_waitcnt lgkmcnt(0)
	s_barrier
	s_mov_b64 s[6:7], exec
	v_readlane_b32 s0, v50, 18
	v_readlane_b32 s1, v50, 19
	s_and_b64 s[0:1], s[6:7], s[0:1]
	s_mov_b64 exec, s[0:1]
	s_cbranch_execz .LBB18_268
; %bb.267:
	v_readlane_b32 s8, v50, 0
	s_mul_i32 s0, s19, s21
	v_readlane_b32 s10, v50, 2
	s_sub_i32 s0, s18, s0
	v_readlane_b32 s9, v50, 1
	v_readlane_b32 s11, v50, 3
	s_mov_b32 s14, s10
	s_mov_b64 s[12:13], s[8:9]
	s_mul_i32 s0, s0, s14
	v_readlane_b32 s1, v50, 21
	v_readlane_b32 s8, v50, 24
	;; [unrolled: 1-line block ×4, first 2 shown]
	s_xor_b32 s1, s1, s8
	s_mul_i32 s8, s14, s11
	v_readlane_b32 s9, v50, 13
	s_sub_i32 s8, s9, s8
	s_add_i32 s9, s14, 1
	s_sub_i32 s10, s8, s11
	s_cmp_ge_u32 s8, s11
	s_cselect_b32 s9, s9, s14
	s_cselect_b32 s8, s10, s8
	s_add_i32 s10, s9, 1
	s_cmp_ge_u32 s8, s11
	s_cselect_b32 s8, s10, s9
	s_xor_b32 s8, s8, s1
	s_sub_i32 s1, s8, s1
	s_mul_i32 s8, s1, s20
	s_sub_i32 s8, s19, s8
	s_mul_i32 s8, s8, s13
	s_add_i32 s0, s8, s0
	s_mul_i32 s1, s1, s12
	v_readlane_b32 s8, v50, 4
	s_add_i32 s0, s0, s1
	s_mul_i32 s1, s24, s23
	v_readlane_b32 s10, v50, 6
	s_sub_i32 s1, s18, s1
	v_readlane_b32 s9, v50, 5
	s_mov_b32 s14, s10
	s_mov_b64 s[12:13], s[8:9]
	s_mul_i32 s1, s1, s14
	v_readlane_b32 s8, v50, 26
	v_readlane_b32 s9, v50, 29
	;; [unrolled: 1-line block ×4, first 2 shown]
	s_xor_b32 s8, s8, s9
	s_mul_i32 s9, s15, s14
	v_readlane_b32 s10, v50, 16
	v_readlane_b32 s11, v50, 7
	s_sub_i32 s9, s10, s9
	s_add_i32 s10, s15, 1
	s_sub_i32 s11, s9, s14
	s_cmp_ge_u32 s9, s14
	s_cselect_b32 s10, s10, s15
	s_cselect_b32 s9, s11, s9
	s_add_i32 s11, s10, 1
	s_cmp_ge_u32 s9, s14
	s_cselect_b32 s9, s11, s10
	s_xor_b32 s9, s9, s8
	s_sub_i32 s8, s9, s8
	s_mul_i32 s9, s8, s22
	s_sub_i32 s9, s24, s9
	s_mul_i32 s9, s9, s13
	s_add_i32 s1, s9, s1
	s_mul_i32 s8, s8, s12
	s_add_i32 s8, s1, s8
	s_ashr_i32 s1, s0, 31
	v_mov_b32_e32 v2, 0
	s_lshl_b64 s[0:1], s[0:1], 2
	v_readlane_b32 s10, v50, 11
	ds_read_b32 v0, v2 offset:4108
	v_readlane_b32 s11, v50, 12
	s_add_u32 s0, s10, s0
	s_addc_u32 s1, s11, s1
	s_ashr_i32 s9, s8, 31
	s_lshl_b64 s[8:9], s[8:9], 3
	v_readlane_b32 s10, v50, 8
	v_readlane_b32 s11, v50, 9
	s_add_u32 s8, s10, s8
	s_addc_u32 s9, s11, s9
	s_waitcnt lgkmcnt(0)
	v_ashrrev_i32_e32 v1, 31, v0
	global_store_dwordx2 v2, v[0:1], s[8:9]
	global_store_dword v2, v19, s[0:1]
.LBB18_268:
	s_or_b64 exec, exec, s[6:7]
.LBB18_269:
	s_or_saveexec_b64 s[0:1], s[4:5]
	s_mov_b64 s[4:5], 0
	s_xor_b64 exec, exec, s[0:1]
	s_cbranch_execnz .LBB18_272
.LBB18_270:
	s_or_b64 exec, exec, s[0:1]
	s_and_b64 s[4:5], s[4:5], exec
	s_andn2_saveexec_b64 s[0:1], s[2:3]
	s_cbranch_execz .LBB18_248
.LBB18_271:
	s_or_b64 s[4:5], s[4:5], exec
	s_trap 2
	s_or_b64 exec, exec, s[0:1]
	s_and_saveexec_b64 s[0:1], s[4:5]
	s_cbranch_execnz .LBB18_249
	s_branch .LBB18_250
.LBB18_272:
	s_mov_b64 s[4:5], exec
	s_trap 2
	s_branch .LBB18_270
	.section	.rodata,"a",@progbits
	.p2align	6, 0x0
	.amdhsa_kernel _ZN2at6native12_GLOBAL__N_114gatherKthValueIiiLi3EEEvNS_4cuda6detail10TensorInfoIKT_T0_EES8_S8_S8_S8_NS5_IS6_S8_EENS5_IlS8_EE
		.amdhsa_group_segment_fixed_size 4112
		.amdhsa_private_segment_fixed_size 0
		.amdhsa_kernarg_size 920
		.amdhsa_user_sgpr_count 6
		.amdhsa_user_sgpr_private_segment_buffer 1
		.amdhsa_user_sgpr_dispatch_ptr 0
		.amdhsa_user_sgpr_queue_ptr 0
		.amdhsa_user_sgpr_kernarg_segment_ptr 1
		.amdhsa_user_sgpr_dispatch_id 0
		.amdhsa_user_sgpr_flat_scratch_init 0
		.amdhsa_user_sgpr_kernarg_preload_length 0
		.amdhsa_user_sgpr_kernarg_preload_offset 0
		.amdhsa_user_sgpr_private_segment_size 0
		.amdhsa_uses_dynamic_stack 0
		.amdhsa_system_sgpr_private_segment_wavefront_offset 0
		.amdhsa_system_sgpr_workgroup_id_x 1
		.amdhsa_system_sgpr_workgroup_id_y 1
		.amdhsa_system_sgpr_workgroup_id_z 1
		.amdhsa_system_sgpr_workgroup_info 0
		.amdhsa_system_vgpr_workitem_id 0
		.amdhsa_next_free_vgpr 51
		.amdhsa_next_free_sgpr 96
		.amdhsa_accum_offset 52
		.amdhsa_reserve_vcc 1
		.amdhsa_reserve_flat_scratch 0
		.amdhsa_float_round_mode_32 0
		.amdhsa_float_round_mode_16_64 0
		.amdhsa_float_denorm_mode_32 3
		.amdhsa_float_denorm_mode_16_64 3
		.amdhsa_dx10_clamp 1
		.amdhsa_ieee_mode 1
		.amdhsa_fp16_overflow 0
		.amdhsa_tg_split 0
		.amdhsa_exception_fp_ieee_invalid_op 0
		.amdhsa_exception_fp_denorm_src 0
		.amdhsa_exception_fp_ieee_div_zero 0
		.amdhsa_exception_fp_ieee_overflow 0
		.amdhsa_exception_fp_ieee_underflow 0
		.amdhsa_exception_fp_ieee_inexact 0
		.amdhsa_exception_int_div_zero 0
	.end_amdhsa_kernel
	.section	.text._ZN2at6native12_GLOBAL__N_114gatherKthValueIiiLi3EEEvNS_4cuda6detail10TensorInfoIKT_T0_EES8_S8_S8_S8_NS5_IS6_S8_EENS5_IlS8_EE,"axG",@progbits,_ZN2at6native12_GLOBAL__N_114gatherKthValueIiiLi3EEEvNS_4cuda6detail10TensorInfoIKT_T0_EES8_S8_S8_S8_NS5_IS6_S8_EENS5_IlS8_EE,comdat
.Lfunc_end18:
	.size	_ZN2at6native12_GLOBAL__N_114gatherKthValueIiiLi3EEEvNS_4cuda6detail10TensorInfoIKT_T0_EES8_S8_S8_S8_NS5_IS6_S8_EENS5_IlS8_EE, .Lfunc_end18-_ZN2at6native12_GLOBAL__N_114gatherKthValueIiiLi3EEEvNS_4cuda6detail10TensorInfoIKT_T0_EES8_S8_S8_S8_NS5_IS6_S8_EENS5_IlS8_EE
                                        ; -- End function
	.section	.AMDGPU.csdata,"",@progbits
; Kernel info:
; codeLenInByte = 10968
; NumSgprs: 100
; NumVgprs: 51
; NumAgprs: 0
; TotalNumVgprs: 51
; ScratchSize: 0
; MemoryBound: 0
; FloatMode: 240
; IeeeMode: 1
; LDSByteSize: 4112 bytes/workgroup (compile time only)
; SGPRBlocks: 12
; VGPRBlocks: 6
; NumSGPRsForWavesPerEU: 100
; NumVGPRsForWavesPerEU: 51
; AccumOffset: 52
; Occupancy: 8
; WaveLimiterHint : 1
; COMPUTE_PGM_RSRC2:SCRATCH_EN: 0
; COMPUTE_PGM_RSRC2:USER_SGPR: 6
; COMPUTE_PGM_RSRC2:TRAP_HANDLER: 0
; COMPUTE_PGM_RSRC2:TGID_X_EN: 1
; COMPUTE_PGM_RSRC2:TGID_Y_EN: 1
; COMPUTE_PGM_RSRC2:TGID_Z_EN: 1
; COMPUTE_PGM_RSRC2:TIDIG_COMP_CNT: 0
; COMPUTE_PGM_RSRC3_GFX90A:ACCUM_OFFSET: 12
; COMPUTE_PGM_RSRC3_GFX90A:TG_SPLIT: 0
	.section	.text._ZN2at6native12_GLOBAL__N_114gatherKthValueIiiLin1EEEvNS_4cuda6detail10TensorInfoIKT_T0_EES8_S8_S8_S8_NS5_IS6_S8_EENS5_IlS8_EE,"axG",@progbits,_ZN2at6native12_GLOBAL__N_114gatherKthValueIiiLin1EEEvNS_4cuda6detail10TensorInfoIKT_T0_EES8_S8_S8_S8_NS5_IS6_S8_EENS5_IlS8_EE,comdat
	.globl	_ZN2at6native12_GLOBAL__N_114gatherKthValueIiiLin1EEEvNS_4cuda6detail10TensorInfoIKT_T0_EES8_S8_S8_S8_NS5_IS6_S8_EENS5_IlS8_EE ; -- Begin function _ZN2at6native12_GLOBAL__N_114gatherKthValueIiiLin1EEEvNS_4cuda6detail10TensorInfoIKT_T0_EES8_S8_S8_S8_NS5_IS6_S8_EENS5_IlS8_EE
	.p2align	8
	.type	_ZN2at6native12_GLOBAL__N_114gatherKthValueIiiLin1EEEvNS_4cuda6detail10TensorInfoIKT_T0_EES8_S8_S8_S8_NS5_IS6_S8_EENS5_IlS8_EE,@function
_ZN2at6native12_GLOBAL__N_114gatherKthValueIiiLin1EEEvNS_4cuda6detail10TensorInfoIKT_T0_EES8_S8_S8_S8_NS5_IS6_S8_EENS5_IlS8_EE: ; @_ZN2at6native12_GLOBAL__N_114gatherKthValueIiiLin1EEEvNS_4cuda6detail10TensorInfoIKT_T0_EES8_S8_S8_S8_NS5_IS6_S8_EENS5_IlS8_EE
; %bb.0:
	s_load_dwordx2 s[12:13], s[4:5], 0x298
	s_load_dwordx4 s[60:63], s[4:5], 0xd8
	s_add_u32 s10, s4, 0x298
	s_addc_u32 s11, s5, 0
	s_waitcnt lgkmcnt(0)
	s_mul_i32 s0, s13, s8
	s_add_i32 s0, s0, s7
	s_mul_i32 s0, s0, s12
	s_add_i32 s33, s0, s6
	s_cmp_ge_i32 s33, s62
	s_cbranch_scc1 .LBB19_259
; %bb.1:
	s_load_dword s0, s[4:5], 0xd0
	s_mov_b32 s3, 0
	s_mov_b32 s2, s33
	s_waitcnt lgkmcnt(0)
	s_cmp_lt_i32 s0, 2
	s_cbranch_scc1 .LBB19_4
; %bb.2:
	s_add_i32 s2, s0, -1
	s_add_i32 s7, s0, 1
	s_lshl_b64 s[0:1], s[2:3], 2
	s_add_u32 s0, s0, s4
	s_addc_u32 s1, s1, s5
	s_add_u32 s0, s0, 8
	s_addc_u32 s1, s1, 0
	s_mov_b32 s2, s33
.LBB19_3:                               ; =>This Inner Loop Header: Depth=1
	s_load_dword s8, s[0:1], 0x0
	s_load_dword s13, s[0:1], 0x64
	s_mov_b32 s9, s2
	s_abs_i32 s2, s2
	s_waitcnt lgkmcnt(0)
	s_abs_i32 s15, s8
	v_cvt_f32_u32_e32 v1, s15
	s_sub_i32 s16, 0, s15
	s_xor_b32 s14, s9, s8
	s_ashr_i32 s14, s14, 31
	v_rcp_iflag_f32_e32 v1, v1
	v_mul_f32_e32 v1, 0x4f7ffffe, v1
	v_cvt_u32_f32_e32 v1, v1
	v_readfirstlane_b32 s17, v1
	s_mul_i32 s16, s16, s17
	s_mul_hi_u32 s16, s17, s16
	s_add_i32 s17, s17, s16
	s_mul_hi_u32 s16, s2, s17
	s_mul_i32 s17, s16, s15
	s_sub_i32 s2, s2, s17
	s_add_i32 s18, s16, 1
	s_sub_i32 s17, s2, s15
	s_cmp_ge_u32 s2, s15
	s_cselect_b32 s16, s18, s16
	s_cselect_b32 s2, s17, s2
	s_add_i32 s17, s16, 1
	s_cmp_ge_u32 s2, s15
	s_cselect_b32 s2, s17, s16
	s_xor_b32 s2, s2, s14
	s_sub_i32 s2, s2, s14
	s_mul_i32 s8, s2, s8
	s_sub_i32 s8, s9, s8
	s_mul_i32 s8, s13, s8
	s_add_i32 s7, s7, -1
	s_add_i32 s3, s8, s3
	s_add_u32 s0, s0, -4
	s_addc_u32 s1, s1, -1
	s_cmp_gt_u32 s7, 2
	s_cbranch_scc1 .LBB19_3
.LBB19_4:
	s_load_dword s8, s[4:5], 0x1b8
	s_add_u32 s0, s4, 0xe8
	s_addc_u32 s1, s5, 0
	s_mov_b32 s65, 0
	s_mov_b32 s62, s33
	s_waitcnt lgkmcnt(0)
	s_cmp_lt_i32 s8, 2
	s_cbranch_scc1 .LBB19_7
; %bb.5:
	s_add_i32 s64, s8, -1
	s_add_i32 s7, s8, 1
	s_lshl_b64 s[8:9], s[64:65], 2
	s_add_u32 s8, s8, s0
	s_addc_u32 s9, s9, s1
	s_add_u32 s8, s8, 8
	s_addc_u32 s9, s9, 0
	s_mov_b32 s62, s33
.LBB19_6:                               ; =>This Inner Loop Header: Depth=1
	s_load_dword s13, s[8:9], 0x0
	s_load_dword s15, s[8:9], 0x64
	s_abs_i32 s16, s62
	s_mov_b32 s14, s62
	s_waitcnt lgkmcnt(0)
	s_abs_i32 s18, s13
	v_cvt_f32_u32_e32 v1, s18
	s_sub_i32 s19, 0, s18
	s_xor_b32 s17, s62, s13
	s_ashr_i32 s17, s17, 31
	v_rcp_iflag_f32_e32 v1, v1
	v_mul_f32_e32 v1, 0x4f7ffffe, v1
	v_cvt_u32_f32_e32 v1, v1
	v_readfirstlane_b32 s20, v1
	s_mul_i32 s19, s19, s20
	s_mul_hi_u32 s19, s20, s19
	s_add_i32 s20, s20, s19
	s_mul_hi_u32 s19, s16, s20
	s_mul_i32 s20, s19, s18
	s_sub_i32 s16, s16, s20
	s_add_i32 s21, s19, 1
	s_sub_i32 s20, s16, s18
	s_cmp_ge_u32 s16, s18
	s_cselect_b32 s19, s21, s19
	s_cselect_b32 s16, s20, s16
	s_add_i32 s20, s19, 1
	s_cmp_ge_u32 s16, s18
	s_cselect_b32 s16, s20, s19
	s_xor_b32 s16, s16, s17
	s_sub_i32 s62, s16, s17
	s_mul_i32 s13, s62, s13
	s_sub_i32 s13, s14, s13
	s_mul_i32 s13, s15, s13
	s_add_i32 s7, s7, -1
	s_add_i32 s65, s13, s65
	s_add_u32 s8, s8, -4
	s_addc_u32 s9, s9, -1
	s_cmp_gt_u32 s7, 2
	s_cbranch_scc1 .LBB19_6
.LBB19_7:
	s_load_dword s7, s[4:5], 0x6c
	s_load_dword s14, s[4:5], 0x290
	s_add_u32 s8, s4, 0x1c0
	s_addc_u32 s9, s5, 0
	s_mov_b32 s67, 0
	s_waitcnt lgkmcnt(0)
	s_cmp_lt_i32 s14, 2
	s_cbranch_scc1 .LBB19_10
; %bb.8:
	s_add_i32 s66, s14, -1
	s_add_i32 s13, s14, 1
	s_lshl_b64 s[14:15], s[66:67], 2
	s_add_u32 s8, s14, s8
	s_addc_u32 s9, s15, s9
	s_add_u32 s8, s8, 8
	s_addc_u32 s9, s9, 0
.LBB19_9:                               ; =>This Inner Loop Header: Depth=1
	s_load_dword s14, s[8:9], 0x0
	s_load_dword s16, s[8:9], 0x64
	s_abs_i32 s17, s33
	s_mov_b32 s15, s33
	s_waitcnt lgkmcnt(0)
	s_abs_i32 s19, s14
	v_cvt_f32_u32_e32 v1, s19
	s_sub_i32 s20, 0, s19
	s_xor_b32 s18, s33, s14
	s_ashr_i32 s18, s18, 31
	v_rcp_iflag_f32_e32 v1, v1
	v_mul_f32_e32 v1, 0x4f7ffffe, v1
	v_cvt_u32_f32_e32 v1, v1
	v_readfirstlane_b32 s21, v1
	s_mul_i32 s20, s20, s21
	s_mul_hi_u32 s20, s21, s20
	s_add_i32 s21, s21, s20
	s_mul_hi_u32 s20, s17, s21
	s_mul_i32 s21, s20, s19
	s_sub_i32 s17, s17, s21
	s_add_i32 s22, s20, 1
	s_sub_i32 s21, s17, s19
	s_cmp_ge_u32 s17, s19
	s_cselect_b32 s20, s22, s20
	s_cselect_b32 s17, s21, s17
	s_add_i32 s21, s20, 1
	s_cmp_ge_u32 s17, s19
	s_cselect_b32 s17, s21, s20
	s_xor_b32 s17, s17, s18
	s_sub_i32 s33, s17, s18
	s_mul_i32 s14, s33, s14
	s_sub_i32 s14, s15, s14
	s_mul_i32 s14, s16, s14
	s_add_i32 s13, s13, -1
	s_add_i32 s67, s14, s67
	s_add_u32 s8, s8, -4
	s_addc_u32 s9, s9, -1
	s_cmp_gt_u32 s13, 2
	s_cbranch_scc1 .LBB19_9
.LBB19_10:
	s_load_dword s0, s[0:1], 0x6c
                                        ; implicit-def: $vgpr50 : SGPR spill to VGPR lane
	s_mov_b32 s72, 0
	s_waitcnt lgkmcnt(0)
	v_writelane_b32 v50, s0, 0
	s_load_dwordx2 s[8:9], s[4:5], 0x0
	s_load_dwordx2 s[0:1], s[4:5], 0xe8
	s_waitcnt lgkmcnt(0)
	v_writelane_b32 v50, s0, 1
	v_writelane_b32 v50, s1, 2
	s_load_dwordx2 s[0:1], s[4:5], 0x1c0
	s_waitcnt lgkmcnt(0)
	v_writelane_b32 v50, s0, 3
	v_writelane_b32 v50, s1, 4
	v_cmp_eq_u32_e64 s[0:1], 0, v0
	s_mov_b64 s[14:15], exec
	v_writelane_b32 v50, s0, 5
	v_writelane_b32 v50, s1, 6
	s_and_b64 s[0:1], s[14:15], s[0:1]
	s_mov_b64 exec, s[0:1]
	s_cbranch_execz .LBB19_12
; %bb.11:
	v_mov_b32_e32 v2, 0
	v_mov_b32_e32 v3, s60
	;; [unrolled: 1-line block ×3, first 2 shown]
	ds_write_b96 v2, v[2:4] offset:4096
.LBB19_12:
	s_or_b64 exec, exec, s[14:15]
	s_load_dword s0, s[4:5], 0x22c
	s_waitcnt lgkmcnt(0)
	s_barrier
	v_mbcnt_lo_u32_b32 v1, -1, 0
	v_writelane_b32 v50, s0, 7
	s_mul_i32 s0, s7, s2
	s_load_dword s2, s[10:11], 0xc
	s_add_i32 s0, s0, s3
	s_ashr_i32 s1, s0, 31
	s_lshl_b64 s[0:1], s[0:1], 2
	s_add_u32 s64, s8, s0
	s_addc_u32 s82, s9, s1
	s_waitcnt lgkmcnt(0)
	s_and_b32 s66, s2, 0xffff
	v_mbcnt_hi_u32_b32 v13, -1, v1
	s_bfe_u32 s7, s2, 0xa0006
	v_cmp_gt_u32_e32 vcc, 64, v0
	v_cmp_gt_i32_e64 s[2:3], 4, v13
	s_add_i32 s0, s66, -1
	s_lshl_b32 s83, s66, 2
	s_and_b64 s[74:75], vcc, s[2:3]
	s_add_i32 s17, s0, s60
	s_cmpk_gt_i32 s60, 0x300
	v_writelane_b32 v50, s0, 8
	s_cselect_b64 s[0:1], -1, 0
	v_writelane_b32 v50, s0, 9
	s_cmp_gt_u32 s66, 63
	v_writelane_b32 v50, s1, 10
	s_cselect_b64 s[0:1], -1, 0
	v_writelane_b32 v50, s0, 11
	s_cmp_lt_u32 s6, s12
	v_writelane_b32 v50, s1, 12
	s_cselect_b32 s0, 12, 18
	s_add_u32 s0, s10, s0
	s_addc_u32 s1, s11, 0
	v_writelane_b32 v50, s0, 13
	v_writelane_b32 v50, s1, 14
	s_add_i32 s0, s7, -2
	s_lshr_b32 s1, s0, 1
	s_add_i32 s1, s1, 1
	s_cmpk_gt_u32 s66, 0x7f
	v_mov_b32_e32 v9, 0
	s_cselect_b64 s[2:3], -1, 0
	v_writelane_b32 v50, s2, 15
	v_mul_lo_u32 v6, v0, s63
	v_mov_b32_e32 v7, v9
	v_writelane_b32 v50, s3, 16
	v_cmp_gt_u32_e64 s[8:9], s60, v0
	v_lshlrev_b64 v[2:3], 2, v[6:7]
	v_writelane_b32 v50, s8, 17
	v_mov_b32_e32 v7, s82
	v_add_co_u32_e32 v10, vcc, s64, v2
	v_writelane_b32 v50, s9, 18
	v_addc_co_u32_e32 v11, vcc, v7, v3, vcc
	v_cmp_gt_i32_e64 s[8:9], s60, v0
	v_lshlrev_b64 v[2:3], v13, -1
	v_writelane_b32 v50, s8, 19
	v_not_b32_e32 v12, v2
	v_cvt_f32_u32_e32 v2, s83
	v_writelane_b32 v50, s9, 20
	s_and_b32 s6, s7, 0x3fe
	s_and_b32 s8, s1, 7
	s_cmp_gt_u32 s0, 13
	s_cselect_b64 s[10:11], -1, 0
	v_writelane_b32 v50, s10, 21
	v_rcp_iflag_f32_e32 v2, v2
	v_writelane_b32 v50, s11, 22
	s_and_b32 s0, s1, -8
	v_writelane_b32 v50, s0, 23
	s_cmp_lg_u32 s8, 0
	v_writelane_b32 v50, s8, 24
	s_cselect_b64 s[0:1], -1, 0
	v_writelane_b32 v50, s0, 25
	v_mul_f32_e32 v2, 0x4f7ffffe, v2
	v_writelane_b32 v50, s1, 26
	v_cvt_u32_f32_e32 v2, v2
	v_writelane_b32 v50, s7, 27
	s_cmp_lg_u32 s6, s7
	v_writelane_b32 v50, s6, 28
	s_cselect_b64 s[0:1], -1, 0
	v_writelane_b32 v50, s0, 29
	v_writelane_b32 v50, s1, 30
	s_sub_i32 s0, 0, s83
	v_readfirstlane_b32 s1, v2
	s_mul_i32 s0, s0, s1
	s_mul_hi_u32 s0, s1, s0
	s_add_i32 s8, s1, s0
	s_mul_hi_u32 s0, s60, s8
	s_mul_i32 s0, s0, s83
	s_sub_i32 s0, s60, s0
	s_sub_i32 s1, s0, s83
	s_cmp_ge_u32 s0, s83
	s_cselect_b32 s0, s1, s0
	s_sub_i32 s1, s0, s83
	v_cvt_f32_u32_e32 v5, s66
	s_cmp_ge_u32 s0, s83
	s_cselect_b32 s6, s1, s0
	s_sub_i32 s9, s60, s6
	v_add_u32_e32 v28, s9, v0
	v_rcp_iflag_f32_e32 v5, v5
	v_lshrrev_b32_e32 v1, 4, v0
	v_mul_lo_u32 v2, v28, s63
	v_and_b32_e32 v26, 60, v1
	v_not_b32_e32 v1, v3
	v_ashrrev_i32_e32 v3, 31, v2
	v_lshlrev_b64 v[2:3], 2, v[2:3]
	v_add_co_u32_e32 v14, vcc, s64, v2
	v_mul_f32_e32 v2, 0x4f7ffffe, v5
	v_cvt_u32_f32_e32 v2, v2
	v_lshlrev_b32_e32 v24, 2, v0
	v_cmp_gt_i32_e64 s[0:1], s9, v24
	v_writelane_b32 v50, s0, 31
	s_sub_i32 s7, 0, s66
	v_readfirstlane_b32 s10, v2
	v_writelane_b32 v50, s1, 32
	v_cmp_gt_u32_e64 s[0:1], s60, v28
	s_mul_i32 s7, s7, s10
	v_writelane_b32 v50, s0, 33
	s_mul_hi_u32 s7, s10, s7
	v_writelane_b32 v50, s1, 34
	s_abs_i32 s1, s17
	s_add_i32 s7, s10, s7
	v_writelane_b32 v50, s7, 35
	s_mul_hi_u32 s7, s1, s7
	s_mul_i32 s7, s7, s66
	s_sub_i32 s1, s1, s7
	s_ashr_i32 s0, s17, 31
	s_sub_i32 s7, s1, s66
	s_cmp_ge_u32 s1, s66
	s_cselect_b32 s1, s7, s1
	s_sub_i32 s7, s1, s66
	s_cmp_ge_u32 s1, s66
	s_cselect_b32 s1, s7, s1
	s_xor_b32 s1, s1, s0
	s_sub_i32 s0, s0, s1
	v_mul_lo_u32 v2, s63, v24
	s_add_i32 s17, s17, s0
	v_add_u32_e32 v29, s63, v2
	v_or_b32_e32 v2, 2, v24
	v_cmp_gt_i32_e64 s[0:1], s17, v0
	v_mul_lo_u32 v30, s63, v2
	v_or_b32_e32 v2, 3, v24
	s_add_i32 s7, s66, s60
	v_writelane_b32 v50, s0, 36
	v_mul_lo_u32 v31, s63, v2
	v_add_u32_e32 v2, s7, v0
	v_lshlrev_b32_e32 v4, 2, v13
	v_mov_b32_e32 v8, s82
	v_writelane_b32 v50, s1, 37
	s_mul_i32 s0, s63, s66
	v_subrev_u32_e32 v2, s6, v2
	v_cmp_eq_u32_e64 s[2:3], 0, v13
	v_cmp_gt_u32_e64 s[4:5], 2, v0
	v_add_u32_e32 v25, 0xc00, v24
	v_and_b32_e32 v27, 0x100, v4
	v_addc_co_u32_e32 v15, vcc, v8, v3, vcc
	v_cmp_gt_i32_e64 s[14:15], s60, v28
	s_lshl_b32 s1, s0, 2
	v_lshlrev_b32_e32 v32, 2, v6
	v_mul_lo_u32 v33, s63, v2
	v_lshlrev_b32_e32 v34, 4, v0
	s_lshl_b32 s16, s66, 4
	v_or_b32_e32 v35, 0xc00, v4
	s_mov_b32 s76, 30
	s_mov_b64 s[90:91], 0
	v_mov_b32_e32 v16, 1
	v_mov_b32_e32 v36, 0xc00
	;; [unrolled: 1-line block ×3, first 2 shown]
	s_mov_b32 s77, 0
	s_mov_b32 s79, 0
	;; [unrolled: 1-line block ×3, first 2 shown]
                                        ; implicit-def: $sgpr92_sgpr93
                                        ; implicit-def: $sgpr68_sgpr69
                                        ; implicit-def: $sgpr94_sgpr95
                                        ; implicit-def: $sgpr70_sgpr71
                                        ; implicit-def: $sgpr84_sgpr85
                                        ; implicit-def: $sgpr86_sgpr87
	s_branch .LBB19_17
.LBB19_13:                              ;   in Loop: Header=BB19_17 Depth=1
	s_xor_b32 s77, s77, 1
	s_add_i32 s6, s76, -2
	s_cmp_eq_u32 s76, 0
	s_mov_b64 s[22:23], 0
	s_cselect_b64 s[30:31], -1, 0
	s_mov_b32 s76, s6
.LBB19_14:                              ;   in Loop: Header=BB19_17 Depth=1
	s_andn2_b64 s[6:7], s[26:27], exec
	s_and_b64 s[10:11], s[22:23], exec
	s_or_b64 s[26:27], s[6:7], s[10:11]
	s_andn2_b64 s[28:29], s[28:29], exec
	s_andn2_b64 s[24:25], s[24:25], exec
	s_orn2_b64 s[22:23], s[30:31], exec
	s_mov_b32 s61, s39
.LBB19_15:                              ;   in Loop: Header=BB19_17 Depth=1
	s_or_b64 exec, exec, s[18:19]
	s_andn2_b64 s[6:7], s[86:87], exec
	s_and_b64 s[10:11], s[26:27], exec
	s_or_b64 s[86:87], s[6:7], s[10:11]
	s_andn2_b64 s[6:7], s[84:85], exec
	s_and_b64 s[10:11], s[28:29], exec
	s_or_b64 s[84:85], s[6:7], s[10:11]
	;; [unrolled: 3-line block ×3, first 2 shown]
	s_orn2_b64 s[22:23], s[22:23], exec
.LBB19_16:                              ;   in Loop: Header=BB19_17 Depth=1
	s_or_b64 exec, exec, s[20:21]
	s_and_b64 s[6:7], exec, s[22:23]
	s_or_b64 s[90:91], s[6:7], s[90:91]
	s_andn2_b64 s[6:7], s[94:95], exec
	s_and_b64 s[10:11], s[86:87], exec
	s_or_b64 s[94:95], s[6:7], s[10:11]
	s_andn2_b64 s[6:7], s[68:69], exec
	s_and_b64 s[10:11], s[84:85], exec
	;; [unrolled: 3-line block ×3, first 2 shown]
	v_mov_b32_e32 v2, s79
	s_or_b64 s[92:93], s[6:7], s[10:11]
	s_andn2_b64 exec, exec, s[90:91]
	s_cbranch_execz .LBB19_255
.LBB19_17:                              ; =>This Loop Header: Depth=1
                                        ;     Child Loop BB19_25 Depth 2
                                        ;     Child Loop BB19_44 Depth 2
	;; [unrolled: 1-line block ×17, first 2 shown]
	ds_read_b64 v[2:3], v9 offset:4096
	s_waitcnt lgkmcnt(0)
	v_readfirstlane_b32 s73, v2
	s_cmp_gt_i32 s73, 0
	s_cbranch_scc1 .LBB19_51
; %bb.18:                               ;   in Loop: Header=BB19_17 Depth=1
	v_readlane_b32 s6, v50, 9
	v_readlane_b32 s7, v50, 10
	s_and_b64 vcc, exec, s[6:7]
	s_cbranch_vccz .LBB19_33
; %bb.19:                               ;   in Loop: Header=BB19_17 Depth=1
	s_movk_i32 s6, 0x301
	v_cmp_gt_i32_e32 vcc, s6, v3
	s_mov_b64 s[20:21], 0
	s_mov_b64 s[18:19], 0
	s_cbranch_vccz .LBB19_38
; %bb.20:                               ;   in Loop: Header=BB19_17 Depth=1
	v_mov_b32_e32 v2, 0
	s_mov_b64 s[18:19], exec
	v_readlane_b32 s6, v50, 17
	v_readlane_b32 s7, v50, 18
	s_and_b64 s[6:7], s[18:19], s[6:7]
	s_mov_b64 exec, s[6:7]
	s_cbranch_execz .LBB19_22
; %bb.21:                               ;   in Loop: Header=BB19_17 Depth=1
	global_load_dword v2, v[10:11], off
.LBB19_22:                              ;   in Loop: Header=BB19_17 Depth=1
	s_or_b64 exec, exec, s[18:19]
	s_mov_b64 s[22:23], exec
	v_readlane_b32 s6, v50, 17
	v_readlane_b32 s7, v50, 18
	s_and_b64 s[6:7], s[22:23], s[6:7]
	s_mov_b64 exec, s[6:7]
	s_cbranch_execz .LBB19_34
; %bb.23:                               ;   in Loop: Header=BB19_17 Depth=1
	v_readlane_b32 s6, v50, 13
	v_readlane_b32 s7, v50, 14
	s_mov_b64 s[24:25], 0
	s_nop 3
	global_load_ushort v3, v9, s[6:7]
	s_waitcnt vmcnt(0)
	v_add_u32_e32 v5, v0, v3
	v_mul_lo_u32 v4, s63, v3
	v_mul_lo_u32 v8, s63, v5
	v_mov_b32_e32 v5, v0
	s_branch .LBB19_25
.LBB19_24:                              ;   in Loop: Header=BB19_25 Depth=2
	s_or_b64 exec, exec, s[18:19]
	v_cmp_le_i32_e32 vcc, s60, v5
	v_add_u32_e32 v8, v8, v4
	s_or_b64 s[24:25], vcc, s[24:25]
	s_waitcnt vmcnt(0)
	v_mov_b32_e32 v2, v17
	s_andn2_b64 exec, exec, s[24:25]
	s_cbranch_execz .LBB19_34
.LBB19_25:                              ;   Parent Loop BB19_17 Depth=1
                                        ; =>  This Inner Loop Header: Depth=2
	v_add_u32_e32 v5, v5, v3
	v_cmp_gt_u32_e32 vcc, s60, v5
	s_waitcnt lgkmcnt(0)
	v_mov_b32_e32 v18, 0
	v_mov_b32_e32 v17, 0
	s_and_saveexec_b64 s[18:19], vcc
	s_cbranch_execz .LBB19_27
; %bb.26:                               ;   in Loop: Header=BB19_25 Depth=2
	v_lshlrev_b64 v[20:21], 2, v[8:9]
	v_add_co_u32_e32 v20, vcc, s64, v20
	v_addc_co_u32_e32 v21, vcc, v7, v21, vcc
	global_load_dword v17, v[20:21], off
.LBB19_27:                              ;   in Loop: Header=BB19_25 Depth=2
	s_or_b64 exec, exec, s[18:19]
	v_xor_b32_e32 v20, 0x80000000, v2
	v_and_b32_e32 v20, s78, v20
	v_cmp_eq_u32_e32 vcc, s79, v20
	s_cmp_lg_u64 vcc, 0
	s_cselect_b64 s[6:7], -1, 0
	s_and_b64 s[6:7], s[2:3], s[6:7]
	s_and_saveexec_b64 s[26:27], s[6:7]
	s_cbranch_execz .LBB19_31
; %bb.28:                               ;   in Loop: Header=BB19_25 Depth=2
	s_mov_b64 s[30:31], exec
	v_mbcnt_lo_u32_b32 v18, s30, 0
	v_mbcnt_hi_u32_b32 v18, s31, v18
	s_bcnt1_i32_b64 s6, vcc
	v_cmp_eq_u32_e64 s[18:19], 0, v18
                                        ; implicit-def: $vgpr20
	s_and_saveexec_b64 s[28:29], s[18:19]
	s_cbranch_execz .LBB19_30
; %bb.29:                               ;   in Loop: Header=BB19_25 Depth=2
	s_bcnt1_i32_b64 s7, s[30:31]
	s_mul_i32 s7, s6, s7
	v_mov_b32_e32 v20, s7
	ds_add_rtn_u32 v20, v9, v20 offset:4104
.LBB19_30:                              ;   in Loop: Header=BB19_25 Depth=2
	s_or_b64 exec, exec, s[28:29]
	s_waitcnt lgkmcnt(0)
	v_readfirstlane_b32 s7, v20
	v_mov_b32_e32 v20, s7
	v_mad_u32_u24 v18, s6, v18, v20
.LBB19_31:                              ;   in Loop: Header=BB19_25 Depth=2
	s_or_b64 exec, exec, s[26:27]
	ds_bpermute_b32 v18, v27, v18
	s_and_saveexec_b64 s[18:19], vcc
	s_cbranch_execz .LBB19_24
; %bb.32:                               ;   in Loop: Header=BB19_25 Depth=2
	v_and_b32_e32 v21, vcc_lo, v12
	v_and_b32_e32 v20, vcc_hi, v1
	v_bcnt_u32_b32 v21, v21, 0
	v_bcnt_u32_b32 v20, v20, v21
	v_lshlrev_b32_e32 v20, 2, v20
	s_waitcnt lgkmcnt(0)
	v_lshl_add_u32 v18, v18, 2, v20
	ds_write_b32 v18, v2
	s_branch .LBB19_24
.LBB19_33:                              ;   in Loop: Header=BB19_17 Depth=1
	s_mov_b64 s[20:21], -1
	s_mov_b64 s[18:19], 0
	s_branch .LBB19_37
.LBB19_34:                              ;   in Loop: Header=BB19_17 Depth=1
	s_or_b64 exec, exec, s[22:23]
	s_waitcnt lgkmcnt(0)
	s_barrier
	s_mov_b64 s[18:19], exec
	v_readlane_b32 s6, v50, 5
	v_readlane_b32 s7, v50, 6
	s_and_b64 s[6:7], s[18:19], s[6:7]
	s_mov_b64 exec, s[6:7]
	s_cbranch_execz .LBB19_36
; %bb.35:                               ;   in Loop: Header=BB19_17 Depth=1
	s_waitcnt vmcnt(0)
	ds_read_b32 v2, v9 offset:4104
	s_waitcnt lgkmcnt(0)
	ds_write_b32 v9, v2 offset:4096
.LBB19_36:                              ;   in Loop: Header=BB19_17 Depth=1
	s_or_b64 exec, exec, s[18:19]
	s_waitcnt lgkmcnt(0)
	s_barrier
	s_mov_b64 s[18:19], -1
.LBB19_37:                              ;   in Loop: Header=BB19_17 Depth=1
                                        ; implicit-def: $sgpr73
.LBB19_38:                              ;   in Loop: Header=BB19_17 Depth=1
	s_and_b64 vcc, exec, s[20:21]
	s_cbranch_vccz .LBB19_49
; %bb.39:                               ;   in Loop: Header=BB19_17 Depth=1
	s_waitcnt vmcnt(0)
	v_mov_b32_e32 v2, 0
	s_mov_b64 s[18:19], exec
	v_readlane_b32 s6, v50, 17
	v_readlane_b32 s7, v50, 18
	s_and_b64 s[6:7], s[18:19], s[6:7]
	s_mov_b64 exec, s[6:7]
	s_cbranch_execz .LBB19_41
; %bb.40:                               ;   in Loop: Header=BB19_17 Depth=1
	global_load_dword v2, v[10:11], off
.LBB19_41:                              ;   in Loop: Header=BB19_17 Depth=1
	s_or_b64 exec, exec, s[18:19]
	s_mov_b64 s[18:19], exec
	v_readlane_b32 s6, v50, 19
	v_readlane_b32 s7, v50, 20
	s_and_b64 s[6:7], s[18:19], s[6:7]
	s_mov_b64 exec, s[6:7]
	s_cbranch_execz .LBB19_46
; %bb.42:                               ;   in Loop: Header=BB19_17 Depth=1
	v_readlane_b32 s6, v50, 13
	v_readlane_b32 s7, v50, 14
	s_mov_b64 s[20:21], 0
	v_mov_b32_e32 v4, v24
	v_mov_b32_e32 v18, v0
	s_nop 1
	global_load_ushort v3, v9, s[6:7]
	s_waitcnt vmcnt(0)
	v_add_u32_e32 v8, v0, v3
	v_lshlrev_b32_e32 v5, 2, v3
	v_mul_lo_u32 v17, s63, v3
	v_mul_lo_u32 v8, s63, v8
	s_branch .LBB19_44
.LBB19_43:                              ;   in Loop: Header=BB19_44 Depth=2
	s_or_b64 exec, exec, s[22:23]
	v_cmp_le_i32_e32 vcc, s60, v18
	ds_write_b32 v4, v2
	v_add_u32_e32 v4, v4, v5
	v_add_u32_e32 v8, v8, v17
	s_or_b64 s[20:21], vcc, s[20:21]
	s_waitcnt vmcnt(0)
	v_mov_b32_e32 v2, v20
	s_andn2_b64 exec, exec, s[20:21]
	s_cbranch_execz .LBB19_46
.LBB19_44:                              ;   Parent Loop BB19_17 Depth=1
                                        ; =>  This Inner Loop Header: Depth=2
	v_add_u32_e32 v18, v18, v3
	v_cmp_gt_u32_e32 vcc, s60, v18
	v_mov_b32_e32 v20, 0
	s_and_saveexec_b64 s[22:23], vcc
	s_cbranch_execz .LBB19_43
; %bb.45:                               ;   in Loop: Header=BB19_44 Depth=2
	v_lshlrev_b64 v[20:21], 2, v[8:9]
	v_mov_b32_e32 v22, s82
	v_add_co_u32_e32 v20, vcc, s64, v20
	v_addc_co_u32_e32 v21, vcc, v22, v21, vcc
	global_load_dword v20, v[20:21], off
	s_branch .LBB19_43
.LBB19_46:                              ;   in Loop: Header=BB19_17 Depth=1
	s_or_b64 exec, exec, s[18:19]
	s_waitcnt lgkmcnt(0)
	s_barrier
	s_mov_b64 s[18:19], exec
	v_readlane_b32 s6, v50, 5
	v_readlane_b32 s7, v50, 6
	s_and_b64 s[6:7], s[18:19], s[6:7]
	s_mov_b64 exec, s[6:7]
	s_cbranch_execz .LBB19_48
; %bb.47:                               ;   in Loop: Header=BB19_17 Depth=1
	s_waitcnt vmcnt(0)
	v_mov_b32_e32 v2, s60
	ds_write_b32 v9, v2 offset:4096
.LBB19_48:                              ;   in Loop: Header=BB19_17 Depth=1
	s_or_b64 exec, exec, s[18:19]
	s_mov_b64 s[18:19], -1
	s_waitcnt lgkmcnt(0)
	s_barrier
                                        ; implicit-def: $sgpr73
.LBB19_49:                              ;   in Loop: Header=BB19_17 Depth=1
	s_and_b64 vcc, exec, s[18:19]
	s_cbranch_vccz .LBB19_51
; %bb.50:                               ;   in Loop: Header=BB19_17 Depth=1
	s_waitcnt vmcnt(0)
	ds_read_b32 v2, v9 offset:4096
	s_waitcnt lgkmcnt(0)
	v_readfirstlane_b32 s73, v2
.LBB19_51:                              ;   in Loop: Header=BB19_17 Depth=1
	s_cmp_lt_i32 s73, 1
	s_cbranch_scc0 .LBB19_63
; %bb.52:                               ;   in Loop: Header=BB19_17 Depth=1
	s_waitcnt vmcnt(0)
	v_mov_b32_e32 v2, 0
	s_mov_b32 s6, 0
	v_mov_b32_e32 v3, 0
	v_mov_b32_e32 v4, v2
	v_mov_b32_e32 v5, 0
	s_mov_b64 s[88:89], exec
	v_readlane_b32 s10, v50, 31
	v_readlane_b32 s11, v50, 32
	s_and_b64 s[10:11], s[88:89], s[10:11]
	s_mov_b64 exec, s[10:11]
	s_cbranch_execz .LBB19_56
; %bb.53:                               ;   in Loop: Header=BB19_17 Depth=1
	s_and_b32 s7, s76, 0xfe
	s_mov_b64 s[80:81], 0
	s_mov_b32 s10, 0
	s_mov_b32 s11, 0
	;; [unrolled: 1-line block ×4, first 2 shown]
	v_mov_b32_e32 v8, v24
.LBB19_54:                              ;   Parent Loop BB19_17 Depth=1
                                        ; =>  This Inner Loop Header: Depth=2
	v_add_u32_e32 v2, s6, v32
	v_ashrrev_i32_e32 v3, 31, v2
	v_add_u32_e32 v4, s6, v29
	v_lshlrev_b64 v[2:3], 2, v[2:3]
	v_mov_b32_e32 v17, s82
	v_ashrrev_i32_e32 v5, 31, v4
	v_add_co_u32_e64 v2, s[18:19], s64, v2
	v_add_u32_e32 v20, s6, v30
	v_lshlrev_b64 v[4:5], 2, v[4:5]
	v_addc_co_u32_e64 v3, s[18:19], v17, v3, s[18:19]
	v_ashrrev_i32_e32 v21, 31, v20
	v_add_co_u32_e64 v4, s[18:19], s64, v4
	v_add_u32_e32 v22, s6, v31
	v_lshlrev_b64 v[20:21], 2, v[20:21]
	v_addc_co_u32_e64 v5, s[18:19], v17, v5, s[18:19]
	v_ashrrev_i32_e32 v23, 31, v22
	v_add_co_u32_e64 v20, s[18:19], s64, v20
	v_lshlrev_b64 v[22:23], 2, v[22:23]
	v_addc_co_u32_e64 v21, s[18:19], v17, v21, s[18:19]
	v_add_co_u32_e64 v22, s[18:19], s64, v22
	v_addc_co_u32_e64 v23, s[18:19], v17, v23, s[18:19]
	global_load_dword v2, v[2:3], off
	s_nop 0
	global_load_dword v3, v[4:5], off
	s_nop 0
	global_load_dword v4, v[20:21], off
	global_load_dword v5, v[22:23], off
	v_add_u32_e32 v8, s83, v8
	s_add_i32 s6, s6, s1
	v_cmp_le_i32_e32 vcc, s9, v8
	s_waitcnt vmcnt(3)
	v_xor_b32_e32 v2, 0x80000000, v2
	s_waitcnt vmcnt(2)
	v_xor_b32_e32 v3, 0x80000000, v3
	v_and_b32_e32 v17, s78, v2
	v_bfe_u32 v2, v2, s7, 2
	s_waitcnt vmcnt(1)
	v_xor_b32_e32 v4, 0x80000000, v4
	v_and_b32_e32 v18, s78, v3
	v_bfe_u32 v3, v3, s7, 2
	v_cmp_eq_u32_e64 s[18:19], s79, v17
	v_cmp_eq_u32_e64 s[26:27], 0, v2
	s_waitcnt vmcnt(0)
	v_xor_b32_e32 v5, 0x80000000, v5
	v_and_b32_e32 v20, s78, v4
	v_bfe_u32 v4, v4, s7, 2
	v_cmp_eq_u32_e64 s[20:21], s79, v18
	v_cmp_eq_u32_e64 s[28:29], 0, v3
	s_and_b64 s[26:27], s[18:19], s[26:27]
	v_and_b32_e32 v21, s78, v5
	v_bfe_u32 v5, v5, s7, 2
	v_cmp_eq_u32_e64 s[22:23], s79, v20
	v_cmp_eq_u32_e64 s[30:31], 0, v4
	;; [unrolled: 1-line block ×5, first 2 shown]
	v_cndmask_b32_e64 v2, 0, 1, s[26:27]
	s_and_b64 s[26:27], s[20:21], s[28:29]
	v_cmp_eq_u32_e64 s[24:25], s79, v21
	v_cmp_eq_u32_e64 s[34:35], 0, v5
	;; [unrolled: 1-line block ×5, first 2 shown]
	v_cndmask_b32_e64 v3, 0, 1, s[26:27]
	s_and_b64 s[26:27], s[22:23], s[30:31]
	v_cmp_eq_u32_e64 s[40:41], 1, v4
	v_cmp_eq_u32_e64 s[48:49], 2, v4
	v_cmp_eq_u32_e64 s[56:57], 3, v4
	v_cndmask_b32_e64 v4, 0, 1, s[26:27]
	s_and_b64 s[26:27], s[24:25], s[34:35]
	v_cmp_eq_u32_e64 s[42:43], 1, v5
	v_cmp_eq_u32_e64 s[50:51], 2, v5
	;; [unrolled: 1-line block ×3, first 2 shown]
	v_cndmask_b32_e64 v5, 0, 1, s[26:27]
	s_and_b64 s[26:27], s[18:19], s[36:37]
	v_cndmask_b32_e64 v17, 0, 1, s[26:27]
	s_and_b64 s[26:27], s[20:21], s[38:39]
	;; [unrolled: 2-line block ×5, first 2 shown]
	s_and_b64 s[18:19], s[18:19], s[52:53]
	v_cndmask_b32_e64 v22, 0, 1, s[26:27]
	s_and_b64 s[26:27], s[20:21], s[46:47]
	v_cndmask_b32_e64 v39, 0, 1, s[18:19]
	;; [unrolled: 2-line block ×7, first 2 shown]
	v_cndmask_b32_e64 v42, 0, 1, s[18:19]
	v_cmp_ne_u32_e64 s[18:19], 0, v2
	v_cmp_ne_u32_e64 s[20:21], 0, v3
	;; [unrolled: 1-line block ×11, first 2 shown]
	s_bcnt1_i32_b64 s18, s[18:19]
	s_bcnt1_i32_b64 s19, s[20:21]
	;; [unrolled: 1-line block ×8, first 2 shown]
	v_cmp_ne_u32_e64 s[34:35], 0, v21
	v_cmp_ne_u32_e64 s[40:41], 0, v37
	;; [unrolled: 1-line block ×3, first 2 shown]
	s_bcnt1_i32_b64 s23, s[28:29]
	s_bcnt1_i32_b64 s27, s[38:39]
	;; [unrolled: 1-line block ×3, first 2 shown]
	s_add_i32 s13, s13, s18
	s_add_i32 s12, s12, s22
	;; [unrolled: 1-line block ×4, first 2 shown]
	v_cmp_ne_u32_e64 s[42:43], 0, v38
	v_cmp_ne_u32_e64 s[50:51], 0, v42
	s_bcnt1_i32_b64 s25, s[34:35]
	s_bcnt1_i32_b64 s28, s[40:41]
	;; [unrolled: 1-line block ×3, first 2 shown]
	s_add_i32 s13, s13, s19
	s_add_i32 s12, s12, s23
	;; [unrolled: 1-line block ×4, first 2 shown]
	s_bcnt1_i32_b64 s29, s[42:43]
	s_bcnt1_i32_b64 s35, s[50:51]
	s_add_i32 s13, s13, s20
	s_add_i32 s12, s12, s24
	;; [unrolled: 1-line block ×8, first 2 shown]
	s_or_b64 s[80:81], vcc, s[80:81]
	v_mov_b32_e32 v2, s13
	v_mov_b32_e32 v3, s12
	;; [unrolled: 1-line block ×4, first 2 shown]
	s_andn2_b64 exec, exec, s[80:81]
	s_cbranch_execnz .LBB19_54
; %bb.55:                               ;   in Loop: Header=BB19_17 Depth=1
	s_or_b64 exec, exec, s[80:81]
.LBB19_56:                              ;   in Loop: Header=BB19_17 Depth=1
	s_or_b64 exec, exec, s[88:89]
	v_mov_b32_e32 v17, 0
	s_mov_b64 s[18:19], exec
	v_readlane_b32 s6, v50, 33
	v_readlane_b32 s7, v50, 34
	s_and_b64 s[6:7], s[18:19], s[6:7]
	s_mov_b64 exec, s[6:7]
	s_cbranch_execz .LBB19_58
; %bb.57:                               ;   in Loop: Header=BB19_17 Depth=1
	global_load_dword v17, v[14:15], off
.LBB19_58:                              ;   in Loop: Header=BB19_17 Depth=1
	s_or_b64 exec, exec, s[18:19]
	s_and_saveexec_b64 s[20:21], s[14:15]
	s_cbranch_execz .LBB19_65
; %bb.59:                               ;   in Loop: Header=BB19_17 Depth=1
	s_and_b32 s6, s76, 0xfe
	s_mov_b64 s[22:23], 0
	v_mov_b32_e32 v20, v33
	v_mov_b32_e32 v8, v28
	s_branch .LBB19_61
.LBB19_60:                              ;   in Loop: Header=BB19_61 Depth=2
	s_or_b64 exec, exec, s[18:19]
	s_waitcnt vmcnt(0)
	v_xor_b32_e32 v17, 0x80000000, v17
	v_and_b32_e32 v21, s78, v17
	v_bfe_u32 v17, v17, s6, 2
	v_cmp_eq_u32_e32 vcc, s79, v21
	v_cmp_eq_u32_e64 s[18:19], 0, v17
	s_and_b64 s[10:11], vcc, s[18:19]
	v_cndmask_b32_e64 v21, 0, 1, s[10:11]
	v_cmp_ne_u32_e64 s[18:19], 0, v21
	s_bcnt1_i32_b64 s7, s[18:19]
	v_cmp_eq_u32_e64 s[18:19], 1, v17
	s_and_b64 s[10:11], vcc, s[18:19]
	v_cndmask_b32_e64 v21, 0, 1, s[10:11]
	v_cmp_ne_u32_e64 s[18:19], 0, v21
	v_add_u32_e32 v2, s7, v2
	s_bcnt1_i32_b64 s7, s[18:19]
	v_cmp_eq_u32_e64 s[18:19], 2, v17
	s_and_b64 s[10:11], vcc, s[18:19]
	v_cndmask_b32_e64 v21, 0, 1, s[10:11]
	v_cmp_ne_u32_e64 s[18:19], 0, v21
	v_add_u32_e32 v3, s7, v3
	s_bcnt1_i32_b64 s7, s[18:19]
	v_cmp_eq_u32_e64 s[18:19], 3, v17
	s_and_b64 s[10:11], vcc, s[18:19]
	v_cndmask_b32_e64 v17, 0, 1, s[10:11]
	v_cmp_ne_u32_e32 vcc, 0, v17
	v_add_u32_e32 v4, s7, v4
	s_bcnt1_i32_b64 s7, vcc
	v_cmp_le_i32_e32 vcc, s60, v8
	v_add_u32_e32 v5, s7, v5
	v_add_u32_e32 v20, s0, v20
	s_or_b64 s[22:23], vcc, s[22:23]
	v_mov_b32_e32 v17, v18
	s_andn2_b64 exec, exec, s[22:23]
	s_cbranch_execz .LBB19_64
.LBB19_61:                              ;   Parent Loop BB19_17 Depth=1
                                        ; =>  This Inner Loop Header: Depth=2
	v_add_u32_e32 v8, s66, v8
	v_cmp_gt_u32_e32 vcc, s60, v8
	v_mov_b32_e32 v18, 0
	s_and_saveexec_b64 s[18:19], vcc
	s_cbranch_execz .LBB19_60
; %bb.62:                               ;   in Loop: Header=BB19_61 Depth=2
	v_ashrrev_i32_e32 v21, 31, v20
	v_lshlrev_b64 v[22:23], 2, v[20:21]
	v_mov_b32_e32 v18, s82
	v_add_co_u32_e32 v22, vcc, s64, v22
	v_addc_co_u32_e32 v23, vcc, v18, v23, vcc
	global_load_dword v18, v[22:23], off
	s_branch .LBB19_60
.LBB19_63:                              ;   in Loop: Header=BB19_17 Depth=1
                                        ; implicit-def: $vgpr5
	s_cbranch_execnz .LBB19_66
	s_branch .LBB19_75
.LBB19_64:                              ;   in Loop: Header=BB19_17 Depth=1
	s_or_b64 exec, exec, s[22:23]
.LBB19_65:                              ;   in Loop: Header=BB19_17 Depth=1
	s_or_b64 exec, exec, s[20:21]
	s_branch .LBB19_75
.LBB19_66:                              ;   in Loop: Header=BB19_17 Depth=1
	s_mul_hi_u32 s6, s73, s8
	s_mul_i32 s6, s6, s83
	s_sub_i32 s6, s73, s6
	s_sub_i32 s7, s6, s83
	s_cmp_ge_u32 s6, s83
	s_cselect_b32 s6, s7, s6
	s_sub_i32 s7, s6, s83
	s_cmp_ge_u32 s6, s83
	s_cselect_b32 s6, s7, s6
	s_sub_i32 s6, s73, s6
	v_cmp_gt_u32_e32 vcc, s6, v24
	s_mov_b32 s10, 0
	s_waitcnt vmcnt(0)
	v_mov_b32_e32 v2, 0
	v_mov_b32_e32 v3, 0
	;; [unrolled: 1-line block ×4, first 2 shown]
	s_and_saveexec_b64 s[80:81], vcc
	s_cbranch_execz .LBB19_70
; %bb.67:                               ;   in Loop: Header=BB19_17 Depth=1
	s_and_b32 s7, s76, 0xfe
	s_mov_b64 s[88:89], 0
	v_mov_b32_e32 v8, v34
	s_mov_b32 s11, 0
	s_mov_b32 s12, 0
	;; [unrolled: 1-line block ×3, first 2 shown]
	v_mov_b32_e32 v17, v24
.LBB19_68:                              ;   Parent Loop BB19_17 Depth=1
                                        ; =>  This Inner Loop Header: Depth=2
	ds_read_b128 v[2:5], v8
	v_add_u32_e32 v17, s83, v17
	v_cmp_le_i32_e32 vcc, s6, v17
	v_add_u32_e32 v8, s16, v8
	s_waitcnt lgkmcnt(0)
	v_xor_b32_e32 v2, 0x80000000, v2
	v_xor_b32_e32 v3, 0x80000000, v3
	v_and_b32_e32 v18, s78, v2
	v_bfe_u32 v2, v2, s7, 2
	v_xor_b32_e32 v4, 0x80000000, v4
	v_and_b32_e32 v20, s78, v3
	v_bfe_u32 v3, v3, s7, 2
	v_cmp_eq_u32_e64 s[18:19], s79, v18
	v_cmp_eq_u32_e64 s[26:27], 0, v2
	v_xor_b32_e32 v5, 0x80000000, v5
	v_and_b32_e32 v21, s78, v4
	v_bfe_u32 v4, v4, s7, 2
	v_cmp_eq_u32_e64 s[20:21], s79, v20
	v_cmp_eq_u32_e64 s[28:29], 0, v3
	s_and_b64 s[26:27], s[18:19], s[26:27]
	v_and_b32_e32 v22, s78, v5
	v_bfe_u32 v5, v5, s7, 2
	v_cmp_eq_u32_e64 s[22:23], s79, v21
	v_cmp_eq_u32_e64 s[30:31], 0, v4
	;; [unrolled: 1-line block ×5, first 2 shown]
	v_cndmask_b32_e64 v2, 0, 1, s[26:27]
	s_and_b64 s[26:27], s[20:21], s[28:29]
	v_cmp_eq_u32_e64 s[24:25], s79, v22
	v_cmp_eq_u32_e64 s[34:35], 0, v5
	;; [unrolled: 1-line block ×5, first 2 shown]
	v_cndmask_b32_e64 v3, 0, 1, s[26:27]
	s_and_b64 s[26:27], s[22:23], s[30:31]
	v_cmp_eq_u32_e64 s[40:41], 1, v4
	v_cmp_eq_u32_e64 s[48:49], 2, v4
	;; [unrolled: 1-line block ×3, first 2 shown]
	v_cndmask_b32_e64 v4, 0, 1, s[26:27]
	s_and_b64 s[26:27], s[24:25], s[34:35]
	v_cmp_eq_u32_e64 s[42:43], 1, v5
	v_cmp_eq_u32_e64 s[50:51], 2, v5
	;; [unrolled: 1-line block ×3, first 2 shown]
	v_cndmask_b32_e64 v5, 0, 1, s[26:27]
	s_and_b64 s[26:27], s[18:19], s[36:37]
	v_cndmask_b32_e64 v18, 0, 1, s[26:27]
	s_and_b64 s[26:27], s[20:21], s[38:39]
	;; [unrolled: 2-line block ×5, first 2 shown]
	s_and_b64 s[18:19], s[18:19], s[52:53]
	v_cndmask_b32_e64 v23, 0, 1, s[26:27]
	s_and_b64 s[26:27], s[20:21], s[46:47]
	v_cndmask_b32_e64 v40, 0, 1, s[18:19]
	;; [unrolled: 2-line block ×7, first 2 shown]
	v_cndmask_b32_e64 v43, 0, 1, s[18:19]
	v_cmp_ne_u32_e64 s[18:19], 0, v2
	v_cmp_ne_u32_e64 s[20:21], 0, v3
	;; [unrolled: 1-line block ×11, first 2 shown]
	s_bcnt1_i32_b64 s18, s[18:19]
	s_bcnt1_i32_b64 s19, s[20:21]
	;; [unrolled: 1-line block ×8, first 2 shown]
	v_cmp_ne_u32_e64 s[34:35], 0, v22
	v_cmp_ne_u32_e64 s[40:41], 0, v38
	;; [unrolled: 1-line block ×3, first 2 shown]
	s_bcnt1_i32_b64 s23, s[28:29]
	s_bcnt1_i32_b64 s27, s[38:39]
	;; [unrolled: 1-line block ×3, first 2 shown]
	s_add_i32 s13, s13, s18
	s_add_i32 s12, s12, s22
	;; [unrolled: 1-line block ×4, first 2 shown]
	v_cmp_ne_u32_e64 s[42:43], 0, v39
	v_cmp_ne_u32_e64 s[50:51], 0, v43
	s_bcnt1_i32_b64 s25, s[34:35]
	s_bcnt1_i32_b64 s28, s[40:41]
	;; [unrolled: 1-line block ×3, first 2 shown]
	s_add_i32 s13, s13, s19
	s_add_i32 s12, s12, s23
	;; [unrolled: 1-line block ×4, first 2 shown]
	s_bcnt1_i32_b64 s29, s[42:43]
	s_bcnt1_i32_b64 s35, s[50:51]
	s_add_i32 s13, s13, s20
	s_add_i32 s12, s12, s24
	;; [unrolled: 1-line block ×8, first 2 shown]
	s_or_b64 s[88:89], vcc, s[88:89]
	v_mov_b32_e32 v2, s13
	v_mov_b32_e32 v3, s12
	;; [unrolled: 1-line block ×4, first 2 shown]
	s_andn2_b64 exec, exec, s[88:89]
	s_cbranch_execnz .LBB19_68
; %bb.69:                               ;   in Loop: Header=BB19_17 Depth=1
	s_or_b64 exec, exec, s[88:89]
.LBB19_70:                              ;   in Loop: Header=BB19_17 Depth=1
	s_or_b64 exec, exec, s[80:81]
	v_add_u32_e32 v8, s6, v0
	v_cmp_gt_i32_e32 vcc, s73, v8
	s_and_saveexec_b64 s[28:29], vcc
	s_cbranch_execz .LBB19_74
; %bb.71:                               ;   in Loop: Header=BB19_17 Depth=1
	s_and_b32 s6, s76, 0xfe
	v_lshlrev_b32_e32 v17, 2, v8
	s_mov_b64 s[30:31], 0
.LBB19_72:                              ;   Parent Loop BB19_17 Depth=1
                                        ; =>  This Inner Loop Header: Depth=2
	ds_read_b32 v18, v17
	v_add_u32_e32 v8, s66, v8
	v_cmp_le_i32_e32 vcc, s73, v8
	v_add_u32_e32 v17, s83, v17
	s_waitcnt lgkmcnt(0)
	v_xor_b32_e32 v18, 0x80000000, v18
	v_and_b32_e32 v20, s78, v18
	v_bfe_u32 v18, v18, s6, 2
	v_cmp_eq_u32_e64 s[18:19], s79, v20
	v_cmp_eq_u32_e64 s[20:21], 0, v18
	;; [unrolled: 1-line block ×3, first 2 shown]
	s_and_b64 s[10:11], s[18:19], s[20:21]
	v_cmp_eq_u32_e64 s[24:25], 2, v18
	v_cmp_eq_u32_e64 s[26:27], 3, v18
	v_cndmask_b32_e64 v18, 0, 1, s[10:11]
	s_and_b64 s[10:11], s[18:19], s[22:23]
	v_cndmask_b32_e64 v20, 0, 1, s[10:11]
	s_and_b64 s[10:11], s[18:19], s[24:25]
	;; [unrolled: 2-line block ×3, first 2 shown]
	v_cndmask_b32_e64 v22, 0, 1, s[10:11]
	v_cmp_ne_u32_e64 s[18:19], 0, v18
	v_cmp_ne_u32_e64 s[20:21], 0, v20
	;; [unrolled: 1-line block ×4, first 2 shown]
	s_bcnt1_i32_b64 s7, s[18:19]
	s_bcnt1_i32_b64 s10, s[20:21]
	;; [unrolled: 1-line block ×4, first 2 shown]
	v_add_u32_e32 v2, s7, v2
	v_add_u32_e32 v3, s10, v3
	;; [unrolled: 1-line block ×3, first 2 shown]
	s_or_b64 s[30:31], vcc, s[30:31]
	v_add_u32_e32 v5, s12, v5
	s_andn2_b64 exec, exec, s[30:31]
	s_cbranch_execnz .LBB19_72
; %bb.73:                               ;   in Loop: Header=BB19_17 Depth=1
	s_or_b64 exec, exec, s[30:31]
.LBB19_74:                              ;   in Loop: Header=BB19_17 Depth=1
	s_or_b64 exec, exec, s[28:29]
.LBB19_75:                              ;   in Loop: Header=BB19_17 Depth=1
	s_lshl_b32 s6, s77, 6
	s_and_saveexec_b64 s[18:19], s[2:3]
	s_cbranch_execz .LBB19_77
; %bb.76:                               ;   in Loop: Header=BB19_17 Depth=1
	v_or_b32_e32 v8, s6, v26
	v_lshlrev_b32_e32 v8, 2, v8
	s_waitcnt vmcnt(0)
	ds_write_b128 v8, v[2:5] offset:3072
.LBB19_77:                              ;   in Loop: Header=BB19_17 Depth=1
	s_or_b64 exec, exec, s[18:19]
	s_waitcnt lgkmcnt(0)
	s_barrier
	s_and_saveexec_b64 s[18:19], s[74:75]
	s_cbranch_execz .LBB19_91
; %bb.78:                               ;   in Loop: Header=BB19_17 Depth=1
	v_readlane_b32 s10, v50, 11
	v_readlane_b32 s11, v50, 12
	v_add_u32_e32 v4, s6, v13
	s_andn2_b64 vcc, exec, s[10:11]
	s_waitcnt vmcnt(0)
	v_mov_b32_e32 v2, 0
	s_cbranch_vccnz .LBB19_90
; %bb.79:                               ;   in Loop: Header=BB19_17 Depth=1
	v_readlane_b32 s10, v50, 15
	v_readlane_b32 s11, v50, 16
	s_mov_b32 s7, 0
	s_and_b64 vcc, exec, s[10:11]
	v_mov_b32_e32 v2, 0
	s_cbranch_vccz .LBB19_83
; %bb.80:                               ;   in Loop: Header=BB19_17 Depth=1
	v_readlane_b32 s10, v50, 21
	v_readlane_b32 s11, v50, 22
	v_lshl_add_u32 v5, v4, 2, v36
	s_andn2_b64 vcc, exec, s[10:11]
	s_cbranch_vccnz .LBB19_84
; %bb.81:                               ;   in Loop: Header=BB19_17 Depth=1
	s_mov_b32 s21, 1
	s_mov_b32 s20, 0
	v_mov_b32_e32 v2, 0
	v_readlane_b32 s7, v50, 23
	v_mov_b32_e32 v3, 0
.LBB19_82:                              ;   Parent Loop BB19_17 Depth=1
                                        ; =>  This Inner Loop Header: Depth=2
	v_lshl_add_u32 v8, s20, 4, v5
	v_lshl_add_u32 v17, s21, 4, v5
	ds_read2_b32 v[20:21], v8 offset1:8
	ds_read2_b32 v[22:23], v17 offset1:8
	ds_read2_b32 v[38:39], v8 offset0:16 offset1:24
	ds_read2_b32 v[40:41], v17 offset0:16 offset1:24
	;; [unrolled: 1-line block ×6, first 2 shown]
	s_waitcnt lgkmcnt(7)
	v_add3_u32 v2, v20, v2, v21
	s_waitcnt lgkmcnt(6)
	v_add3_u32 v3, v22, v3, v23
	;; [unrolled: 2-line block ×3, first 2 shown]
	v_add3_u32 v2, v38, v2, v39
	s_add_i32 s21, s21, 16
	s_add_i32 s20, s20, 16
	s_add_i32 s7, s7, -8
	s_waitcnt lgkmcnt(3)
	v_add3_u32 v2, v42, v2, v43
	s_waitcnt lgkmcnt(2)
	v_add3_u32 v3, v44, v3, v45
	s_cmp_lg_u32 s7, 0
	s_waitcnt lgkmcnt(0)
	v_add3_u32 v3, v48, v3, v49
	v_add3_u32 v2, v46, v2, v47
	s_cbranch_scc1 .LBB19_82
	s_branch .LBB19_85
.LBB19_83:                              ;   in Loop: Header=BB19_17 Depth=1
	s_cbranch_execnz .LBB19_88
	s_branch .LBB19_90
.LBB19_84:                              ;   in Loop: Header=BB19_17 Depth=1
	s_mov_b32 s73, s72
	v_pk_mov_b32 v[2:3], s[72:73], s[72:73] op_sel:[0,1]
	s_mov_b32 s73, 1
	s_mov_b64 s[20:21], s[72:73]
.LBB19_85:                              ;   in Loop: Header=BB19_17 Depth=1
	v_readlane_b32 s10, v50, 25
	v_readlane_b32 s11, v50, 26
	s_andn2_b64 vcc, exec, s[10:11]
	v_readlane_b32 s7, v50, 24
	s_cbranch_vccnz .LBB19_87
.LBB19_86:                              ;   Parent Loop BB19_17 Depth=1
                                        ; =>  This Inner Loop Header: Depth=2
	v_lshl_add_u32 v8, s20, 4, v5
	v_lshl_add_u32 v17, s21, 4, v5
	ds_read_b32 v17, v17
	ds_read_b32 v8, v8
	s_add_i32 s21, s21, 2
	s_add_i32 s20, s20, 2
	s_add_i32 s7, s7, -1
	s_cmp_lg_u32 s7, 0
	s_waitcnt lgkmcnt(1)
	v_add_u32_e32 v3, v17, v3
	s_waitcnt lgkmcnt(0)
	v_add_u32_e32 v2, v8, v2
	s_cbranch_scc1 .LBB19_86
.LBB19_87:                              ;   in Loop: Header=BB19_17 Depth=1
	v_readlane_b32 s20, v50, 29
	v_add_u32_e32 v2, v2, v3
	v_readlane_b32 s7, v50, 28
	v_readlane_b32 s21, v50, 30
	s_and_b64 vcc, exec, s[20:21]
	s_cbranch_vccz .LBB19_90
.LBB19_88:                              ;   in Loop: Header=BB19_17 Depth=1
	s_lshl_b32 s10, s77, 8
	s_lshl_b32 s11, s7, 4
	s_add_i32 s10, s10, s11
	v_add_u32_e32 v3, s10, v35
	v_readlane_b32 s10, v50, 27
	s_sub_i32 s7, s10, s7
.LBB19_89:                              ;   Parent Loop BB19_17 Depth=1
                                        ; =>  This Inner Loop Header: Depth=2
	ds_read_b32 v5, v3
	s_add_i32 s7, s7, -1
	v_add_u32_e32 v3, 16, v3
	s_cmp_eq_u32 s7, 0
	s_waitcnt lgkmcnt(0)
	v_add_u32_e32 v2, v5, v2
	s_cbranch_scc0 .LBB19_89
.LBB19_90:                              ;   in Loop: Header=BB19_17 Depth=1
	v_lshlrev_b32_e32 v3, 2, v4
	ds_write_b32 v3, v2 offset:3072
.LBB19_91:                              ;   in Loop: Header=BB19_17 Depth=1
	s_or_b64 exec, exec, s[18:19]
	s_lshl_b32 s6, s6, 2
	s_waitcnt vmcnt(0)
	v_mov_b32_e32 v2, s6
	s_waitcnt lgkmcnt(0)
	s_barrier
	ds_read_b128 v[2:5], v2 offset:3072
	s_and_b32 s47, s76, 0xfe
	s_lshl_b32 s55, 3, s47
	s_not_b32 s48, s55
	s_mov_b64 s[22:23], -1
	s_waitcnt lgkmcnt(0)
	v_readfirstlane_b32 s34, v2
	s_cmp_eq_u32 s34, 1
	s_cselect_b64 s[6:7], -1, 0
	s_cmp_eq_u32 s61, 1
	s_cselect_b64 s[10:11], -1, 0
	s_and_b64 s[24:25], s[6:7], s[10:11]
	v_readfirstlane_b32 s38, v3
	v_readfirstlane_b32 s46, v4
	;; [unrolled: 1-line block ×3, first 2 shown]
	s_and_b64 vcc, exec, s[24:25]
	s_cbranch_vccz .LBB19_103
; %bb.92:                               ;   in Loop: Header=BB19_17 Depth=1
	ds_read_b32 v2, v9 offset:4096
	s_waitcnt lgkmcnt(0)
	s_barrier
	v_readfirstlane_b32 s6, v2
	s_and_saveexec_b64 s[18:19], s[4:5]
	s_cbranch_execz .LBB19_94
; %bb.93:                               ;   in Loop: Header=BB19_17 Depth=1
	ds_write_b32 v25, v9
.LBB19_94:                              ;   in Loop: Header=BB19_17 Depth=1
	s_or_b64 exec, exec, s[18:19]
	s_and_b32 s79, s79, s48
	s_or_b32 s78, s78, s55
	s_cmp_lt_i32 s6, 1
	s_waitcnt lgkmcnt(0)
	s_barrier
	s_cbranch_scc0 .LBB19_104
; %bb.95:                               ;   in Loop: Header=BB19_17 Depth=1
	s_mov_b64 s[18:19], 0
                                        ; implicit-def: $vgpr19
	s_mov_b64 s[20:21], exec
	v_readlane_b32 s10, v50, 36
	v_readlane_b32 s11, v50, 37
	s_and_b64 s[10:11], s[20:21], s[10:11]
	s_mov_b64 exec, s[10:11]
	s_cbranch_execz .LBB19_106
; %bb.96:                               ;   in Loop: Header=BB19_17 Depth=1
	s_mov_b64 s[26:27], 0
	v_mov_b32_e32 v2, v6
	v_mov_b32_e32 v4, v0
                                        ; implicit-def: $sgpr28_sgpr29
	s_branch .LBB19_98
.LBB19_97:                              ;   in Loop: Header=BB19_98 Depth=2
	s_or_b64 exec, exec, s[18:19]
	s_waitcnt lgkmcnt(0)
	s_barrier
	ds_read_b64 v[18:19], v9 offset:3072
	v_add_u32_e32 v4, s66, v4
	v_cmp_le_i32_e32 vcc, s17, v4
	v_add_u32_e32 v2, s0, v2
	s_waitcnt lgkmcnt(0)
	v_readfirstlane_b32 s7, v18
	s_cmp_lg_u32 s7, 0
	s_cselect_b64 s[10:11], -1, 0
	s_or_b64 s[12:13], vcc, s[10:11]
	s_and_b64 s[12:13], exec, s[12:13]
	s_or_b64 s[26:27], s[12:13], s[26:27]
	s_andn2_b64 s[12:13], s[28:29], exec
	s_and_b64 s[10:11], s[10:11], exec
	s_or_b64 s[28:29], s[12:13], s[10:11]
	s_barrier
	s_andn2_b64 exec, exec, s[26:27]
	s_cbranch_execz .LBB19_105
.LBB19_98:                              ;   Parent Loop BB19_17 Depth=1
                                        ; =>  This Inner Loop Header: Depth=2
	v_cmp_gt_i32_e32 vcc, s60, v4
	s_waitcnt vmcnt(0)
	v_mov_b32_e32 v17, 0
	s_and_saveexec_b64 s[30:31], vcc
	s_cbranch_execz .LBB19_100
; %bb.99:                               ;   in Loop: Header=BB19_98 Depth=2
	v_ashrrev_i32_e32 v3, 31, v2
	v_lshlrev_b64 v[18:19], 2, v[2:3]
	v_mov_b32_e32 v3, s82
	v_add_co_u32_e64 v18, s[18:19], s64, v18
	v_addc_co_u32_e64 v19, s[18:19], v3, v19, s[18:19]
	global_load_dword v17, v[18:19], off
.LBB19_100:                             ;   in Loop: Header=BB19_98 Depth=2
	s_or_b64 exec, exec, s[30:31]
	s_and_saveexec_b64 s[18:19], vcc
	s_cbranch_execz .LBB19_97
; %bb.101:                              ;   in Loop: Header=BB19_98 Depth=2
	s_waitcnt vmcnt(0)
	v_xor_b32_e32 v3, 0x80000000, v17
	v_and_b32_e32 v3, s78, v3
	v_cmp_eq_u32_e32 vcc, s79, v3
	s_and_b64 exec, exec, vcc
	s_cbranch_execz .LBB19_97
; %bb.102:                              ;   in Loop: Header=BB19_98 Depth=2
	ds_write_b64 v9, v[16:17] offset:3072
	s_branch .LBB19_97
.LBB19_103:                             ;   in Loop: Header=BB19_17 Depth=1
	s_mov_b64 s[18:19], -1
                                        ; implicit-def: $sgpr20_sgpr21
                                        ; implicit-def: $sgpr28_sgpr29
                                        ; implicit-def: $sgpr26_sgpr27
	s_branch .LBB19_117
.LBB19_104:                             ;   in Loop: Header=BB19_17 Depth=1
	s_mov_b64 s[20:21], -1
	s_mov_b64 s[18:19], 0
                                        ; implicit-def: $sgpr26_sgpr27
                                        ; implicit-def: $vgpr19
	s_mov_b64 s[28:29], s[20:21]
	s_cbranch_execnz .LBB19_107
	s_branch .LBB19_117
.LBB19_105:                             ;   in Loop: Header=BB19_17 Depth=1
	s_or_b64 exec, exec, s[26:27]
	s_and_b64 s[18:19], s[28:29], exec
.LBB19_106:                             ;   in Loop: Header=BB19_17 Depth=1
	s_or_b64 exec, exec, s[20:21]
	s_mov_b64 s[26:27], -1
	s_mov_b64 s[20:21], 0
	s_mov_b64 s[28:29], s[20:21]
	s_branch .LBB19_117
.LBB19_107:                             ;   in Loop: Header=BB19_17 Depth=1
	v_readlane_b32 s7, v50, 8
	s_add_i32 s7, s6, s7
	s_abs_i32 s11, s7
	v_readlane_b32 s12, v50, 35
	s_mul_hi_u32 s12, s11, s12
	s_mul_i32 s12, s12, s66
	s_sub_i32 s11, s11, s12
	s_ashr_i32 s10, s7, 31
	s_sub_i32 s12, s11, s66
	s_cmp_ge_u32 s11, s66
	s_cselect_b32 s11, s12, s11
	s_sub_i32 s12, s11, s66
	s_cmp_ge_u32 s11, s66
	s_cselect_b32 s11, s12, s11
	s_xor_b32 s11, s11, s10
	s_sub_i32 s10, s10, s11
	s_add_i32 s7, s7, s10
	v_cmp_gt_i32_e32 vcc, s7, v0
	s_mov_b64 s[18:19], 0
                                        ; implicit-def: $vgpr19
	s_and_saveexec_b64 s[20:21], vcc
	s_cbranch_execz .LBB19_116
; %bb.108:                              ;   in Loop: Header=BB19_17 Depth=1
	v_mov_b32_e32 v2, v24
	v_mov_b32_e32 v3, v0
                                        ; implicit-def: $sgpr26_sgpr27
	s_branch .LBB19_110
.LBB19_109:                             ;   in Loop: Header=BB19_110 Depth=2
	s_or_b64 exec, exec, s[28:29]
	s_waitcnt lgkmcnt(0)
	s_barrier
	ds_read_b64 v[18:19], v9 offset:3072
	v_add_u32_e32 v3, s66, v3
	v_cmp_le_i32_e32 vcc, s7, v3
	v_add_u32_e32 v2, s83, v2
	s_waitcnt lgkmcnt(0)
	v_readfirstlane_b32 s10, v18
	s_cmp_lg_u32 s10, 0
	s_cselect_b64 s[10:11], -1, 0
	s_or_b64 s[12:13], vcc, s[10:11]
	s_and_b64 s[12:13], exec, s[12:13]
	s_or_b64 s[18:19], s[12:13], s[18:19]
	s_andn2_b64 s[12:13], s[26:27], exec
	s_and_b64 s[10:11], s[10:11], exec
	s_or_b64 s[26:27], s[12:13], s[10:11]
	s_barrier
	s_andn2_b64 exec, exec, s[18:19]
	s_cbranch_execz .LBB19_115
.LBB19_110:                             ;   Parent Loop BB19_17 Depth=1
                                        ; =>  This Inner Loop Header: Depth=2
	v_cmp_gt_i32_e32 vcc, s6, v3
	s_waitcnt vmcnt(0)
	v_mov_b32_e32 v17, 0
	s_and_saveexec_b64 s[28:29], vcc
	s_cbranch_execz .LBB19_112
; %bb.111:                              ;   in Loop: Header=BB19_110 Depth=2
	ds_read_b32 v17, v2
.LBB19_112:                             ;   in Loop: Header=BB19_110 Depth=2
	s_or_b64 exec, exec, s[28:29]
	s_and_saveexec_b64 s[28:29], vcc
	s_cbranch_execz .LBB19_109
; %bb.113:                              ;   in Loop: Header=BB19_110 Depth=2
	s_waitcnt lgkmcnt(0)
	v_xor_b32_e32 v4, 0x80000000, v17
	v_and_b32_e32 v4, s78, v4
	v_cmp_eq_u32_e32 vcc, s79, v4
	s_and_b64 exec, exec, vcc
	s_cbranch_execz .LBB19_109
; %bb.114:                              ;   in Loop: Header=BB19_110 Depth=2
	ds_write_b64 v9, v[16:17] offset:3072
	s_branch .LBB19_109
.LBB19_115:                             ;   in Loop: Header=BB19_17 Depth=1
	s_or_b64 exec, exec, s[18:19]
	s_and_b64 s[18:19], s[26:27], exec
.LBB19_116:                             ;   in Loop: Header=BB19_17 Depth=1
	s_or_b64 exec, exec, s[20:21]
	s_mov_b64 s[28:29], -1
	s_mov_b64 s[20:21], 0
	s_mov_b64 s[26:27], 0
.LBB19_117:                             ;   in Loop: Header=BB19_17 Depth=1
	s_andn2_b64 s[6:7], s[86:87], exec
	s_and_b64 s[10:11], s[20:21], exec
	s_or_b64 s[86:87], s[6:7], s[10:11]
	s_andn2_b64 s[6:7], s[84:85], exec
	s_and_b64 s[10:11], s[28:29], exec
	s_or_b64 s[84:85], s[6:7], s[10:11]
	;; [unrolled: 3-line block ×3, first 2 shown]
	s_and_saveexec_b64 s[20:21], s[18:19]
	s_cbranch_execz .LBB19_16
; %bb.118:                              ;   in Loop: Header=BB19_17 Depth=1
	s_xor_b64 s[6:7], s[24:25], -1
	s_mov_b64 s[18:19], 0
	s_andn2_b64 vcc, exec, s[6:7]
	s_mov_b32 s39, 1
	s_cbranch_vccnz .LBB19_129
; %bb.119:                              ;   in Loop: Header=BB19_17 Depth=1
	s_cmp_gt_i32 s61, s34
	s_mov_b64 s[18:19], -1
                                        ; implicit-def: $sgpr57
                                        ; implicit-def: $sgpr6
                                        ; implicit-def: $sgpr7
	s_cbranch_scc1 .LBB19_125
; %bb.120:                              ;   in Loop: Header=BB19_17 Depth=1
	ds_read_b32 v2, v9 offset:4096
	s_waitcnt lgkmcnt(0)
	v_cmp_ne_u32_e32 vcc, 0, v2
	s_cbranch_vccnz .LBB19_124
; %bb.121:                              ;   in Loop: Header=BB19_17 Depth=1
	s_mov_b64 s[18:19], exec
	v_readlane_b32 s6, v50, 5
	v_readlane_b32 s7, v50, 6
	s_and_b64 s[6:7], s[18:19], s[6:7]
	s_mov_b64 exec, s[6:7]
	s_cbranch_execz .LBB19_123
; %bb.122:                              ;   in Loop: Header=BB19_17 Depth=1
	v_mov_b32_e32 v2, s34
	ds_write_b32 v9, v2 offset:4100
.LBB19_123:                             ;   in Loop: Header=BB19_17 Depth=1
	s_or_b64 exec, exec, s[18:19]
	s_waitcnt lgkmcnt(0)
	s_barrier
.LBB19_124:                             ;   in Loop: Header=BB19_17 Depth=1
	s_and_b32 s6, s79, s48
	s_or_b32 s7, s78, s55
	s_mov_b64 s[18:19], 0
	s_mov_b32 s57, 8
.LBB19_125:                             ;   in Loop: Header=BB19_17 Depth=1
	s_andn2_b64 vcc, exec, s[18:19]
	s_cbranch_vccnz .LBB19_127
; %bb.126:                              ;   in Loop: Header=BB19_17 Depth=1
	s_sub_i32 s61, s61, s34
	s_mov_b64 s[18:19], -1
	s_mov_b32 s57, 0
	s_mov_b32 s6, s79
	;; [unrolled: 1-line block ×3, first 2 shown]
.LBB19_127:                             ;   in Loop: Header=BB19_17 Depth=1
	s_mov_b32 s78, s7
	s_mov_b32 s79, s6
	;; [unrolled: 1-line block ×3, first 2 shown]
	s_mov_b64 s[22:23], -1
	s_and_b64 vcc, exec, s[18:19]
	s_cbranch_vccnz .LBB19_130
.LBB19_128:                             ;   in Loop: Header=BB19_17 Depth=1
	s_mov_b64 s[36:37], -1
                                        ; implicit-def: $sgpr24_sgpr25
                                        ; implicit-def: $sgpr28_sgpr29
                                        ; implicit-def: $sgpr26_sgpr27
	s_and_saveexec_b64 s[6:7], s[36:37]
	s_xor_b64 s[18:19], exec, s[6:7]
	s_cbranch_execz .LBB19_15
	s_branch .LBB19_253
.LBB19_129:                             ;   in Loop: Header=BB19_17 Depth=1
	s_mov_b32 s57, 1
	s_mov_b64 s[22:23], -1
	s_and_b64 vcc, exec, s[18:19]
	s_cbranch_vccz .LBB19_128
.LBB19_130:                             ;   in Loop: Header=BB19_17 Depth=1
	s_cmp_eq_u32 s38, 1
	s_cselect_b64 s[6:7], -1, 0
	s_cmp_eq_u32 s39, 1
	s_cselect_b64 s[10:11], -1, 0
	s_and_b64 s[34:35], s[6:7], s[10:11]
	s_mov_b64 s[18:19], -1
	s_and_b64 vcc, exec, s[34:35]
	s_cbranch_vccz .LBB19_142
; %bb.131:                              ;   in Loop: Header=BB19_17 Depth=1
	ds_read_b32 v2, v9 offset:4096
	s_waitcnt lgkmcnt(0)
	s_barrier
	v_readfirstlane_b32 s6, v2
	s_and_saveexec_b64 s[18:19], s[4:5]
	s_cbranch_execz .LBB19_133
; %bb.132:                              ;   in Loop: Header=BB19_17 Depth=1
	ds_write_b32 v25, v9
.LBB19_133:                             ;   in Loop: Header=BB19_17 Depth=1
	s_or_b64 exec, exec, s[18:19]
	s_lshl_b32 s7, 1, s47
	s_and_b32 s10, s79, s48
	s_or_b32 s79, s10, s7
	s_or_b32 s78, s78, s55
	s_cmp_gt_i32 s6, 0
	s_waitcnt lgkmcnt(0)
	s_barrier
	s_cbranch_scc1 .LBB19_143
; %bb.134:                              ;   in Loop: Header=BB19_17 Depth=1
	s_mov_b64 s[18:19], 0
                                        ; implicit-def: $vgpr19
	s_mov_b64 s[24:25], exec
	v_readlane_b32 s10, v50, 36
	v_readlane_b32 s11, v50, 37
	s_and_b64 s[10:11], s[24:25], s[10:11]
	s_mov_b64 exec, s[10:11]
	s_cbranch_execz .LBB19_145
; %bb.135:                              ;   in Loop: Header=BB19_17 Depth=1
	s_mov_b64 s[26:27], 0
	v_mov_b32_e32 v2, v6
	v_mov_b32_e32 v4, v0
                                        ; implicit-def: $sgpr28_sgpr29
	s_branch .LBB19_137
.LBB19_136:                             ;   in Loop: Header=BB19_137 Depth=2
	s_or_b64 exec, exec, s[18:19]
	s_waitcnt lgkmcnt(0)
	s_barrier
	ds_read_b64 v[18:19], v9 offset:3072
	v_add_u32_e32 v4, s66, v4
	v_cmp_le_i32_e32 vcc, s17, v4
	v_add_u32_e32 v2, s0, v2
	s_waitcnt lgkmcnt(0)
	v_readfirstlane_b32 s7, v18
	s_cmp_lg_u32 s7, 0
	s_cselect_b64 s[10:11], -1, 0
	s_or_b64 s[12:13], vcc, s[10:11]
	s_and_b64 s[12:13], exec, s[12:13]
	s_or_b64 s[26:27], s[12:13], s[26:27]
	s_andn2_b64 s[12:13], s[28:29], exec
	s_and_b64 s[10:11], s[10:11], exec
	s_or_b64 s[28:29], s[12:13], s[10:11]
	s_barrier
	s_andn2_b64 exec, exec, s[26:27]
	s_cbranch_execz .LBB19_144
.LBB19_137:                             ;   Parent Loop BB19_17 Depth=1
                                        ; =>  This Inner Loop Header: Depth=2
	v_cmp_gt_i32_e32 vcc, s60, v4
	s_waitcnt vmcnt(0)
	v_mov_b32_e32 v17, 0
	s_and_saveexec_b64 s[30:31], vcc
	s_cbranch_execz .LBB19_139
; %bb.138:                              ;   in Loop: Header=BB19_137 Depth=2
	v_ashrrev_i32_e32 v3, 31, v2
	v_lshlrev_b64 v[18:19], 2, v[2:3]
	v_mov_b32_e32 v3, s82
	v_add_co_u32_e64 v18, s[18:19], s64, v18
	v_addc_co_u32_e64 v19, s[18:19], v3, v19, s[18:19]
	global_load_dword v17, v[18:19], off
.LBB19_139:                             ;   in Loop: Header=BB19_137 Depth=2
	s_or_b64 exec, exec, s[30:31]
	s_and_saveexec_b64 s[18:19], vcc
	s_cbranch_execz .LBB19_136
; %bb.140:                              ;   in Loop: Header=BB19_137 Depth=2
	s_waitcnt vmcnt(0)
	v_xor_b32_e32 v3, 0x80000000, v17
	v_and_b32_e32 v3, s78, v3
	v_cmp_eq_u32_e32 vcc, s79, v3
	s_and_b64 exec, exec, vcc
	s_cbranch_execz .LBB19_136
; %bb.141:                              ;   in Loop: Header=BB19_137 Depth=2
	ds_write_b64 v9, v[16:17] offset:3072
	s_branch .LBB19_136
.LBB19_142:                             ;   in Loop: Header=BB19_17 Depth=1
                                        ; implicit-def: $sgpr26_sgpr27
                                        ; implicit-def: $sgpr28_sgpr29
                                        ; implicit-def: $sgpr24_sgpr25
	s_branch .LBB19_156
.LBB19_143:                             ;   in Loop: Header=BB19_17 Depth=1
	s_mov_b64 s[26:27], -1
	s_mov_b64 s[18:19], 0
                                        ; implicit-def: $sgpr24_sgpr25
                                        ; implicit-def: $vgpr19
	s_mov_b64 s[28:29], s[26:27]
	s_cbranch_execnz .LBB19_146
	s_branch .LBB19_156
.LBB19_144:                             ;   in Loop: Header=BB19_17 Depth=1
	s_or_b64 exec, exec, s[26:27]
	s_and_b64 s[18:19], s[28:29], exec
.LBB19_145:                             ;   in Loop: Header=BB19_17 Depth=1
	s_or_b64 exec, exec, s[24:25]
	s_mov_b64 s[24:25], -1
	s_mov_b64 s[26:27], 0
	s_mov_b64 s[28:29], s[26:27]
	s_branch .LBB19_156
.LBB19_146:                             ;   in Loop: Header=BB19_17 Depth=1
	v_readlane_b32 s7, v50, 8
	s_add_i32 s7, s6, s7
	s_abs_i32 s11, s7
	v_readlane_b32 s12, v50, 35
	s_mul_hi_u32 s12, s11, s12
	s_mul_i32 s12, s12, s66
	s_sub_i32 s11, s11, s12
	s_ashr_i32 s10, s7, 31
	s_sub_i32 s12, s11, s66
	s_cmp_ge_u32 s11, s66
	s_cselect_b32 s11, s12, s11
	s_sub_i32 s12, s11, s66
	s_cmp_ge_u32 s11, s66
	s_cselect_b32 s11, s12, s11
	s_xor_b32 s11, s11, s10
	s_sub_i32 s10, s10, s11
	s_add_i32 s7, s7, s10
	v_cmp_gt_i32_e32 vcc, s7, v0
	s_mov_b64 s[18:19], 0
                                        ; implicit-def: $vgpr19
	s_and_saveexec_b64 s[24:25], vcc
	s_cbranch_execz .LBB19_155
; %bb.147:                              ;   in Loop: Header=BB19_17 Depth=1
	v_mov_b32_e32 v2, v24
	v_mov_b32_e32 v3, v0
                                        ; implicit-def: $sgpr26_sgpr27
	s_branch .LBB19_149
.LBB19_148:                             ;   in Loop: Header=BB19_149 Depth=2
	s_or_b64 exec, exec, s[28:29]
	s_waitcnt lgkmcnt(0)
	s_barrier
	ds_read_b64 v[18:19], v9 offset:3072
	v_add_u32_e32 v3, s66, v3
	v_cmp_le_i32_e32 vcc, s7, v3
	v_add_u32_e32 v2, s83, v2
	s_waitcnt lgkmcnt(0)
	v_readfirstlane_b32 s10, v18
	s_cmp_lg_u32 s10, 0
	s_cselect_b64 s[10:11], -1, 0
	s_or_b64 s[12:13], vcc, s[10:11]
	s_and_b64 s[12:13], exec, s[12:13]
	s_or_b64 s[18:19], s[12:13], s[18:19]
	s_andn2_b64 s[12:13], s[26:27], exec
	s_and_b64 s[10:11], s[10:11], exec
	s_or_b64 s[26:27], s[12:13], s[10:11]
	s_barrier
	s_andn2_b64 exec, exec, s[18:19]
	s_cbranch_execz .LBB19_154
.LBB19_149:                             ;   Parent Loop BB19_17 Depth=1
                                        ; =>  This Inner Loop Header: Depth=2
	v_cmp_gt_i32_e32 vcc, s6, v3
	s_waitcnt vmcnt(0)
	v_mov_b32_e32 v17, 0
	s_and_saveexec_b64 s[28:29], vcc
	s_cbranch_execz .LBB19_151
; %bb.150:                              ;   in Loop: Header=BB19_149 Depth=2
	ds_read_b32 v17, v2
.LBB19_151:                             ;   in Loop: Header=BB19_149 Depth=2
	s_or_b64 exec, exec, s[28:29]
	s_and_saveexec_b64 s[28:29], vcc
	s_cbranch_execz .LBB19_148
; %bb.152:                              ;   in Loop: Header=BB19_149 Depth=2
	s_waitcnt lgkmcnt(0)
	v_xor_b32_e32 v4, 0x80000000, v17
	v_and_b32_e32 v4, s78, v4
	v_cmp_eq_u32_e32 vcc, s79, v4
	s_and_b64 exec, exec, vcc
	s_cbranch_execz .LBB19_148
; %bb.153:                              ;   in Loop: Header=BB19_149 Depth=2
	ds_write_b64 v9, v[16:17] offset:3072
	s_branch .LBB19_148
.LBB19_154:                             ;   in Loop: Header=BB19_17 Depth=1
	s_or_b64 exec, exec, s[18:19]
	s_and_b64 s[18:19], s[26:27], exec
.LBB19_155:                             ;   in Loop: Header=BB19_17 Depth=1
	s_or_b64 exec, exec, s[24:25]
	s_mov_b64 s[28:29], -1
	s_mov_b64 s[26:27], 0
	s_mov_b64 s[24:25], 0
.LBB19_156:                             ;   in Loop: Header=BB19_17 Depth=1
	s_mov_b64 s[36:37], 0
                                        ; implicit-def: $sgpr57
	s_and_saveexec_b64 s[30:31], s[18:19]
	s_cbranch_execz .LBB19_252
; %bb.157:                              ;   in Loop: Header=BB19_17 Depth=1
	s_xor_b64 s[6:7], s[34:35], -1
	s_mov_b64 s[18:19], 0
	s_andn2_b64 vcc, exec, s[6:7]
	s_mov_b32 s49, 1
	s_cbranch_vccnz .LBB19_168
; %bb.158:                              ;   in Loop: Header=BB19_17 Depth=1
	s_cmp_gt_i32 s39, s38
	s_mov_b64 s[18:19], -1
                                        ; implicit-def: $sgpr57
                                        ; implicit-def: $sgpr6
                                        ; implicit-def: $sgpr7
	s_cbranch_scc1 .LBB19_164
; %bb.159:                              ;   in Loop: Header=BB19_17 Depth=1
	ds_read_b32 v2, v9 offset:4096
	s_waitcnt lgkmcnt(0)
	v_cmp_ne_u32_e32 vcc, 0, v2
	s_cbranch_vccnz .LBB19_163
; %bb.160:                              ;   in Loop: Header=BB19_17 Depth=1
	s_mov_b64 s[18:19], exec
	v_readlane_b32 s6, v50, 5
	v_readlane_b32 s7, v50, 6
	s_and_b64 s[6:7], s[18:19], s[6:7]
	s_mov_b64 exec, s[6:7]
	s_cbranch_execz .LBB19_162
; %bb.161:                              ;   in Loop: Header=BB19_17 Depth=1
	v_mov_b32_e32 v2, s38
	ds_write_b32 v9, v2 offset:4100
.LBB19_162:                             ;   in Loop: Header=BB19_17 Depth=1
	s_or_b64 exec, exec, s[18:19]
	s_waitcnt lgkmcnt(0)
	s_barrier
.LBB19_163:                             ;   in Loop: Header=BB19_17 Depth=1
	s_lshl_b32 s6, 1, s47
	s_and_b32 s7, s79, s48
	s_or_b32 s6, s7, s6
	s_or_b32 s7, s78, s55
	s_mov_b64 s[18:19], 0
	s_mov_b32 s57, 8
.LBB19_164:                             ;   in Loop: Header=BB19_17 Depth=1
	s_andn2_b64 vcc, exec, s[18:19]
	s_cbranch_vccnz .LBB19_166
; %bb.165:                              ;   in Loop: Header=BB19_17 Depth=1
	s_sub_i32 s39, s39, s38
	s_mov_b64 s[18:19], -1
	s_mov_b32 s57, 0
	s_mov_b32 s6, s79
	;; [unrolled: 1-line block ×3, first 2 shown]
.LBB19_166:                             ;   in Loop: Header=BB19_17 Depth=1
	s_mov_b32 s78, s7
	s_mov_b32 s79, s6
	;; [unrolled: 1-line block ×3, first 2 shown]
	s_andn2_b64 vcc, exec, s[18:19]
	s_mov_b64 s[44:45], -1
	s_cbranch_vccz .LBB19_169
.LBB19_167:                             ;   in Loop: Header=BB19_17 Depth=1
                                        ; implicit-def: $sgpr36_sgpr37
                                        ; implicit-def: $sgpr38_sgpr39
                                        ; implicit-def: $sgpr34_sgpr35
	s_branch .LBB19_251
.LBB19_168:                             ;   in Loop: Header=BB19_17 Depth=1
	s_mov_b32 s57, 1
	s_andn2_b64 vcc, exec, s[18:19]
	s_mov_b64 s[44:45], -1
	s_cbranch_vccnz .LBB19_167
.LBB19_169:                             ;   in Loop: Header=BB19_17 Depth=1
	s_cmp_eq_u32 s46, 1
	s_cselect_b64 s[6:7], -1, 0
	s_cmp_eq_u32 s49, 1
	s_cselect_b64 s[10:11], -1, 0
	s_and_b64 s[42:43], s[6:7], s[10:11]
	s_mov_b64 s[18:19], -1
	s_and_b64 vcc, exec, s[42:43]
	s_cbranch_vccz .LBB19_181
; %bb.170:                              ;   in Loop: Header=BB19_17 Depth=1
	ds_read_b32 v2, v9 offset:4096
	s_waitcnt lgkmcnt(0)
	s_barrier
	v_readfirstlane_b32 s6, v2
	s_and_saveexec_b64 s[18:19], s[4:5]
	s_cbranch_execz .LBB19_172
; %bb.171:                              ;   in Loop: Header=BB19_17 Depth=1
	ds_write_b32 v25, v9
.LBB19_172:                             ;   in Loop: Header=BB19_17 Depth=1
	s_or_b64 exec, exec, s[18:19]
	s_lshl_b32 s7, 2, s47
	s_and_b32 s10, s79, s48
	s_or_b32 s79, s10, s7
	s_or_b32 s78, s78, s55
	s_cmp_gt_i32 s6, 0
	s_waitcnt lgkmcnt(0)
	s_barrier
	s_cbranch_scc1 .LBB19_182
; %bb.173:                              ;   in Loop: Header=BB19_17 Depth=1
	s_mov_b64 s[18:19], 0
                                        ; implicit-def: $vgpr19
	s_mov_b64 s[34:35], exec
	v_readlane_b32 s10, v50, 36
	v_readlane_b32 s11, v50, 37
	s_and_b64 s[10:11], s[34:35], s[10:11]
	s_mov_b64 exec, s[10:11]
	s_cbranch_execz .LBB19_184
; %bb.174:                              ;   in Loop: Header=BB19_17 Depth=1
	v_mov_b32_e32 v2, v6
	v_mov_b32_e32 v4, v0
                                        ; implicit-def: $sgpr38_sgpr39
	s_branch .LBB19_176
.LBB19_175:                             ;   in Loop: Header=BB19_176 Depth=2
	s_or_b64 exec, exec, s[18:19]
	s_waitcnt lgkmcnt(0)
	s_barrier
	ds_read_b64 v[18:19], v9 offset:3072
	v_add_u32_e32 v4, s66, v4
	v_cmp_le_i32_e32 vcc, s17, v4
	v_add_u32_e32 v2, s0, v2
	s_waitcnt lgkmcnt(0)
	v_readfirstlane_b32 s7, v18
	s_cmp_lg_u32 s7, 0
	s_cselect_b64 s[10:11], -1, 0
	s_or_b64 s[12:13], vcc, s[10:11]
	s_and_b64 s[12:13], exec, s[12:13]
	s_or_b64 s[36:37], s[12:13], s[36:37]
	s_andn2_b64 s[12:13], s[38:39], exec
	s_and_b64 s[10:11], s[10:11], exec
	s_or_b64 s[38:39], s[12:13], s[10:11]
	s_barrier
	s_andn2_b64 exec, exec, s[36:37]
	s_cbranch_execz .LBB19_183
.LBB19_176:                             ;   Parent Loop BB19_17 Depth=1
                                        ; =>  This Inner Loop Header: Depth=2
	v_cmp_gt_i32_e32 vcc, s60, v4
	s_waitcnt vmcnt(0)
	v_mov_b32_e32 v17, 0
	s_and_saveexec_b64 s[40:41], vcc
	s_cbranch_execz .LBB19_178
; %bb.177:                              ;   in Loop: Header=BB19_176 Depth=2
	v_ashrrev_i32_e32 v3, 31, v2
	v_lshlrev_b64 v[18:19], 2, v[2:3]
	v_mov_b32_e32 v3, s82
	v_add_co_u32_e64 v18, s[18:19], s64, v18
	v_addc_co_u32_e64 v19, s[18:19], v3, v19, s[18:19]
	global_load_dword v17, v[18:19], off
.LBB19_178:                             ;   in Loop: Header=BB19_176 Depth=2
	s_or_b64 exec, exec, s[40:41]
	s_and_saveexec_b64 s[18:19], vcc
	s_cbranch_execz .LBB19_175
; %bb.179:                              ;   in Loop: Header=BB19_176 Depth=2
	s_waitcnt vmcnt(0)
	v_xor_b32_e32 v3, 0x80000000, v17
	v_and_b32_e32 v3, s78, v3
	v_cmp_eq_u32_e32 vcc, s79, v3
	s_and_b64 exec, exec, vcc
	s_cbranch_execz .LBB19_175
; %bb.180:                              ;   in Loop: Header=BB19_176 Depth=2
	ds_write_b64 v9, v[16:17] offset:3072
	s_branch .LBB19_175
.LBB19_181:                             ;   in Loop: Header=BB19_17 Depth=1
                                        ; implicit-def: $sgpr34_sgpr35
                                        ; implicit-def: $sgpr38_sgpr39
                                        ; implicit-def: $sgpr36_sgpr37
	s_branch .LBB19_195
.LBB19_182:                             ;   in Loop: Header=BB19_17 Depth=1
	s_mov_b64 s[34:35], -1
	s_mov_b64 s[18:19], 0
                                        ; implicit-def: $sgpr36_sgpr37
                                        ; implicit-def: $vgpr19
	s_mov_b64 s[38:39], s[34:35]
	s_cbranch_execnz .LBB19_185
	s_branch .LBB19_195
.LBB19_183:                             ;   in Loop: Header=BB19_17 Depth=1
	s_or_b64 exec, exec, s[36:37]
	s_and_b64 s[18:19], s[38:39], exec
.LBB19_184:                             ;   in Loop: Header=BB19_17 Depth=1
	s_or_b64 exec, exec, s[34:35]
	s_mov_b64 s[36:37], -1
	s_mov_b64 s[34:35], 0
	s_mov_b64 s[38:39], s[34:35]
	s_branch .LBB19_195
.LBB19_185:                             ;   in Loop: Header=BB19_17 Depth=1
	v_readlane_b32 s7, v50, 8
	s_add_i32 s7, s6, s7
	s_abs_i32 s11, s7
	v_readlane_b32 s12, v50, 35
	s_mul_hi_u32 s12, s11, s12
	s_mul_i32 s12, s12, s66
	s_sub_i32 s11, s11, s12
	s_ashr_i32 s10, s7, 31
	s_sub_i32 s12, s11, s66
	s_cmp_ge_u32 s11, s66
	s_cselect_b32 s11, s12, s11
	s_sub_i32 s12, s11, s66
	s_cmp_ge_u32 s11, s66
	s_cselect_b32 s11, s12, s11
	s_xor_b32 s11, s11, s10
	s_sub_i32 s10, s10, s11
	s_add_i32 s7, s7, s10
	v_cmp_gt_i32_e32 vcc, s7, v0
	s_mov_b64 s[18:19], 0
                                        ; implicit-def: $vgpr19
	s_and_saveexec_b64 s[34:35], vcc
	s_cbranch_execz .LBB19_194
; %bb.186:                              ;   in Loop: Header=BB19_17 Depth=1
	v_mov_b32_e32 v2, v24
	v_mov_b32_e32 v3, v0
                                        ; implicit-def: $sgpr36_sgpr37
	s_branch .LBB19_188
.LBB19_187:                             ;   in Loop: Header=BB19_188 Depth=2
	s_or_b64 exec, exec, s[38:39]
	s_waitcnt lgkmcnt(0)
	s_barrier
	ds_read_b64 v[18:19], v9 offset:3072
	v_add_u32_e32 v3, s66, v3
	v_cmp_le_i32_e32 vcc, s7, v3
	v_add_u32_e32 v2, s83, v2
	s_waitcnt lgkmcnt(0)
	v_readfirstlane_b32 s10, v18
	s_cmp_lg_u32 s10, 0
	s_cselect_b64 s[10:11], -1, 0
	s_or_b64 s[12:13], vcc, s[10:11]
	s_and_b64 s[12:13], exec, s[12:13]
	s_or_b64 s[18:19], s[12:13], s[18:19]
	s_andn2_b64 s[12:13], s[36:37], exec
	s_and_b64 s[10:11], s[10:11], exec
	s_or_b64 s[36:37], s[12:13], s[10:11]
	s_barrier
	s_andn2_b64 exec, exec, s[18:19]
	s_cbranch_execz .LBB19_193
.LBB19_188:                             ;   Parent Loop BB19_17 Depth=1
                                        ; =>  This Inner Loop Header: Depth=2
	v_cmp_gt_i32_e32 vcc, s6, v3
	s_waitcnt vmcnt(0)
	v_mov_b32_e32 v17, 0
	s_and_saveexec_b64 s[38:39], vcc
	s_cbranch_execz .LBB19_190
; %bb.189:                              ;   in Loop: Header=BB19_188 Depth=2
	ds_read_b32 v17, v2
.LBB19_190:                             ;   in Loop: Header=BB19_188 Depth=2
	s_or_b64 exec, exec, s[38:39]
	s_and_saveexec_b64 s[38:39], vcc
	s_cbranch_execz .LBB19_187
; %bb.191:                              ;   in Loop: Header=BB19_188 Depth=2
	s_waitcnt lgkmcnt(0)
	v_xor_b32_e32 v4, 0x80000000, v17
	v_and_b32_e32 v4, s78, v4
	v_cmp_eq_u32_e32 vcc, s79, v4
	s_and_b64 exec, exec, vcc
	s_cbranch_execz .LBB19_187
; %bb.192:                              ;   in Loop: Header=BB19_188 Depth=2
	ds_write_b64 v9, v[16:17] offset:3072
	s_branch .LBB19_187
.LBB19_193:                             ;   in Loop: Header=BB19_17 Depth=1
	s_or_b64 exec, exec, s[18:19]
	s_and_b64 s[18:19], s[36:37], exec
.LBB19_194:                             ;   in Loop: Header=BB19_17 Depth=1
	s_or_b64 exec, exec, s[34:35]
	s_mov_b64 s[38:39], -1
	s_mov_b64 s[34:35], 0
	s_mov_b64 s[36:37], 0
.LBB19_195:                             ;   in Loop: Header=BB19_17 Depth=1
	s_mov_b64 s[44:45], 0
                                        ; implicit-def: $sgpr57
	s_and_saveexec_b64 s[40:41], s[18:19]
	s_cbranch_execz .LBB19_250
; %bb.196:                              ;   in Loop: Header=BB19_17 Depth=1
	s_xor_b64 s[6:7], s[42:43], -1
	s_mov_b64 s[18:19], 0
	s_andn2_b64 vcc, exec, s[6:7]
	s_mov_b32 s56, 1
	s_cbranch_vccnz .LBB19_207
; %bb.197:                              ;   in Loop: Header=BB19_17 Depth=1
	s_cmp_gt_i32 s49, s46
	s_mov_b64 s[18:19], -1
                                        ; implicit-def: $sgpr57
                                        ; implicit-def: $sgpr6
                                        ; implicit-def: $sgpr7
	s_cbranch_scc1 .LBB19_203
; %bb.198:                              ;   in Loop: Header=BB19_17 Depth=1
	ds_read_b32 v2, v9 offset:4096
	s_waitcnt lgkmcnt(0)
	v_cmp_ne_u32_e32 vcc, 0, v2
	s_cbranch_vccnz .LBB19_202
; %bb.199:                              ;   in Loop: Header=BB19_17 Depth=1
	s_mov_b64 s[18:19], exec
	v_readlane_b32 s6, v50, 5
	v_readlane_b32 s7, v50, 6
	s_and_b64 s[6:7], s[18:19], s[6:7]
	s_mov_b64 exec, s[6:7]
	s_cbranch_execz .LBB19_201
; %bb.200:                              ;   in Loop: Header=BB19_17 Depth=1
	v_mov_b32_e32 v2, s46
	ds_write_b32 v9, v2 offset:4100
.LBB19_201:                             ;   in Loop: Header=BB19_17 Depth=1
	s_or_b64 exec, exec, s[18:19]
	s_waitcnt lgkmcnt(0)
	s_barrier
.LBB19_202:                             ;   in Loop: Header=BB19_17 Depth=1
	s_lshl_b32 s6, 2, s47
	s_and_b32 s7, s79, s48
	s_or_b32 s6, s7, s6
	s_or_b32 s7, s78, s55
	s_mov_b64 s[18:19], 0
	s_mov_b32 s57, 8
.LBB19_203:                             ;   in Loop: Header=BB19_17 Depth=1
	s_andn2_b64 vcc, exec, s[18:19]
	s_cbranch_vccnz .LBB19_205
; %bb.204:                              ;   in Loop: Header=BB19_17 Depth=1
	s_sub_i32 s49, s49, s46
	s_mov_b64 s[18:19], -1
	s_mov_b32 s57, 0
	s_mov_b32 s6, s79
	;; [unrolled: 1-line block ×3, first 2 shown]
.LBB19_205:                             ;   in Loop: Header=BB19_17 Depth=1
	s_mov_b32 s78, s7
	s_mov_b32 s79, s6
	;; [unrolled: 1-line block ×3, first 2 shown]
	s_andn2_b64 vcc, exec, s[18:19]
	s_mov_b64 s[52:53], -1
	s_cbranch_vccz .LBB19_208
.LBB19_206:                             ;   in Loop: Header=BB19_17 Depth=1
                                        ; implicit-def: $sgpr18_sgpr19
                                        ; implicit-def: $sgpr46_sgpr47
                                        ; implicit-def: $sgpr44_sgpr45
	s_branch .LBB19_249
.LBB19_207:                             ;   in Loop: Header=BB19_17 Depth=1
	s_mov_b32 s57, 1
	s_andn2_b64 vcc, exec, s[18:19]
	s_mov_b64 s[52:53], -1
	s_cbranch_vccnz .LBB19_206
.LBB19_208:                             ;   in Loop: Header=BB19_17 Depth=1
	s_cmp_eq_u32 s54, 1
	s_cselect_b64 s[6:7], -1, 0
	s_cmp_eq_u32 s56, 1
	s_cselect_b64 s[10:11], -1, 0
	s_and_b64 s[42:43], s[6:7], s[10:11]
	s_mov_b64 s[48:49], -1
	s_and_b64 vcc, exec, s[42:43]
	s_cbranch_vccz .LBB19_220
; %bb.209:                              ;   in Loop: Header=BB19_17 Depth=1
	ds_read_b32 v2, v9 offset:4096
	s_waitcnt lgkmcnt(0)
	s_barrier
	v_readfirstlane_b32 s6, v2
	s_and_saveexec_b64 s[18:19], s[4:5]
	s_cbranch_execz .LBB19_211
; %bb.210:                              ;   in Loop: Header=BB19_17 Depth=1
	ds_write_b32 v25, v9
.LBB19_211:                             ;   in Loop: Header=BB19_17 Depth=1
	s_or_b64 exec, exec, s[18:19]
	s_or_b32 s79, s79, s55
	s_or_b32 s78, s78, s55
	s_cmp_gt_i32 s6, 0
	s_waitcnt lgkmcnt(0)
	s_barrier
	s_cbranch_scc1 .LBB19_221
; %bb.212:                              ;   in Loop: Header=BB19_17 Depth=1
	s_mov_b64 s[48:49], 0
                                        ; implicit-def: $vgpr19
	s_mov_b64 s[44:45], exec
	v_readlane_b32 s10, v50, 36
	v_readlane_b32 s11, v50, 37
	s_and_b64 s[10:11], s[44:45], s[10:11]
	s_mov_b64 exec, s[10:11]
	s_cbranch_execz .LBB19_223
; %bb.213:                              ;   in Loop: Header=BB19_17 Depth=1
	s_mov_b64 s[46:47], 0
	v_mov_b32_e32 v2, v6
	v_mov_b32_e32 v4, v0
                                        ; implicit-def: $sgpr48_sgpr49
	s_branch .LBB19_215
.LBB19_214:                             ;   in Loop: Header=BB19_215 Depth=2
	s_or_b64 exec, exec, s[18:19]
	s_waitcnt lgkmcnt(0)
	s_barrier
	ds_read_b64 v[18:19], v9 offset:3072
	v_add_u32_e32 v4, s66, v4
	v_cmp_le_i32_e32 vcc, s17, v4
	v_add_u32_e32 v2, s0, v2
	s_waitcnt lgkmcnt(0)
	v_readfirstlane_b32 s7, v18
	s_cmp_lg_u32 s7, 0
	s_cselect_b64 s[10:11], -1, 0
	s_or_b64 s[12:13], vcc, s[10:11]
	s_and_b64 s[12:13], exec, s[12:13]
	s_or_b64 s[46:47], s[12:13], s[46:47]
	s_andn2_b64 s[12:13], s[48:49], exec
	s_and_b64 s[10:11], s[10:11], exec
	s_or_b64 s[48:49], s[12:13], s[10:11]
	s_barrier
	s_andn2_b64 exec, exec, s[46:47]
	s_cbranch_execz .LBB19_222
.LBB19_215:                             ;   Parent Loop BB19_17 Depth=1
                                        ; =>  This Inner Loop Header: Depth=2
	v_cmp_gt_i32_e32 vcc, s60, v4
	s_waitcnt vmcnt(0)
	v_mov_b32_e32 v17, 0
	s_and_saveexec_b64 s[50:51], vcc
	s_cbranch_execz .LBB19_217
; %bb.216:                              ;   in Loop: Header=BB19_215 Depth=2
	v_ashrrev_i32_e32 v3, 31, v2
	v_lshlrev_b64 v[18:19], 2, v[2:3]
	v_mov_b32_e32 v3, s82
	v_add_co_u32_e64 v18, s[18:19], s64, v18
	v_addc_co_u32_e64 v19, s[18:19], v3, v19, s[18:19]
	global_load_dword v17, v[18:19], off
.LBB19_217:                             ;   in Loop: Header=BB19_215 Depth=2
	s_or_b64 exec, exec, s[50:51]
	s_and_saveexec_b64 s[18:19], vcc
	s_cbranch_execz .LBB19_214
; %bb.218:                              ;   in Loop: Header=BB19_215 Depth=2
	s_waitcnt vmcnt(0)
	v_xor_b32_e32 v3, 0x80000000, v17
	v_and_b32_e32 v3, s78, v3
	v_cmp_eq_u32_e32 vcc, s79, v3
	s_and_b64 exec, exec, vcc
	s_cbranch_execz .LBB19_214
; %bb.219:                              ;   in Loop: Header=BB19_215 Depth=2
	ds_write_b64 v9, v[16:17] offset:3072
	s_branch .LBB19_214
.LBB19_220:                             ;   in Loop: Header=BB19_17 Depth=1
                                        ; implicit-def: $sgpr18_sgpr19
                                        ; implicit-def: $sgpr46_sgpr47
                                        ; implicit-def: $sgpr44_sgpr45
	s_branch .LBB19_234
.LBB19_221:                             ;   in Loop: Header=BB19_17 Depth=1
	s_mov_b64 s[18:19], -1
	s_mov_b64 s[48:49], 0
                                        ; implicit-def: $sgpr44_sgpr45
                                        ; implicit-def: $vgpr19
	s_mov_b64 s[46:47], s[18:19]
	s_cbranch_execnz .LBB19_224
	s_branch .LBB19_234
.LBB19_222:                             ;   in Loop: Header=BB19_17 Depth=1
	s_or_b64 exec, exec, s[46:47]
	s_and_b64 s[48:49], s[48:49], exec
.LBB19_223:                             ;   in Loop: Header=BB19_17 Depth=1
	s_or_b64 exec, exec, s[44:45]
	s_mov_b64 s[44:45], -1
	s_mov_b64 s[18:19], 0
	s_mov_b64 s[46:47], s[18:19]
	s_branch .LBB19_234
.LBB19_224:                             ;   in Loop: Header=BB19_17 Depth=1
	v_readlane_b32 s7, v50, 8
	s_add_i32 s7, s6, s7
	s_abs_i32 s11, s7
	v_readlane_b32 s12, v50, 35
	s_mul_hi_u32 s12, s11, s12
	s_mul_i32 s12, s12, s66
	s_sub_i32 s11, s11, s12
	s_ashr_i32 s10, s7, 31
	s_sub_i32 s12, s11, s66
	s_cmp_ge_u32 s11, s66
	s_cselect_b32 s11, s12, s11
	s_sub_i32 s12, s11, s66
	s_cmp_ge_u32 s11, s66
	s_cselect_b32 s11, s12, s11
	s_xor_b32 s11, s11, s10
	s_sub_i32 s10, s10, s11
	s_add_i32 s7, s7, s10
	v_cmp_gt_i32_e32 vcc, s7, v0
	s_mov_b64 s[48:49], 0
                                        ; implicit-def: $vgpr19
	s_and_saveexec_b64 s[18:19], vcc
	s_cbranch_execz .LBB19_233
; %bb.225:                              ;   in Loop: Header=BB19_17 Depth=1
	s_mov_b64 s[44:45], 0
	v_mov_b32_e32 v2, v24
	v_mov_b32_e32 v3, v0
                                        ; implicit-def: $sgpr46_sgpr47
	s_branch .LBB19_227
.LBB19_226:                             ;   in Loop: Header=BB19_227 Depth=2
	s_or_b64 exec, exec, s[48:49]
	s_waitcnt lgkmcnt(0)
	s_barrier
	ds_read_b64 v[18:19], v9 offset:3072
	v_add_u32_e32 v3, s66, v3
	v_cmp_le_i32_e32 vcc, s7, v3
	v_add_u32_e32 v2, s83, v2
	s_waitcnt lgkmcnt(0)
	v_readfirstlane_b32 s10, v18
	s_cmp_lg_u32 s10, 0
	s_cselect_b64 s[10:11], -1, 0
	s_or_b64 s[12:13], vcc, s[10:11]
	s_and_b64 s[12:13], exec, s[12:13]
	s_or_b64 s[44:45], s[12:13], s[44:45]
	s_andn2_b64 s[12:13], s[46:47], exec
	s_and_b64 s[10:11], s[10:11], exec
	s_or_b64 s[46:47], s[12:13], s[10:11]
	s_barrier
	s_andn2_b64 exec, exec, s[44:45]
	s_cbranch_execz .LBB19_232
.LBB19_227:                             ;   Parent Loop BB19_17 Depth=1
                                        ; =>  This Inner Loop Header: Depth=2
	v_cmp_gt_i32_e32 vcc, s6, v3
	s_waitcnt vmcnt(0)
	v_mov_b32_e32 v17, 0
	s_and_saveexec_b64 s[48:49], vcc
	s_cbranch_execz .LBB19_229
; %bb.228:                              ;   in Loop: Header=BB19_227 Depth=2
	ds_read_b32 v17, v2
.LBB19_229:                             ;   in Loop: Header=BB19_227 Depth=2
	s_or_b64 exec, exec, s[48:49]
	s_and_saveexec_b64 s[48:49], vcc
	s_cbranch_execz .LBB19_226
; %bb.230:                              ;   in Loop: Header=BB19_227 Depth=2
	s_waitcnt lgkmcnt(0)
	v_xor_b32_e32 v4, 0x80000000, v17
	v_and_b32_e32 v4, s78, v4
	v_cmp_eq_u32_e32 vcc, s79, v4
	s_and_b64 exec, exec, vcc
	s_cbranch_execz .LBB19_226
; %bb.231:                              ;   in Loop: Header=BB19_227 Depth=2
	ds_write_b64 v9, v[16:17] offset:3072
	s_branch .LBB19_226
.LBB19_232:                             ;   in Loop: Header=BB19_17 Depth=1
	s_or_b64 exec, exec, s[44:45]
	s_and_b64 s[48:49], s[46:47], exec
.LBB19_233:                             ;   in Loop: Header=BB19_17 Depth=1
	s_or_b64 exec, exec, s[18:19]
	s_mov_b64 s[46:47], -1
	s_mov_b64 s[18:19], 0
	s_mov_b64 s[44:45], 0
.LBB19_234:                             ;   in Loop: Header=BB19_17 Depth=1
	s_mov_b64 s[52:53], 0
                                        ; implicit-def: $sgpr57
	s_and_saveexec_b64 s[50:51], s[48:49]
	s_cbranch_execz .LBB19_248
; %bb.235:                              ;   in Loop: Header=BB19_17 Depth=1
	s_xor_b64 s[6:7], s[42:43], -1
	s_andn2_b64 vcc, exec, s[6:7]
	s_mov_b32 s57, 1
	s_cbranch_vccnz .LBB19_242
; %bb.236:                              ;   in Loop: Header=BB19_17 Depth=1
	s_cmp_gt_i32 s56, s54
	s_cbranch_scc1 .LBB19_243
; %bb.237:                              ;   in Loop: Header=BB19_17 Depth=1
	ds_read_b32 v2, v9 offset:4096
	s_waitcnt lgkmcnt(0)
	v_cmp_ne_u32_e32 vcc, 0, v2
	s_cbranch_vccnz .LBB19_241
; %bb.238:                              ;   in Loop: Header=BB19_17 Depth=1
	s_mov_b64 s[42:43], exec
	v_readlane_b32 s6, v50, 5
	v_readlane_b32 s7, v50, 6
	s_and_b64 s[6:7], s[42:43], s[6:7]
	s_mov_b64 exec, s[6:7]
	s_cbranch_execz .LBB19_240
; %bb.239:                              ;   in Loop: Header=BB19_17 Depth=1
	v_mov_b32_e32 v2, s54
	ds_write_b32 v9, v2 offset:4100
.LBB19_240:                             ;   in Loop: Header=BB19_17 Depth=1
	s_or_b64 exec, exec, s[42:43]
	s_waitcnt lgkmcnt(0)
	s_barrier
.LBB19_241:                             ;   in Loop: Header=BB19_17 Depth=1
	s_or_b32 s6, s79, s55
	s_or_b32 s7, s78, s55
	s_mov_b64 s[42:43], 0
	s_mov_b32 s57, 8
	s_branch .LBB19_244
.LBB19_242:                             ;   in Loop: Header=BB19_17 Depth=1
	s_mov_b32 s56, 1
	s_branch .LBB19_247
.LBB19_243:                             ;   in Loop: Header=BB19_17 Depth=1
	s_mov_b64 s[42:43], -1
                                        ; implicit-def: $sgpr57
                                        ; implicit-def: $sgpr6
                                        ; implicit-def: $sgpr7
.LBB19_244:                             ;   in Loop: Header=BB19_17 Depth=1
	s_andn2_b64 vcc, exec, s[42:43]
	s_cbranch_vccnz .LBB19_246
; %bb.245:                              ;   in Loop: Header=BB19_17 Depth=1
	s_sub_i32 s56, s56, s54
	s_mov_b32 s57, 8
	s_mov_b32 s6, s79
	;; [unrolled: 1-line block ×3, first 2 shown]
.LBB19_246:                             ;   in Loop: Header=BB19_17 Depth=1
	s_mov_b32 s79, s6
	s_mov_b32 s78, s7
.LBB19_247:                             ;   in Loop: Header=BB19_17 Depth=1
	s_mov_b64 s[52:53], exec
.LBB19_248:                             ;   in Loop: Header=BB19_17 Depth=1
	s_or_b64 exec, exec, s[50:51]
.LBB19_249:                             ;   in Loop: Header=BB19_17 Depth=1
	s_andn2_b64 s[6:7], s[34:35], exec
	s_and_b64 s[10:11], s[18:19], exec
	s_or_b64 s[34:35], s[6:7], s[10:11]
	s_andn2_b64 s[6:7], s[38:39], exec
	s_and_b64 s[10:11], s[46:47], exec
	s_or_b64 s[38:39], s[6:7], s[10:11]
	;; [unrolled: 3-line block ×3, first 2 shown]
	s_and_b64 s[44:45], s[52:53], exec
	s_mov_b32 s49, s56
.LBB19_250:                             ;   in Loop: Header=BB19_17 Depth=1
	s_or_b64 exec, exec, s[40:41]
.LBB19_251:                             ;   in Loop: Header=BB19_17 Depth=1
	s_andn2_b64 s[6:7], s[26:27], exec
	s_and_b64 s[10:11], s[34:35], exec
	s_or_b64 s[26:27], s[6:7], s[10:11]
	s_andn2_b64 s[6:7], s[28:29], exec
	s_and_b64 s[10:11], s[38:39], exec
	s_or_b64 s[28:29], s[6:7], s[10:11]
	;; [unrolled: 3-line block ×3, first 2 shown]
	s_and_b64 s[36:37], s[44:45], exec
	s_mov_b32 s39, s49
.LBB19_252:                             ;   in Loop: Header=BB19_17 Depth=1
	s_or_b64 exec, exec, s[30:31]
	s_and_saveexec_b64 s[6:7], s[36:37]
	s_xor_b64 s[18:19], exec, s[6:7]
	s_cbranch_execz .LBB19_15
.LBB19_253:                             ;   in Loop: Header=BB19_17 Depth=1
	s_and_b32 s6, s57, -9
	s_cmp_eq_u32 s6, 0
	s_cbranch_scc1 .LBB19_13
; %bb.254:                              ;   in Loop: Header=BB19_17 Depth=1
	s_mov_b64 s[22:23], -1
                                        ; implicit-def: $sgpr78
                                        ; implicit-def: $sgpr39
                                        ; implicit-def: $sgpr76
                                        ; implicit-def: $sgpr77
	s_mov_b64 s[30:31], -1
	s_branch .LBB19_14
.LBB19_255:
	s_or_b64 exec, exec, s[90:91]
	s_xor_b64 s[8:9], s[68:69], -1
	s_xor_b64 s[2:3], s[92:93], -1
	;; [unrolled: 1-line block ×3, first 2 shown]
	s_mov_b64 s[4:5], 0
	s_and_saveexec_b64 s[10:11], s[2:3]
	s_xor_b64 s[2:3], exec, s[10:11]
	s_cbranch_execnz .LBB19_260
; %bb.256:
	s_andn2_saveexec_b64 s[0:1], s[2:3]
	s_cbranch_execnz .LBB19_280
.LBB19_257:
	s_or_b64 exec, exec, s[0:1]
	s_and_saveexec_b64 s[0:1], s[4:5]
.LBB19_258:
	; divergent unreachable
.LBB19_259:
	s_endpgm
.LBB19_260:
	s_and_saveexec_b64 s[4:5], s[8:9]
	s_xor_b64 s[4:5], exec, s[4:5]
	s_cbranch_execz .LBB19_278
; %bb.261:
	s_and_saveexec_b64 s[8:9], s[6:7]
	s_xor_b64 s[6:7], exec, s[8:9]
; %bb.262:
	v_xor_b32_e32 v19, 0x80000000, v2
; %bb.263:
	s_or_b64 exec, exec, s[6:7]
	s_mov_b64 s[6:7], exec
	v_readlane_b32 s8, v50, 5
	v_readlane_b32 s9, v50, 6
	s_and_b64 s[8:9], s[6:7], s[8:9]
	s_mov_b64 exec, s[8:9]
	s_cbranch_execz .LBB19_265
; %bb.264:
	v_mov_b32_e32 v1, 0
	v_mov_b32_e32 v2, s60
	ds_write_b32 v1, v2 offset:4108
.LBB19_265:
	s_or_b64 exec, exec, s[6:7]
	v_mov_b32_e32 v1, 0
	s_waitcnt lgkmcnt(0)
	s_barrier
	ds_read_b32 v1, v1 offset:4108
	s_waitcnt lgkmcnt(0)
	v_min_i32_e32 v1, s60, v1
	v_cmp_lt_i32_e32 vcc, v0, v1
	s_and_saveexec_b64 s[6:7], vcc
	s_cbranch_execz .LBB19_275
; %bb.266:
	s_mov_b64 s[8:9], 0
	v_mov_b32_e32 v3, s82
                                        ; implicit-def: $sgpr10_sgpr11
                                        ; implicit-def: $sgpr14_sgpr15
                                        ; implicit-def: $sgpr12_sgpr13
	s_branch .LBB19_268
.LBB19_267:                             ;   in Loop: Header=BB19_268 Depth=1
	s_or_b64 exec, exec, s[16:17]
	s_and_b64 s[16:17], exec, s[14:15]
	s_or_b64 s[8:9], s[16:17], s[8:9]
	s_andn2_b64 s[10:11], s[10:11], exec
	s_and_b64 s[16:17], s[12:13], exec
	s_or_b64 s[10:11], s[10:11], s[16:17]
	s_andn2_b64 exec, exec, s[8:9]
	s_cbranch_execz .LBB19_270
.LBB19_268:                             ; =>This Inner Loop Header: Depth=1
	v_ashrrev_i32_e32 v7, 31, v6
	v_lshlrev_b64 v[4:5], 2, v[6:7]
	v_add_co_u32_e32 v4, vcc, s64, v4
	v_addc_co_u32_e32 v5, vcc, v3, v5, vcc
	global_load_dword v4, v[4:5], off
	v_mov_b32_e32 v2, v0
	s_or_b64 s[12:13], s[12:13], exec
	s_or_b64 s[14:15], s[14:15], exec
                                        ; implicit-def: $vgpr0
	s_waitcnt vmcnt(0)
	v_cmp_ne_u32_e32 vcc, v4, v19
	s_and_saveexec_b64 s[16:17], vcc
	s_cbranch_execz .LBB19_267
; %bb.269:                              ;   in Loop: Header=BB19_268 Depth=1
	v_add_u32_e32 v0, s66, v2
	v_cmp_ge_i32_e32 vcc, v0, v1
	s_andn2_b64 s[14:15], s[14:15], exec
	s_and_b64 s[18:19], vcc, exec
	v_add_u32_e32 v6, s0, v6
	s_andn2_b64 s[12:13], s[12:13], exec
	s_or_b64 s[14:15], s[14:15], s[18:19]
	s_branch .LBB19_267
.LBB19_270:
	s_or_b64 exec, exec, s[8:9]
	s_and_saveexec_b64 s[0:1], s[10:11]
	s_xor_b64 s[0:1], exec, s[0:1]
	s_cbranch_execz .LBB19_275
; %bb.271:
	s_mov_b64 s[8:9], exec
	s_brev_b32 s0, -2
.LBB19_272:                             ; =>This Inner Loop Header: Depth=1
	s_ff1_i32_b64 s1, s[8:9]
	v_readlane_b32 s12, v2, s1
	s_lshl_b64 s[10:11], 1, s1
	s_min_i32 s0, s0, s12
	s_andn2_b64 s[8:9], s[8:9], s[10:11]
	s_cmp_lg_u64 s[8:9], 0
	s_cbranch_scc1 .LBB19_272
; %bb.273:
	v_mbcnt_lo_u32_b32 v0, exec_lo, 0
	v_mbcnt_hi_u32_b32 v0, exec_hi, v0
	v_cmp_eq_u32_e32 vcc, 0, v0
	s_and_saveexec_b64 s[8:9], vcc
	s_xor_b64 s[8:9], exec, s[8:9]
	s_cbranch_execz .LBB19_275
; %bb.274:
	v_mov_b32_e32 v0, 0
	v_mov_b32_e32 v1, s0
	ds_min_i32 v0, v1 offset:4108
.LBB19_275:
	s_or_b64 exec, exec, s[6:7]
	s_waitcnt lgkmcnt(0)
	s_barrier
	s_mov_b64 s[6:7], exec
	v_readlane_b32 s0, v50, 5
	v_readlane_b32 s1, v50, 6
	s_and_b64 s[0:1], s[6:7], s[0:1]
	s_mov_b64 exec, s[0:1]
	s_cbranch_execz .LBB19_277
; %bb.276:
	v_readlane_b32 s0, v50, 0
	s_mul_i32 s0, s0, s62
	v_readlane_b32 s1, v50, 7
	s_add_i32 s0, s0, s65
	s_mul_i32 s1, s1, s33
	s_add_i32 s8, s1, s67
	s_ashr_i32 s1, s0, 31
	v_mov_b32_e32 v2, 0
	s_lshl_b64 s[0:1], s[0:1], 2
	v_readlane_b32 s10, v50, 1
	ds_read_b32 v0, v2 offset:4108
	v_readlane_b32 s11, v50, 2
	s_add_u32 s0, s10, s0
	s_addc_u32 s1, s11, s1
	s_ashr_i32 s9, s8, 31
	s_lshl_b64 s[8:9], s[8:9], 3
	v_readlane_b32 s10, v50, 3
	v_readlane_b32 s11, v50, 4
	s_add_u32 s8, s10, s8
	s_addc_u32 s9, s11, s9
	s_waitcnt lgkmcnt(0)
	v_ashrrev_i32_e32 v1, 31, v0
	global_store_dwordx2 v2, v[0:1], s[8:9]
	global_store_dword v2, v19, s[0:1]
.LBB19_277:
	s_or_b64 exec, exec, s[6:7]
.LBB19_278:
	s_or_saveexec_b64 s[0:1], s[4:5]
	s_mov_b64 s[4:5], 0
	s_xor_b64 exec, exec, s[0:1]
	s_cbranch_execnz .LBB19_281
.LBB19_279:
	s_or_b64 exec, exec, s[0:1]
	s_and_b64 s[4:5], s[4:5], exec
	s_andn2_saveexec_b64 s[0:1], s[2:3]
	s_cbranch_execz .LBB19_257
.LBB19_280:
	s_or_b64 s[4:5], s[4:5], exec
	s_trap 2
	s_or_b64 exec, exec, s[0:1]
	s_and_saveexec_b64 s[0:1], s[4:5]
	s_cbranch_execnz .LBB19_258
	s_branch .LBB19_259
.LBB19_281:
	s_mov_b64 s[4:5], exec
	s_trap 2
	s_branch .LBB19_279
	.section	.rodata,"a",@progbits
	.p2align	6, 0x0
	.amdhsa_kernel _ZN2at6native12_GLOBAL__N_114gatherKthValueIiiLin1EEEvNS_4cuda6detail10TensorInfoIKT_T0_EES8_S8_S8_S8_NS5_IS6_S8_EENS5_IlS8_EE
		.amdhsa_group_segment_fixed_size 4112
		.amdhsa_private_segment_fixed_size 0
		.amdhsa_kernarg_size 920
		.amdhsa_user_sgpr_count 6
		.amdhsa_user_sgpr_private_segment_buffer 1
		.amdhsa_user_sgpr_dispatch_ptr 0
		.amdhsa_user_sgpr_queue_ptr 0
		.amdhsa_user_sgpr_kernarg_segment_ptr 1
		.amdhsa_user_sgpr_dispatch_id 0
		.amdhsa_user_sgpr_flat_scratch_init 0
		.amdhsa_user_sgpr_kernarg_preload_length 0
		.amdhsa_user_sgpr_kernarg_preload_offset 0
		.amdhsa_user_sgpr_private_segment_size 0
		.amdhsa_uses_dynamic_stack 0
		.amdhsa_system_sgpr_private_segment_wavefront_offset 0
		.amdhsa_system_sgpr_workgroup_id_x 1
		.amdhsa_system_sgpr_workgroup_id_y 1
		.amdhsa_system_sgpr_workgroup_id_z 1
		.amdhsa_system_sgpr_workgroup_info 0
		.amdhsa_system_vgpr_workitem_id 0
		.amdhsa_next_free_vgpr 51
		.amdhsa_next_free_sgpr 96
		.amdhsa_accum_offset 52
		.amdhsa_reserve_vcc 1
		.amdhsa_reserve_flat_scratch 0
		.amdhsa_float_round_mode_32 0
		.amdhsa_float_round_mode_16_64 0
		.amdhsa_float_denorm_mode_32 3
		.amdhsa_float_denorm_mode_16_64 3
		.amdhsa_dx10_clamp 1
		.amdhsa_ieee_mode 1
		.amdhsa_fp16_overflow 0
		.amdhsa_tg_split 0
		.amdhsa_exception_fp_ieee_invalid_op 0
		.amdhsa_exception_fp_denorm_src 0
		.amdhsa_exception_fp_ieee_div_zero 0
		.amdhsa_exception_fp_ieee_overflow 0
		.amdhsa_exception_fp_ieee_underflow 0
		.amdhsa_exception_fp_ieee_inexact 0
		.amdhsa_exception_int_div_zero 0
	.end_amdhsa_kernel
	.section	.text._ZN2at6native12_GLOBAL__N_114gatherKthValueIiiLin1EEEvNS_4cuda6detail10TensorInfoIKT_T0_EES8_S8_S8_S8_NS5_IS6_S8_EENS5_IlS8_EE,"axG",@progbits,_ZN2at6native12_GLOBAL__N_114gatherKthValueIiiLin1EEEvNS_4cuda6detail10TensorInfoIKT_T0_EES8_S8_S8_S8_NS5_IS6_S8_EENS5_IlS8_EE,comdat
.Lfunc_end19:
	.size	_ZN2at6native12_GLOBAL__N_114gatherKthValueIiiLin1EEEvNS_4cuda6detail10TensorInfoIKT_T0_EES8_S8_S8_S8_NS5_IS6_S8_EENS5_IlS8_EE, .Lfunc_end19-_ZN2at6native12_GLOBAL__N_114gatherKthValueIiiLin1EEEvNS_4cuda6detail10TensorInfoIKT_T0_EES8_S8_S8_S8_NS5_IS6_S8_EENS5_IlS8_EE
                                        ; -- End function
	.section	.AMDGPU.csdata,"",@progbits
; Kernel info:
; codeLenInByte = 10544
; NumSgprs: 100
; NumVgprs: 51
; NumAgprs: 0
; TotalNumVgprs: 51
; ScratchSize: 0
; MemoryBound: 0
; FloatMode: 240
; IeeeMode: 1
; LDSByteSize: 4112 bytes/workgroup (compile time only)
; SGPRBlocks: 12
; VGPRBlocks: 6
; NumSGPRsForWavesPerEU: 100
; NumVGPRsForWavesPerEU: 51
; AccumOffset: 52
; Occupancy: 8
; WaveLimiterHint : 1
; COMPUTE_PGM_RSRC2:SCRATCH_EN: 0
; COMPUTE_PGM_RSRC2:USER_SGPR: 6
; COMPUTE_PGM_RSRC2:TRAP_HANDLER: 0
; COMPUTE_PGM_RSRC2:TGID_X_EN: 1
; COMPUTE_PGM_RSRC2:TGID_Y_EN: 1
; COMPUTE_PGM_RSRC2:TGID_Z_EN: 1
; COMPUTE_PGM_RSRC2:TIDIG_COMP_CNT: 0
; COMPUTE_PGM_RSRC3_GFX90A:ACCUM_OFFSET: 12
; COMPUTE_PGM_RSRC3_GFX90A:TG_SPLIT: 0
	.section	.text._ZN2at6native12_GLOBAL__N_114gatherKthValueIilLi1EEEvNS_4cuda6detail10TensorInfoIKT_T0_EES8_S8_S8_S8_NS5_IS6_S8_EENS5_IlS8_EE,"axG",@progbits,_ZN2at6native12_GLOBAL__N_114gatherKthValueIilLi1EEEvNS_4cuda6detail10TensorInfoIKT_T0_EES8_S8_S8_S8_NS5_IS6_S8_EENS5_IlS8_EE,comdat
	.globl	_ZN2at6native12_GLOBAL__N_114gatherKthValueIilLi1EEEvNS_4cuda6detail10TensorInfoIKT_T0_EES8_S8_S8_S8_NS5_IS6_S8_EENS5_IlS8_EE ; -- Begin function _ZN2at6native12_GLOBAL__N_114gatherKthValueIilLi1EEEvNS_4cuda6detail10TensorInfoIKT_T0_EES8_S8_S8_S8_NS5_IS6_S8_EENS5_IlS8_EE
	.p2align	8
	.type	_ZN2at6native12_GLOBAL__N_114gatherKthValueIilLi1EEEvNS_4cuda6detail10TensorInfoIKT_T0_EES8_S8_S8_S8_NS5_IS6_S8_EENS5_IlS8_EE,@function
_ZN2at6native12_GLOBAL__N_114gatherKthValueIilLi1EEEvNS_4cuda6detail10TensorInfoIKT_T0_EES8_S8_S8_S8_NS5_IS6_S8_EENS5_IlS8_EE: ; @_ZN2at6native12_GLOBAL__N_114gatherKthValueIilLi1EEEvNS_4cuda6detail10TensorInfoIKT_T0_EES8_S8_S8_S8_NS5_IS6_S8_EENS5_IlS8_EE
; %bb.0:
	s_load_dwordx8 s[56:63], s[4:5], 0x1a0
	s_load_dwordx2 s[12:13], s[4:5], 0x500
	s_add_u32 s10, s4, 0x500
	s_addc_u32 s11, s5, 0
	s_mov_b32 s15, 0
	s_waitcnt lgkmcnt(0)
	v_mov_b32_e32 v2, s60
	s_mul_i32 s0, s13, s8
	s_add_i32 s0, s0, s7
	s_mul_i32 s0, s0, s12
	v_mov_b32_e32 v3, s61
	s_add_i32 s14, s0, s6
	v_cmp_ge_i64_e32 vcc, s[14:15], v[2:3]
	s_cbranch_vccnz .LBB20_282
; %bb.1:
	s_load_dwordx2 s[0:1], s[4:5], 0x430
                                        ; implicit-def: $vgpr45 : SGPR spill to VGPR lane
	v_cmp_eq_u32_e64 s[8:9], 0, v0
	s_waitcnt lgkmcnt(0)
	v_writelane_b32 v45, s0, 0
	v_writelane_b32 v45, s1, 1
	s_load_dwordx2 s[0:1], s[4:5], 0x360
	s_waitcnt lgkmcnt(0)
	v_writelane_b32 v45, s0, 2
	v_writelane_b32 v45, s1, 3
	s_load_dwordx2 s[0:1], s[4:5], 0x290
	;; [unrolled: 4-line block ×4, first 2 shown]
	s_load_dwordx2 s[0:1], s[4:5], 0x0
	s_mov_b64 s[4:5], exec
	v_writelane_b32 v45, s8, 8
	v_writelane_b32 v45, s9, 9
	s_and_b64 s[8:9], s[4:5], s[8:9]
	s_mov_b64 exec, s[8:9]
	s_cbranch_execz .LBB20_3
; %bb.2:
	v_mov_b32_e32 v2, 0
	v_mov_b32_e32 v4, s56
	v_mov_b32_e32 v5, s57
	v_mov_b32_e32 v3, v2
	ds_write_b32 v2, v2 offset:5136
	ds_write_b128 v2, v[2:5] offset:5120
.LBB20_3:
	s_or_b64 exec, exec, s[4:5]
	s_waitcnt lgkmcnt(0)
	s_mul_i32 s3, s3, s14
	s_mul_hi_u32 s4, s2, s14
	s_add_i32 s3, s4, s3
	s_mul_i32 s2, s2, s14
	s_mov_b32 s4, s14
	s_lshl_b64 s[2:3], s[2:3], 2
	v_writelane_b32 v45, s4, 10
	s_add_u32 s8, s0, s2
	v_writelane_b32 v45, s5, 11
	s_addc_u32 s9, s1, s3
	v_cmp_gt_u32_e64 s[0:1], 2, v0
	v_mov_b32_e32 v2, 0x300
	v_writelane_b32 v45, s0, 12
	v_mov_b32_e32 v3, 0
	v_mov_b32_e32 v13, 0
	v_mbcnt_lo_u32_b32 v1, -1, 0
	v_writelane_b32 v45, s1, 13
	v_cmp_gt_i64_e64 s[0:1], s[56:57], v[2:3]
	v_mbcnt_hi_u32_b32 v36, -1, v1
	v_mov_b32_e32 v1, v13
	v_writelane_b32 v45, s0, 14
	v_writelane_b32 v45, s1, 15
	v_cmp_gt_u64_e64 s[0:1], s[56:57], v[0:1]
	v_writelane_b32 v45, s0, 16
	v_writelane_b32 v45, s1, 17
	v_mad_u64_u32 v[2:3], s[0:1], v0, s62, 0
	v_mov_b32_e32 v4, v3
	v_mad_u64_u32 v[4:5], s[0:1], v0, s63, v[4:5]
	v_mov_b32_e32 v6, s9
	v_writelane_b32 v45, s8, 18
	v_writelane_b32 v45, s9, 19
	v_cmp_gt_i64_e64 s[0:1], s[56:57], v[0:1]
	v_writelane_b32 v45, s0, 20
	s_barrier
	v_writelane_b32 v45, s1, 21
	s_load_dword s0, s[10:11], 0xc
	v_cmp_gt_u32_e32 vcc, 64, v0
	v_cmp_gt_i32_e64 s[2:3], 4, v36
	s_and_b64 s[48:49], vcc, s[2:3]
	v_mov_b32_e32 v3, v4
	s_waitcnt lgkmcnt(0)
	s_and_b32 s33, s0, 0xffff
	s_bfe_u32 s1, s0, 0xa0006
	v_cmp_gt_u16_e64 s[2:3], s0, 63
	v_writelane_b32 v45, s2, 22
	s_add_u32 s0, s33, -1
	v_writelane_b32 v45, s3, 23
	s_addc_u32 s2, 0, -1
	s_add_u32 s82, s0, s56
	s_addc_u32 s47, s2, s57
	s_cmp_lt_u32 s6, s12
	v_writelane_b32 v45, s0, 24
	s_cselect_b32 s0, 12, 18
	s_add_u32 s50, s10, s0
	s_addc_u32 s51, s11, 0
	s_add_i32 s0, s1, -1
	s_bfe_u32 s6, s33, 0x30006
	s_cmp_gt_u32 s0, 6
	v_writelane_b32 v45, s2, 25
	s_cselect_b64 s[2:3], -1, 0
	v_writelane_b32 v45, s2, 26
	s_and_b32 s91, s1, 0x3f8
	v_lshlrev_b64 v[4:5], 2, v[2:3]
	v_writelane_b32 v45, s3, 27
	s_cmp_lg_u32 s6, 0
	v_add_co_u32_e32 v10, vcc, s8, v4
	v_lshrrev_b32_e32 v4, 4, v0
	v_writelane_b32 v45, s6, 28
	s_cselect_b64 s[0:1], -1, 0
	v_and_b32_e32 v38, 60, v4
	v_lshlrev_b32_e32 v4, 2, v36
	v_writelane_b32 v45, s0, 29
	v_addc_co_u32_e32 v11, vcc, v6, v5, vcc
	v_and_b32_e32 v39, 0x100, v4
	v_lshlrev_b64 v[4:5], v36, -1
	v_writelane_b32 v45, s1, 30
	s_lshl_b64 s[0:1], s[62:63], 2
	v_lshlrev_b32_e32 v40, 4, v0
	v_not_b32_e32 v17, v5
	v_writelane_b32 v45, s0, 31
	v_or_b32_e32 v5, 12, v40
	v_writelane_b32 v45, s1, 32
	v_mad_u64_u32 v[18:19], s[0:1], s62, v5, 0
	v_not_b32_e32 v16, v4
	v_mov_b32_e32 v4, v19
	v_mad_u64_u32 v[4:5], s[0:1], s63, v5, v[4:5]
	s_lshl_b64 s[0:1], s[62:63], 4
	v_writelane_b32 v45, s0, 33
	v_or_b32_e32 v5, 8, v40
	v_writelane_b32 v45, s1, 34
	v_mad_u64_u32 v[20:21], s[0:1], s62, v5, 0
	v_mov_b32_e32 v19, v4
	v_mov_b32_e32 v4, v21
	v_mad_u64_u32 v[4:5], s[0:1], s63, v5, v[4:5]
	v_or_b32_e32 v5, 4, v40
	v_mad_u64_u32 v[22:23], s[0:1], s62, v5, 0
	v_mov_b32_e32 v21, v4
	v_mov_b32_e32 v4, v23
	v_mad_u64_u32 v[4:5], s[0:1], s63, v5, v[4:5]
	v_lshlrev_b64 v[24:25], 4, v[2:3]
	v_mov_b32_e32 v2, s57
	v_add_co_u32_e32 v41, vcc, s56, v0
	s_mul_i32 s0, s63, s33
	s_mul_hi_u32 s1, s62, s33
	v_writelane_b32 v45, s48, 35
	s_mov_b32 s75, 0
	v_lshlrev_b32_e32 v14, 2, v0
	v_addc_co_u32_e32 v42, vcc, 0, v2, vcc
	v_mov_b32_e32 v2, 0xc00
	s_add_i32 s1, s1, s0
	s_mul_i32 s0, s62, s33
	v_writelane_b32 v45, s49, 36
	v_cmp_eq_u32_e64 s[4:5], 0, v36
	v_add_u32_e32 v37, 0xc00, v14
	v_mov_b32_e32 v15, v13
	s_mov_b32 s90, s75
	v_mov_b32_e32 v23, v4
	v_lshl_or_b32 v43, v36, 3, v2
	s_lshl_b64 s[70:71], s[0:1], 2
	s_lshl_b32 s76, s33, 2
	s_mov_b32 s77, 30
	s_mov_b64 s[92:93], 0
	v_mov_b32_e32 v26, 1
	v_cvt_f32_ubyte0_e32 v44, 0
	v_mov_b32_e32 v29, 0
	s_mov_b32 s88, 0
	s_mov_b32 s0, 0
	;; [unrolled: 1-line block ×3, first 2 shown]
	v_writelane_b32 v45, s50, 37
                                        ; implicit-def: $sgpr54_sgpr55
                                        ; implicit-def: $sgpr66_sgpr67
                                        ; implicit-def: $sgpr64_sgpr65
                                        ; implicit-def: $sgpr68_sgpr69
                                        ; implicit-def: $sgpr94_sgpr95
                                        ; implicit-def: $sgpr10_sgpr11
	v_writelane_b32 v45, s51, 38
	s_branch .LBB20_8
.LBB20_4:                               ;   in Loop: Header=BB20_8 Depth=1
	s_xor_b32 s88, s88, 1
	s_add_i32 s1, s77, -2
	s_cmp_eq_u32 s77, 0
	s_mov_b64 s[6:7], 0
	s_cselect_b64 s[8:9], -1, 0
	s_mov_b32 s77, s1
.LBB20_5:                               ;   in Loop: Header=BB20_8 Depth=1
	s_andn2_b64 s[14:15], s[20:21], exec
	s_and_b64 s[6:7], s[6:7], exec
	s_or_b64 s[20:21], s[14:15], s[6:7]
	s_andn2_b64 s[22:23], s[22:23], exec
	s_andn2_b64 s[18:19], s[18:19], exec
	s_orn2_b64 s[14:15], s[8:9], exec
.LBB20_6:                               ;   in Loop: Header=BB20_8 Depth=1
	s_or_b64 exec, exec, s[2:3]
	s_andn2_b64 s[2:3], s[10:11], exec
	s_and_b64 s[6:7], s[20:21], exec
	s_or_b64 s[10:11], s[2:3], s[6:7]
	s_andn2_b64 s[2:3], s[94:95], exec
	s_and_b64 s[6:7], s[22:23], exec
	s_or_b64 s[94:95], s[2:3], s[6:7]
	s_andn2_b64 s[2:3], s[68:69], exec
	s_and_b64 s[6:7], s[18:19], exec
	s_or_b64 s[68:69], s[2:3], s[6:7]
	s_orn2_b64 s[18:19], s[14:15], exec
.LBB20_7:                               ;   in Loop: Header=BB20_8 Depth=1
	s_or_b64 exec, exec, s[12:13]
	s_and_b64 s[2:3], exec, s[18:19]
	s_or_b64 s[92:93], s[2:3], s[92:93]
	s_andn2_b64 s[2:3], s[64:65], exec
	s_and_b64 s[6:7], s[10:11], exec
	s_or_b64 s[64:65], s[2:3], s[6:7]
	s_andn2_b64 s[2:3], s[66:67], exec
	s_and_b64 s[6:7], s[94:95], exec
	;; [unrolled: 3-line block ×3, first 2 shown]
	v_mov_b32_e32 v2, s0
	s_or_b64 s[54:55], s[2:3], s[6:7]
	s_andn2_b64 exec, exec, s[92:93]
	s_cbranch_execz .LBB20_278
.LBB20_8:                               ; =>This Loop Header: Depth=1
                                        ;     Child Loop BB20_16 Depth 2
                                        ;     Child Loop BB20_35 Depth 2
	;; [unrolled: 1-line block ×16, first 2 shown]
	ds_read_b128 v[2:5], v13 offset:5120
	s_waitcnt lgkmcnt(0)
	v_readfirstlane_b32 s85, v3
	v_readfirstlane_b32 s84, v2
	v_cmp_gt_i64_e64 s[2:3], s[84:85], 0
	s_and_b64 vcc, exec, s[2:3]
	s_cbranch_vccnz .LBB20_42
; %bb.9:                                ;   in Loop: Header=BB20_8 Depth=1
	v_readlane_b32 s2, v45, 14
	v_readlane_b32 s3, v45, 15
	s_and_b64 vcc, exec, s[2:3]
	s_cbranch_vccz .LBB20_24
; %bb.10:                               ;   in Loop: Header=BB20_8 Depth=1
	s_mov_b64 s[2:3], 0x301
	v_cmp_gt_i64_e32 vcc, s[2:3], v[4:5]
	s_mov_b64 s[2:3], 0
	s_mov_b64 s[6:7], 0
	s_cbranch_vccz .LBB20_29
; %bb.11:                               ;   in Loop: Header=BB20_8 Depth=1
	v_mov_b32_e32 v6, 0
	s_mov_b64 s[6:7], exec
	v_readlane_b32 s8, v45, 16
	v_readlane_b32 s9, v45, 17
	s_and_b64 s[8:9], s[6:7], s[8:9]
	s_mov_b64 exec, s[8:9]
	s_cbranch_execz .LBB20_13
; %bb.12:                               ;   in Loop: Header=BB20_8 Depth=1
	global_load_dword v6, v[10:11], off
.LBB20_13:                              ;   in Loop: Header=BB20_8 Depth=1
	s_or_b64 exec, exec, s[6:7]
	s_mov_b64 s[8:9], exec
	v_readlane_b32 s6, v45, 16
	v_readlane_b32 s7, v45, 17
	s_and_b64 s[6:7], s[8:9], s[6:7]
	s_mov_b64 exec, s[6:7]
	s_cbranch_execz .LBB20_25
; %bb.14:                               ;   in Loop: Header=BB20_8 Depth=1
	global_load_ushort v7, v13, s[50:51]
	v_readlane_b32 s6, v45, 18
	v_readlane_b32 s7, v45, 19
	v_pk_mov_b32 v[2:3], s[6:7], s[6:7] op_sel:[0,1]
	v_readlane_b32 s16, v45, 31
	v_readlane_b32 s17, v45, 32
	s_mov_b64 s[14:15], 0
	s_waitcnt vmcnt(0)
	v_readfirstlane_b32 s1, v7
	s_and_b32 s1, 0xffff, s1
	v_add_u32_e32 v5, s1, v0
	v_mad_u64_u32 v[2:3], s[6:7], s16, v5, v[2:3]
	v_mov_b32_e32 v4, v3
	s_mul_i32 s12, s17, s1
	s_mul_hi_u32 s13, s16, s1
	v_mad_u64_u32 v[4:5], s[6:7], s17, v5, v[4:5]
	s_mul_i32 s1, s16, s1
	s_add_i32 s22, s13, s12
	v_mov_b32_e32 v3, v4
	v_pk_mov_b32 v[4:5], v[0:1], v[0:1] op_sel:[0,1]
	s_branch .LBB20_16
.LBB20_15:                              ;   in Loop: Header=BB20_16 Depth=2
	s_or_b64 exec, exec, s[6:7]
	v_mov_b32_e32 v6, s22
	v_add_co_u32_e32 v2, vcc, s1, v2
	v_addc_co_u32_e32 v3, vcc, v3, v6, vcc
	s_waitcnt vmcnt(0)
	v_mov_b32_e32 v6, v8
	s_andn2_b64 exec, exec, s[14:15]
	s_cbranch_execz .LBB20_25
.LBB20_16:                              ;   Parent Loop BB20_8 Depth=1
                                        ; =>  This Inner Loop Header: Depth=2
	v_add_co_u32_sdwa v4, vcc, v4, v7 dst_sel:DWORD dst_unused:UNUSED_PAD src0_sel:DWORD src1_sel:WORD_0
	v_addc_co_u32_e32 v5, vcc, 0, v5, vcc
	v_cmp_gt_i64_e64 s[6:7], s[56:57], v[4:5]
	v_cmp_le_i64_e32 vcc, s[56:57], v[4:5]
	s_waitcnt lgkmcnt(0)
	v_mov_b32_e32 v9, 0
	v_mov_b32_e32 v8, 0
	s_and_saveexec_b64 s[12:13], s[6:7]
	s_cbranch_execz .LBB20_18
; %bb.17:                               ;   in Loop: Header=BB20_16 Depth=2
	global_load_dword v8, v[2:3], off
.LBB20_18:                              ;   in Loop: Header=BB20_16 Depth=2
	s_or_b64 exec, exec, s[12:13]
	v_xor_b32_e32 v12, 0x80000000, v6
	v_and_b32_e32 v12, s83, v12
	v_cmp_eq_u32_e64 s[12:13], s0, v12
	s_cmp_lg_u64 s[12:13], 0
	s_cselect_b64 s[6:7], -1, 0
	s_and_b64 s[6:7], s[4:5], s[6:7]
	s_and_saveexec_b64 s[16:17], s[6:7]
	s_cbranch_execz .LBB20_22
; %bb.19:                               ;   in Loop: Header=BB20_16 Depth=2
	s_mov_b64 s[20:21], exec
	v_mbcnt_lo_u32_b32 v9, s20, 0
	v_mbcnt_hi_u32_b32 v9, s21, v9
	s_bcnt1_i32_b64 s23, s[12:13]
	v_cmp_eq_u32_e64 s[6:7], 0, v9
                                        ; implicit-def: $vgpr12
	s_and_saveexec_b64 s[18:19], s[6:7]
	s_cbranch_execz .LBB20_21
; %bb.20:                               ;   in Loop: Header=BB20_16 Depth=2
	s_bcnt1_i32_b64 s6, s[20:21]
	s_mul_i32 s6, s23, s6
	v_mov_b32_e32 v12, s6
	ds_add_rtn_u32 v12, v13, v12 offset:5136
.LBB20_21:                              ;   in Loop: Header=BB20_16 Depth=2
	s_or_b64 exec, exec, s[18:19]
	s_waitcnt lgkmcnt(0)
	v_readfirstlane_b32 s6, v12
	v_mov_b32_e32 v12, s6
	v_mad_u32_u24 v9, s23, v9, v12
.LBB20_22:                              ;   in Loop: Header=BB20_16 Depth=2
	s_or_b64 exec, exec, s[16:17]
	ds_bpermute_b32 v9, v39, v9
	s_and_b64 s[6:7], exec, vcc
	s_or_b64 s[14:15], s[6:7], s[14:15]
	s_and_saveexec_b64 s[6:7], s[12:13]
	s_cbranch_execz .LBB20_15
; %bb.23:                               ;   in Loop: Header=BB20_16 Depth=2
	v_and_b32_e32 v27, s12, v16
	v_and_b32_e32 v12, s13, v17
	v_bcnt_u32_b32 v27, v27, 0
	v_bcnt_u32_b32 v12, v12, v27
	v_lshlrev_b32_e32 v12, 2, v12
	s_waitcnt lgkmcnt(0)
	v_lshl_add_u32 v9, v9, 2, v12
	ds_write_b32 v9, v6
	s_branch .LBB20_15
.LBB20_24:                              ;   in Loop: Header=BB20_8 Depth=1
	s_mov_b64 s[2:3], -1
	s_mov_b64 s[6:7], 0
	s_branch .LBB20_28
.LBB20_25:                              ;   in Loop: Header=BB20_8 Depth=1
	s_or_b64 exec, exec, s[8:9]
	s_waitcnt lgkmcnt(0)
	s_barrier
	s_mov_b64 s[6:7], exec
	v_readlane_b32 s8, v45, 8
	v_readlane_b32 s9, v45, 9
	s_and_b64 s[8:9], s[6:7], s[8:9]
	s_mov_b64 exec, s[8:9]
	s_cbranch_execz .LBB20_27
; %bb.26:                               ;   in Loop: Header=BB20_8 Depth=1
	ds_read_b32 v2, v13 offset:5136
	s_waitcnt lgkmcnt(0)
	v_ashrrev_i32_e32 v3, 31, v2
	ds_write_b64 v13, v[2:3] offset:5120
.LBB20_27:                              ;   in Loop: Header=BB20_8 Depth=1
	s_or_b64 exec, exec, s[6:7]
	s_waitcnt lgkmcnt(0)
	s_barrier
	s_mov_b64 s[6:7], -1
.LBB20_28:                              ;   in Loop: Header=BB20_8 Depth=1
                                        ; implicit-def: $sgpr84_sgpr85
.LBB20_29:                              ;   in Loop: Header=BB20_8 Depth=1
	s_and_b64 vcc, exec, s[2:3]
	s_cbranch_vccz .LBB20_40
; %bb.30:                               ;   in Loop: Header=BB20_8 Depth=1
	s_waitcnt vmcnt(0)
	v_mov_b32_e32 v6, 0
	s_mov_b64 s[2:3], exec
	v_readlane_b32 s6, v45, 20
	v_readlane_b32 s7, v45, 21
	s_and_b64 s[6:7], s[2:3], s[6:7]
	s_mov_b64 exec, s[6:7]
	s_cbranch_execz .LBB20_32
; %bb.31:                               ;   in Loop: Header=BB20_8 Depth=1
	global_load_dword v6, v[10:11], off
.LBB20_32:                              ;   in Loop: Header=BB20_8 Depth=1
	s_or_b64 exec, exec, s[2:3]
	s_mov_b64 s[2:3], exec
	v_readlane_b32 s6, v45, 20
	v_readlane_b32 s7, v45, 21
	s_and_b64 s[6:7], s[2:3], s[6:7]
	s_mov_b64 exec, s[6:7]
	s_cbranch_execz .LBB20_37
; %bb.33:                               ;   in Loop: Header=BB20_8 Depth=1
	global_load_ushort v7, v13, s[50:51]
	v_readlane_b32 s6, v45, 18
	v_readlane_b32 s7, v45, 19
	v_pk_mov_b32 v[2:3], s[6:7], s[6:7] op_sel:[0,1]
	v_readlane_b32 s16, v45, 31
	v_readlane_b32 s17, v45, 32
	s_mov_b64 s[8:9], 0
	v_mov_b32_e32 v8, v14
	s_waitcnt vmcnt(0)
	v_readfirstlane_b32 s1, v7
	s_and_b32 s6, 0xffff, s1
	v_add_u32_e32 v5, s6, v0
	s_lshl_b32 s1, s6, 2
	s_mul_i32 s12, s17, s6
	s_mul_hi_u32 s13, s16, s6
	s_mul_i32 s14, s16, s6
	v_mad_u64_u32 v[2:3], s[6:7], s16, v5, v[2:3]
	v_mov_b32_e32 v4, v3
	v_mad_u64_u32 v[4:5], s[6:7], s17, v5, v[4:5]
	s_add_i32 s15, s13, s12
	v_mov_b32_e32 v3, v4
	v_pk_mov_b32 v[4:5], v[0:1], v[0:1] op_sel:[0,1]
	s_branch .LBB20_35
.LBB20_34:                              ;   in Loop: Header=BB20_35 Depth=2
	s_or_b64 exec, exec, s[12:13]
	s_and_b64 s[6:7], exec, vcc
	ds_write_b32 v8, v6
	v_mov_b32_e32 v6, s15
	v_add_co_u32_e32 v2, vcc, s14, v2
	s_or_b64 s[8:9], s[6:7], s[8:9]
	v_add_u32_e32 v8, s1, v8
	v_addc_co_u32_e32 v3, vcc, v3, v6, vcc
	s_waitcnt vmcnt(0)
	v_mov_b32_e32 v6, v9
	s_andn2_b64 exec, exec, s[8:9]
	s_cbranch_execz .LBB20_37
.LBB20_35:                              ;   Parent Loop BB20_8 Depth=1
                                        ; =>  This Inner Loop Header: Depth=2
	v_add_co_u32_sdwa v4, vcc, v4, v7 dst_sel:DWORD dst_unused:UNUSED_PAD src0_sel:DWORD src1_sel:WORD_0
	v_addc_co_u32_e32 v5, vcc, 0, v5, vcc
	v_cmp_gt_i64_e64 s[6:7], s[56:57], v[4:5]
	v_cmp_le_i64_e32 vcc, s[56:57], v[4:5]
	v_mov_b32_e32 v9, 0
	s_and_saveexec_b64 s[12:13], s[6:7]
	s_cbranch_execz .LBB20_34
; %bb.36:                               ;   in Loop: Header=BB20_35 Depth=2
	global_load_dword v9, v[2:3], off
	s_branch .LBB20_34
.LBB20_37:                              ;   in Loop: Header=BB20_8 Depth=1
	s_or_b64 exec, exec, s[2:3]
	s_waitcnt lgkmcnt(0)
	s_barrier
	s_mov_b64 s[2:3], exec
	v_readlane_b32 s6, v45, 8
	v_readlane_b32 s7, v45, 9
	s_and_b64 s[6:7], s[2:3], s[6:7]
	s_mov_b64 exec, s[6:7]
	s_cbranch_execz .LBB20_39
; %bb.38:                               ;   in Loop: Header=BB20_8 Depth=1
	v_pk_mov_b32 v[2:3], s[56:57], s[56:57] op_sel:[0,1]
	ds_write_b64 v13, v[2:3] offset:5120
.LBB20_39:                              ;   in Loop: Header=BB20_8 Depth=1
	s_or_b64 exec, exec, s[2:3]
	s_mov_b64 s[6:7], -1
	s_waitcnt lgkmcnt(0)
	s_barrier
                                        ; implicit-def: $sgpr84_sgpr85
.LBB20_40:                              ;   in Loop: Header=BB20_8 Depth=1
	s_and_b64 vcc, exec, s[6:7]
	s_cbranch_vccz .LBB20_42
; %bb.41:                               ;   in Loop: Header=BB20_8 Depth=1
	ds_read_b64 v[2:3], v13 offset:5120
	s_waitcnt lgkmcnt(0)
	v_readfirstlane_b32 s84, v2
.LBB20_42:                              ;   in Loop: Header=BB20_8 Depth=1
	s_cmp_lt_i32 s84, 1
	s_cbranch_scc0 .LBB20_57
; %bb.43:                               ;   in Loop: Header=BB20_8 Depth=1
	global_load_ushort v2, v13, s[50:51]
	s_mov_b32 s2, s75
	s_mov_b32 s3, s57
	s_waitcnt vmcnt(0)
	v_readfirstlane_b32 s1, v2
	s_and_b32 s1, s1, 0xffff
	s_lshl_b32 s74, s1, 2
	s_cmp_lg_u64 s[2:3], 0
	s_cbranch_scc0 .LBB20_77
; %bb.44:                               ;   in Loop: Header=BB20_8 Depth=1
	v_cvt_f32_u32_e32 v2, s74
	s_sub_u32 s2, 0, s74
	s_subb_u32 s3, 0, 0
	v_mac_f32_e32 v2, 0x4f800000, v44
	v_rcp_f32_e32 v2, v2
	v_mul_f32_e32 v2, 0x5f7ffffc, v2
	v_mul_f32_e32 v3, 0x2f800000, v2
	v_trunc_f32_e32 v3, v3
	v_mac_f32_e32 v2, 0xcf800000, v3
	v_cvt_u32_f32_e32 v3, v3
	v_cvt_u32_f32_e32 v2, v2
	v_readfirstlane_b32 s6, v3
	v_readfirstlane_b32 s7, v2
	s_mul_i32 s8, s2, s6
	s_mul_hi_u32 s12, s2, s7
	s_mul_i32 s9, s3, s7
	s_add_i32 s8, s12, s8
	s_mul_i32 s13, s2, s7
	s_add_i32 s8, s8, s9
	s_mul_hi_u32 s12, s7, s13
	s_mul_hi_u32 s9, s7, s8
	s_mul_i32 s7, s7, s8
	s_add_u32 s7, s12, s7
	s_addc_u32 s9, 0, s9
	s_mul_hi_u32 s14, s6, s13
	s_mul_i32 s13, s6, s13
	s_add_u32 s7, s7, s13
	s_mul_hi_u32 s12, s6, s8
	s_addc_u32 s7, s9, s14
	s_addc_u32 s9, s12, 0
	s_mul_i32 s8, s6, s8
	s_add_u32 s7, s7, s8
	s_addc_u32 s8, 0, s9
	v_add_co_u32_e32 v2, vcc, s7, v2
	s_cmp_lg_u64 vcc, 0
	s_addc_u32 s6, s6, s8
	v_readfirstlane_b32 s8, v2
	s_mul_i32 s7, s2, s6
	s_mul_hi_u32 s9, s2, s8
	s_add_i32 s7, s9, s7
	s_mul_i32 s3, s3, s8
	s_add_i32 s7, s7, s3
	s_mul_i32 s2, s2, s8
	s_mul_hi_u32 s9, s6, s2
	s_mul_i32 s12, s6, s2
	s_mul_i32 s14, s8, s7
	s_mul_hi_u32 s2, s8, s2
	s_mul_hi_u32 s13, s8, s7
	s_add_u32 s2, s2, s14
	s_addc_u32 s8, 0, s13
	s_add_u32 s2, s2, s12
	s_mul_hi_u32 s3, s6, s7
	s_addc_u32 s2, s8, s9
	s_addc_u32 s3, s3, 0
	s_mul_i32 s7, s6, s7
	s_add_u32 s2, s2, s7
	s_addc_u32 s3, 0, s3
	v_add_co_u32_e32 v2, vcc, s2, v2
	s_cmp_lg_u64 vcc, 0
	s_addc_u32 s8, s6, s3
	s_ashr_i32 s2, s57, 31
	s_add_u32 s6, s56, s2
	s_mov_b32 s3, s2
	s_addc_u32 s7, s57, s2
	s_xor_b64 s[6:7], s[6:7], s[2:3]
	v_readfirstlane_b32 s12, v2
	s_mul_i32 s9, s6, s8
	s_mul_hi_u32 s13, s6, s12
	s_mul_hi_u32 s3, s6, s8
	s_add_u32 s9, s13, s9
	s_addc_u32 s3, 0, s3
	s_mul_hi_u32 s14, s7, s12
	s_mul_i32 s12, s7, s12
	s_add_u32 s9, s9, s12
	s_mul_hi_u32 s13, s7, s8
	s_addc_u32 s3, s3, s14
	s_addc_u32 s9, s13, 0
	s_mul_i32 s8, s7, s8
	s_add_u32 s3, s3, s8
	s_addc_u32 s8, 0, s9
	s_mul_hi_u32 s9, s74, s3
	s_mul_i32 s3, s74, s3
	s_mul_i32 s8, s74, s8
	v_mov_b32_e32 v2, s3
	s_add_i32 s9, s9, s8
	v_sub_co_u32_e32 v2, vcc, s6, v2
	s_cmp_lg_u64 vcc, 0
	s_subb_u32 s3, s7, s9
	v_subrev_co_u32_e32 v3, vcc, s74, v2
	s_cmp_lg_u64 vcc, 0
	s_subb_u32 s6, s3, 0
	v_subrev_co_u32_e32 v4, vcc, s74, v3
	s_cmp_lg_u64 vcc, 0
	s_subb_u32 s7, s6, 0
	v_cmp_le_u32_e32 vcc, s74, v3
	s_cmp_eq_u32 s6, 0
	v_cndmask_b32_e64 v5, 0, -1, vcc
	s_cselect_b64 vcc, -1, 0
	v_cndmask_b32_e32 v5, -1, v5, vcc
	v_mov_b32_e32 v6, s6
	v_mov_b32_e32 v7, s7
	v_cmp_ne_u32_e32 vcc, 0, v5
	v_cndmask_b32_e32 v5, v6, v7, vcc
	v_cndmask_b32_e32 v3, v3, v4, vcc
	v_cmp_le_u32_e32 vcc, s74, v2
	s_cmp_eq_u32 s3, 0
	v_cndmask_b32_e64 v4, 0, -1, vcc
	s_cselect_b64 vcc, -1, 0
	v_cndmask_b32_e32 v4, -1, v4, vcc
	v_cmp_ne_u32_e32 vcc, 0, v4
	v_mov_b32_e32 v6, s3
	v_cndmask_b32_e32 v2, v2, v3, vcc
	v_cndmask_b32_e32 v4, v6, v5, vcc
	v_xor_b32_e32 v2, s2, v2
	v_xor_b32_e32 v3, s2, v4
	v_mov_b32_e32 v4, s2
	v_subrev_co_u32_e32 v30, vcc, s2, v2
	v_subb_co_u32_e32 v31, vcc, v3, v4, vcc
	s_cbranch_execnz .LBB20_46
.LBB20_45:                              ;   in Loop: Header=BB20_8 Depth=1
	v_cvt_f32_u32_e32 v2, s74
	s_sub_i32 s2, 0, s74
	v_rcp_iflag_f32_e32 v2, v2
	v_mul_f32_e32 v2, 0x4f7ffffe, v2
	v_cvt_u32_f32_e32 v2, v2
	v_mul_lo_u32 v3, s2, v2
	v_mul_hi_u32 v3, v2, v3
	v_add_u32_e32 v2, v2, v3
	v_mul_hi_u32 v2, s56, v2
	v_mul_lo_u32 v2, v2, s74
	v_sub_u32_e32 v2, s56, v2
	v_subrev_u32_e32 v3, s74, v2
	v_cmp_le_u32_e32 vcc, s74, v2
	v_cndmask_b32_e32 v2, v2, v3, vcc
	v_subrev_u32_e32 v3, s74, v2
	v_cmp_le_u32_e32 vcc, s74, v2
	v_cndmask_b32_e32 v12, v2, v3, vcc
	v_pk_mov_b32 v[30:31], v[12:13], v[12:13] op_sel:[0,1]
.LBB20_46:                              ;   in Loop: Header=BB20_8 Depth=1
	v_mov_b32_e32 v2, s57
	v_sub_co_u32_e32 v32, vcc, s56, v30
	v_subb_co_u32_e32 v33, vcc, v2, v31, vcc
	v_pk_mov_b32 v[2:3], 0, 0
	v_cmp_gt_i64_e32 vcc, v[32:33], v[14:15]
	s_mov_b64 s[60:61], 0
	v_pk_mov_b32 v[4:5], v[2:3], v[2:3] op_sel:[0,1]
	v_pk_mov_b32 v[6:7], v[2:3], v[2:3] op_sel:[0,1]
	;; [unrolled: 1-line block ×3, first 2 shown]
	s_and_saveexec_b64 s[86:87], vcc
	s_cbranch_execz .LBB20_50
; %bb.47:                               ;   in Loop: Header=BB20_8 Depth=1
	v_readlane_b32 s6, v45, 33
	v_readlane_b32 s7, v45, 34
	s_mul_i32 s2, s7, s1
	s_mul_hi_u32 s3, s6, s1
	v_readlane_b32 s72, v45, 18
	s_mov_b32 s89, s47
	s_mov_b32 s81, s82
	s_and_b32 s80, s77, 0xfe
	s_add_i32 s85, s3, s2
	s_mul_i32 s82, s6, s1
	v_readlane_b32 s73, v45, 19
	s_mov_b64 s[8:9], 0
	s_mov_b64 s[78:79], 0
	;; [unrolled: 1-line block ×4, first 2 shown]
	v_pk_mov_b32 v[34:35], v[14:15], v[14:15] op_sel:[0,1]
.LBB20_48:                              ;   Parent Loop BB20_8 Depth=1
                                        ; =>  This Inner Loop Header: Depth=2
	v_add_co_u32_e64 v34, s[6:7], s74, v34
	v_addc_co_u32_e64 v35, s[6:7], 0, v35, s[6:7]
	v_mov_b32_e32 v7, s73
	v_add_co_u32_e32 v2, vcc, s72, v22
	v_add_co_u32_e64 v8, s[6:7], s72, v24
	v_add_co_u32_e64 v4, s[12:13], s72, v20
	;; [unrolled: 1-line block ×3, first 2 shown]
	v_addc_co_u32_e64 v9, s[6:7], v7, v25, s[6:7]
	v_addc_co_u32_e32 v3, vcc, v7, v23, vcc
	v_addc_co_u32_e64 v5, vcc, v7, v21, s[12:13]
	v_addc_co_u32_e64 v7, vcc, v7, v19, s[14:15]
	global_load_dword v8, v[8:9], off
	s_nop 0
	global_load_dword v2, v[2:3], off
	s_nop 0
	;; [unrolled: 2-line block ×3, first 2 shown]
	global_load_dword v4, v[6:7], off
	v_cmp_ge_i64_e32 vcc, v[34:35], v[32:33]
	s_waitcnt vmcnt(3)
	v_xor_b32_e32 v5, 0x80000000, v8
	s_waitcnt vmcnt(2)
	v_xor_b32_e32 v2, 0x80000000, v2
	v_and_b32_e32 v6, s83, v5
	v_bfe_u32 v5, v5, s80, 2
	s_waitcnt vmcnt(1)
	v_xor_b32_e32 v3, 0x80000000, v3
	v_and_b32_e32 v7, s83, v2
	v_bfe_u32 v2, v2, s80, 2
	v_cmp_eq_u32_e64 s[18:19], s0, v6
	v_cmp_eq_u32_e64 s[6:7], 0, v5
	s_waitcnt vmcnt(0)
	v_xor_b32_e32 v4, 0x80000000, v4
	v_and_b32_e32 v8, s83, v3
	v_bfe_u32 v3, v3, s80, 2
	v_cmp_eq_u32_e64 s[16:17], s0, v7
	v_cmp_eq_u32_e64 s[30:31], 0, v2
	s_and_b64 s[6:7], s[18:19], s[6:7]
	v_and_b32_e32 v9, s83, v4
	v_bfe_u32 v4, v4, s80, 2
	v_cmp_eq_u32_e64 s[14:15], s0, v8
	v_cmp_eq_u32_e64 s[34:35], 0, v3
	v_cmp_eq_u32_e64 s[40:41], 1, v2
	v_cmp_eq_u32_e64 s[48:49], 2, v2
	v_cmp_eq_u32_e64 s[24:25], 3, v2
	v_cndmask_b32_e64 v2, 0, 1, s[6:7]
	s_and_b64 s[6:7], s[16:17], s[30:31]
	v_cmp_eq_u32_e64 s[12:13], s0, v9
	v_cmp_eq_u32_e64 s[36:37], 0, v4
	;; [unrolled: 1-line block ×5, first 2 shown]
	v_cndmask_b32_e64 v3, 0, 1, s[6:7]
	s_and_b64 s[6:7], s[14:15], s[34:35]
	v_cmp_eq_u32_e64 s[44:45], 1, v4
	v_cmp_eq_u32_e64 s[52:53], 2, v4
	;; [unrolled: 1-line block ×3, first 2 shown]
	v_cndmask_b32_e64 v4, 0, 1, s[6:7]
	s_and_b64 s[6:7], s[12:13], s[36:37]
	v_cmp_eq_u32_e64 s[38:39], 1, v5
	v_cmp_eq_u32_e64 s[46:47], 2, v5
	;; [unrolled: 1-line block ×3, first 2 shown]
	v_cndmask_b32_e64 v5, 0, 1, s[6:7]
	v_cmp_ne_u32_e64 s[6:7], 0, v2
	v_cmp_ne_u32_e64 s[30:31], 0, v3
	v_cmp_ne_u32_e64 s[34:35], 0, v4
	v_cmp_ne_u32_e64 s[36:37], 0, v5
	s_bcnt1_i32_b64 s6, s[6:7]
	s_bcnt1_i32_b64 s7, s[30:31]
	s_bcnt1_i32_b64 s30, s[34:35]
	s_bcnt1_i32_b64 s31, s[36:37]
	s_add_u32 s6, s6, s28
	s_addc_u32 s28, 0, s29
	s_add_u32 s6, s6, s7
	s_addc_u32 s7, s28, 0
	s_add_u32 s6, s6, s30
	s_addc_u32 s7, s7, 0
	s_add_u32 s28, s6, s31
	s_addc_u32 s29, s7, 0
	s_and_b64 s[6:7], s[18:19], s[38:39]
	v_cndmask_b32_e64 v4, 0, 1, s[6:7]
	s_and_b64 s[6:7], s[16:17], s[40:41]
	v_cndmask_b32_e64 v5, 0, 1, s[6:7]
	s_and_b64 s[6:7], s[14:15], s[42:43]
	v_cndmask_b32_e64 v6, 0, 1, s[6:7]
	s_and_b64 s[6:7], s[12:13], s[44:45]
	v_cndmask_b32_e64 v7, 0, 1, s[6:7]
	v_cmp_ne_u32_e64 s[6:7], 0, v4
	v_cmp_ne_u32_e64 s[30:31], 0, v5
	v_cmp_ne_u32_e64 s[34:35], 0, v6
	v_cmp_ne_u32_e64 s[36:37], 0, v7
	s_bcnt1_i32_b64 s6, s[6:7]
	s_bcnt1_i32_b64 s7, s[30:31]
	s_bcnt1_i32_b64 s30, s[34:35]
	s_bcnt1_i32_b64 s31, s[36:37]
	s_add_u32 s2, s6, s2
	s_addc_u32 s3, 0, s3
	s_add_u32 s2, s2, s7
	s_addc_u32 s3, s3, 0
	s_add_u32 s2, s2, s30
	s_addc_u32 s3, s3, 0
	s_add_u32 s2, s2, s31
	s_addc_u32 s3, s3, 0
	s_and_b64 s[6:7], s[18:19], s[46:47]
	v_cndmask_b32_e64 v6, 0, 1, s[6:7]
	s_and_b64 s[6:7], s[16:17], s[48:49]
	v_cndmask_b32_e64 v7, 0, 1, s[6:7]
	s_and_b64 s[6:7], s[14:15], s[50:51]
	v_cndmask_b32_e64 v8, 0, 1, s[6:7]
	s_and_b64 s[6:7], s[12:13], s[52:53]
	;; [unrolled: 24-line block ×3, first 2 shown]
	v_cndmask_b32_e64 v27, 0, 1, s[6:7]
	v_cmp_ne_u32_e64 s[6:7], 0, v8
	v_cmp_ne_u32_e64 s[12:13], 0, v9
	;; [unrolled: 1-line block ×4, first 2 shown]
	s_bcnt1_i32_b64 s6, s[6:7]
	s_bcnt1_i32_b64 s7, s[12:13]
	;; [unrolled: 1-line block ×4, first 2 shown]
	s_add_u32 s6, s6, s8
	s_addc_u32 s8, 0, s9
	s_add_u32 s6, s6, s7
	s_addc_u32 s7, s8, 0
	;; [unrolled: 2-line block ×5, first 2 shown]
	v_pk_mov_b32 v[2:3], s[28:29], s[28:29] op_sel:[0,1]
	v_pk_mov_b32 v[4:5], s[2:3], s[2:3] op_sel:[0,1]
	;; [unrolled: 1-line block ×3, first 2 shown]
	s_or_b64 s[60:61], vcc, s[60:61]
	v_pk_mov_b32 v[8:9], s[8:9], s[8:9] op_sel:[0,1]
	s_andn2_b64 exec, exec, s[60:61]
	s_cbranch_execnz .LBB20_48
; %bb.49:                               ;   in Loop: Header=BB20_8 Depth=1
	s_or_b64 exec, exec, s[60:61]
	v_readlane_b32 s48, v45, 35
	v_readlane_b32 s50, v45, 37
	;; [unrolled: 1-line block ×3, first 2 shown]
	s_mov_b32 s82, s81
	s_mov_b32 s47, s89
	v_readlane_b32 s51, v45, 38
.LBB20_50:                              ;   in Loop: Header=BB20_8 Depth=1
	s_or_b64 exec, exec, s[86:87]
	v_add_co_u32_e32 v32, vcc, v32, v0
	v_addc_co_u32_e32 v33, vcc, 0, v33, vcc
	v_cmp_gt_i64_e32 vcc, s[56:57], v[32:33]
	v_mov_b32_e32 v12, 0
	s_and_saveexec_b64 s[2:3], vcc
	s_cbranch_execz .LBB20_52
; %bb.51:                               ;   in Loop: Header=BB20_8 Depth=1
	v_mul_lo_u32 v12, v33, s62
	v_mul_lo_u32 v27, v32, s63
	v_mad_u64_u32 v[34:35], s[6:7], v32, s62, 0
	v_add3_u32 v35, v35, v27, v12
	v_readlane_b32 s6, v45, 18
	v_lshlrev_b64 v[34:35], 2, v[34:35]
	v_readlane_b32 s7, v45, 19
	v_mov_b32_e32 v12, s7
	v_add_co_u32_e64 v34, s[6:7], s6, v34
	v_addc_co_u32_e64 v35, s[6:7], v12, v35, s[6:7]
	global_load_dword v12, v[34:35], off
.LBB20_52:                              ;   in Loop: Header=BB20_8 Depth=1
	s_or_b64 exec, exec, s[2:3]
	s_and_saveexec_b64 s[2:3], vcc
	s_cbranch_execz .LBB20_59
; %bb.53:                               ;   in Loop: Header=BB20_8 Depth=1
	v_mov_b32_e32 v27, s75
	v_add_co_u32_e32 v28, vcc, s1, v41
	v_addc_co_u32_e32 v27, vcc, v42, v27, vcc
	v_readlane_b32 s6, v45, 18
	v_sub_co_u32_e32 v28, vcc, v28, v30
	v_readlane_b32 s7, v45, 19
	v_subb_co_u32_e32 v27, vcc, v27, v31, vcc
	v_readlane_b32 s8, v45, 31
	v_pk_mov_b32 v[30:31], s[6:7], s[6:7] op_sel:[0,1]
	v_readlane_b32 s9, v45, 32
	v_mad_u64_u32 v[30:31], s[6:7], s8, v28, v[30:31]
	v_mul_lo_u32 v27, s8, v27
	v_mul_lo_u32 v34, s9, v28
	s_mul_i32 s6, s9, s1
	s_mul_hi_u32 s7, s8, s1
	s_and_b32 s14, s77, 0xfe
	v_add3_u32 v31, v34, v31, v27
	s_add_i32 s15, s7, s6
	s_mul_i32 s16, s8, s1
	s_mov_b64 s[8:9], 0
	s_branch .LBB20_55
.LBB20_54:                              ;   in Loop: Header=BB20_55 Depth=2
	s_or_b64 exec, exec, s[12:13]
	s_waitcnt vmcnt(0)
	v_xor_b32_e32 v12, 0x80000000, v12
	s_and_b64 s[6:7], exec, vcc
	v_and_b32_e32 v28, s83, v12
	v_bfe_u32 v12, v12, s14, 2
	s_or_b64 s[8:9], s[6:7], s[8:9]
	v_cmp_eq_u32_e32 vcc, s0, v28
	v_cmp_eq_u32_e64 s[6:7], 0, v12
	s_and_b64 s[6:7], vcc, s[6:7]
	v_cndmask_b32_e64 v28, 0, 1, s[6:7]
	v_cmp_ne_u32_e64 s[6:7], 0, v28
	s_bcnt1_i32_b64 s6, s[6:7]
	v_add_co_u32_e64 v2, s[6:7], s6, v2
	v_addc_co_u32_e64 v3, s[6:7], 0, v3, s[6:7]
	v_cmp_eq_u32_e64 s[6:7], 1, v12
	s_and_b64 s[6:7], vcc, s[6:7]
	v_cndmask_b32_e64 v28, 0, 1, s[6:7]
	v_cmp_ne_u32_e64 s[6:7], 0, v28
	s_bcnt1_i32_b64 s6, s[6:7]
	v_add_co_u32_e64 v4, s[6:7], s6, v4
	v_addc_co_u32_e64 v5, s[6:7], 0, v5, s[6:7]
	;; [unrolled: 7-line block ×3, first 2 shown]
	v_cmp_eq_u32_e64 s[6:7], 3, v12
	s_and_b64 s[6:7], vcc, s[6:7]
	v_cndmask_b32_e64 v12, 0, 1, s[6:7]
	v_cmp_ne_u32_e32 vcc, 0, v12
	s_bcnt1_i32_b64 s6, vcc
	v_add_co_u32_e32 v8, vcc, s6, v8
	v_addc_co_u32_e32 v9, vcc, 0, v9, vcc
	v_mov_b32_e32 v12, s15
	v_add_co_u32_e32 v30, vcc, s16, v30
	v_addc_co_u32_e32 v31, vcc, v31, v12, vcc
	v_mov_b32_e32 v12, v27
	s_andn2_b64 exec, exec, s[8:9]
	s_cbranch_execz .LBB20_58
.LBB20_55:                              ;   Parent Loop BB20_8 Depth=1
                                        ; =>  This Inner Loop Header: Depth=2
	v_mov_b32_e32 v27, s75
	v_add_co_u32_e32 v32, vcc, s1, v32
	v_addc_co_u32_e32 v33, vcc, v33, v27, vcc
	v_cmp_gt_i64_e64 s[6:7], s[56:57], v[32:33]
	v_cmp_le_i64_e32 vcc, s[56:57], v[32:33]
	v_mov_b32_e32 v27, 0
	s_and_saveexec_b64 s[12:13], s[6:7]
	s_cbranch_execz .LBB20_54
; %bb.56:                               ;   in Loop: Header=BB20_55 Depth=2
	global_load_dword v27, v[30:31], off
	s_branch .LBB20_54
.LBB20_57:                              ;   in Loop: Header=BB20_8 Depth=1
                                        ; implicit-def: $vgpr8_vgpr9
                                        ; implicit-def: $vgpr4_vgpr5
	s_cbranch_execnz .LBB20_60
	s_branch .LBB20_69
.LBB20_58:                              ;   in Loop: Header=BB20_8 Depth=1
	s_or_b64 exec, exec, s[8:9]
.LBB20_59:                              ;   in Loop: Header=BB20_8 Depth=1
	s_or_b64 exec, exec, s[2:3]
	s_branch .LBB20_69
.LBB20_60:                              ;   in Loop: Header=BB20_8 Depth=1
	global_load_ushort v8, v13, s[50:51]
	s_mov_b64 s[60:61], 0
	s_waitcnt vmcnt(0)
	v_readfirstlane_b32 s1, v8
	s_and_b32 s1, 0xffff, s1
	s_lshl_b32 s1, s1, 2
	v_cvt_f32_u32_e32 v2, s1
	s_sub_i32 s2, 0, s1
	v_and_b32_e32 v27, 0xffff, v8
	v_rcp_iflag_f32_e32 v6, v2
	v_pk_mov_b32 v[2:3], 0, 0
	v_pk_mov_b32 v[4:5], v[2:3], v[2:3] op_sel:[0,1]
	v_mul_f32_e32 v6, 0x4f7ffffe, v6
	v_cvt_u32_f32_e32 v9, v6
	v_pk_mov_b32 v[6:7], v[2:3], v[2:3] op_sel:[0,1]
	v_readfirstlane_b32 s3, v9
	s_mul_i32 s2, s2, s3
	s_mul_hi_u32 s2, s3, s2
	s_add_i32 s3, s3, s2
	s_mul_hi_u32 s2, s84, s3
	s_mul_i32 s2, s2, s1
	s_sub_i32 s2, s84, s2
	s_sub_i32 s3, s2, s1
	s_cmp_ge_u32 s2, s1
	s_cselect_b32 s2, s3, s2
	s_sub_i32 s3, s2, s1
	s_cmp_ge_u32 s2, s1
	s_cselect_b32 s2, s3, s2
	s_sub_i32 s74, s84, s2
	v_cmp_gt_u32_e32 vcc, s74, v14
	v_pk_mov_b32 v[8:9], v[2:3], v[2:3] op_sel:[0,1]
	s_and_saveexec_b64 s[2:3], vcc
	s_cbranch_execz .LBB20_64
; %bb.61:                               ;   in Loop: Header=BB20_8 Depth=1
	s_mov_b32 s81, s47
	s_and_b32 s80, s77, 0xfe
	v_lshlrev_b32_e32 v12, 4, v27
	v_mov_b32_e32 v28, v40
	s_mov_b64 s[8:9], 0
	s_mov_b64 s[28:29], 0
	;; [unrolled: 1-line block ×4, first 2 shown]
	v_pk_mov_b32 v[30:31], v[14:15], v[14:15] op_sel:[0,1]
.LBB20_62:                              ;   Parent Loop BB20_8 Depth=1
                                        ; =>  This Inner Loop Header: Depth=2
	ds_read_b128 v[2:5], v28
	v_add_co_u32_e32 v30, vcc, s1, v30
	v_addc_co_u32_e32 v31, vcc, 0, v31, vcc
	s_waitcnt lgkmcnt(0)
	v_xor_b32_e32 v2, 0x80000000, v2
	v_xor_b32_e32 v3, 0x80000000, v3
	v_and_b32_e32 v6, s83, v2
	v_bfe_u32 v2, v2, s80, 2
	v_xor_b32_e32 v4, 0x80000000, v4
	v_and_b32_e32 v7, s83, v3
	v_bfe_u32 v3, v3, s80, 2
	v_cmp_eq_u32_e64 s[18:19], s0, v6
	v_cmp_eq_u32_e64 s[6:7], 0, v2
	v_xor_b32_e32 v5, 0x80000000, v5
	v_and_b32_e32 v8, s83, v4
	v_bfe_u32 v4, v4, s80, 2
	v_cmp_eq_u32_e64 s[16:17], s0, v7
	v_cmp_eq_u32_e64 s[30:31], 0, v3
	s_and_b64 s[6:7], s[18:19], s[6:7]
	v_and_b32_e32 v9, s83, v5
	v_bfe_u32 v5, v5, s80, 2
	v_cmp_eq_u32_e64 s[14:15], s0, v8
	v_cmp_eq_u32_e64 s[34:35], 0, v4
	;; [unrolled: 1-line block ×5, first 2 shown]
	v_cndmask_b32_e64 v2, 0, 1, s[6:7]
	s_and_b64 s[6:7], s[16:17], s[30:31]
	v_cmp_eq_u32_e64 s[12:13], s0, v9
	v_cmp_eq_u32_e64 s[36:37], 0, v5
	;; [unrolled: 1-line block ×5, first 2 shown]
	v_cndmask_b32_e64 v3, 0, 1, s[6:7]
	s_and_b64 s[6:7], s[14:15], s[34:35]
	v_cmp_eq_u32_e64 s[42:43], 1, v4
	v_cmp_eq_u32_e64 s[50:51], 2, v4
	;; [unrolled: 1-line block ×3, first 2 shown]
	v_cndmask_b32_e64 v4, 0, 1, s[6:7]
	s_and_b64 s[6:7], s[12:13], s[36:37]
	v_cmp_eq_u32_e64 s[44:45], 1, v5
	v_cmp_eq_u32_e64 s[52:53], 2, v5
	;; [unrolled: 1-line block ×3, first 2 shown]
	v_cndmask_b32_e64 v5, 0, 1, s[6:7]
	v_cmp_ne_u32_e64 s[6:7], 0, v2
	v_cmp_ne_u32_e64 s[30:31], 0, v3
	v_cmp_ne_u32_e64 s[34:35], 0, v4
	v_cmp_ne_u32_e64 s[36:37], 0, v5
	s_bcnt1_i32_b64 s6, s[6:7]
	s_bcnt1_i32_b64 s7, s[30:31]
	s_bcnt1_i32_b64 s30, s[34:35]
	s_bcnt1_i32_b64 s31, s[36:37]
	s_add_u32 s6, s6, s78
	s_addc_u32 s34, 0, s79
	s_add_u32 s6, s6, s7
	s_addc_u32 s7, s34, 0
	s_add_u32 s6, s6, s30
	s_addc_u32 s7, s7, 0
	s_add_u32 s78, s6, s31
	s_addc_u32 s79, s7, 0
	s_and_b64 s[6:7], s[18:19], s[38:39]
	v_cndmask_b32_e64 v4, 0, 1, s[6:7]
	s_and_b64 s[6:7], s[16:17], s[40:41]
	v_cndmask_b32_e64 v5, 0, 1, s[6:7]
	s_and_b64 s[6:7], s[14:15], s[42:43]
	v_cndmask_b32_e64 v6, 0, 1, s[6:7]
	s_and_b64 s[6:7], s[12:13], s[44:45]
	v_cndmask_b32_e64 v7, 0, 1, s[6:7]
	v_cmp_ne_u32_e64 s[6:7], 0, v4
	v_cmp_ne_u32_e64 s[30:31], 0, v5
	v_cmp_ne_u32_e64 s[34:35], 0, v6
	v_cmp_ne_u32_e64 s[36:37], 0, v7
	s_bcnt1_i32_b64 s6, s[6:7]
	s_bcnt1_i32_b64 s7, s[30:31]
	s_bcnt1_i32_b64 s30, s[34:35]
	s_bcnt1_i32_b64 s31, s[36:37]
	s_add_u32 s6, s6, s72
	s_addc_u32 s34, 0, s73
	s_add_u32 s6, s6, s7
	s_addc_u32 s7, s34, 0
	s_add_u32 s6, s6, s30
	s_addc_u32 s7, s7, 0
	s_add_u32 s72, s6, s31
	s_addc_u32 s73, s7, 0
	s_and_b64 s[6:7], s[18:19], s[46:47]
	v_cndmask_b32_e64 v6, 0, 1, s[6:7]
	s_and_b64 s[6:7], s[16:17], s[48:49]
	v_cndmask_b32_e64 v7, 0, 1, s[6:7]
	s_and_b64 s[6:7], s[14:15], s[50:51]
	v_cndmask_b32_e64 v8, 0, 1, s[6:7]
	s_and_b64 s[6:7], s[12:13], s[52:53]
	;; [unrolled: 24-line block ×3, first 2 shown]
	v_cndmask_b32_e64 v33, 0, 1, s[6:7]
	v_cmp_ne_u32_e64 s[6:7], 0, v8
	v_cmp_ne_u32_e64 s[12:13], 0, v9
	v_cmp_ne_u32_e64 s[14:15], 0, v32
	v_cmp_ne_u32_e64 s[16:17], 0, v33
	s_bcnt1_i32_b64 s6, s[6:7]
	s_bcnt1_i32_b64 s7, s[12:13]
	;; [unrolled: 1-line block ×4, first 2 shown]
	s_add_u32 s6, s6, s8
	s_addc_u32 s8, 0, s9
	s_add_u32 s6, s6, s7
	s_addc_u32 s7, s8, 0
	;; [unrolled: 2-line block ×3, first 2 shown]
	s_add_u32 s8, s6, s13
	v_cmp_le_u64_e32 vcc, s[74:75], v[30:31]
	s_addc_u32 s9, s7, 0
	v_add_u32_e32 v28, v28, v12
	v_pk_mov_b32 v[2:3], s[78:79], s[78:79] op_sel:[0,1]
	v_pk_mov_b32 v[4:5], s[72:73], s[72:73] op_sel:[0,1]
	;; [unrolled: 1-line block ×3, first 2 shown]
	s_or_b64 s[60:61], vcc, s[60:61]
	v_pk_mov_b32 v[8:9], s[8:9], s[8:9] op_sel:[0,1]
	s_andn2_b64 exec, exec, s[60:61]
	s_cbranch_execnz .LBB20_62
; %bb.63:                               ;   in Loop: Header=BB20_8 Depth=1
	s_or_b64 exec, exec, s[60:61]
	v_readlane_b32 s48, v45, 35
	v_readlane_b32 s50, v45, 37
	;; [unrolled: 1-line block ×3, first 2 shown]
	s_mov_b32 s47, s81
	v_readlane_b32 s51, v45, 38
.LBB20_64:                              ;   in Loop: Header=BB20_8 Depth=1
	s_or_b64 exec, exec, s[2:3]
	v_add_u32_e32 v12, s74, v0
	v_cmp_gt_u32_e32 vcc, s84, v12
	s_and_saveexec_b64 s[2:3], vcc
	s_cbranch_execz .LBB20_68
; %bb.65:                               ;   in Loop: Header=BB20_8 Depth=1
	s_and_b32 s74, s84, 0x7fffffff
	s_and_b32 s20, s77, 0xfe
	v_lshlrev_b32_e32 v28, 2, v12
	s_mov_b64 s[8:9], 0
	v_pk_mov_b32 v[30:31], v[12:13], v[12:13] op_sel:[0,1]
.LBB20_66:                              ;   Parent Loop BB20_8 Depth=1
                                        ; =>  This Inner Loop Header: Depth=2
	ds_read_b32 v12, v28
	v_add_co_u32_e32 v30, vcc, v30, v27
	v_addc_co_u32_e32 v31, vcc, 0, v31, vcc
	s_waitcnt lgkmcnt(0)
	v_xor_b32_e32 v12, 0x80000000, v12
	v_and_b32_e32 v32, s83, v12
	v_bfe_u32 v12, v12, s20, 2
	v_cmp_eq_u32_e64 s[6:7], s0, v32
	v_cmp_eq_u32_e64 s[12:13], 0, v12
	;; [unrolled: 1-line block ×3, first 2 shown]
	s_and_b64 s[12:13], s[6:7], s[12:13]
	v_cmp_eq_u32_e64 s[16:17], 2, v12
	v_cmp_eq_u32_e64 s[18:19], 3, v12
	v_cndmask_b32_e64 v12, 0, 1, s[12:13]
	s_and_b64 s[12:13], s[6:7], s[14:15]
	v_cndmask_b32_e64 v32, 0, 1, s[12:13]
	s_and_b64 s[12:13], s[6:7], s[16:17]
	s_and_b64 s[6:7], s[6:7], s[18:19]
	v_cndmask_b32_e64 v34, 0, 1, s[6:7]
	v_cmp_ne_u32_e64 s[6:7], 0, v12
	s_bcnt1_i32_b64 s6, s[6:7]
	v_cndmask_b32_e64 v33, 0, 1, s[12:13]
	v_cmp_ne_u32_e64 s[12:13], 0, v32
	v_add_co_u32_e64 v2, s[6:7], s6, v2
	s_bcnt1_i32_b64 s12, s[12:13]
	v_addc_co_u32_e64 v3, s[6:7], 0, v3, s[6:7]
	v_cmp_ne_u32_e64 s[14:15], 0, v33
	v_cmp_ne_u32_e64 s[16:17], 0, v34
	v_add_co_u32_e64 v4, s[6:7], s12, v4
	v_cmp_le_u64_e32 vcc, s[74:75], v[30:31]
	s_bcnt1_i32_b64 s13, s[14:15]
	s_bcnt1_i32_b64 s14, s[16:17]
	v_addc_co_u32_e64 v5, s[6:7], 0, v5, s[6:7]
	v_add_co_u32_e64 v6, s[6:7], s13, v6
	s_or_b64 s[8:9], vcc, s[8:9]
	v_add_co_u32_e32 v8, vcc, s14, v8
	v_add_u32_e32 v28, s1, v28
	v_addc_co_u32_e64 v7, s[6:7], 0, v7, s[6:7]
	v_addc_co_u32_e32 v9, vcc, 0, v9, vcc
	s_andn2_b64 exec, exec, s[8:9]
	s_cbranch_execnz .LBB20_66
; %bb.67:                               ;   in Loop: Header=BB20_8 Depth=1
	s_or_b64 exec, exec, s[8:9]
.LBB20_68:                              ;   in Loop: Header=BB20_8 Depth=1
	s_or_b64 exec, exec, s[2:3]
.LBB20_69:                              ;   in Loop: Header=BB20_8 Depth=1
	s_lshl_b32 s1, s88, 6
	s_and_saveexec_b64 s[2:3], s[4:5]
	s_cbranch_execz .LBB20_71
; %bb.70:                               ;   in Loop: Header=BB20_8 Depth=1
	s_waitcnt vmcnt(0)
	v_or_b32_e32 v12, s1, v38
	v_lshlrev_b32_e32 v12, 3, v12
	ds_write_b128 v12, v[2:5] offset:3072
	ds_write_b128 v12, v[6:9] offset:3088
.LBB20_71:                              ;   in Loop: Header=BB20_8 Depth=1
	s_or_b64 exec, exec, s[2:3]
	s_waitcnt lgkmcnt(0)
	s_barrier
	s_and_saveexec_b64 s[2:3], s[48:49]
	s_cbranch_execz .LBB20_83
; %bb.72:                               ;   in Loop: Header=BB20_8 Depth=1
	v_readlane_b32 s6, v45, 22
	v_readlane_b32 s7, v45, 23
	s_andn2_b64 vcc, exec, s[6:7]
	v_pk_mov_b32 v[2:3], 0, 0
	s_cbranch_vccnz .LBB20_82
; %bb.73:                               ;   in Loop: Header=BB20_8 Depth=1
	v_readlane_b32 s6, v45, 26
	v_readlane_b32 s7, v45, 27
	s_andn2_b64 vcc, exec, s[6:7]
	s_cbranch_vccnz .LBB20_78
; %bb.74:                               ;   in Loop: Header=BB20_8 Depth=1
	v_lshl_add_u32 v4, s88, 9, v43
	s_mov_b32 s6, 0
	v_pk_mov_b32 v[2:3], 0, 0
.LBB20_75:                              ;   Parent Loop BB20_8 Depth=1
                                        ; =>  This Inner Loop Header: Depth=2
	s_waitcnt vmcnt(0)
	ds_read2_b64 v[6:9], v4 offset1:4
	ds_read2_b64 v[30:33], v4 offset0:8 offset1:12
	ds_read2_b64 v[46:49], v4 offset0:16 offset1:20
	;; [unrolled: 1-line block ×3, first 2 shown]
	s_add_i32 s6, s6, 8
	s_waitcnt lgkmcnt(3)
	v_add_co_u32_e32 v2, vcc, v6, v2
	v_addc_co_u32_e32 v3, vcc, v7, v3, vcc
	v_add_co_u32_e32 v2, vcc, v8, v2
	v_addc_co_u32_e32 v3, vcc, v9, v3, vcc
	s_waitcnt lgkmcnt(2)
	v_add_co_u32_e32 v2, vcc, v30, v2
	v_addc_co_u32_e32 v3, vcc, v31, v3, vcc
	v_add_co_u32_e32 v2, vcc, v32, v2
	v_addc_co_u32_e32 v3, vcc, v33, v3, vcc
	;; [unrolled: 5-line block ×3, first 2 shown]
	s_waitcnt lgkmcnt(0)
	v_add_co_u32_e32 v2, vcc, v50, v2
	v_addc_co_u32_e32 v3, vcc, v51, v3, vcc
	v_add_co_u32_e32 v2, vcc, v52, v2
	v_add_u32_e32 v4, 0x100, v4
	s_cmp_eq_u32 s91, s6
	v_addc_co_u32_e32 v3, vcc, v53, v3, vcc
	s_cbranch_scc0 .LBB20_75
; %bb.76:                               ;   in Loop: Header=BB20_8 Depth=1
	s_mov_b32 s6, s91
	s_branch .LBB20_79
.LBB20_77:                              ;   in Loop: Header=BB20_8 Depth=1
                                        ; implicit-def: $vgpr30_vgpr31
	s_branch .LBB20_45
.LBB20_78:                              ;   in Loop: Header=BB20_8 Depth=1
	s_mov_b32 s6, 0
	v_pk_mov_b32 v[2:3], 0, 0
.LBB20_79:                              ;   in Loop: Header=BB20_8 Depth=1
	v_readlane_b32 s8, v45, 29
	v_readlane_b32 s9, v45, 30
	s_andn2_b64 vcc, exec, s[8:9]
	s_cbranch_vccnz .LBB20_82
; %bb.80:                               ;   in Loop: Header=BB20_8 Depth=1
	s_lshl_b32 s7, s88, 9
	s_lshl_b32 s6, s6, 5
	s_add_i32 s7, s7, s6
	v_add_u32_e32 v4, s7, v43
	v_readlane_b32 s6, v45, 28
.LBB20_81:                              ;   Parent Loop BB20_8 Depth=1
                                        ; =>  This Inner Loop Header: Depth=2
	s_waitcnt vmcnt(0)
	ds_read_b64 v[6:7], v4
	s_add_i32 s6, s6, -1
	v_add_u32_e32 v4, 32, v4
	s_cmp_lg_u32 s6, 0
	s_waitcnt lgkmcnt(0)
	v_add_co_u32_e32 v2, vcc, v6, v2
	v_addc_co_u32_e32 v3, vcc, v7, v3, vcc
	s_cbranch_scc1 .LBB20_81
.LBB20_82:                              ;   in Loop: Header=BB20_8 Depth=1
	v_add_lshl_u32 v4, s1, v36, 3
	ds_write_b64 v4, v[2:3] offset:3072
.LBB20_83:                              ;   in Loop: Header=BB20_8 Depth=1
	s_or_b64 exec, exec, s[2:3]
	s_lshl_b32 s1, s1, 3
	s_waitcnt vmcnt(0)
	v_mov_b32_e32 v6, s1
	s_waitcnt lgkmcnt(0)
	s_barrier
	ds_read_b128 v[2:5], v6 offset:3072
	ds_read_b128 v[6:9], v6 offset:3088
	s_and_b32 s40, s77, 0xfe
	s_lshl_b32 s1, 3, s40
	s_not_b32 s41, s1
	s_waitcnt lgkmcnt(1)
	v_readfirstlane_b32 s15, v3
	v_readfirstlane_b32 s14, v2
	s_cmp_eq_u64 s[14:15], 1
	s_cselect_b64 s[2:3], -1, 0
	s_cmp_eq_u64 s[58:59], 1
	s_cselect_b64 s[8:9], -1, 0
	s_and_b64 s[20:21], s[2:3], s[8:9]
	v_readfirstlane_b32 s26, v4
	v_readfirstlane_b32 s27, v5
	s_waitcnt lgkmcnt(0)
	v_readfirstlane_b32 s16, v6
	v_readfirstlane_b32 s17, v7
	;; [unrolled: 1-line block ×4, first 2 shown]
	s_mov_b64 s[18:19], -1
	s_and_b64 vcc, exec, s[20:21]
	s_cbranch_vccz .LBB20_98
; %bb.84:                               ;   in Loop: Header=BB20_8 Depth=1
	ds_read_b64 v[2:3], v13 offset:5120
	s_waitcnt lgkmcnt(0)
	s_barrier
	v_readfirstlane_b32 s12, v2
	v_readfirstlane_b32 s13, v3
	s_mov_b64 s[2:3], exec
	v_readlane_b32 s8, v45, 12
	v_readlane_b32 s9, v45, 13
	s_and_b64 s[8:9], s[2:3], s[8:9]
	s_mov_b64 exec, s[8:9]
	s_cbranch_execz .LBB20_86
; %bb.85:                               ;   in Loop: Header=BB20_8 Depth=1
	ds_write_b32 v37, v13
.LBB20_86:                              ;   in Loop: Header=BB20_8 Depth=1
	s_or_b64 exec, exec, s[2:3]
	v_cmp_lt_i64_e64 s[2:3], s[12:13], 1
	s_and_b32 s0, s0, s41
	s_or_b32 s83, s83, s1
	s_and_b64 vcc, exec, s[2:3]
	s_waitcnt lgkmcnt(0)
	s_barrier
	s_cbranch_vccz .LBB20_99
; %bb.87:                               ;   in Loop: Header=BB20_8 Depth=1
	s_mov_b32 s46, s75
	s_cmp_lg_u64 s[46:47], 0
	s_cbranch_scc0 .LBB20_144
; %bb.88:                               ;   in Loop: Header=BB20_8 Depth=1
	v_cvt_f32_u32_e32 v2, s33
	s_sub_u32 s2, 0, s33
	s_subb_u32 s3, 0, 0
	v_mac_f32_e32 v2, 0x4f800000, v44
	v_rcp_f32_e32 v2, v2
	v_mul_f32_e32 v2, 0x5f7ffffc, v2
	v_mul_f32_e32 v3, 0x2f800000, v2
	v_trunc_f32_e32 v3, v3
	v_mac_f32_e32 v2, 0xcf800000, v3
	v_cvt_u32_f32_e32 v3, v3
	v_cvt_u32_f32_e32 v2, v2
	v_readfirstlane_b32 s8, v3
	v_readfirstlane_b32 s9, v2
	s_mul_i32 s22, s2, s8
	s_mul_hi_u32 s24, s2, s9
	s_mul_i32 s23, s3, s9
	s_add_i32 s22, s24, s22
	s_mul_i32 s25, s2, s9
	s_add_i32 s22, s22, s23
	s_mul_hi_u32 s24, s9, s25
	s_mul_hi_u32 s23, s9, s22
	s_mul_i32 s9, s9, s22
	s_add_u32 s9, s24, s9
	s_addc_u32 s23, 0, s23
	s_mul_hi_u32 s28, s8, s25
	s_mul_i32 s25, s8, s25
	s_add_u32 s9, s9, s25
	s_mul_hi_u32 s24, s8, s22
	s_addc_u32 s9, s23, s28
	s_addc_u32 s23, s24, 0
	s_mul_i32 s22, s8, s22
	s_add_u32 s9, s9, s22
	s_addc_u32 s22, 0, s23
	v_add_co_u32_e32 v2, vcc, s9, v2
	s_cmp_lg_u64 vcc, 0
	s_addc_u32 s8, s8, s22
	v_readfirstlane_b32 s22, v2
	s_mul_i32 s9, s2, s8
	s_mul_hi_u32 s23, s2, s22
	s_add_i32 s9, s23, s9
	s_mul_i32 s3, s3, s22
	s_add_i32 s9, s9, s3
	s_mul_i32 s2, s2, s22
	s_mul_hi_u32 s23, s8, s2
	s_mul_i32 s24, s8, s2
	s_mul_i32 s28, s22, s9
	s_mul_hi_u32 s2, s22, s2
	s_mul_hi_u32 s25, s22, s9
	s_add_u32 s2, s2, s28
	s_addc_u32 s22, 0, s25
	s_add_u32 s2, s2, s24
	s_mul_hi_u32 s3, s8, s9
	s_addc_u32 s2, s22, s23
	s_addc_u32 s3, s3, 0
	s_mul_i32 s9, s8, s9
	s_add_u32 s2, s2, s9
	s_addc_u32 s3, 0, s3
	v_add_co_u32_e32 v2, vcc, s2, v2
	s_cmp_lg_u64 vcc, 0
	s_addc_u32 s22, s8, s3
	s_ashr_i32 s2, s47, 31
	s_add_u32 s8, s82, s2
	s_mov_b32 s3, s2
	s_addc_u32 s9, s47, s2
	s_xor_b64 s[8:9], s[8:9], s[2:3]
	v_readfirstlane_b32 s24, v2
	s_mul_i32 s23, s8, s22
	s_mul_hi_u32 s25, s8, s24
	s_mul_hi_u32 s3, s8, s22
	s_add_u32 s23, s25, s23
	s_addc_u32 s3, 0, s3
	s_mul_hi_u32 s28, s9, s24
	s_mul_i32 s24, s9, s24
	s_add_u32 s23, s23, s24
	s_mul_hi_u32 s25, s9, s22
	s_addc_u32 s3, s3, s28
	s_addc_u32 s23, s25, 0
	s_mul_i32 s22, s9, s22
	s_add_u32 s3, s3, s22
	s_addc_u32 s22, 0, s23
	s_mul_hi_u32 s23, s33, s3
	s_mul_i32 s3, s33, s3
	s_mul_i32 s22, s33, s22
	v_mov_b32_e32 v2, s3
	s_add_i32 s23, s23, s22
	v_sub_co_u32_e32 v2, vcc, s8, v2
	s_cmp_lg_u64 vcc, 0
	s_subb_u32 s3, s9, s23
	v_subrev_co_u32_e32 v3, vcc, s33, v2
	s_cmp_lg_u64 vcc, 0
	s_subb_u32 s8, s3, 0
	v_subrev_co_u32_e32 v4, vcc, s33, v3
	s_cmp_lg_u64 vcc, 0
	s_subb_u32 s9, s8, 0
	v_cmp_le_u32_e32 vcc, s33, v3
	s_cmp_eq_u32 s8, 0
	v_cndmask_b32_e64 v5, 0, -1, vcc
	s_cselect_b64 vcc, -1, 0
	v_cndmask_b32_e32 v5, -1, v5, vcc
	v_mov_b32_e32 v6, s8
	v_mov_b32_e32 v7, s9
	v_cmp_ne_u32_e32 vcc, 0, v5
	v_cndmask_b32_e32 v5, v6, v7, vcc
	v_cndmask_b32_e32 v3, v3, v4, vcc
	v_cmp_le_u32_e32 vcc, s33, v2
	s_cmp_eq_u32 s3, 0
	v_cndmask_b32_e64 v4, 0, -1, vcc
	s_cselect_b64 vcc, -1, 0
	v_cndmask_b32_e32 v4, -1, v4, vcc
	v_cmp_ne_u32_e32 vcc, 0, v4
	v_mov_b32_e32 v6, s3
	v_cndmask_b32_e32 v2, v2, v3, vcc
	v_cndmask_b32_e32 v4, v6, v5, vcc
	v_xor_b32_e32 v2, s2, v2
	v_xor_b32_e32 v3, s2, v4
	v_mov_b32_e32 v4, s2
	v_subrev_co_u32_e32 v2, vcc, s2, v2
	v_subb_co_u32_e32 v3, vcc, v3, v4, vcc
	s_cbranch_execnz .LBB20_90
.LBB20_89:                              ;   in Loop: Header=BB20_8 Depth=1
	v_cvt_f32_u32_e32 v2, s33
	s_sub_i32 s2, 0, s33
	v_rcp_iflag_f32_e32 v2, v2
	v_mul_f32_e32 v2, 0x4f7ffffe, v2
	v_cvt_u32_f32_e32 v2, v2
	v_mul_lo_u32 v3, s2, v2
	v_mul_hi_u32 v3, v2, v3
	v_add_u32_e32 v2, v2, v3
	v_mul_hi_u32 v2, s82, v2
	v_mul_lo_u32 v2, v2, s33
	v_sub_u32_e32 v2, s82, v2
	v_subrev_u32_e32 v3, s33, v2
	v_cmp_le_u32_e32 vcc, s33, v2
	v_cndmask_b32_e32 v2, v2, v3, vcc
	v_subrev_u32_e32 v3, s33, v2
	v_cmp_le_u32_e32 vcc, s33, v2
	v_cndmask_b32_e32 v12, v2, v3, vcc
	v_pk_mov_b32 v[2:3], v[12:13], v[12:13] op_sel:[0,1]
.LBB20_90:                              ;   in Loop: Header=BB20_8 Depth=1
	v_mov_b32_e32 v4, s47
	v_sub_co_u32_e32 v2, vcc, s82, v2
	v_subb_co_u32_e32 v3, vcc, v4, v3, vcc
	v_cmp_gt_i64_e32 vcc, v[2:3], v[0:1]
	s_mov_b64 s[2:3], 0
                                        ; implicit-def: $vgpr29
	s_and_saveexec_b64 s[8:9], vcc
	s_cbranch_execz .LBB20_101
; %bb.91:                               ;   in Loop: Header=BB20_8 Depth=1
	v_pk_mov_b32 v[4:5], v[10:11], v[10:11] op_sel:[0,1]
	v_pk_mov_b32 v[6:7], v[0:1], v[0:1] op_sel:[0,1]
                                        ; implicit-def: $sgpr22_sgpr23
	s_branch .LBB20_93
.LBB20_92:                              ;   in Loop: Header=BB20_93 Depth=2
	s_or_b64 exec, exec, s[24:25]
	s_waitcnt lgkmcnt(0)
	s_barrier
	ds_read_b64 v[28:29], v13 offset:3072
	v_mov_b32_e32 v8, s90
	v_add_co_u32_e32 v6, vcc, s33, v6
	v_addc_co_u32_e32 v7, vcc, v7, v8, vcc
	s_waitcnt lgkmcnt(0)
	v_readfirstlane_b32 s24, v28
	s_cmp_lg_u32 s24, 0
	s_cselect_b64 s[24:25], -1, 0
	v_cmp_ge_i64_e32 vcc, v[6:7], v[2:3]
	s_or_b64 s[28:29], s[24:25], vcc
	s_and_b64 s[28:29], exec, s[28:29]
	s_or_b64 s[2:3], s[28:29], s[2:3]
	v_mov_b32_e32 v8, s71
	v_add_co_u32_e32 v4, vcc, s70, v4
	s_andn2_b64 s[22:23], s[22:23], exec
	s_and_b64 s[24:25], s[24:25], exec
	v_addc_co_u32_e32 v5, vcc, v5, v8, vcc
	s_or_b64 s[22:23], s[22:23], s[24:25]
	s_barrier
	s_andn2_b64 exec, exec, s[2:3]
	s_cbranch_execz .LBB20_100
.LBB20_93:                              ;   Parent Loop BB20_8 Depth=1
                                        ; =>  This Inner Loop Header: Depth=2
	v_cmp_gt_i64_e32 vcc, s[56:57], v[6:7]
	s_waitcnt vmcnt(0)
	v_mov_b32_e32 v27, 0
	s_and_saveexec_b64 s[24:25], vcc
	s_cbranch_execz .LBB20_95
; %bb.94:                               ;   in Loop: Header=BB20_93 Depth=2
	global_load_dword v27, v[4:5], off
.LBB20_95:                              ;   in Loop: Header=BB20_93 Depth=2
	s_or_b64 exec, exec, s[24:25]
	s_and_saveexec_b64 s[24:25], vcc
	s_cbranch_execz .LBB20_92
; %bb.96:                               ;   in Loop: Header=BB20_93 Depth=2
	s_waitcnt vmcnt(0)
	v_xor_b32_e32 v8, 0x80000000, v27
	v_and_b32_e32 v8, s83, v8
	v_cmp_eq_u32_e32 vcc, s0, v8
	s_and_b64 exec, exec, vcc
	s_cbranch_execz .LBB20_92
; %bb.97:                               ;   in Loop: Header=BB20_93 Depth=2
	ds_write_b64 v13, v[26:27] offset:3072
	s_branch .LBB20_92
.LBB20_98:                              ;   in Loop: Header=BB20_8 Depth=1
	s_mov_b64 s[2:3], -1
                                        ; implicit-def: $sgpr8_sgpr9
                                        ; implicit-def: $sgpr24_sgpr25
                                        ; implicit-def: $sgpr22_sgpr23
	s_branch .LBB20_115
.LBB20_99:                              ;   in Loop: Header=BB20_8 Depth=1
	s_mov_b64 s[8:9], -1
	s_mov_b64 s[2:3], 0
                                        ; implicit-def: $sgpr22_sgpr23
                                        ; implicit-def: $vgpr29
	s_mov_b64 s[24:25], s[8:9]
	s_cbranch_execnz .LBB20_102
	s_branch .LBB20_115
.LBB20_100:                             ;   in Loop: Header=BB20_8 Depth=1
	s_or_b64 exec, exec, s[2:3]
	s_and_b64 s[2:3], s[22:23], exec
.LBB20_101:                             ;   in Loop: Header=BB20_8 Depth=1
	s_or_b64 exec, exec, s[8:9]
	s_mov_b64 s[22:23], -1
	s_mov_b64 s[8:9], 0
	s_mov_b64 s[24:25], s[8:9]
	s_branch .LBB20_115
.LBB20_102:                             ;   in Loop: Header=BB20_8 Depth=1
	v_readlane_b32 s2, v45, 24
	s_add_u32 s22, s2, s12
	v_readlane_b32 s2, v45, 25
	s_addc_u32 s3, s2, s13
	s_mov_b32 s2, s75
	s_cmp_lg_u64 s[2:3], 0
	s_cbranch_scc0 .LBB20_145
; %bb.103:                              ;   in Loop: Header=BB20_8 Depth=1
	v_cvt_f32_u32_e32 v2, s33
	s_sub_u32 s2, 0, s33
	s_subb_u32 s8, 0, 0
	v_mac_f32_e32 v2, 0x4f800000, v44
	v_rcp_f32_e32 v2, v2
	v_mul_f32_e32 v2, 0x5f7ffffc, v2
	v_mul_f32_e32 v3, 0x2f800000, v2
	v_trunc_f32_e32 v3, v3
	v_mac_f32_e32 v2, 0xcf800000, v3
	v_cvt_u32_f32_e32 v3, v3
	v_cvt_u32_f32_e32 v2, v2
	v_readfirstlane_b32 s9, v3
	v_readfirstlane_b32 s23, v2
	s_mul_i32 s24, s2, s9
	s_mul_hi_u32 s28, s2, s23
	s_mul_i32 s25, s8, s23
	s_add_i32 s24, s28, s24
	s_mul_i32 s29, s2, s23
	s_add_i32 s24, s24, s25
	s_mul_hi_u32 s28, s23, s29
	s_mul_hi_u32 s25, s23, s24
	s_mul_i32 s23, s23, s24
	s_add_u32 s23, s28, s23
	s_addc_u32 s25, 0, s25
	s_mul_hi_u32 s30, s9, s29
	s_mul_i32 s29, s9, s29
	s_add_u32 s23, s23, s29
	s_mul_hi_u32 s28, s9, s24
	s_addc_u32 s23, s25, s30
	s_addc_u32 s25, s28, 0
	s_mul_i32 s24, s9, s24
	s_add_u32 s23, s23, s24
	s_addc_u32 s24, 0, s25
	v_add_co_u32_e32 v2, vcc, s23, v2
	s_cmp_lg_u64 vcc, 0
	s_addc_u32 s9, s9, s24
	v_readfirstlane_b32 s24, v2
	s_mul_i32 s23, s2, s9
	s_mul_hi_u32 s25, s2, s24
	s_add_i32 s23, s25, s23
	s_mul_i32 s8, s8, s24
	s_add_i32 s23, s23, s8
	s_mul_i32 s2, s2, s24
	s_mul_hi_u32 s25, s9, s2
	s_mul_i32 s28, s9, s2
	s_mul_i32 s30, s24, s23
	s_mul_hi_u32 s2, s24, s2
	s_mul_hi_u32 s29, s24, s23
	s_add_u32 s2, s2, s30
	s_addc_u32 s24, 0, s29
	s_add_u32 s2, s2, s28
	s_mul_hi_u32 s8, s9, s23
	s_addc_u32 s2, s24, s25
	s_addc_u32 s8, s8, 0
	s_mul_i32 s23, s9, s23
	s_add_u32 s2, s2, s23
	s_addc_u32 s8, 0, s8
	v_add_co_u32_e32 v2, vcc, s2, v2
	s_cmp_lg_u64 vcc, 0
	s_addc_u32 s2, s9, s8
	s_ashr_i32 s8, s3, 31
	s_add_u32 s24, s22, s8
	s_mov_b32 s9, s8
	s_addc_u32 s25, s3, s8
	s_xor_b64 s[24:25], s[24:25], s[8:9]
	v_readfirstlane_b32 s28, v2
	s_mul_i32 s23, s24, s2
	s_mul_hi_u32 s29, s24, s28
	s_mul_hi_u32 s9, s24, s2
	s_add_u32 s23, s29, s23
	s_addc_u32 s9, 0, s9
	s_mul_hi_u32 s30, s25, s28
	s_mul_i32 s28, s25, s28
	s_add_u32 s23, s23, s28
	s_mul_hi_u32 s29, s25, s2
	s_addc_u32 s9, s9, s30
	s_addc_u32 s23, s29, 0
	s_mul_i32 s2, s25, s2
	s_add_u32 s2, s9, s2
	s_addc_u32 s9, 0, s23
	s_mul_hi_u32 s23, s33, s2
	s_mul_i32 s2, s33, s2
	s_mul_i32 s9, s33, s9
	v_mov_b32_e32 v2, s2
	s_add_i32 s23, s23, s9
	v_sub_co_u32_e32 v2, vcc, s24, v2
	s_cmp_lg_u64 vcc, 0
	s_subb_u32 s2, s25, s23
	v_subrev_co_u32_e32 v3, vcc, s33, v2
	s_cmp_lg_u64 vcc, 0
	s_subb_u32 s9, s2, 0
	v_subrev_co_u32_e32 v4, vcc, s33, v3
	s_cmp_lg_u64 vcc, 0
	s_subb_u32 s23, s9, 0
	v_cmp_le_u32_e32 vcc, s33, v3
	s_cmp_eq_u32 s9, 0
	v_cndmask_b32_e64 v5, 0, -1, vcc
	s_cselect_b64 vcc, -1, 0
	v_cndmask_b32_e32 v5, -1, v5, vcc
	v_mov_b32_e32 v6, s9
	v_mov_b32_e32 v7, s23
	v_cmp_ne_u32_e32 vcc, 0, v5
	v_cndmask_b32_e32 v5, v6, v7, vcc
	v_cndmask_b32_e32 v3, v3, v4, vcc
	v_cmp_le_u32_e32 vcc, s33, v2
	s_cmp_eq_u32 s2, 0
	v_cndmask_b32_e64 v4, 0, -1, vcc
	s_cselect_b64 vcc, -1, 0
	v_cndmask_b32_e32 v4, -1, v4, vcc
	v_cmp_ne_u32_e32 vcc, 0, v4
	v_mov_b32_e32 v6, s2
	v_cndmask_b32_e32 v2, v2, v3, vcc
	v_cndmask_b32_e32 v4, v6, v5, vcc
	v_xor_b32_e32 v2, s8, v2
	v_xor_b32_e32 v3, s8, v4
	v_mov_b32_e32 v4, s8
	v_subrev_co_u32_e32 v2, vcc, s8, v2
	v_subb_co_u32_e32 v3, vcc, v3, v4, vcc
	s_cbranch_execnz .LBB20_105
.LBB20_104:                             ;   in Loop: Header=BB20_8 Depth=1
	v_cvt_f32_u32_e32 v2, s33
	s_sub_i32 s2, 0, s33
	v_rcp_iflag_f32_e32 v2, v2
	v_mul_f32_e32 v2, 0x4f7ffffe, v2
	v_cvt_u32_f32_e32 v2, v2
	v_mul_lo_u32 v3, s2, v2
	v_mul_hi_u32 v3, v2, v3
	v_add_u32_e32 v2, v2, v3
	v_mul_hi_u32 v2, s22, v2
	v_mul_lo_u32 v2, v2, s33
	v_sub_u32_e32 v2, s22, v2
	v_subrev_u32_e32 v3, s33, v2
	v_cmp_le_u32_e32 vcc, s33, v2
	v_cndmask_b32_e32 v2, v2, v3, vcc
	v_subrev_u32_e32 v3, s33, v2
	v_cmp_le_u32_e32 vcc, s33, v2
	v_cndmask_b32_e32 v12, v2, v3, vcc
	v_pk_mov_b32 v[2:3], v[12:13], v[12:13] op_sel:[0,1]
.LBB20_105:                             ;   in Loop: Header=BB20_8 Depth=1
	v_mov_b32_e32 v4, s3
	v_sub_co_u32_e32 v2, vcc, s22, v2
	v_subb_co_u32_e32 v3, vcc, v4, v3, vcc
	v_cmp_gt_i64_e32 vcc, v[2:3], v[0:1]
	s_mov_b64 s[2:3], 0
                                        ; implicit-def: $vgpr29
	s_and_saveexec_b64 s[8:9], vcc
	s_cbranch_execz .LBB20_114
; %bb.106:                              ;   in Loop: Header=BB20_8 Depth=1
	v_mov_b32_e32 v6, v14
	v_pk_mov_b32 v[4:5], v[0:1], v[0:1] op_sel:[0,1]
                                        ; implicit-def: $sgpr22_sgpr23
	s_branch .LBB20_108
.LBB20_107:                             ;   in Loop: Header=BB20_108 Depth=2
	s_or_b64 exec, exec, s[24:25]
	s_waitcnt lgkmcnt(0)
	s_barrier
	ds_read_b64 v[28:29], v13 offset:3072
	v_mov_b32_e32 v7, s90
	v_add_co_u32_e32 v4, vcc, s33, v4
	v_addc_co_u32_e32 v5, vcc, v5, v7, vcc
	s_waitcnt lgkmcnt(0)
	v_readfirstlane_b32 s24, v28
	s_cmp_lg_u32 s24, 0
	s_cselect_b64 s[24:25], -1, 0
	v_cmp_ge_i64_e32 vcc, v[4:5], v[2:3]
	s_or_b64 s[28:29], s[24:25], vcc
	s_and_b64 s[28:29], exec, s[28:29]
	s_or_b64 s[2:3], s[28:29], s[2:3]
	s_andn2_b64 s[22:23], s[22:23], exec
	s_and_b64 s[24:25], s[24:25], exec
	v_add_u32_e32 v6, s76, v6
	s_or_b64 s[22:23], s[22:23], s[24:25]
	s_barrier
	s_andn2_b64 exec, exec, s[2:3]
	s_cbranch_execz .LBB20_113
.LBB20_108:                             ;   Parent Loop BB20_8 Depth=1
                                        ; =>  This Inner Loop Header: Depth=2
	v_cmp_gt_i64_e32 vcc, s[12:13], v[4:5]
	s_waitcnt vmcnt(0)
	v_mov_b32_e32 v27, 0
	s_and_saveexec_b64 s[24:25], vcc
	s_cbranch_execz .LBB20_110
; %bb.109:                              ;   in Loop: Header=BB20_108 Depth=2
	ds_read_b32 v27, v6
.LBB20_110:                             ;   in Loop: Header=BB20_108 Depth=2
	s_or_b64 exec, exec, s[24:25]
	s_and_saveexec_b64 s[24:25], vcc
	s_cbranch_execz .LBB20_107
; %bb.111:                              ;   in Loop: Header=BB20_108 Depth=2
	s_waitcnt lgkmcnt(0)
	v_xor_b32_e32 v7, 0x80000000, v27
	v_and_b32_e32 v7, s83, v7
	v_cmp_eq_u32_e32 vcc, s0, v7
	s_and_b64 exec, exec, vcc
	s_cbranch_execz .LBB20_107
; %bb.112:                              ;   in Loop: Header=BB20_108 Depth=2
	ds_write_b64 v13, v[26:27] offset:3072
	s_branch .LBB20_107
.LBB20_113:                             ;   in Loop: Header=BB20_8 Depth=1
	s_or_b64 exec, exec, s[2:3]
	s_and_b64 s[2:3], s[22:23], exec
.LBB20_114:                             ;   in Loop: Header=BB20_8 Depth=1
	s_or_b64 exec, exec, s[8:9]
	s_mov_b64 s[24:25], -1
	s_mov_b64 s[8:9], 0
	s_mov_b64 s[22:23], 0
.LBB20_115:                             ;   in Loop: Header=BB20_8 Depth=1
	s_andn2_b64 s[10:11], s[10:11], exec
	s_and_b64 s[8:9], s[8:9], exec
	s_or_b64 s[10:11], s[10:11], s[8:9]
	s_andn2_b64 s[8:9], s[94:95], exec
	s_and_b64 s[12:13], s[24:25], exec
	s_or_b64 s[94:95], s[8:9], s[12:13]
	;; [unrolled: 3-line block ×3, first 2 shown]
	s_and_saveexec_b64 s[12:13], s[2:3]
	s_cbranch_execz .LBB20_7
; %bb.116:                              ;   in Loop: Header=BB20_8 Depth=1
	s_xor_b64 s[2:3], s[20:21], -1
	s_andn2_b64 vcc, exec, s[2:3]
	s_mov_b32 s46, 1
	s_cbranch_vccnz .LBB20_127
; %bb.117:                              ;   in Loop: Header=BB20_8 Depth=1
	v_pk_mov_b32 v[2:3], s[14:15], s[14:15] op_sel:[0,1]
	v_cmp_gt_i64_e32 vcc, s[58:59], v[2:3]
	s_mov_b64 s[2:3], -1
                                        ; implicit-def: $sgpr46
                                        ; implicit-def: $sgpr8
                                        ; implicit-def: $sgpr9
	s_cbranch_vccnz .LBB20_123
; %bb.118:                              ;   in Loop: Header=BB20_8 Depth=1
	ds_read_b64 v[2:3], v13 offset:5120
	s_waitcnt lgkmcnt(0)
	v_cmp_ne_u64_e32 vcc, 0, v[2:3]
	s_cbranch_vccnz .LBB20_122
; %bb.119:                              ;   in Loop: Header=BB20_8 Depth=1
	s_mov_b64 s[2:3], exec
	v_readlane_b32 s8, v45, 8
	v_readlane_b32 s9, v45, 9
	s_and_b64 s[8:9], s[2:3], s[8:9]
	s_mov_b64 exec, s[8:9]
	s_cbranch_execz .LBB20_121
; %bb.120:                              ;   in Loop: Header=BB20_8 Depth=1
	v_pk_mov_b32 v[2:3], s[14:15], s[14:15] op_sel:[0,1]
	ds_write_b64 v13, v[2:3] offset:5128
.LBB20_121:                             ;   in Loop: Header=BB20_8 Depth=1
	s_or_b64 exec, exec, s[2:3]
	s_waitcnt lgkmcnt(0)
	s_barrier
.LBB20_122:                             ;   in Loop: Header=BB20_8 Depth=1
	s_and_b32 s8, s0, s41
	s_or_b32 s9, s83, s1
	s_mov_b64 s[2:3], 0
	s_mov_b32 s46, 8
.LBB20_123:                             ;   in Loop: Header=BB20_8 Depth=1
	s_andn2_b64 vcc, exec, s[2:3]
	s_cbranch_vccnz .LBB20_125
; %bb.124:                              ;   in Loop: Header=BB20_8 Depth=1
	s_sub_u32 s58, s58, s14
	s_subb_u32 s59, s59, s15
	s_mov_b64 s[2:3], -1
	s_mov_b32 s46, 0
	s_mov_b32 s8, s0
	;; [unrolled: 1-line block ×3, first 2 shown]
.LBB20_125:                             ;   in Loop: Header=BB20_8 Depth=1
	s_mov_b32 s83, s9
	s_mov_b32 s0, s8
	s_mov_b64 s[14:15], -1
	s_and_b64 vcc, exec, s[2:3]
	s_cbranch_vccnz .LBB20_128
.LBB20_126:                             ;   in Loop: Header=BB20_8 Depth=1
	s_mov_b64 s[8:9], -1
                                        ; implicit-def: $sgpr18_sgpr19
                                        ; implicit-def: $sgpr22_sgpr23
                                        ; implicit-def: $sgpr20_sgpr21
	s_and_saveexec_b64 s[2:3], s[8:9]
	s_xor_b64 s[2:3], exec, s[2:3]
	s_cbranch_execz .LBB20_6
	s_branch .LBB20_274
.LBB20_127:                             ;   in Loop: Header=BB20_8 Depth=1
	s_mov_b64 s[58:59], 1
	s_mov_b64 s[14:15], -1
	s_branch .LBB20_126
.LBB20_128:                             ;   in Loop: Header=BB20_8 Depth=1
	s_cmp_eq_u64 s[26:27], 1
	s_cselect_b64 s[2:3], -1, 0
	s_cmp_eq_u64 s[58:59], 1
	s_cselect_b64 s[8:9], -1, 0
	s_and_b64 s[30:31], s[2:3], s[8:9]
	s_mov_b64 s[2:3], -1
	s_and_b64 vcc, exec, s[30:31]
	s_cbranch_vccz .LBB20_143
; %bb.129:                              ;   in Loop: Header=BB20_8 Depth=1
	ds_read_b64 v[2:3], v13 offset:5120
	s_waitcnt lgkmcnt(0)
	s_barrier
	v_readfirstlane_b32 s24, v2
	v_readfirstlane_b32 s25, v3
	s_mov_b64 s[2:3], exec
	v_readlane_b32 s8, v45, 12
	v_readlane_b32 s9, v45, 13
	s_and_b64 s[8:9], s[2:3], s[8:9]
	s_mov_b64 exec, s[8:9]
	s_cbranch_execz .LBB20_131
; %bb.130:                              ;   in Loop: Header=BB20_8 Depth=1
	ds_write_b32 v37, v13
.LBB20_131:                             ;   in Loop: Header=BB20_8 Depth=1
	s_or_b64 exec, exec, s[2:3]
	s_lshl_b32 s2, 1, s40
	s_and_b32 s0, s0, s41
	s_or_b32 s0, s0, s2
	v_cmp_gt_i64_e64 s[2:3], s[24:25], 0
	s_or_b32 s83, s83, s1
	s_and_b64 vcc, exec, s[2:3]
	s_waitcnt lgkmcnt(0)
	s_barrier
	s_cbranch_vccnz .LBB20_146
; %bb.132:                              ;   in Loop: Header=BB20_8 Depth=1
	s_mov_b32 s46, s75
	s_cmp_lg_u64 s[46:47], 0
	s_cbranch_scc0 .LBB20_191
; %bb.133:                              ;   in Loop: Header=BB20_8 Depth=1
	v_cvt_f32_u32_e32 v2, s33
	s_sub_u32 s2, 0, s33
	s_subb_u32 s3, 0, 0
	v_mac_f32_e32 v2, 0x4f800000, v44
	v_rcp_f32_e32 v2, v2
	v_mul_f32_e32 v2, 0x5f7ffffc, v2
	v_mul_f32_e32 v3, 0x2f800000, v2
	v_trunc_f32_e32 v3, v3
	v_mac_f32_e32 v2, 0xcf800000, v3
	v_cvt_u32_f32_e32 v3, v3
	v_cvt_u32_f32_e32 v2, v2
	v_readfirstlane_b32 s8, v3
	v_readfirstlane_b32 s9, v2
	s_mul_i32 s18, s2, s8
	s_mul_hi_u32 s20, s2, s9
	s_mul_i32 s19, s3, s9
	s_add_i32 s18, s20, s18
	s_mul_i32 s21, s2, s9
	s_add_i32 s18, s18, s19
	s_mul_hi_u32 s20, s9, s21
	s_mul_hi_u32 s19, s9, s18
	s_mul_i32 s9, s9, s18
	s_add_u32 s9, s20, s9
	s_addc_u32 s19, 0, s19
	s_mul_hi_u32 s22, s8, s21
	s_mul_i32 s21, s8, s21
	s_add_u32 s9, s9, s21
	s_mul_hi_u32 s20, s8, s18
	s_addc_u32 s9, s19, s22
	s_addc_u32 s19, s20, 0
	s_mul_i32 s18, s8, s18
	s_add_u32 s9, s9, s18
	s_addc_u32 s18, 0, s19
	v_add_co_u32_e32 v2, vcc, s9, v2
	s_cmp_lg_u64 vcc, 0
	s_addc_u32 s8, s8, s18
	v_readfirstlane_b32 s18, v2
	s_mul_i32 s9, s2, s8
	s_mul_hi_u32 s19, s2, s18
	s_add_i32 s9, s19, s9
	s_mul_i32 s3, s3, s18
	s_add_i32 s9, s9, s3
	s_mul_i32 s2, s2, s18
	s_mul_hi_u32 s19, s8, s2
	s_mul_i32 s20, s8, s2
	s_mul_i32 s22, s18, s9
	s_mul_hi_u32 s2, s18, s2
	s_mul_hi_u32 s21, s18, s9
	s_add_u32 s2, s2, s22
	s_addc_u32 s18, 0, s21
	s_add_u32 s2, s2, s20
	s_mul_hi_u32 s3, s8, s9
	s_addc_u32 s2, s18, s19
	s_addc_u32 s3, s3, 0
	s_mul_i32 s9, s8, s9
	s_add_u32 s2, s2, s9
	s_addc_u32 s3, 0, s3
	v_add_co_u32_e32 v2, vcc, s2, v2
	s_cmp_lg_u64 vcc, 0
	s_addc_u32 s18, s8, s3
	s_ashr_i32 s2, s47, 31
	s_add_u32 s8, s82, s2
	s_mov_b32 s3, s2
	s_addc_u32 s9, s47, s2
	s_xor_b64 s[8:9], s[8:9], s[2:3]
	v_readfirstlane_b32 s20, v2
	s_mul_i32 s19, s8, s18
	s_mul_hi_u32 s21, s8, s20
	s_mul_hi_u32 s3, s8, s18
	s_add_u32 s19, s21, s19
	s_addc_u32 s3, 0, s3
	s_mul_hi_u32 s22, s9, s20
	s_mul_i32 s20, s9, s20
	s_add_u32 s19, s19, s20
	s_mul_hi_u32 s21, s9, s18
	s_addc_u32 s3, s3, s22
	s_addc_u32 s19, s21, 0
	s_mul_i32 s18, s9, s18
	s_add_u32 s3, s3, s18
	s_addc_u32 s18, 0, s19
	s_mul_hi_u32 s19, s33, s3
	s_mul_i32 s3, s33, s3
	s_mul_i32 s18, s33, s18
	v_mov_b32_e32 v2, s3
	s_add_i32 s19, s19, s18
	v_sub_co_u32_e32 v2, vcc, s8, v2
	s_cmp_lg_u64 vcc, 0
	s_subb_u32 s3, s9, s19
	v_subrev_co_u32_e32 v3, vcc, s33, v2
	s_cmp_lg_u64 vcc, 0
	s_subb_u32 s8, s3, 0
	v_subrev_co_u32_e32 v4, vcc, s33, v3
	s_cmp_lg_u64 vcc, 0
	s_subb_u32 s9, s8, 0
	v_cmp_le_u32_e32 vcc, s33, v3
	s_cmp_eq_u32 s8, 0
	v_cndmask_b32_e64 v5, 0, -1, vcc
	s_cselect_b64 vcc, -1, 0
	v_cndmask_b32_e32 v5, -1, v5, vcc
	v_mov_b32_e32 v6, s8
	v_mov_b32_e32 v7, s9
	v_cmp_ne_u32_e32 vcc, 0, v5
	v_cndmask_b32_e32 v5, v6, v7, vcc
	v_cndmask_b32_e32 v3, v3, v4, vcc
	v_cmp_le_u32_e32 vcc, s33, v2
	s_cmp_eq_u32 s3, 0
	v_cndmask_b32_e64 v4, 0, -1, vcc
	s_cselect_b64 vcc, -1, 0
	v_cndmask_b32_e32 v4, -1, v4, vcc
	v_cmp_ne_u32_e32 vcc, 0, v4
	v_mov_b32_e32 v6, s3
	v_cndmask_b32_e32 v2, v2, v3, vcc
	v_cndmask_b32_e32 v4, v6, v5, vcc
	v_xor_b32_e32 v2, s2, v2
	v_xor_b32_e32 v3, s2, v4
	v_mov_b32_e32 v4, s2
	v_subrev_co_u32_e32 v2, vcc, s2, v2
	v_subb_co_u32_e32 v3, vcc, v3, v4, vcc
	s_cbranch_execnz .LBB20_135
.LBB20_134:                             ;   in Loop: Header=BB20_8 Depth=1
	v_cvt_f32_u32_e32 v2, s33
	s_sub_i32 s2, 0, s33
	v_rcp_iflag_f32_e32 v2, v2
	v_mul_f32_e32 v2, 0x4f7ffffe, v2
	v_cvt_u32_f32_e32 v2, v2
	v_mul_lo_u32 v3, s2, v2
	v_mul_hi_u32 v3, v2, v3
	v_add_u32_e32 v2, v2, v3
	v_mul_hi_u32 v2, s82, v2
	v_mul_lo_u32 v2, v2, s33
	v_sub_u32_e32 v2, s82, v2
	v_subrev_u32_e32 v3, s33, v2
	v_cmp_le_u32_e32 vcc, s33, v2
	v_cndmask_b32_e32 v2, v2, v3, vcc
	v_subrev_u32_e32 v3, s33, v2
	v_cmp_le_u32_e32 vcc, s33, v2
	v_cndmask_b32_e32 v12, v2, v3, vcc
	v_pk_mov_b32 v[2:3], v[12:13], v[12:13] op_sel:[0,1]
.LBB20_135:                             ;   in Loop: Header=BB20_8 Depth=1
	v_mov_b32_e32 v4, s47
	v_sub_co_u32_e32 v2, vcc, s82, v2
	v_subb_co_u32_e32 v3, vcc, v4, v3, vcc
	v_cmp_gt_i64_e32 vcc, v[2:3], v[0:1]
	s_mov_b64 s[2:3], 0
                                        ; implicit-def: $vgpr29
	s_and_saveexec_b64 s[8:9], vcc
	s_cbranch_execz .LBB20_148
; %bb.136:                              ;   in Loop: Header=BB20_8 Depth=1
	v_pk_mov_b32 v[4:5], v[10:11], v[10:11] op_sel:[0,1]
	v_pk_mov_b32 v[6:7], v[0:1], v[0:1] op_sel:[0,1]
                                        ; implicit-def: $sgpr18_sgpr19
	s_branch .LBB20_138
.LBB20_137:                             ;   in Loop: Header=BB20_138 Depth=2
	s_or_b64 exec, exec, s[20:21]
	s_waitcnt lgkmcnt(0)
	s_barrier
	ds_read_b64 v[28:29], v13 offset:3072
	v_mov_b32_e32 v8, s90
	v_add_co_u32_e32 v6, vcc, s33, v6
	v_addc_co_u32_e32 v7, vcc, v7, v8, vcc
	s_waitcnt lgkmcnt(0)
	v_readfirstlane_b32 s20, v28
	s_cmp_lg_u32 s20, 0
	s_cselect_b64 s[20:21], -1, 0
	v_cmp_ge_i64_e32 vcc, v[6:7], v[2:3]
	s_or_b64 s[22:23], s[20:21], vcc
	s_and_b64 s[22:23], exec, s[22:23]
	s_or_b64 s[2:3], s[22:23], s[2:3]
	v_mov_b32_e32 v8, s71
	v_add_co_u32_e32 v4, vcc, s70, v4
	s_andn2_b64 s[18:19], s[18:19], exec
	s_and_b64 s[20:21], s[20:21], exec
	v_addc_co_u32_e32 v5, vcc, v5, v8, vcc
	s_or_b64 s[18:19], s[18:19], s[20:21]
	s_barrier
	s_andn2_b64 exec, exec, s[2:3]
	s_cbranch_execz .LBB20_147
.LBB20_138:                             ;   Parent Loop BB20_8 Depth=1
                                        ; =>  This Inner Loop Header: Depth=2
	v_cmp_gt_i64_e32 vcc, s[56:57], v[6:7]
	s_waitcnt vmcnt(0)
	v_mov_b32_e32 v27, 0
	s_and_saveexec_b64 s[20:21], vcc
	s_cbranch_execz .LBB20_140
; %bb.139:                              ;   in Loop: Header=BB20_138 Depth=2
	global_load_dword v27, v[4:5], off
.LBB20_140:                             ;   in Loop: Header=BB20_138 Depth=2
	s_or_b64 exec, exec, s[20:21]
	s_and_saveexec_b64 s[20:21], vcc
	s_cbranch_execz .LBB20_137
; %bb.141:                              ;   in Loop: Header=BB20_138 Depth=2
	s_waitcnt vmcnt(0)
	v_xor_b32_e32 v8, 0x80000000, v27
	v_and_b32_e32 v8, s83, v8
	v_cmp_eq_u32_e32 vcc, s0, v8
	s_and_b64 exec, exec, vcc
	s_cbranch_execz .LBB20_137
; %bb.142:                              ;   in Loop: Header=BB20_138 Depth=2
	ds_write_b64 v13, v[26:27] offset:3072
	s_branch .LBB20_137
.LBB20_143:                             ;   in Loop: Header=BB20_8 Depth=1
                                        ; implicit-def: $sgpr20_sgpr21
                                        ; implicit-def: $sgpr22_sgpr23
                                        ; implicit-def: $sgpr18_sgpr19
	s_branch .LBB20_162
.LBB20_144:                             ;   in Loop: Header=BB20_8 Depth=1
                                        ; implicit-def: $vgpr2_vgpr3
	s_branch .LBB20_89
.LBB20_145:                             ;   in Loop: Header=BB20_8 Depth=1
                                        ; implicit-def: $vgpr2_vgpr3
	s_branch .LBB20_104
.LBB20_146:                             ;   in Loop: Header=BB20_8 Depth=1
	s_mov_b64 s[20:21], -1
	s_mov_b64 s[2:3], 0
                                        ; implicit-def: $sgpr18_sgpr19
                                        ; implicit-def: $vgpr29
	s_mov_b64 s[22:23], s[20:21]
	s_cbranch_execnz .LBB20_149
	s_branch .LBB20_162
.LBB20_147:                             ;   in Loop: Header=BB20_8 Depth=1
	s_or_b64 exec, exec, s[2:3]
	s_and_b64 s[2:3], s[18:19], exec
.LBB20_148:                             ;   in Loop: Header=BB20_8 Depth=1
	s_or_b64 exec, exec, s[8:9]
	s_mov_b64 s[18:19], -1
	s_mov_b64 s[20:21], 0
	s_mov_b64 s[22:23], s[20:21]
	s_branch .LBB20_162
.LBB20_149:                             ;   in Loop: Header=BB20_8 Depth=1
	v_readlane_b32 s2, v45, 24
	s_add_u32 s18, s2, s24
	v_readlane_b32 s2, v45, 25
	s_addc_u32 s3, s2, s25
	s_mov_b32 s2, s75
	s_cmp_lg_u64 s[2:3], 0
	s_cbranch_scc0 .LBB20_192
; %bb.150:                              ;   in Loop: Header=BB20_8 Depth=1
	v_cvt_f32_u32_e32 v2, s33
	s_sub_u32 s2, 0, s33
	s_subb_u32 s8, 0, 0
	v_mac_f32_e32 v2, 0x4f800000, v44
	v_rcp_f32_e32 v2, v2
	v_mul_f32_e32 v2, 0x5f7ffffc, v2
	v_mul_f32_e32 v3, 0x2f800000, v2
	v_trunc_f32_e32 v3, v3
	v_mac_f32_e32 v2, 0xcf800000, v3
	v_cvt_u32_f32_e32 v3, v3
	v_cvt_u32_f32_e32 v2, v2
	v_readfirstlane_b32 s9, v3
	v_readfirstlane_b32 s19, v2
	s_mul_i32 s20, s2, s9
	s_mul_hi_u32 s22, s2, s19
	s_mul_i32 s21, s8, s19
	s_add_i32 s20, s22, s20
	s_mul_i32 s23, s2, s19
	s_add_i32 s20, s20, s21
	s_mul_hi_u32 s22, s19, s23
	s_mul_hi_u32 s21, s19, s20
	s_mul_i32 s19, s19, s20
	s_add_u32 s19, s22, s19
	s_addc_u32 s21, 0, s21
	s_mul_hi_u32 s28, s9, s23
	s_mul_i32 s23, s9, s23
	s_add_u32 s19, s19, s23
	s_mul_hi_u32 s22, s9, s20
	s_addc_u32 s19, s21, s28
	s_addc_u32 s21, s22, 0
	s_mul_i32 s20, s9, s20
	s_add_u32 s19, s19, s20
	s_addc_u32 s20, 0, s21
	v_add_co_u32_e32 v2, vcc, s19, v2
	s_cmp_lg_u64 vcc, 0
	s_addc_u32 s9, s9, s20
	v_readfirstlane_b32 s20, v2
	s_mul_i32 s19, s2, s9
	s_mul_hi_u32 s21, s2, s20
	s_add_i32 s19, s21, s19
	s_mul_i32 s8, s8, s20
	s_add_i32 s19, s19, s8
	s_mul_i32 s2, s2, s20
	s_mul_hi_u32 s21, s9, s2
	s_mul_i32 s22, s9, s2
	s_mul_i32 s28, s20, s19
	s_mul_hi_u32 s2, s20, s2
	s_mul_hi_u32 s23, s20, s19
	s_add_u32 s2, s2, s28
	s_addc_u32 s20, 0, s23
	s_add_u32 s2, s2, s22
	s_mul_hi_u32 s8, s9, s19
	s_addc_u32 s2, s20, s21
	s_addc_u32 s8, s8, 0
	s_mul_i32 s19, s9, s19
	s_add_u32 s2, s2, s19
	s_addc_u32 s8, 0, s8
	v_add_co_u32_e32 v2, vcc, s2, v2
	s_cmp_lg_u64 vcc, 0
	s_addc_u32 s2, s9, s8
	s_ashr_i32 s8, s3, 31
	s_add_u32 s20, s18, s8
	s_mov_b32 s9, s8
	s_addc_u32 s21, s3, s8
	s_xor_b64 s[20:21], s[20:21], s[8:9]
	v_readfirstlane_b32 s22, v2
	s_mul_i32 s19, s20, s2
	s_mul_hi_u32 s23, s20, s22
	s_mul_hi_u32 s9, s20, s2
	s_add_u32 s19, s23, s19
	s_addc_u32 s9, 0, s9
	s_mul_hi_u32 s28, s21, s22
	s_mul_i32 s22, s21, s22
	s_add_u32 s19, s19, s22
	s_mul_hi_u32 s23, s21, s2
	s_addc_u32 s9, s9, s28
	s_addc_u32 s19, s23, 0
	s_mul_i32 s2, s21, s2
	s_add_u32 s2, s9, s2
	s_addc_u32 s9, 0, s19
	s_mul_hi_u32 s19, s33, s2
	s_mul_i32 s2, s33, s2
	s_mul_i32 s9, s33, s9
	v_mov_b32_e32 v2, s2
	s_add_i32 s19, s19, s9
	v_sub_co_u32_e32 v2, vcc, s20, v2
	s_cmp_lg_u64 vcc, 0
	s_subb_u32 s2, s21, s19
	v_subrev_co_u32_e32 v3, vcc, s33, v2
	s_cmp_lg_u64 vcc, 0
	s_subb_u32 s9, s2, 0
	v_subrev_co_u32_e32 v4, vcc, s33, v3
	s_cmp_lg_u64 vcc, 0
	s_subb_u32 s19, s9, 0
	v_cmp_le_u32_e32 vcc, s33, v3
	s_cmp_eq_u32 s9, 0
	v_cndmask_b32_e64 v5, 0, -1, vcc
	s_cselect_b64 vcc, -1, 0
	v_cndmask_b32_e32 v5, -1, v5, vcc
	v_mov_b32_e32 v6, s9
	v_mov_b32_e32 v7, s19
	v_cmp_ne_u32_e32 vcc, 0, v5
	v_cndmask_b32_e32 v5, v6, v7, vcc
	v_cndmask_b32_e32 v3, v3, v4, vcc
	v_cmp_le_u32_e32 vcc, s33, v2
	s_cmp_eq_u32 s2, 0
	v_cndmask_b32_e64 v4, 0, -1, vcc
	s_cselect_b64 vcc, -1, 0
	v_cndmask_b32_e32 v4, -1, v4, vcc
	v_cmp_ne_u32_e32 vcc, 0, v4
	v_mov_b32_e32 v6, s2
	v_cndmask_b32_e32 v2, v2, v3, vcc
	v_cndmask_b32_e32 v4, v6, v5, vcc
	v_xor_b32_e32 v2, s8, v2
	v_xor_b32_e32 v3, s8, v4
	v_mov_b32_e32 v4, s8
	v_subrev_co_u32_e32 v2, vcc, s8, v2
	v_subb_co_u32_e32 v3, vcc, v3, v4, vcc
	s_cbranch_execnz .LBB20_152
.LBB20_151:                             ;   in Loop: Header=BB20_8 Depth=1
	v_cvt_f32_u32_e32 v2, s33
	s_sub_i32 s2, 0, s33
	v_rcp_iflag_f32_e32 v2, v2
	v_mul_f32_e32 v2, 0x4f7ffffe, v2
	v_cvt_u32_f32_e32 v2, v2
	v_mul_lo_u32 v3, s2, v2
	v_mul_hi_u32 v3, v2, v3
	v_add_u32_e32 v2, v2, v3
	v_mul_hi_u32 v2, s18, v2
	v_mul_lo_u32 v2, v2, s33
	v_sub_u32_e32 v2, s18, v2
	v_subrev_u32_e32 v3, s33, v2
	v_cmp_le_u32_e32 vcc, s33, v2
	v_cndmask_b32_e32 v2, v2, v3, vcc
	v_subrev_u32_e32 v3, s33, v2
	v_cmp_le_u32_e32 vcc, s33, v2
	v_cndmask_b32_e32 v12, v2, v3, vcc
	v_pk_mov_b32 v[2:3], v[12:13], v[12:13] op_sel:[0,1]
.LBB20_152:                             ;   in Loop: Header=BB20_8 Depth=1
	v_mov_b32_e32 v4, s3
	v_sub_co_u32_e32 v2, vcc, s18, v2
	v_subb_co_u32_e32 v3, vcc, v4, v3, vcc
	v_cmp_gt_i64_e32 vcc, v[2:3], v[0:1]
	s_mov_b64 s[2:3], 0
                                        ; implicit-def: $vgpr29
	s_and_saveexec_b64 s[8:9], vcc
	s_cbranch_execz .LBB20_161
; %bb.153:                              ;   in Loop: Header=BB20_8 Depth=1
	v_mov_b32_e32 v6, v14
	v_pk_mov_b32 v[4:5], v[0:1], v[0:1] op_sel:[0,1]
                                        ; implicit-def: $sgpr18_sgpr19
	s_branch .LBB20_155
.LBB20_154:                             ;   in Loop: Header=BB20_155 Depth=2
	s_or_b64 exec, exec, s[20:21]
	s_waitcnt lgkmcnt(0)
	s_barrier
	ds_read_b64 v[28:29], v13 offset:3072
	v_mov_b32_e32 v7, s90
	v_add_co_u32_e32 v4, vcc, s33, v4
	v_addc_co_u32_e32 v5, vcc, v5, v7, vcc
	s_waitcnt lgkmcnt(0)
	v_readfirstlane_b32 s20, v28
	s_cmp_lg_u32 s20, 0
	s_cselect_b64 s[20:21], -1, 0
	v_cmp_ge_i64_e32 vcc, v[4:5], v[2:3]
	s_or_b64 s[22:23], s[20:21], vcc
	s_and_b64 s[22:23], exec, s[22:23]
	s_or_b64 s[2:3], s[22:23], s[2:3]
	s_andn2_b64 s[18:19], s[18:19], exec
	s_and_b64 s[20:21], s[20:21], exec
	v_add_u32_e32 v6, s76, v6
	s_or_b64 s[18:19], s[18:19], s[20:21]
	s_barrier
	s_andn2_b64 exec, exec, s[2:3]
	s_cbranch_execz .LBB20_160
.LBB20_155:                             ;   Parent Loop BB20_8 Depth=1
                                        ; =>  This Inner Loop Header: Depth=2
	v_cmp_gt_i64_e32 vcc, s[24:25], v[4:5]
	s_waitcnt vmcnt(0)
	v_mov_b32_e32 v27, 0
	s_and_saveexec_b64 s[20:21], vcc
	s_cbranch_execz .LBB20_157
; %bb.156:                              ;   in Loop: Header=BB20_155 Depth=2
	ds_read_b32 v27, v6
.LBB20_157:                             ;   in Loop: Header=BB20_155 Depth=2
	s_or_b64 exec, exec, s[20:21]
	s_and_saveexec_b64 s[20:21], vcc
	s_cbranch_execz .LBB20_154
; %bb.158:                              ;   in Loop: Header=BB20_155 Depth=2
	s_waitcnt lgkmcnt(0)
	v_xor_b32_e32 v7, 0x80000000, v27
	v_and_b32_e32 v7, s83, v7
	v_cmp_eq_u32_e32 vcc, s0, v7
	s_and_b64 exec, exec, vcc
	s_cbranch_execz .LBB20_154
; %bb.159:                              ;   in Loop: Header=BB20_155 Depth=2
	ds_write_b64 v13, v[26:27] offset:3072
	s_branch .LBB20_154
.LBB20_160:                             ;   in Loop: Header=BB20_8 Depth=1
	s_or_b64 exec, exec, s[2:3]
	s_and_b64 s[2:3], s[18:19], exec
.LBB20_161:                             ;   in Loop: Header=BB20_8 Depth=1
	s_or_b64 exec, exec, s[8:9]
	s_mov_b64 s[22:23], -1
	s_mov_b64 s[20:21], 0
	s_mov_b64 s[18:19], 0
.LBB20_162:                             ;   in Loop: Header=BB20_8 Depth=1
	s_mov_b64 s[8:9], 0
                                        ; implicit-def: $sgpr46
	s_and_saveexec_b64 s[24:25], s[2:3]
	s_cbranch_execz .LBB20_273
; %bb.163:                              ;   in Loop: Header=BB20_8 Depth=1
	s_xor_b64 s[2:3], s[30:31], -1
	s_andn2_b64 vcc, exec, s[2:3]
	s_mov_b32 s46, 1
	s_cbranch_vccnz .LBB20_174
; %bb.164:                              ;   in Loop: Header=BB20_8 Depth=1
	v_pk_mov_b32 v[2:3], s[26:27], s[26:27] op_sel:[0,1]
	v_cmp_gt_i64_e32 vcc, s[58:59], v[2:3]
	s_mov_b64 s[2:3], -1
                                        ; implicit-def: $sgpr46
                                        ; implicit-def: $sgpr8
                                        ; implicit-def: $sgpr9
	s_cbranch_vccnz .LBB20_170
; %bb.165:                              ;   in Loop: Header=BB20_8 Depth=1
	ds_read_b64 v[2:3], v13 offset:5120
	s_waitcnt lgkmcnt(0)
	v_cmp_ne_u64_e32 vcc, 0, v[2:3]
	s_cbranch_vccnz .LBB20_169
; %bb.166:                              ;   in Loop: Header=BB20_8 Depth=1
	s_mov_b64 s[2:3], exec
	v_readlane_b32 s8, v45, 8
	v_readlane_b32 s9, v45, 9
	s_and_b64 s[8:9], s[2:3], s[8:9]
	s_mov_b64 exec, s[8:9]
	s_cbranch_execz .LBB20_168
; %bb.167:                              ;   in Loop: Header=BB20_8 Depth=1
	v_pk_mov_b32 v[2:3], s[26:27], s[26:27] op_sel:[0,1]
	ds_write_b64 v13, v[2:3] offset:5128
.LBB20_168:                             ;   in Loop: Header=BB20_8 Depth=1
	s_or_b64 exec, exec, s[2:3]
	s_waitcnt lgkmcnt(0)
	s_barrier
.LBB20_169:                             ;   in Loop: Header=BB20_8 Depth=1
	s_lshl_b32 s2, 1, s40
	s_and_b32 s3, s0, s41
	s_or_b32 s8, s3, s2
	s_or_b32 s9, s83, s1
	s_mov_b64 s[2:3], 0
	s_mov_b32 s46, 8
.LBB20_170:                             ;   in Loop: Header=BB20_8 Depth=1
	s_andn2_b64 vcc, exec, s[2:3]
	s_cbranch_vccnz .LBB20_172
; %bb.171:                              ;   in Loop: Header=BB20_8 Depth=1
	s_sub_u32 s58, s58, s26
	s_subb_u32 s59, s59, s27
	s_mov_b64 s[2:3], -1
	s_mov_b32 s46, 0
	s_mov_b32 s8, s0
	;; [unrolled: 1-line block ×3, first 2 shown]
.LBB20_172:                             ;   in Loop: Header=BB20_8 Depth=1
	s_mov_b32 s83, s9
	s_mov_b32 s0, s8
	s_andn2_b64 vcc, exec, s[2:3]
	s_mov_b64 s[8:9], -1
	s_cbranch_vccz .LBB20_175
.LBB20_173:                             ;   in Loop: Header=BB20_8 Depth=1
                                        ; implicit-def: $sgpr30_sgpr31
                                        ; implicit-def: $sgpr34_sgpr35
                                        ; implicit-def: $sgpr26_sgpr27
	s_branch .LBB20_272
.LBB20_174:                             ;   in Loop: Header=BB20_8 Depth=1
	s_mov_b64 s[58:59], 1
	s_mov_b64 s[8:9], -1
	s_cbranch_execnz .LBB20_173
.LBB20_175:                             ;   in Loop: Header=BB20_8 Depth=1
	s_cmp_eq_u64 s[16:17], 1
	s_cselect_b64 s[2:3], -1, 0
	s_cmp_eq_u64 s[58:59], 1
	s_cselect_b64 s[8:9], -1, 0
	s_and_b64 s[38:39], s[2:3], s[8:9]
	s_mov_b64 s[2:3], -1
	s_and_b64 vcc, exec, s[38:39]
	s_cbranch_vccz .LBB20_190
; %bb.176:                              ;   in Loop: Header=BB20_8 Depth=1
	ds_read_b64 v[2:3], v13 offset:5120
	s_waitcnt lgkmcnt(0)
	s_barrier
	v_readfirstlane_b32 s36, v2
	v_readfirstlane_b32 s37, v3
	s_mov_b64 s[2:3], exec
	v_readlane_b32 s8, v45, 12
	v_readlane_b32 s9, v45, 13
	s_and_b64 s[8:9], s[2:3], s[8:9]
	s_mov_b64 exec, s[8:9]
	s_cbranch_execz .LBB20_178
; %bb.177:                              ;   in Loop: Header=BB20_8 Depth=1
	ds_write_b32 v37, v13
.LBB20_178:                             ;   in Loop: Header=BB20_8 Depth=1
	s_or_b64 exec, exec, s[2:3]
	s_lshl_b32 s2, 2, s40
	s_and_b32 s0, s0, s41
	s_or_b32 s0, s0, s2
	v_cmp_gt_i64_e64 s[2:3], s[36:37], 0
	s_or_b32 s83, s83, s1
	s_and_b64 vcc, exec, s[2:3]
	s_waitcnt lgkmcnt(0)
	s_barrier
	s_cbranch_vccnz .LBB20_193
; %bb.179:                              ;   in Loop: Header=BB20_8 Depth=1
	s_mov_b32 s46, s75
	s_cmp_lg_u64 s[46:47], 0
	s_cbranch_scc0 .LBB20_238
; %bb.180:                              ;   in Loop: Header=BB20_8 Depth=1
	v_cvt_f32_u32_e32 v2, s33
	s_sub_u32 s2, 0, s33
	s_subb_u32 s3, 0, 0
	v_mac_f32_e32 v2, 0x4f800000, v44
	v_rcp_f32_e32 v2, v2
	v_mul_f32_e32 v2, 0x5f7ffffc, v2
	v_mul_f32_e32 v3, 0x2f800000, v2
	v_trunc_f32_e32 v3, v3
	v_mac_f32_e32 v2, 0xcf800000, v3
	v_cvt_u32_f32_e32 v3, v3
	v_cvt_u32_f32_e32 v2, v2
	v_readfirstlane_b32 s8, v3
	v_readfirstlane_b32 s9, v2
	s_mul_i32 s26, s2, s8
	s_mul_hi_u32 s28, s2, s9
	s_mul_i32 s27, s3, s9
	s_add_i32 s26, s28, s26
	s_mul_i32 s29, s2, s9
	s_add_i32 s26, s26, s27
	s_mul_hi_u32 s28, s9, s29
	s_mul_hi_u32 s27, s9, s26
	s_mul_i32 s9, s9, s26
	s_add_u32 s9, s28, s9
	s_addc_u32 s27, 0, s27
	s_mul_hi_u32 s30, s8, s29
	s_mul_i32 s29, s8, s29
	s_add_u32 s9, s9, s29
	s_mul_hi_u32 s28, s8, s26
	s_addc_u32 s9, s27, s30
	s_addc_u32 s27, s28, 0
	s_mul_i32 s26, s8, s26
	s_add_u32 s9, s9, s26
	s_addc_u32 s26, 0, s27
	v_add_co_u32_e32 v2, vcc, s9, v2
	s_cmp_lg_u64 vcc, 0
	s_addc_u32 s8, s8, s26
	v_readfirstlane_b32 s26, v2
	s_mul_i32 s9, s2, s8
	s_mul_hi_u32 s27, s2, s26
	s_add_i32 s9, s27, s9
	s_mul_i32 s3, s3, s26
	s_add_i32 s9, s9, s3
	s_mul_i32 s2, s2, s26
	s_mul_hi_u32 s27, s8, s2
	s_mul_i32 s28, s8, s2
	s_mul_i32 s30, s26, s9
	s_mul_hi_u32 s2, s26, s2
	s_mul_hi_u32 s29, s26, s9
	s_add_u32 s2, s2, s30
	s_addc_u32 s26, 0, s29
	s_add_u32 s2, s2, s28
	s_mul_hi_u32 s3, s8, s9
	s_addc_u32 s2, s26, s27
	s_addc_u32 s3, s3, 0
	s_mul_i32 s9, s8, s9
	s_add_u32 s2, s2, s9
	s_addc_u32 s3, 0, s3
	v_add_co_u32_e32 v2, vcc, s2, v2
	s_cmp_lg_u64 vcc, 0
	s_addc_u32 s26, s8, s3
	s_ashr_i32 s2, s47, 31
	s_add_u32 s8, s82, s2
	s_mov_b32 s3, s2
	s_addc_u32 s9, s47, s2
	s_xor_b64 s[8:9], s[8:9], s[2:3]
	v_readfirstlane_b32 s28, v2
	s_mul_i32 s27, s8, s26
	s_mul_hi_u32 s29, s8, s28
	s_mul_hi_u32 s3, s8, s26
	s_add_u32 s27, s29, s27
	s_addc_u32 s3, 0, s3
	s_mul_hi_u32 s30, s9, s28
	s_mul_i32 s28, s9, s28
	s_add_u32 s27, s27, s28
	s_mul_hi_u32 s29, s9, s26
	s_addc_u32 s3, s3, s30
	s_addc_u32 s27, s29, 0
	s_mul_i32 s26, s9, s26
	s_add_u32 s3, s3, s26
	s_addc_u32 s26, 0, s27
	s_mul_hi_u32 s27, s33, s3
	s_mul_i32 s3, s33, s3
	s_mul_i32 s26, s33, s26
	v_mov_b32_e32 v2, s3
	s_add_i32 s27, s27, s26
	v_sub_co_u32_e32 v2, vcc, s8, v2
	s_cmp_lg_u64 vcc, 0
	s_subb_u32 s3, s9, s27
	v_subrev_co_u32_e32 v3, vcc, s33, v2
	s_cmp_lg_u64 vcc, 0
	s_subb_u32 s8, s3, 0
	v_subrev_co_u32_e32 v4, vcc, s33, v3
	s_cmp_lg_u64 vcc, 0
	s_subb_u32 s9, s8, 0
	v_cmp_le_u32_e32 vcc, s33, v3
	s_cmp_eq_u32 s8, 0
	v_cndmask_b32_e64 v5, 0, -1, vcc
	s_cselect_b64 vcc, -1, 0
	v_cndmask_b32_e32 v5, -1, v5, vcc
	v_mov_b32_e32 v6, s8
	v_mov_b32_e32 v7, s9
	v_cmp_ne_u32_e32 vcc, 0, v5
	v_cndmask_b32_e32 v5, v6, v7, vcc
	v_cndmask_b32_e32 v3, v3, v4, vcc
	v_cmp_le_u32_e32 vcc, s33, v2
	s_cmp_eq_u32 s3, 0
	v_cndmask_b32_e64 v4, 0, -1, vcc
	s_cselect_b64 vcc, -1, 0
	v_cndmask_b32_e32 v4, -1, v4, vcc
	v_cmp_ne_u32_e32 vcc, 0, v4
	v_mov_b32_e32 v6, s3
	v_cndmask_b32_e32 v2, v2, v3, vcc
	v_cndmask_b32_e32 v4, v6, v5, vcc
	v_xor_b32_e32 v2, s2, v2
	v_xor_b32_e32 v3, s2, v4
	v_mov_b32_e32 v4, s2
	v_subrev_co_u32_e32 v2, vcc, s2, v2
	v_subb_co_u32_e32 v3, vcc, v3, v4, vcc
	s_cbranch_execnz .LBB20_182
.LBB20_181:                             ;   in Loop: Header=BB20_8 Depth=1
	v_cvt_f32_u32_e32 v2, s33
	s_sub_i32 s2, 0, s33
	v_rcp_iflag_f32_e32 v2, v2
	v_mul_f32_e32 v2, 0x4f7ffffe, v2
	v_cvt_u32_f32_e32 v2, v2
	v_mul_lo_u32 v3, s2, v2
	v_mul_hi_u32 v3, v2, v3
	v_add_u32_e32 v2, v2, v3
	v_mul_hi_u32 v2, s82, v2
	v_mul_lo_u32 v2, v2, s33
	v_sub_u32_e32 v2, s82, v2
	v_subrev_u32_e32 v3, s33, v2
	v_cmp_le_u32_e32 vcc, s33, v2
	v_cndmask_b32_e32 v2, v2, v3, vcc
	v_subrev_u32_e32 v3, s33, v2
	v_cmp_le_u32_e32 vcc, s33, v2
	v_cndmask_b32_e32 v12, v2, v3, vcc
	v_pk_mov_b32 v[2:3], v[12:13], v[12:13] op_sel:[0,1]
.LBB20_182:                             ;   in Loop: Header=BB20_8 Depth=1
	v_mov_b32_e32 v4, s47
	v_sub_co_u32_e32 v2, vcc, s82, v2
	v_subb_co_u32_e32 v3, vcc, v4, v3, vcc
	v_cmp_gt_i64_e32 vcc, v[2:3], v[0:1]
	s_mov_b64 s[2:3], 0
                                        ; implicit-def: $vgpr29
	s_and_saveexec_b64 s[8:9], vcc
	s_cbranch_execz .LBB20_195
; %bb.183:                              ;   in Loop: Header=BB20_8 Depth=1
	v_pk_mov_b32 v[4:5], v[10:11], v[10:11] op_sel:[0,1]
	v_pk_mov_b32 v[6:7], v[0:1], v[0:1] op_sel:[0,1]
                                        ; implicit-def: $sgpr26_sgpr27
	s_branch .LBB20_185
.LBB20_184:                             ;   in Loop: Header=BB20_185 Depth=2
	s_or_b64 exec, exec, s[28:29]
	s_waitcnt lgkmcnt(0)
	s_barrier
	ds_read_b64 v[28:29], v13 offset:3072
	v_mov_b32_e32 v8, s90
	v_add_co_u32_e32 v6, vcc, s33, v6
	v_addc_co_u32_e32 v7, vcc, v7, v8, vcc
	s_waitcnt lgkmcnt(0)
	v_readfirstlane_b32 s28, v28
	s_cmp_lg_u32 s28, 0
	s_cselect_b64 s[28:29], -1, 0
	v_cmp_ge_i64_e32 vcc, v[6:7], v[2:3]
	s_or_b64 s[30:31], s[28:29], vcc
	s_and_b64 s[30:31], exec, s[30:31]
	s_or_b64 s[2:3], s[30:31], s[2:3]
	v_mov_b32_e32 v8, s71
	v_add_co_u32_e32 v4, vcc, s70, v4
	s_andn2_b64 s[26:27], s[26:27], exec
	s_and_b64 s[28:29], s[28:29], exec
	v_addc_co_u32_e32 v5, vcc, v5, v8, vcc
	s_or_b64 s[26:27], s[26:27], s[28:29]
	s_barrier
	s_andn2_b64 exec, exec, s[2:3]
	s_cbranch_execz .LBB20_194
.LBB20_185:                             ;   Parent Loop BB20_8 Depth=1
                                        ; =>  This Inner Loop Header: Depth=2
	v_cmp_gt_i64_e32 vcc, s[56:57], v[6:7]
	s_waitcnt vmcnt(0)
	v_mov_b32_e32 v27, 0
	s_and_saveexec_b64 s[28:29], vcc
	s_cbranch_execz .LBB20_187
; %bb.186:                              ;   in Loop: Header=BB20_185 Depth=2
	global_load_dword v27, v[4:5], off
.LBB20_187:                             ;   in Loop: Header=BB20_185 Depth=2
	s_or_b64 exec, exec, s[28:29]
	s_and_saveexec_b64 s[28:29], vcc
	s_cbranch_execz .LBB20_184
; %bb.188:                              ;   in Loop: Header=BB20_185 Depth=2
	s_waitcnt vmcnt(0)
	v_xor_b32_e32 v8, 0x80000000, v27
	v_and_b32_e32 v8, s83, v8
	v_cmp_eq_u32_e32 vcc, s0, v8
	s_and_b64 exec, exec, vcc
	s_cbranch_execz .LBB20_184
; %bb.189:                              ;   in Loop: Header=BB20_185 Depth=2
	ds_write_b64 v13, v[26:27] offset:3072
	s_branch .LBB20_184
.LBB20_190:                             ;   in Loop: Header=BB20_8 Depth=1
                                        ; implicit-def: $sgpr26_sgpr27
                                        ; implicit-def: $sgpr34_sgpr35
                                        ; implicit-def: $sgpr30_sgpr31
	s_branch .LBB20_209
.LBB20_191:                             ;   in Loop: Header=BB20_8 Depth=1
                                        ; implicit-def: $vgpr2_vgpr3
	s_branch .LBB20_134
.LBB20_192:                             ;   in Loop: Header=BB20_8 Depth=1
                                        ; implicit-def: $vgpr2_vgpr3
	s_branch .LBB20_151
.LBB20_193:                             ;   in Loop: Header=BB20_8 Depth=1
	s_mov_b64 s[26:27], -1
	s_mov_b64 s[2:3], 0
                                        ; implicit-def: $sgpr30_sgpr31
                                        ; implicit-def: $vgpr29
	s_mov_b64 s[34:35], s[26:27]
	s_cbranch_execnz .LBB20_196
	s_branch .LBB20_209
.LBB20_194:                             ;   in Loop: Header=BB20_8 Depth=1
	s_or_b64 exec, exec, s[2:3]
	s_and_b64 s[2:3], s[26:27], exec
.LBB20_195:                             ;   in Loop: Header=BB20_8 Depth=1
	s_or_b64 exec, exec, s[8:9]
	s_mov_b64 s[30:31], -1
	s_mov_b64 s[26:27], 0
	s_mov_b64 s[34:35], s[26:27]
	s_branch .LBB20_209
.LBB20_196:                             ;   in Loop: Header=BB20_8 Depth=1
	v_readlane_b32 s2, v45, 24
	s_add_u32 s26, s2, s36
	v_readlane_b32 s2, v45, 25
	s_addc_u32 s3, s2, s37
	s_mov_b32 s2, s75
	s_cmp_lg_u64 s[2:3], 0
	s_cbranch_scc0 .LBB20_239
; %bb.197:                              ;   in Loop: Header=BB20_8 Depth=1
	v_cvt_f32_u32_e32 v2, s33
	s_sub_u32 s2, 0, s33
	s_subb_u32 s8, 0, 0
	v_mac_f32_e32 v2, 0x4f800000, v44
	v_rcp_f32_e32 v2, v2
	v_mul_f32_e32 v2, 0x5f7ffffc, v2
	v_mul_f32_e32 v3, 0x2f800000, v2
	v_trunc_f32_e32 v3, v3
	v_mac_f32_e32 v2, 0xcf800000, v3
	v_cvt_u32_f32_e32 v3, v3
	v_cvt_u32_f32_e32 v2, v2
	v_readfirstlane_b32 s9, v3
	v_readfirstlane_b32 s27, v2
	s_mul_i32 s28, s2, s9
	s_mul_hi_u32 s30, s2, s27
	s_mul_i32 s29, s8, s27
	s_add_i32 s28, s30, s28
	s_mul_i32 s31, s2, s27
	s_add_i32 s28, s28, s29
	s_mul_hi_u32 s30, s27, s31
	s_mul_hi_u32 s29, s27, s28
	s_mul_i32 s27, s27, s28
	s_add_u32 s27, s30, s27
	s_addc_u32 s29, 0, s29
	s_mul_hi_u32 s34, s9, s31
	s_mul_i32 s31, s9, s31
	s_add_u32 s27, s27, s31
	s_mul_hi_u32 s30, s9, s28
	s_addc_u32 s27, s29, s34
	s_addc_u32 s29, s30, 0
	s_mul_i32 s28, s9, s28
	s_add_u32 s27, s27, s28
	s_addc_u32 s28, 0, s29
	v_add_co_u32_e32 v2, vcc, s27, v2
	s_cmp_lg_u64 vcc, 0
	s_addc_u32 s9, s9, s28
	v_readfirstlane_b32 s28, v2
	s_mul_i32 s27, s2, s9
	s_mul_hi_u32 s29, s2, s28
	s_add_i32 s27, s29, s27
	s_mul_i32 s8, s8, s28
	s_add_i32 s27, s27, s8
	s_mul_i32 s2, s2, s28
	s_mul_hi_u32 s29, s9, s2
	s_mul_i32 s30, s9, s2
	s_mul_i32 s34, s28, s27
	s_mul_hi_u32 s2, s28, s2
	s_mul_hi_u32 s31, s28, s27
	s_add_u32 s2, s2, s34
	s_addc_u32 s28, 0, s31
	s_add_u32 s2, s2, s30
	s_mul_hi_u32 s8, s9, s27
	s_addc_u32 s2, s28, s29
	s_addc_u32 s8, s8, 0
	s_mul_i32 s27, s9, s27
	s_add_u32 s2, s2, s27
	s_addc_u32 s8, 0, s8
	v_add_co_u32_e32 v2, vcc, s2, v2
	s_cmp_lg_u64 vcc, 0
	s_addc_u32 s2, s9, s8
	s_ashr_i32 s8, s3, 31
	s_add_u32 s28, s26, s8
	s_mov_b32 s9, s8
	s_addc_u32 s29, s3, s8
	s_xor_b64 s[28:29], s[28:29], s[8:9]
	v_readfirstlane_b32 s30, v2
	s_mul_i32 s27, s28, s2
	s_mul_hi_u32 s31, s28, s30
	s_mul_hi_u32 s9, s28, s2
	s_add_u32 s27, s31, s27
	s_addc_u32 s9, 0, s9
	s_mul_hi_u32 s34, s29, s30
	s_mul_i32 s30, s29, s30
	s_add_u32 s27, s27, s30
	s_mul_hi_u32 s31, s29, s2
	s_addc_u32 s9, s9, s34
	s_addc_u32 s27, s31, 0
	s_mul_i32 s2, s29, s2
	s_add_u32 s2, s9, s2
	s_addc_u32 s9, 0, s27
	s_mul_hi_u32 s27, s33, s2
	s_mul_i32 s2, s33, s2
	s_mul_i32 s9, s33, s9
	v_mov_b32_e32 v2, s2
	s_add_i32 s27, s27, s9
	v_sub_co_u32_e32 v2, vcc, s28, v2
	s_cmp_lg_u64 vcc, 0
	s_subb_u32 s2, s29, s27
	v_subrev_co_u32_e32 v3, vcc, s33, v2
	s_cmp_lg_u64 vcc, 0
	s_subb_u32 s9, s2, 0
	v_subrev_co_u32_e32 v4, vcc, s33, v3
	s_cmp_lg_u64 vcc, 0
	s_subb_u32 s27, s9, 0
	v_cmp_le_u32_e32 vcc, s33, v3
	s_cmp_eq_u32 s9, 0
	v_cndmask_b32_e64 v5, 0, -1, vcc
	s_cselect_b64 vcc, -1, 0
	v_cndmask_b32_e32 v5, -1, v5, vcc
	v_mov_b32_e32 v6, s9
	v_mov_b32_e32 v7, s27
	v_cmp_ne_u32_e32 vcc, 0, v5
	v_cndmask_b32_e32 v5, v6, v7, vcc
	v_cndmask_b32_e32 v3, v3, v4, vcc
	v_cmp_le_u32_e32 vcc, s33, v2
	s_cmp_eq_u32 s2, 0
	v_cndmask_b32_e64 v4, 0, -1, vcc
	s_cselect_b64 vcc, -1, 0
	v_cndmask_b32_e32 v4, -1, v4, vcc
	v_cmp_ne_u32_e32 vcc, 0, v4
	v_mov_b32_e32 v6, s2
	v_cndmask_b32_e32 v2, v2, v3, vcc
	v_cndmask_b32_e32 v4, v6, v5, vcc
	v_xor_b32_e32 v2, s8, v2
	v_xor_b32_e32 v3, s8, v4
	v_mov_b32_e32 v4, s8
	v_subrev_co_u32_e32 v2, vcc, s8, v2
	v_subb_co_u32_e32 v3, vcc, v3, v4, vcc
	s_cbranch_execnz .LBB20_199
.LBB20_198:                             ;   in Loop: Header=BB20_8 Depth=1
	v_cvt_f32_u32_e32 v2, s33
	s_sub_i32 s2, 0, s33
	v_rcp_iflag_f32_e32 v2, v2
	v_mul_f32_e32 v2, 0x4f7ffffe, v2
	v_cvt_u32_f32_e32 v2, v2
	v_mul_lo_u32 v3, s2, v2
	v_mul_hi_u32 v3, v2, v3
	v_add_u32_e32 v2, v2, v3
	v_mul_hi_u32 v2, s26, v2
	v_mul_lo_u32 v2, v2, s33
	v_sub_u32_e32 v2, s26, v2
	v_subrev_u32_e32 v3, s33, v2
	v_cmp_le_u32_e32 vcc, s33, v2
	v_cndmask_b32_e32 v2, v2, v3, vcc
	v_subrev_u32_e32 v3, s33, v2
	v_cmp_le_u32_e32 vcc, s33, v2
	v_cndmask_b32_e32 v12, v2, v3, vcc
	v_pk_mov_b32 v[2:3], v[12:13], v[12:13] op_sel:[0,1]
.LBB20_199:                             ;   in Loop: Header=BB20_8 Depth=1
	v_mov_b32_e32 v4, s3
	v_sub_co_u32_e32 v2, vcc, s26, v2
	v_subb_co_u32_e32 v3, vcc, v4, v3, vcc
	v_cmp_gt_i64_e32 vcc, v[2:3], v[0:1]
	s_mov_b64 s[2:3], 0
                                        ; implicit-def: $vgpr29
	s_and_saveexec_b64 s[8:9], vcc
	s_cbranch_execz .LBB20_208
; %bb.200:                              ;   in Loop: Header=BB20_8 Depth=1
	v_mov_b32_e32 v6, v14
	v_pk_mov_b32 v[4:5], v[0:1], v[0:1] op_sel:[0,1]
                                        ; implicit-def: $sgpr26_sgpr27
	s_branch .LBB20_202
.LBB20_201:                             ;   in Loop: Header=BB20_202 Depth=2
	s_or_b64 exec, exec, s[28:29]
	s_waitcnt lgkmcnt(0)
	s_barrier
	ds_read_b64 v[28:29], v13 offset:3072
	v_mov_b32_e32 v7, s90
	v_add_co_u32_e32 v4, vcc, s33, v4
	v_addc_co_u32_e32 v5, vcc, v5, v7, vcc
	s_waitcnt lgkmcnt(0)
	v_readfirstlane_b32 s28, v28
	s_cmp_lg_u32 s28, 0
	s_cselect_b64 s[28:29], -1, 0
	v_cmp_ge_i64_e32 vcc, v[4:5], v[2:3]
	s_or_b64 s[30:31], s[28:29], vcc
	s_and_b64 s[30:31], exec, s[30:31]
	s_or_b64 s[2:3], s[30:31], s[2:3]
	s_andn2_b64 s[26:27], s[26:27], exec
	s_and_b64 s[28:29], s[28:29], exec
	v_add_u32_e32 v6, s76, v6
	s_or_b64 s[26:27], s[26:27], s[28:29]
	s_barrier
	s_andn2_b64 exec, exec, s[2:3]
	s_cbranch_execz .LBB20_207
.LBB20_202:                             ;   Parent Loop BB20_8 Depth=1
                                        ; =>  This Inner Loop Header: Depth=2
	v_cmp_gt_i64_e32 vcc, s[36:37], v[4:5]
	s_waitcnt vmcnt(0)
	v_mov_b32_e32 v27, 0
	s_and_saveexec_b64 s[28:29], vcc
	s_cbranch_execz .LBB20_204
; %bb.203:                              ;   in Loop: Header=BB20_202 Depth=2
	ds_read_b32 v27, v6
.LBB20_204:                             ;   in Loop: Header=BB20_202 Depth=2
	s_or_b64 exec, exec, s[28:29]
	s_and_saveexec_b64 s[28:29], vcc
	s_cbranch_execz .LBB20_201
; %bb.205:                              ;   in Loop: Header=BB20_202 Depth=2
	s_waitcnt lgkmcnt(0)
	v_xor_b32_e32 v7, 0x80000000, v27
	v_and_b32_e32 v7, s83, v7
	v_cmp_eq_u32_e32 vcc, s0, v7
	s_and_b64 exec, exec, vcc
	s_cbranch_execz .LBB20_201
; %bb.206:                              ;   in Loop: Header=BB20_202 Depth=2
	ds_write_b64 v13, v[26:27] offset:3072
	s_branch .LBB20_201
.LBB20_207:                             ;   in Loop: Header=BB20_8 Depth=1
	s_or_b64 exec, exec, s[2:3]
	s_and_b64 s[2:3], s[26:27], exec
.LBB20_208:                             ;   in Loop: Header=BB20_8 Depth=1
	s_or_b64 exec, exec, s[8:9]
	s_mov_b64 s[34:35], -1
	s_mov_b64 s[26:27], 0
	s_mov_b64 s[30:31], 0
.LBB20_209:                             ;   in Loop: Header=BB20_8 Depth=1
	s_mov_b64 s[8:9], 0
                                        ; implicit-def: $sgpr46
	s_and_saveexec_b64 s[36:37], s[2:3]
	s_cbranch_execz .LBB20_271
; %bb.210:                              ;   in Loop: Header=BB20_8 Depth=1
	s_xor_b64 s[2:3], s[38:39], -1
	s_andn2_b64 vcc, exec, s[2:3]
	s_mov_b32 s46, 1
	s_cbranch_vccnz .LBB20_221
; %bb.211:                              ;   in Loop: Header=BB20_8 Depth=1
	v_pk_mov_b32 v[2:3], s[16:17], s[16:17] op_sel:[0,1]
	v_cmp_gt_i64_e32 vcc, s[58:59], v[2:3]
	s_mov_b64 s[2:3], -1
                                        ; implicit-def: $sgpr46
                                        ; implicit-def: $sgpr8
                                        ; implicit-def: $sgpr9
	s_cbranch_vccnz .LBB20_217
; %bb.212:                              ;   in Loop: Header=BB20_8 Depth=1
	ds_read_b64 v[2:3], v13 offset:5120
	s_waitcnt lgkmcnt(0)
	v_cmp_ne_u64_e32 vcc, 0, v[2:3]
	s_cbranch_vccnz .LBB20_216
; %bb.213:                              ;   in Loop: Header=BB20_8 Depth=1
	s_mov_b64 s[2:3], exec
	v_readlane_b32 s8, v45, 8
	v_readlane_b32 s9, v45, 9
	s_and_b64 s[8:9], s[2:3], s[8:9]
	s_mov_b64 exec, s[8:9]
	s_cbranch_execz .LBB20_215
; %bb.214:                              ;   in Loop: Header=BB20_8 Depth=1
	v_pk_mov_b32 v[2:3], s[16:17], s[16:17] op_sel:[0,1]
	ds_write_b64 v13, v[2:3] offset:5128
.LBB20_215:                             ;   in Loop: Header=BB20_8 Depth=1
	s_or_b64 exec, exec, s[2:3]
	s_waitcnt lgkmcnt(0)
	s_barrier
.LBB20_216:                             ;   in Loop: Header=BB20_8 Depth=1
	s_lshl_b32 s2, 2, s40
	s_and_b32 s3, s0, s41
	s_or_b32 s8, s3, s2
	s_or_b32 s9, s83, s1
	s_mov_b64 s[2:3], 0
	s_mov_b32 s46, 8
.LBB20_217:                             ;   in Loop: Header=BB20_8 Depth=1
	s_andn2_b64 vcc, exec, s[2:3]
	s_cbranch_vccnz .LBB20_219
; %bb.218:                              ;   in Loop: Header=BB20_8 Depth=1
	s_sub_u32 s58, s58, s16
	s_subb_u32 s59, s59, s17
	s_mov_b64 s[2:3], -1
	s_mov_b32 s46, 0
	s_mov_b32 s8, s0
	;; [unrolled: 1-line block ×3, first 2 shown]
.LBB20_219:                             ;   in Loop: Header=BB20_8 Depth=1
	s_mov_b32 s83, s9
	s_mov_b32 s0, s8
	s_andn2_b64 vcc, exec, s[2:3]
	s_mov_b64 s[42:43], -1
	s_cbranch_vccz .LBB20_222
.LBB20_220:                             ;   in Loop: Header=BB20_8 Depth=1
                                        ; implicit-def: $sgpr2_sgpr3
                                        ; implicit-def: $sgpr28_sgpr29
                                        ; implicit-def: $sgpr8_sgpr9
	s_branch .LBB20_270
.LBB20_221:                             ;   in Loop: Header=BB20_8 Depth=1
	s_mov_b64 s[58:59], 1
	s_mov_b64 s[42:43], -1
	s_cbranch_execnz .LBB20_220
.LBB20_222:                             ;   in Loop: Header=BB20_8 Depth=1
	s_cmp_eq_u64 s[6:7], 1
	s_cselect_b64 s[2:3], -1, 0
	s_cmp_eq_u64 s[58:59], 1
	s_cselect_b64 s[8:9], -1, 0
	s_and_b64 s[16:17], s[2:3], s[8:9]
	s_mov_b64 s[40:41], -1
	s_and_b64 vcc, exec, s[16:17]
	s_cbranch_vccz .LBB20_237
; %bb.223:                              ;   in Loop: Header=BB20_8 Depth=1
	ds_read_b64 v[2:3], v13 offset:5120
	s_waitcnt lgkmcnt(0)
	s_barrier
	v_readfirstlane_b32 s38, v2
	v_readfirstlane_b32 s39, v3
	s_mov_b64 s[2:3], exec
	v_readlane_b32 s8, v45, 12
	v_readlane_b32 s9, v45, 13
	s_and_b64 s[8:9], s[2:3], s[8:9]
	s_mov_b64 exec, s[8:9]
	s_cbranch_execz .LBB20_225
; %bb.224:                              ;   in Loop: Header=BB20_8 Depth=1
	ds_write_b32 v37, v13
.LBB20_225:                             ;   in Loop: Header=BB20_8 Depth=1
	s_or_b64 exec, exec, s[2:3]
	v_cmp_gt_i64_e64 s[2:3], s[38:39], 0
	s_or_b32 s0, s0, s1
	s_or_b32 s83, s83, s1
	s_and_b64 vcc, exec, s[2:3]
	s_waitcnt lgkmcnt(0)
	s_barrier
	s_cbranch_vccnz .LBB20_240
; %bb.226:                              ;   in Loop: Header=BB20_8 Depth=1
	s_mov_b32 s46, s75
	s_cmp_lg_u64 s[46:47], 0
	s_cbranch_scc0 .LBB20_276
; %bb.227:                              ;   in Loop: Header=BB20_8 Depth=1
	v_cvt_f32_u32_e32 v2, s33
	s_sub_u32 s2, 0, s33
	s_subb_u32 s3, 0, 0
	v_mac_f32_e32 v2, 0x4f800000, v44
	v_rcp_f32_e32 v2, v2
	v_mul_f32_e32 v2, 0x5f7ffffc, v2
	v_mul_f32_e32 v3, 0x2f800000, v2
	v_trunc_f32_e32 v3, v3
	v_mac_f32_e32 v2, 0xcf800000, v3
	v_cvt_u32_f32_e32 v3, v3
	v_cvt_u32_f32_e32 v2, v2
	v_readfirstlane_b32 s8, v3
	v_readfirstlane_b32 s9, v2
	s_mul_i32 s28, s2, s8
	s_mul_hi_u32 s40, s2, s9
	s_mul_i32 s29, s3, s9
	s_add_i32 s28, s40, s28
	s_mul_i32 s41, s2, s9
	s_add_i32 s28, s28, s29
	s_mul_hi_u32 s40, s9, s41
	s_mul_hi_u32 s29, s9, s28
	s_mul_i32 s9, s9, s28
	s_add_u32 s9, s40, s9
	s_addc_u32 s29, 0, s29
	s_mul_hi_u32 s42, s8, s41
	s_mul_i32 s41, s8, s41
	s_add_u32 s9, s9, s41
	s_mul_hi_u32 s40, s8, s28
	s_addc_u32 s9, s29, s42
	s_addc_u32 s29, s40, 0
	s_mul_i32 s28, s8, s28
	s_add_u32 s9, s9, s28
	s_addc_u32 s28, 0, s29
	v_add_co_u32_e32 v2, vcc, s9, v2
	s_cmp_lg_u64 vcc, 0
	s_addc_u32 s8, s8, s28
	v_readfirstlane_b32 s28, v2
	s_mul_i32 s9, s2, s8
	s_mul_hi_u32 s29, s2, s28
	s_add_i32 s9, s29, s9
	s_mul_i32 s3, s3, s28
	s_add_i32 s9, s9, s3
	s_mul_i32 s2, s2, s28
	s_mul_hi_u32 s29, s8, s2
	s_mul_i32 s40, s8, s2
	s_mul_i32 s42, s28, s9
	s_mul_hi_u32 s2, s28, s2
	s_mul_hi_u32 s41, s28, s9
	s_add_u32 s2, s2, s42
	s_addc_u32 s28, 0, s41
	s_add_u32 s2, s2, s40
	s_mul_hi_u32 s3, s8, s9
	s_addc_u32 s2, s28, s29
	s_addc_u32 s3, s3, 0
	s_mul_i32 s9, s8, s9
	s_add_u32 s2, s2, s9
	s_addc_u32 s3, 0, s3
	v_add_co_u32_e32 v2, vcc, s2, v2
	s_cmp_lg_u64 vcc, 0
	s_addc_u32 s28, s8, s3
	s_ashr_i32 s2, s47, 31
	s_add_u32 s8, s82, s2
	s_mov_b32 s3, s2
	s_addc_u32 s9, s47, s2
	s_xor_b64 s[8:9], s[8:9], s[2:3]
	v_readfirstlane_b32 s40, v2
	s_mul_i32 s29, s8, s28
	s_mul_hi_u32 s41, s8, s40
	s_mul_hi_u32 s3, s8, s28
	s_add_u32 s29, s41, s29
	s_addc_u32 s3, 0, s3
	s_mul_hi_u32 s42, s9, s40
	s_mul_i32 s40, s9, s40
	s_add_u32 s29, s29, s40
	s_mul_hi_u32 s41, s9, s28
	s_addc_u32 s3, s3, s42
	s_addc_u32 s29, s41, 0
	s_mul_i32 s28, s9, s28
	s_add_u32 s3, s3, s28
	s_addc_u32 s28, 0, s29
	s_mul_hi_u32 s29, s33, s3
	s_mul_i32 s3, s33, s3
	s_mul_i32 s28, s33, s28
	v_mov_b32_e32 v2, s3
	s_add_i32 s29, s29, s28
	v_sub_co_u32_e32 v2, vcc, s8, v2
	s_cmp_lg_u64 vcc, 0
	s_subb_u32 s3, s9, s29
	v_subrev_co_u32_e32 v3, vcc, s33, v2
	s_cmp_lg_u64 vcc, 0
	s_subb_u32 s8, s3, 0
	v_subrev_co_u32_e32 v4, vcc, s33, v3
	s_cmp_lg_u64 vcc, 0
	s_subb_u32 s9, s8, 0
	v_cmp_le_u32_e32 vcc, s33, v3
	s_cmp_eq_u32 s8, 0
	v_cndmask_b32_e64 v5, 0, -1, vcc
	s_cselect_b64 vcc, -1, 0
	v_cndmask_b32_e32 v5, -1, v5, vcc
	v_mov_b32_e32 v6, s8
	v_mov_b32_e32 v7, s9
	v_cmp_ne_u32_e32 vcc, 0, v5
	v_cndmask_b32_e32 v5, v6, v7, vcc
	v_cndmask_b32_e32 v3, v3, v4, vcc
	v_cmp_le_u32_e32 vcc, s33, v2
	s_cmp_eq_u32 s3, 0
	v_cndmask_b32_e64 v4, 0, -1, vcc
	s_cselect_b64 vcc, -1, 0
	v_cndmask_b32_e32 v4, -1, v4, vcc
	v_cmp_ne_u32_e32 vcc, 0, v4
	v_mov_b32_e32 v6, s3
	v_cndmask_b32_e32 v2, v2, v3, vcc
	v_cndmask_b32_e32 v4, v6, v5, vcc
	v_xor_b32_e32 v2, s2, v2
	v_xor_b32_e32 v3, s2, v4
	v_mov_b32_e32 v4, s2
	v_subrev_co_u32_e32 v2, vcc, s2, v2
	v_subb_co_u32_e32 v3, vcc, v3, v4, vcc
	s_cbranch_execnz .LBB20_229
.LBB20_228:                             ;   in Loop: Header=BB20_8 Depth=1
	v_cvt_f32_u32_e32 v2, s33
	s_sub_i32 s2, 0, s33
	v_rcp_iflag_f32_e32 v2, v2
	v_mul_f32_e32 v2, 0x4f7ffffe, v2
	v_cvt_u32_f32_e32 v2, v2
	v_mul_lo_u32 v3, s2, v2
	v_mul_hi_u32 v3, v2, v3
	v_add_u32_e32 v2, v2, v3
	v_mul_hi_u32 v2, s82, v2
	v_mul_lo_u32 v2, v2, s33
	v_sub_u32_e32 v2, s82, v2
	v_subrev_u32_e32 v3, s33, v2
	v_cmp_le_u32_e32 vcc, s33, v2
	v_cndmask_b32_e32 v2, v2, v3, vcc
	v_subrev_u32_e32 v3, s33, v2
	v_cmp_le_u32_e32 vcc, s33, v2
	v_cndmask_b32_e32 v12, v2, v3, vcc
	v_pk_mov_b32 v[2:3], v[12:13], v[12:13] op_sel:[0,1]
.LBB20_229:                             ;   in Loop: Header=BB20_8 Depth=1
	v_mov_b32_e32 v4, s47
	v_sub_co_u32_e32 v2, vcc, s82, v2
	v_subb_co_u32_e32 v3, vcc, v4, v3, vcc
	v_cmp_gt_i64_e32 vcc, v[2:3], v[0:1]
	s_mov_b64 s[40:41], 0
                                        ; implicit-def: $vgpr29
	s_and_saveexec_b64 s[2:3], vcc
	s_cbranch_execz .LBB20_242
; %bb.230:                              ;   in Loop: Header=BB20_8 Depth=1
	s_mov_b64 s[8:9], 0
	v_pk_mov_b32 v[4:5], v[10:11], v[10:11] op_sel:[0,1]
	v_pk_mov_b32 v[6:7], v[0:1], v[0:1] op_sel:[0,1]
                                        ; implicit-def: $sgpr28_sgpr29
	s_branch .LBB20_232
.LBB20_231:                             ;   in Loop: Header=BB20_232 Depth=2
	s_or_b64 exec, exec, s[40:41]
	s_waitcnt lgkmcnt(0)
	s_barrier
	ds_read_b64 v[28:29], v13 offset:3072
	v_mov_b32_e32 v8, s90
	v_add_co_u32_e32 v6, vcc, s33, v6
	v_addc_co_u32_e32 v7, vcc, v7, v8, vcc
	s_waitcnt lgkmcnt(0)
	v_readfirstlane_b32 s40, v28
	s_cmp_lg_u32 s40, 0
	s_cselect_b64 s[40:41], -1, 0
	v_cmp_ge_i64_e32 vcc, v[6:7], v[2:3]
	s_or_b64 s[42:43], s[40:41], vcc
	s_and_b64 s[42:43], exec, s[42:43]
	s_or_b64 s[8:9], s[42:43], s[8:9]
	v_mov_b32_e32 v8, s71
	v_add_co_u32_e32 v4, vcc, s70, v4
	s_andn2_b64 s[28:29], s[28:29], exec
	s_and_b64 s[40:41], s[40:41], exec
	v_addc_co_u32_e32 v5, vcc, v5, v8, vcc
	s_or_b64 s[28:29], s[28:29], s[40:41]
	s_barrier
	s_andn2_b64 exec, exec, s[8:9]
	s_cbranch_execz .LBB20_241
.LBB20_232:                             ;   Parent Loop BB20_8 Depth=1
                                        ; =>  This Inner Loop Header: Depth=2
	v_cmp_gt_i64_e32 vcc, s[56:57], v[6:7]
	s_waitcnt vmcnt(0)
	v_mov_b32_e32 v27, 0
	s_and_saveexec_b64 s[40:41], vcc
	s_cbranch_execz .LBB20_234
; %bb.233:                              ;   in Loop: Header=BB20_232 Depth=2
	global_load_dword v27, v[4:5], off
.LBB20_234:                             ;   in Loop: Header=BB20_232 Depth=2
	s_or_b64 exec, exec, s[40:41]
	s_and_saveexec_b64 s[40:41], vcc
	s_cbranch_execz .LBB20_231
; %bb.235:                              ;   in Loop: Header=BB20_232 Depth=2
	s_waitcnt vmcnt(0)
	v_xor_b32_e32 v8, 0x80000000, v27
	v_and_b32_e32 v8, s83, v8
	v_cmp_eq_u32_e32 vcc, s0, v8
	s_and_b64 exec, exec, vcc
	s_cbranch_execz .LBB20_231
; %bb.236:                              ;   in Loop: Header=BB20_232 Depth=2
	ds_write_b64 v13, v[26:27] offset:3072
	s_branch .LBB20_231
.LBB20_237:                             ;   in Loop: Header=BB20_8 Depth=1
                                        ; implicit-def: $sgpr2_sgpr3
                                        ; implicit-def: $sgpr28_sgpr29
                                        ; implicit-def: $sgpr8_sgpr9
	s_branch .LBB20_256
.LBB20_238:                             ;   in Loop: Header=BB20_8 Depth=1
                                        ; implicit-def: $vgpr2_vgpr3
	s_branch .LBB20_181
.LBB20_239:                             ;   in Loop: Header=BB20_8 Depth=1
                                        ; implicit-def: $vgpr2_vgpr3
	s_branch .LBB20_198
.LBB20_240:                             ;   in Loop: Header=BB20_8 Depth=1
	s_mov_b64 s[2:3], -1
	s_mov_b64 s[40:41], 0
                                        ; implicit-def: $sgpr8_sgpr9
                                        ; implicit-def: $vgpr29
	s_mov_b64 s[28:29], s[2:3]
	s_cbranch_execnz .LBB20_243
	s_branch .LBB20_256
.LBB20_241:                             ;   in Loop: Header=BB20_8 Depth=1
	s_or_b64 exec, exec, s[8:9]
	s_and_b64 s[40:41], s[28:29], exec
.LBB20_242:                             ;   in Loop: Header=BB20_8 Depth=1
	s_or_b64 exec, exec, s[2:3]
	s_mov_b64 s[8:9], -1
	s_mov_b64 s[2:3], 0
	s_mov_b64 s[28:29], s[2:3]
	s_branch .LBB20_256
.LBB20_243:                             ;   in Loop: Header=BB20_8 Depth=1
	v_readlane_b32 s2, v45, 24
	s_add_u32 s28, s2, s38
	v_readlane_b32 s2, v45, 25
	s_addc_u32 s3, s2, s39
	s_mov_b32 s2, s75
	s_cmp_lg_u64 s[2:3], 0
	s_cbranch_scc0 .LBB20_277
; %bb.244:                              ;   in Loop: Header=BB20_8 Depth=1
	v_cvt_f32_u32_e32 v2, s33
	s_sub_u32 s2, 0, s33
	s_subb_u32 s8, 0, 0
	v_mac_f32_e32 v2, 0x4f800000, v44
	v_rcp_f32_e32 v2, v2
	v_mul_f32_e32 v2, 0x5f7ffffc, v2
	v_mul_f32_e32 v3, 0x2f800000, v2
	v_trunc_f32_e32 v3, v3
	v_mac_f32_e32 v2, 0xcf800000, v3
	v_cvt_u32_f32_e32 v3, v3
	v_cvt_u32_f32_e32 v2, v2
	v_readfirstlane_b32 s9, v3
	v_readfirstlane_b32 s29, v2
	s_mul_i32 s40, s2, s9
	s_mul_hi_u32 s42, s2, s29
	s_mul_i32 s41, s8, s29
	s_add_i32 s40, s42, s40
	s_mul_i32 s43, s2, s29
	s_add_i32 s40, s40, s41
	s_mul_hi_u32 s42, s29, s43
	s_mul_hi_u32 s41, s29, s40
	s_mul_i32 s29, s29, s40
	s_add_u32 s29, s42, s29
	s_addc_u32 s41, 0, s41
	s_mul_hi_u32 s44, s9, s43
	s_mul_i32 s43, s9, s43
	s_add_u32 s29, s29, s43
	s_mul_hi_u32 s42, s9, s40
	s_addc_u32 s29, s41, s44
	s_addc_u32 s41, s42, 0
	s_mul_i32 s40, s9, s40
	s_add_u32 s29, s29, s40
	s_addc_u32 s40, 0, s41
	v_add_co_u32_e32 v2, vcc, s29, v2
	s_cmp_lg_u64 vcc, 0
	s_addc_u32 s9, s9, s40
	v_readfirstlane_b32 s40, v2
	s_mul_i32 s29, s2, s9
	s_mul_hi_u32 s41, s2, s40
	s_add_i32 s29, s41, s29
	s_mul_i32 s8, s8, s40
	s_add_i32 s29, s29, s8
	s_mul_i32 s2, s2, s40
	s_mul_hi_u32 s41, s9, s2
	s_mul_i32 s42, s9, s2
	s_mul_i32 s44, s40, s29
	s_mul_hi_u32 s2, s40, s2
	s_mul_hi_u32 s43, s40, s29
	s_add_u32 s2, s2, s44
	s_addc_u32 s40, 0, s43
	s_add_u32 s2, s2, s42
	s_mul_hi_u32 s8, s9, s29
	s_addc_u32 s2, s40, s41
	s_addc_u32 s8, s8, 0
	s_mul_i32 s29, s9, s29
	s_add_u32 s2, s2, s29
	s_addc_u32 s8, 0, s8
	v_add_co_u32_e32 v2, vcc, s2, v2
	s_cmp_lg_u64 vcc, 0
	s_addc_u32 s2, s9, s8
	s_ashr_i32 s8, s3, 31
	s_add_u32 s40, s28, s8
	s_mov_b32 s9, s8
	s_addc_u32 s41, s3, s8
	s_xor_b64 s[40:41], s[40:41], s[8:9]
	v_readfirstlane_b32 s42, v2
	s_mul_i32 s29, s40, s2
	s_mul_hi_u32 s43, s40, s42
	s_mul_hi_u32 s9, s40, s2
	s_add_u32 s29, s43, s29
	s_addc_u32 s9, 0, s9
	s_mul_hi_u32 s44, s41, s42
	s_mul_i32 s42, s41, s42
	s_add_u32 s29, s29, s42
	s_mul_hi_u32 s43, s41, s2
	s_addc_u32 s9, s9, s44
	s_addc_u32 s29, s43, 0
	s_mul_i32 s2, s41, s2
	s_add_u32 s2, s9, s2
	s_addc_u32 s9, 0, s29
	s_mul_hi_u32 s29, s33, s2
	s_mul_i32 s2, s33, s2
	s_mul_i32 s9, s33, s9
	v_mov_b32_e32 v2, s2
	s_add_i32 s29, s29, s9
	v_sub_co_u32_e32 v2, vcc, s40, v2
	s_cmp_lg_u64 vcc, 0
	s_subb_u32 s2, s41, s29
	v_subrev_co_u32_e32 v3, vcc, s33, v2
	s_cmp_lg_u64 vcc, 0
	s_subb_u32 s9, s2, 0
	v_subrev_co_u32_e32 v4, vcc, s33, v3
	s_cmp_lg_u64 vcc, 0
	s_subb_u32 s29, s9, 0
	v_cmp_le_u32_e32 vcc, s33, v3
	s_cmp_eq_u32 s9, 0
	v_cndmask_b32_e64 v5, 0, -1, vcc
	s_cselect_b64 vcc, -1, 0
	v_cndmask_b32_e32 v5, -1, v5, vcc
	v_mov_b32_e32 v6, s9
	v_mov_b32_e32 v7, s29
	v_cmp_ne_u32_e32 vcc, 0, v5
	v_cndmask_b32_e32 v5, v6, v7, vcc
	v_cndmask_b32_e32 v3, v3, v4, vcc
	v_cmp_le_u32_e32 vcc, s33, v2
	s_cmp_eq_u32 s2, 0
	v_cndmask_b32_e64 v4, 0, -1, vcc
	s_cselect_b64 vcc, -1, 0
	v_cndmask_b32_e32 v4, -1, v4, vcc
	v_cmp_ne_u32_e32 vcc, 0, v4
	v_mov_b32_e32 v6, s2
	v_cndmask_b32_e32 v2, v2, v3, vcc
	v_cndmask_b32_e32 v4, v6, v5, vcc
	v_xor_b32_e32 v2, s8, v2
	v_xor_b32_e32 v3, s8, v4
	v_mov_b32_e32 v4, s8
	v_subrev_co_u32_e32 v2, vcc, s8, v2
	v_subb_co_u32_e32 v3, vcc, v3, v4, vcc
	s_cbranch_execnz .LBB20_246
.LBB20_245:                             ;   in Loop: Header=BB20_8 Depth=1
	v_cvt_f32_u32_e32 v2, s33
	s_sub_i32 s2, 0, s33
	v_rcp_iflag_f32_e32 v2, v2
	v_mul_f32_e32 v2, 0x4f7ffffe, v2
	v_cvt_u32_f32_e32 v2, v2
	v_mul_lo_u32 v3, s2, v2
	v_mul_hi_u32 v3, v2, v3
	v_add_u32_e32 v2, v2, v3
	v_mul_hi_u32 v2, s28, v2
	v_mul_lo_u32 v2, v2, s33
	v_sub_u32_e32 v2, s28, v2
	v_subrev_u32_e32 v3, s33, v2
	v_cmp_le_u32_e32 vcc, s33, v2
	v_cndmask_b32_e32 v2, v2, v3, vcc
	v_subrev_u32_e32 v3, s33, v2
	v_cmp_le_u32_e32 vcc, s33, v2
	v_cndmask_b32_e32 v12, v2, v3, vcc
	v_pk_mov_b32 v[2:3], v[12:13], v[12:13] op_sel:[0,1]
.LBB20_246:                             ;   in Loop: Header=BB20_8 Depth=1
	v_mov_b32_e32 v4, s3
	v_sub_co_u32_e32 v2, vcc, s28, v2
	v_subb_co_u32_e32 v3, vcc, v4, v3, vcc
	v_cmp_gt_i64_e32 vcc, v[2:3], v[0:1]
	s_mov_b64 s[40:41], 0
                                        ; implicit-def: $vgpr29
	s_and_saveexec_b64 s[2:3], vcc
	s_cbranch_execz .LBB20_255
; %bb.247:                              ;   in Loop: Header=BB20_8 Depth=1
	s_mov_b64 s[8:9], 0
	v_mov_b32_e32 v6, v14
	v_pk_mov_b32 v[4:5], v[0:1], v[0:1] op_sel:[0,1]
                                        ; implicit-def: $sgpr28_sgpr29
	s_branch .LBB20_249
.LBB20_248:                             ;   in Loop: Header=BB20_249 Depth=2
	s_or_b64 exec, exec, s[40:41]
	s_waitcnt lgkmcnt(0)
	s_barrier
	ds_read_b64 v[28:29], v13 offset:3072
	v_mov_b32_e32 v7, s90
	v_add_co_u32_e32 v4, vcc, s33, v4
	v_addc_co_u32_e32 v5, vcc, v5, v7, vcc
	s_waitcnt lgkmcnt(0)
	v_readfirstlane_b32 s40, v28
	s_cmp_lg_u32 s40, 0
	s_cselect_b64 s[40:41], -1, 0
	v_cmp_ge_i64_e32 vcc, v[4:5], v[2:3]
	s_or_b64 s[42:43], s[40:41], vcc
	s_and_b64 s[42:43], exec, s[42:43]
	s_or_b64 s[8:9], s[42:43], s[8:9]
	s_andn2_b64 s[28:29], s[28:29], exec
	s_and_b64 s[40:41], s[40:41], exec
	v_add_u32_e32 v6, s76, v6
	s_or_b64 s[28:29], s[28:29], s[40:41]
	s_barrier
	s_andn2_b64 exec, exec, s[8:9]
	s_cbranch_execz .LBB20_254
.LBB20_249:                             ;   Parent Loop BB20_8 Depth=1
                                        ; =>  This Inner Loop Header: Depth=2
	v_cmp_gt_i64_e32 vcc, s[38:39], v[4:5]
	s_waitcnt vmcnt(0)
	v_mov_b32_e32 v27, 0
	s_and_saveexec_b64 s[40:41], vcc
	s_cbranch_execz .LBB20_251
; %bb.250:                              ;   in Loop: Header=BB20_249 Depth=2
	ds_read_b32 v27, v6
.LBB20_251:                             ;   in Loop: Header=BB20_249 Depth=2
	s_or_b64 exec, exec, s[40:41]
	s_and_saveexec_b64 s[40:41], vcc
	s_cbranch_execz .LBB20_248
; %bb.252:                              ;   in Loop: Header=BB20_249 Depth=2
	s_waitcnt lgkmcnt(0)
	v_xor_b32_e32 v7, 0x80000000, v27
	v_and_b32_e32 v7, s83, v7
	v_cmp_eq_u32_e32 vcc, s0, v7
	s_and_b64 exec, exec, vcc
	s_cbranch_execz .LBB20_248
; %bb.253:                              ;   in Loop: Header=BB20_249 Depth=2
	ds_write_b64 v13, v[26:27] offset:3072
	s_branch .LBB20_248
.LBB20_254:                             ;   in Loop: Header=BB20_8 Depth=1
	s_or_b64 exec, exec, s[8:9]
	s_and_b64 s[40:41], s[28:29], exec
.LBB20_255:                             ;   in Loop: Header=BB20_8 Depth=1
	s_or_b64 exec, exec, s[2:3]
	s_mov_b64 s[28:29], -1
	s_mov_b64 s[2:3], 0
	s_mov_b64 s[8:9], 0
.LBB20_256:                             ;   in Loop: Header=BB20_8 Depth=1
	s_mov_b64 s[42:43], 0
                                        ; implicit-def: $sgpr46
                                        ; implicit-def: $sgpr44_sgpr45
	s_and_saveexec_b64 s[38:39], s[40:41]
	s_cbranch_execz .LBB20_269
; %bb.257:                              ;   in Loop: Header=BB20_8 Depth=1
	s_xor_b64 s[16:17], s[16:17], -1
	s_mov_b64 s[44:45], 1
	s_andn2_b64 vcc, exec, s[16:17]
	s_mov_b32 s46, 1
	s_cbranch_vccnz .LBB20_268
; %bb.258:                              ;   in Loop: Header=BB20_8 Depth=1
	v_pk_mov_b32 v[2:3], s[6:7], s[6:7] op_sel:[0,1]
	v_cmp_gt_i64_e32 vcc, s[58:59], v[2:3]
	s_cbranch_vccnz .LBB20_264
; %bb.259:                              ;   in Loop: Header=BB20_8 Depth=1
	ds_read_b64 v[2:3], v13 offset:5120
	s_waitcnt lgkmcnt(0)
	v_cmp_ne_u64_e32 vcc, 0, v[2:3]
	s_cbranch_vccnz .LBB20_263
; %bb.260:                              ;   in Loop: Header=BB20_8 Depth=1
	s_mov_b64 s[16:17], exec
	v_readlane_b32 s40, v45, 8
	v_readlane_b32 s41, v45, 9
	s_and_b64 s[40:41], s[16:17], s[40:41]
	s_mov_b64 exec, s[40:41]
	s_cbranch_execz .LBB20_262
; %bb.261:                              ;   in Loop: Header=BB20_8 Depth=1
	v_pk_mov_b32 v[2:3], s[6:7], s[6:7] op_sel:[0,1]
	ds_write_b64 v13, v[2:3] offset:5128
.LBB20_262:                             ;   in Loop: Header=BB20_8 Depth=1
	s_or_b64 exec, exec, s[16:17]
	s_waitcnt lgkmcnt(0)
	s_barrier
.LBB20_263:                             ;   in Loop: Header=BB20_8 Depth=1
	s_or_b32 s40, s0, s1
	s_or_b32 s1, s83, s1
	s_mov_b64 s[16:17], 0
	s_mov_b32 s46, 8
	s_branch .LBB20_265
.LBB20_264:                             ;   in Loop: Header=BB20_8 Depth=1
	s_mov_b64 s[16:17], -1
                                        ; implicit-def: $sgpr46
                                        ; implicit-def: $sgpr40
                                        ; implicit-def: $sgpr1
.LBB20_265:                             ;   in Loop: Header=BB20_8 Depth=1
	s_andn2_b64 vcc, exec, s[16:17]
	s_cbranch_vccnz .LBB20_267
; %bb.266:                              ;   in Loop: Header=BB20_8 Depth=1
	s_sub_u32 s58, s58, s6
	s_subb_u32 s59, s59, s7
	s_mov_b32 s46, 8
	s_mov_b32 s40, s0
	;; [unrolled: 1-line block ×3, first 2 shown]
.LBB20_267:                             ;   in Loop: Header=BB20_8 Depth=1
	s_mov_b64 s[44:45], s[58:59]
	s_mov_b32 s0, s40
	s_mov_b32 s83, s1
.LBB20_268:                             ;   in Loop: Header=BB20_8 Depth=1
	s_mov_b64 s[42:43], exec
.LBB20_269:                             ;   in Loop: Header=BB20_8 Depth=1
	s_or_b64 exec, exec, s[38:39]
	s_mov_b64 s[58:59], s[44:45]
.LBB20_270:                             ;   in Loop: Header=BB20_8 Depth=1
	s_andn2_b64 s[6:7], s[26:27], exec
	s_and_b64 s[2:3], s[2:3], exec
	s_or_b64 s[26:27], s[6:7], s[2:3]
	s_andn2_b64 s[2:3], s[34:35], exec
	s_and_b64 s[6:7], s[28:29], exec
	s_or_b64 s[34:35], s[2:3], s[6:7]
	;; [unrolled: 3-line block ×3, first 2 shown]
	s_and_b64 s[8:9], s[42:43], exec
.LBB20_271:                             ;   in Loop: Header=BB20_8 Depth=1
	s_or_b64 exec, exec, s[36:37]
.LBB20_272:                             ;   in Loop: Header=BB20_8 Depth=1
	s_andn2_b64 s[2:3], s[20:21], exec
	s_and_b64 s[6:7], s[26:27], exec
	s_or_b64 s[20:21], s[2:3], s[6:7]
	s_andn2_b64 s[2:3], s[22:23], exec
	s_and_b64 s[6:7], s[34:35], exec
	s_or_b64 s[22:23], s[2:3], s[6:7]
	;; [unrolled: 3-line block ×3, first 2 shown]
	s_and_b64 s[8:9], s[8:9], exec
.LBB20_273:                             ;   in Loop: Header=BB20_8 Depth=1
	s_or_b64 exec, exec, s[24:25]
	s_and_saveexec_b64 s[2:3], s[8:9]
	s_xor_b64 s[2:3], exec, s[2:3]
	s_cbranch_execz .LBB20_6
.LBB20_274:                             ;   in Loop: Header=BB20_8 Depth=1
	s_and_b32 s1, s46, -9
	s_cmp_eq_u32 s1, 0
	s_cbranch_scc1 .LBB20_4
; %bb.275:                              ;   in Loop: Header=BB20_8 Depth=1
	s_mov_b64 s[6:7], -1
                                        ; implicit-def: $sgpr83
                                        ; implicit-def: $sgpr77
                                        ; implicit-def: $sgpr88
	s_mov_b64 s[8:9], -1
	s_branch .LBB20_5
.LBB20_276:                             ;   in Loop: Header=BB20_8 Depth=1
                                        ; implicit-def: $vgpr2_vgpr3
	s_branch .LBB20_228
.LBB20_277:                             ;   in Loop: Header=BB20_8 Depth=1
                                        ; implicit-def: $vgpr2_vgpr3
	s_branch .LBB20_245
.LBB20_278:
	s_or_b64 exec, exec, s[92:93]
	s_xor_b64 s[6:7], s[66:67], -1
	s_xor_b64 s[0:1], s[54:55], -1
	;; [unrolled: 1-line block ×3, first 2 shown]
	s_mov_b64 s[2:3], 0
	s_and_saveexec_b64 s[8:9], s[0:1]
	s_xor_b64 s[0:1], exec, s[8:9]
	s_cbranch_execnz .LBB20_283
; %bb.279:
	s_andn2_saveexec_b64 s[0:1], s[0:1]
	s_cbranch_execnz .LBB20_305
.LBB20_280:
	s_or_b64 exec, exec, s[0:1]
	s_and_saveexec_b64 s[0:1], s[2:3]
.LBB20_281:
	; divergent unreachable
.LBB20_282:
	s_endpgm
.LBB20_283:
	s_and_saveexec_b64 s[2:3], s[6:7]
	s_xor_b64 s[2:3], exec, s[2:3]
	s_cbranch_execz .LBB20_303
; %bb.284:
	s_and_saveexec_b64 s[6:7], s[4:5]
	s_xor_b64 s[4:5], exec, s[6:7]
; %bb.285:
	v_xor_b32_e32 v29, 0x80000000, v2
; %bb.286:
	s_or_b64 exec, exec, s[4:5]
	s_mov_b64 s[4:5], exec
	v_readlane_b32 s6, v45, 8
	v_readlane_b32 s7, v45, 9
	s_and_b64 s[6:7], s[4:5], s[6:7]
	v_readlane_b32 s24, v45, 10
	v_readlane_b32 s25, v45, 11
	s_mov_b64 exec, s[6:7]
	s_cbranch_execz .LBB20_288
; %bb.287:
	v_mov_b32_e32 v2, 0
	v_mov_b32_e32 v3, s56
	ds_write_b32 v2, v3 offset:5140
.LBB20_288:
	s_or_b64 exec, exec, s[4:5]
	s_waitcnt lgkmcnt(0)
	s_barrier
	s_mov_b64 s[4:5], exec
	v_readlane_b32 s6, v45, 20
	v_readlane_b32 s7, v45, 21
	s_and_b64 s[6:7], s[4:5], s[6:7]
	s_mov_b64 exec, s[6:7]
	s_cbranch_execz .LBB20_300
; %bb.289:
	v_mov_b32_e32 v2, 0
	ds_read_b32 v4, v2 offset:5140
	s_mov_b64 s[6:7], 0
                                        ; implicit-def: $sgpr8_sgpr9
                                        ; implicit-def: $sgpr10_sgpr11
                                        ; implicit-def: $sgpr12_sgpr13
	s_waitcnt lgkmcnt(0)
	v_ashrrev_i32_e32 v5, 31, v4
	s_branch .LBB20_292
.LBB20_290:                             ;   in Loop: Header=BB20_292 Depth=1
	s_or_b64 exec, exec, s[18:19]
	s_andn2_b64 s[12:13], s[12:13], exec
	s_and_b64 s[16:17], s[16:17], exec
	s_or_b64 s[12:13], s[12:13], s[16:17]
	s_andn2_b64 s[10:11], s[10:11], exec
	s_and_b64 s[16:17], s[20:21], exec
	s_or_b64 s[10:11], s[10:11], s[16:17]
.LBB20_291:                             ;   in Loop: Header=BB20_292 Depth=1
	s_or_b64 exec, exec, s[14:15]
	s_and_b64 s[14:15], exec, s[10:11]
	s_or_b64 s[6:7], s[14:15], s[6:7]
	s_andn2_b64 s[8:9], s[8:9], exec
	s_and_b64 s[14:15], s[12:13], exec
	s_or_b64 s[8:9], s[8:9], s[14:15]
	s_andn2_b64 exec, exec, s[6:7]
	s_cbranch_execz .LBB20_295
.LBB20_292:                             ; =>This Inner Loop Header: Depth=1
	v_pk_mov_b32 v[2:3], v[0:1], v[0:1] op_sel:[0,1]
	v_cmp_lt_i64_e32 vcc, v[2:3], v[4:5]
	s_or_b64 s[12:13], s[12:13], exec
	s_or_b64 s[10:11], s[10:11], exec
                                        ; implicit-def: $vgpr0_vgpr1
	s_and_saveexec_b64 s[14:15], vcc
	s_cbranch_execz .LBB20_291
; %bb.293:                              ;   in Loop: Header=BB20_292 Depth=1
	global_load_dword v0, v[10:11], off
	s_mov_b64 s[20:21], -1
	s_mov_b64 s[16:17], 0
	s_waitcnt vmcnt(0)
	v_cmp_ne_u32_e32 vcc, v0, v29
                                        ; implicit-def: $vgpr0_vgpr1
	s_and_saveexec_b64 s[18:19], vcc
	s_cbranch_execz .LBB20_290
; %bb.294:                              ;   in Loop: Header=BB20_292 Depth=1
	v_mov_b32_e32 v1, s90
	v_add_co_u32_e32 v0, vcc, s33, v2
	v_addc_co_u32_e32 v1, vcc, v3, v1, vcc
	v_mov_b32_e32 v3, s71
	v_add_co_u32_e32 v10, vcc, s70, v10
	v_addc_co_u32_e32 v11, vcc, v11, v3, vcc
	v_cmp_le_i64_e32 vcc, s[56:57], v[0:1]
	s_mov_b64 s[16:17], exec
	s_orn2_b64 s[20:21], vcc, exec
	s_branch .LBB20_290
.LBB20_295:
	s_or_b64 exec, exec, s[6:7]
	s_xor_b64 s[6:7], s[8:9], -1
	s_and_saveexec_b64 s[8:9], s[6:7]
	s_xor_b64 s[8:9], exec, s[8:9]
	s_cbranch_execz .LBB20_300
; %bb.296:
	s_mov_b64 s[6:7], exec
	s_brev_b32 s8, -2
.LBB20_297:                             ; =>This Inner Loop Header: Depth=1
	s_ff1_i32_b64 s9, s[6:7]
	v_readlane_b32 s12, v2, s9
	s_lshl_b64 s[10:11], 1, s9
	s_min_i32 s8, s8, s12
	s_andn2_b64 s[6:7], s[6:7], s[10:11]
	s_cmp_lg_u64 s[6:7], 0
	s_cbranch_scc1 .LBB20_297
; %bb.298:
	v_mbcnt_lo_u32_b32 v0, exec_lo, 0
	v_mbcnt_hi_u32_b32 v0, exec_hi, v0
	v_cmp_eq_u32_e32 vcc, 0, v0
	s_and_saveexec_b64 s[6:7], vcc
	s_xor_b64 s[6:7], exec, s[6:7]
	s_cbranch_execz .LBB20_300
; %bb.299:
	v_mov_b32_e32 v0, 0
	v_mov_b32_e32 v1, s8
	ds_min_i32 v0, v1 offset:5140
.LBB20_300:
	s_or_b64 exec, exec, s[4:5]
	s_waitcnt lgkmcnt(0)
	s_barrier
	s_mov_b64 s[4:5], exec
	v_readlane_b32 s6, v45, 8
	v_readlane_b32 s7, v45, 9
	s_and_b64 s[6:7], s[4:5], s[6:7]
	s_mov_b64 exec, s[6:7]
	s_cbranch_execz .LBB20_302
; %bb.301:
	v_readlane_b32 s8, v45, 4
	v_readlane_b32 s9, v45, 5
	;; [unrolled: 1-line block ×3, first 2 shown]
	s_mul_i32 s6, s9, s24
	s_mul_hi_u32 s7, s8, s24
	v_readlane_b32 s11, v45, 1
	v_mov_b32_e32 v2, 0
	s_add_i32 s7, s7, s6
	s_mul_i32 s6, s8, s24
	s_mul_i32 s8, s11, s24
	s_mul_hi_u32 s9, s10, s24
	ds_read_b32 v0, v2 offset:5140
	s_add_i32 s9, s9, s8
	s_mul_i32 s8, s10, s24
	s_lshl_b64 s[6:7], s[6:7], 2
	v_readlane_b32 s10, v45, 6
	v_readlane_b32 s11, v45, 7
	s_add_u32 s6, s10, s6
	s_addc_u32 s7, s11, s7
	s_lshl_b64 s[8:9], s[8:9], 3
	v_readlane_b32 s10, v45, 2
	v_readlane_b32 s11, v45, 3
	s_add_u32 s8, s10, s8
	s_addc_u32 s9, s11, s9
	s_waitcnt lgkmcnt(0)
	v_ashrrev_i32_e32 v1, 31, v0
	global_store_dwordx2 v2, v[0:1], s[8:9]
	global_store_dword v2, v29, s[6:7]
.LBB20_302:
	s_or_b64 exec, exec, s[4:5]
.LBB20_303:
	s_or_saveexec_b64 s[2:3], s[2:3]
	s_mov_b64 s[4:5], 0
	s_xor_b64 exec, exec, s[2:3]
	s_cbranch_execnz .LBB20_306
.LBB20_304:
	s_or_b64 exec, exec, s[2:3]
	s_and_b64 s[2:3], s[4:5], exec
	s_andn2_saveexec_b64 s[0:1], s[0:1]
	s_cbranch_execz .LBB20_280
.LBB20_305:
	s_or_b64 s[2:3], s[2:3], exec
	s_trap 2
	s_or_b64 exec, exec, s[0:1]
	s_and_saveexec_b64 s[0:1], s[2:3]
	s_cbranch_execnz .LBB20_281
	s_branch .LBB20_282
.LBB20_306:
	s_mov_b64 s[4:5], exec
	s_trap 2
	s_branch .LBB20_304
	.section	.rodata,"a",@progbits
	.p2align	6, 0x0
	.amdhsa_kernel _ZN2at6native12_GLOBAL__N_114gatherKthValueIilLi1EEEvNS_4cuda6detail10TensorInfoIKT_T0_EES8_S8_S8_S8_NS5_IS6_S8_EENS5_IlS8_EE
		.amdhsa_group_segment_fixed_size 5144
		.amdhsa_private_segment_fixed_size 0
		.amdhsa_kernarg_size 1536
		.amdhsa_user_sgpr_count 6
		.amdhsa_user_sgpr_private_segment_buffer 1
		.amdhsa_user_sgpr_dispatch_ptr 0
		.amdhsa_user_sgpr_queue_ptr 0
		.amdhsa_user_sgpr_kernarg_segment_ptr 1
		.amdhsa_user_sgpr_dispatch_id 0
		.amdhsa_user_sgpr_flat_scratch_init 0
		.amdhsa_user_sgpr_kernarg_preload_length 0
		.amdhsa_user_sgpr_kernarg_preload_offset 0
		.amdhsa_user_sgpr_private_segment_size 0
		.amdhsa_uses_dynamic_stack 0
		.amdhsa_system_sgpr_private_segment_wavefront_offset 0
		.amdhsa_system_sgpr_workgroup_id_x 1
		.amdhsa_system_sgpr_workgroup_id_y 1
		.amdhsa_system_sgpr_workgroup_id_z 1
		.amdhsa_system_sgpr_workgroup_info 0
		.amdhsa_system_vgpr_workitem_id 0
		.amdhsa_next_free_vgpr 54
		.amdhsa_next_free_sgpr 96
		.amdhsa_accum_offset 56
		.amdhsa_reserve_vcc 1
		.amdhsa_reserve_flat_scratch 0
		.amdhsa_float_round_mode_32 0
		.amdhsa_float_round_mode_16_64 0
		.amdhsa_float_denorm_mode_32 3
		.amdhsa_float_denorm_mode_16_64 3
		.amdhsa_dx10_clamp 1
		.amdhsa_ieee_mode 1
		.amdhsa_fp16_overflow 0
		.amdhsa_tg_split 0
		.amdhsa_exception_fp_ieee_invalid_op 0
		.amdhsa_exception_fp_denorm_src 0
		.amdhsa_exception_fp_ieee_div_zero 0
		.amdhsa_exception_fp_ieee_overflow 0
		.amdhsa_exception_fp_ieee_underflow 0
		.amdhsa_exception_fp_ieee_inexact 0
		.amdhsa_exception_int_div_zero 0
	.end_amdhsa_kernel
	.section	.text._ZN2at6native12_GLOBAL__N_114gatherKthValueIilLi1EEEvNS_4cuda6detail10TensorInfoIKT_T0_EES8_S8_S8_S8_NS5_IS6_S8_EENS5_IlS8_EE,"axG",@progbits,_ZN2at6native12_GLOBAL__N_114gatherKthValueIilLi1EEEvNS_4cuda6detail10TensorInfoIKT_T0_EES8_S8_S8_S8_NS5_IS6_S8_EENS5_IlS8_EE,comdat
.Lfunc_end20:
	.size	_ZN2at6native12_GLOBAL__N_114gatherKthValueIilLi1EEEvNS_4cuda6detail10TensorInfoIKT_T0_EES8_S8_S8_S8_NS5_IS6_S8_EENS5_IlS8_EE, .Lfunc_end20-_ZN2at6native12_GLOBAL__N_114gatherKthValueIilLi1EEEvNS_4cuda6detail10TensorInfoIKT_T0_EES8_S8_S8_S8_NS5_IS6_S8_EENS5_IlS8_EE
                                        ; -- End function
	.section	.AMDGPU.csdata,"",@progbits
; Kernel info:
; codeLenInByte = 15928
; NumSgprs: 100
; NumVgprs: 54
; NumAgprs: 0
; TotalNumVgprs: 54
; ScratchSize: 0
; MemoryBound: 0
; FloatMode: 240
; IeeeMode: 1
; LDSByteSize: 5144 bytes/workgroup (compile time only)
; SGPRBlocks: 12
; VGPRBlocks: 6
; NumSGPRsForWavesPerEU: 100
; NumVGPRsForWavesPerEU: 54
; AccumOffset: 56
; Occupancy: 8
; WaveLimiterHint : 1
; COMPUTE_PGM_RSRC2:SCRATCH_EN: 0
; COMPUTE_PGM_RSRC2:USER_SGPR: 6
; COMPUTE_PGM_RSRC2:TRAP_HANDLER: 0
; COMPUTE_PGM_RSRC2:TGID_X_EN: 1
; COMPUTE_PGM_RSRC2:TGID_Y_EN: 1
; COMPUTE_PGM_RSRC2:TGID_Z_EN: 1
; COMPUTE_PGM_RSRC2:TIDIG_COMP_CNT: 0
; COMPUTE_PGM_RSRC3_GFX90A:ACCUM_OFFSET: 13
; COMPUTE_PGM_RSRC3_GFX90A:TG_SPLIT: 0
	.section	.text._ZN2at6native12_GLOBAL__N_114gatherKthValueIilLi2EEEvNS_4cuda6detail10TensorInfoIKT_T0_EES8_S8_S8_S8_NS5_IS6_S8_EENS5_IlS8_EE,"axG",@progbits,_ZN2at6native12_GLOBAL__N_114gatherKthValueIilLi2EEEvNS_4cuda6detail10TensorInfoIKT_T0_EES8_S8_S8_S8_NS5_IS6_S8_EENS5_IlS8_EE,comdat
	.globl	_ZN2at6native12_GLOBAL__N_114gatherKthValueIilLi2EEEvNS_4cuda6detail10TensorInfoIKT_T0_EES8_S8_S8_S8_NS5_IS6_S8_EENS5_IlS8_EE ; -- Begin function _ZN2at6native12_GLOBAL__N_114gatherKthValueIilLi2EEEvNS_4cuda6detail10TensorInfoIKT_T0_EES8_S8_S8_S8_NS5_IS6_S8_EENS5_IlS8_EE
	.p2align	8
	.type	_ZN2at6native12_GLOBAL__N_114gatherKthValueIilLi2EEEvNS_4cuda6detail10TensorInfoIKT_T0_EES8_S8_S8_S8_NS5_IS6_S8_EENS5_IlS8_EE,@function
_ZN2at6native12_GLOBAL__N_114gatherKthValueIilLi2EEEvNS_4cuda6detail10TensorInfoIKT_T0_EES8_S8_S8_S8_NS5_IS6_S8_EENS5_IlS8_EE: ; @_ZN2at6native12_GLOBAL__N_114gatherKthValueIilLi2EEEvNS_4cuda6detail10TensorInfoIKT_T0_EES8_S8_S8_S8_NS5_IS6_S8_EENS5_IlS8_EE
; %bb.0:
	s_load_dwordx8 s[56:63], s[4:5], 0x1a0
	s_load_dwordx2 s[14:15], s[4:5], 0x500
	s_add_u32 s12, s4, 0x500
	s_addc_u32 s13, s5, 0
	s_mov_b32 s29, 0
	s_waitcnt lgkmcnt(0)
	v_mov_b32_e32 v2, s60
	s_mul_i32 s0, s15, s8
	s_add_i32 s0, s0, s7
	s_mul_i32 s0, s0, s14
	v_mov_b32_e32 v3, s61
	s_add_i32 s28, s0, s6
	v_cmp_ge_i64_e32 vcc, s[28:29], v[2:3]
	s_cbranch_vccnz .LBB21_291
; %bb.1:
	s_load_dwordx2 s[2:3], s[4:5], 0x10
	s_load_dwordx2 s[24:25], s[4:5], 0x1d0
	s_mov_b32 s0, s29
                                        ; implicit-def: $vgpr52 : SGPR spill to VGPR lane
	s_waitcnt lgkmcnt(0)
	s_mov_b32 s1, s3
	s_cmp_lg_u64 s[0:1], 0
	v_writelane_b32 v52, s24, 0
	v_writelane_b32 v52, s25, 1
	s_cbranch_scc0 .LBB21_304
; %bb.2:
	s_ashr_i32 s8, s3, 31
	s_add_u32 s0, s2, s8
	s_mov_b32 s9, s8
	s_addc_u32 s1, s3, s8
	s_xor_b64 s[16:17], s[0:1], s[8:9]
	v_cvt_f32_u32_e32 v1, s16
	v_cvt_f32_u32_e32 v2, s17
	s_sub_u32 s0, 0, s16
	s_subb_u32 s1, 0, s17
	v_madmk_f32 v1, v2, 0x4f800000, v1
	v_rcp_f32_e32 v1, v1
	v_mul_f32_e32 v1, 0x5f7ffffc, v1
	v_mul_f32_e32 v2, 0x2f800000, v1
	v_trunc_f32_e32 v2, v2
	v_madmk_f32 v1, v2, 0xcf800000, v1
	v_cvt_u32_f32_e32 v2, v2
	v_cvt_u32_f32_e32 v1, v1
	v_readfirstlane_b32 s7, v2
	v_readfirstlane_b32 s15, v1
	s_mul_i32 s18, s0, s7
	s_mul_hi_u32 s20, s0, s15
	s_mul_i32 s19, s1, s15
	s_add_i32 s18, s20, s18
	s_add_i32 s18, s18, s19
	s_mul_i32 s21, s0, s15
	s_mul_hi_u32 s19, s15, s18
	s_mul_i32 s20, s15, s18
	s_mul_hi_u32 s15, s15, s21
	s_add_u32 s15, s15, s20
	s_addc_u32 s19, 0, s19
	s_mul_hi_u32 s22, s7, s21
	s_mul_i32 s21, s7, s21
	s_add_u32 s15, s15, s21
	s_mul_hi_u32 s20, s7, s18
	s_addc_u32 s15, s19, s22
	s_addc_u32 s19, s20, 0
	s_mul_i32 s18, s7, s18
	s_add_u32 s15, s15, s18
	s_addc_u32 s18, 0, s19
	v_add_co_u32_e32 v1, vcc, s15, v1
	s_cmp_lg_u64 vcc, 0
	s_addc_u32 s7, s7, s18
	v_readfirstlane_b32 s18, v1
	s_mul_i32 s15, s0, s7
	s_mul_hi_u32 s19, s0, s18
	s_add_i32 s15, s19, s15
	s_mul_i32 s1, s1, s18
	s_add_i32 s15, s15, s1
	s_mul_i32 s0, s0, s18
	s_mul_hi_u32 s19, s7, s0
	s_mul_i32 s20, s7, s0
	s_mul_i32 s22, s18, s15
	s_mul_hi_u32 s0, s18, s0
	s_mul_hi_u32 s21, s18, s15
	s_add_u32 s0, s0, s22
	s_addc_u32 s18, 0, s21
	s_add_u32 s0, s0, s20
	s_mul_hi_u32 s1, s7, s15
	s_addc_u32 s0, s18, s19
	s_addc_u32 s1, s1, 0
	s_mul_i32 s15, s7, s15
	s_add_u32 s0, s0, s15
	s_addc_u32 s1, 0, s1
	v_add_co_u32_e32 v1, vcc, s0, v1
	s_cmp_lg_u64 vcc, 0
	s_addc_u32 s7, s7, s1
	s_ashr_i32 s18, 0, 31
	s_add_u32 s0, s28, s18
	s_mov_b32 s19, s18
	s_addc_u32 s1, 0, s18
	s_xor_b64 s[20:21], s[0:1], s[18:19]
	v_readfirstlane_b32 s15, v1
	s_mul_i32 s1, s20, s7
	s_mul_hi_u32 s22, s20, s15
	s_mul_hi_u32 s0, s20, s7
	s_add_u32 s1, s22, s1
	s_addc_u32 s0, 0, s0
	s_mul_hi_u32 s23, s21, s15
	s_mul_i32 s15, s21, s15
	s_add_u32 s1, s1, s15
	s_mul_hi_u32 s22, s21, s7
	s_addc_u32 s0, s0, s23
	s_addc_u32 s1, s22, 0
	s_mul_i32 s7, s21, s7
	s_add_u32 s7, s0, s7
	s_addc_u32 s15, 0, s1
	s_mul_i32 s0, s16, s15
	s_mul_hi_u32 s1, s16, s7
	s_add_i32 s0, s1, s0
	s_mul_i32 s1, s17, s7
	s_add_i32 s22, s0, s1
	s_mul_i32 s1, s16, s7
	v_mov_b32_e32 v1, s1
	s_sub_i32 s0, s21, s22
	v_sub_co_u32_e32 v1, vcc, s20, v1
	s_cmp_lg_u64 vcc, 0
	s_subb_u32 s20, s0, s17
	v_subrev_co_u32_e64 v2, s[0:1], s16, v1
	s_cmp_lg_u64 s[0:1], 0
	s_subb_u32 s0, s20, 0
	s_cmp_ge_u32 s0, s17
	v_readfirstlane_b32 s20, v2
	s_cselect_b32 s1, -1, 0
	s_cmp_ge_u32 s20, s16
	s_cselect_b32 s20, -1, 0
	s_cmp_eq_u32 s0, s17
	s_cselect_b32 s0, s20, s1
	s_add_u32 s1, s7, 1
	s_addc_u32 s20, s15, 0
	s_add_u32 s23, s7, 2
	s_addc_u32 s24, s15, 0
	s_cmp_lg_u32 s0, 0
	s_cselect_b32 s0, s23, s1
	s_cselect_b32 s1, s24, s20
	s_cmp_lg_u64 vcc, 0
	s_subb_u32 s20, s21, s22
	s_cmp_ge_u32 s20, s17
	v_readfirstlane_b32 s22, v1
	s_cselect_b32 s21, -1, 0
	s_cmp_ge_u32 s22, s16
	s_cselect_b32 s16, -1, 0
	s_cmp_eq_u32 s20, s17
	s_cselect_b32 s16, s16, s21
	s_load_dwordx2 s[24:25], s[4:5], 0x1d0
	s_cmp_lg_u32 s16, 0
	s_cselect_b32 s1, s1, s15
	s_cselect_b32 s0, s0, s7
	s_xor_b64 s[8:9], s[18:19], s[8:9]
	s_xor_b64 s[0:1], s[0:1], s[8:9]
	s_sub_u32 s16, s0, s8
	s_subb_u32 s17, s1, s9
	s_cbranch_execnz .LBB21_4
.LBB21_3:
	v_cvt_f32_u32_e32 v1, s2
	s_sub_i32 s0, 0, s2
	s_mov_b32 s17, 0
	v_rcp_iflag_f32_e32 v1, v1
	v_mul_f32_e32 v1, 0x4f7ffffe, v1
	v_cvt_u32_f32_e32 v1, v1
	v_readfirstlane_b32 s1, v1
	s_mul_i32 s0, s0, s1
	s_mul_hi_u32 s0, s1, s0
	s_add_i32 s1, s1, s0
	s_mul_hi_u32 s0, s28, s1
	s_mul_i32 s7, s0, s2
	s_sub_i32 s7, s28, s7
	s_add_i32 s1, s0, 1
	s_sub_i32 s8, s7, s2
	s_cmp_ge_u32 s7, s2
	s_cselect_b32 s0, s1, s0
	s_cselect_b32 s7, s8, s7
	s_add_i32 s1, s0, 1
	s_cmp_ge_u32 s7, s2
	s_cselect_b32 s16, s1, s0
.LBB21_4:
	s_load_dwordx2 s[30:31], s[4:5], 0x370
	s_mov_b32 s0, 0
	s_waitcnt lgkmcnt(0)
	s_mov_b32 s1, s25
	s_cmp_lg_u64 s[0:1], 0
	s_cbranch_scc0 .LBB21_305
; %bb.5:
	s_ashr_i32 s8, s25, 31
	s_add_u32 s0, s24, s8
	s_mov_b32 s9, s8
	s_addc_u32 s1, s25, s8
	s_xor_b64 s[18:19], s[0:1], s[8:9]
	v_cvt_f32_u32_e32 v1, s18
	v_cvt_f32_u32_e32 v2, s19
	s_sub_u32 s0, 0, s18
	s_subb_u32 s1, 0, s19
	v_madmk_f32 v1, v2, 0x4f800000, v1
	v_rcp_f32_e32 v1, v1
	v_mul_f32_e32 v1, 0x5f7ffffc, v1
	v_mul_f32_e32 v2, 0x2f800000, v1
	v_trunc_f32_e32 v2, v2
	v_madmk_f32 v1, v2, 0xcf800000, v1
	v_cvt_u32_f32_e32 v2, v2
	v_cvt_u32_f32_e32 v1, v1
	v_readfirstlane_b32 s7, v2
	v_readfirstlane_b32 s15, v1
	s_mul_i32 s20, s0, s7
	s_mul_hi_u32 s22, s0, s15
	s_mul_i32 s21, s1, s15
	s_add_i32 s20, s22, s20
	s_add_i32 s20, s20, s21
	s_mul_i32 s23, s0, s15
	s_mul_hi_u32 s21, s15, s20
	s_mul_i32 s22, s15, s20
	s_mul_hi_u32 s15, s15, s23
	s_add_u32 s15, s15, s22
	s_addc_u32 s21, 0, s21
	s_mul_hi_u32 s24, s7, s23
	s_mul_i32 s23, s7, s23
	s_add_u32 s15, s15, s23
	s_mul_hi_u32 s22, s7, s20
	s_addc_u32 s15, s21, s24
	s_addc_u32 s21, s22, 0
	s_mul_i32 s20, s7, s20
	s_add_u32 s15, s15, s20
	s_addc_u32 s20, 0, s21
	v_add_co_u32_e32 v1, vcc, s15, v1
	s_cmp_lg_u64 vcc, 0
	s_addc_u32 s7, s7, s20
	v_readfirstlane_b32 s20, v1
	s_mul_i32 s15, s0, s7
	s_mul_hi_u32 s21, s0, s20
	s_add_i32 s15, s21, s15
	s_mul_i32 s1, s1, s20
	s_add_i32 s15, s15, s1
	s_mul_i32 s0, s0, s20
	s_mul_hi_u32 s21, s7, s0
	s_mul_i32 s22, s7, s0
	s_mul_i32 s24, s20, s15
	s_mul_hi_u32 s0, s20, s0
	s_mul_hi_u32 s23, s20, s15
	s_add_u32 s0, s0, s24
	s_addc_u32 s20, 0, s23
	s_add_u32 s0, s0, s22
	s_mul_hi_u32 s1, s7, s15
	s_addc_u32 s0, s20, s21
	s_addc_u32 s1, s1, 0
	s_mul_i32 s15, s7, s15
	s_add_u32 s0, s0, s15
	s_addc_u32 s1, 0, s1
	v_add_co_u32_e32 v1, vcc, s0, v1
	s_cmp_lg_u64 vcc, 0
	s_addc_u32 s7, s7, s1
	s_ashr_i32 s20, 0, 31
	s_add_u32 s0, s28, s20
	s_mov_b32 s21, s20
	s_addc_u32 s1, 0, s20
	s_xor_b64 s[22:23], s[0:1], s[20:21]
	v_readfirstlane_b32 s15, v1
	s_mul_i32 s1, s22, s7
	s_mul_hi_u32 s24, s22, s15
	s_mul_hi_u32 s0, s22, s7
	s_add_u32 s1, s24, s1
	s_addc_u32 s0, 0, s0
	s_mul_hi_u32 s25, s23, s15
	s_mul_i32 s15, s23, s15
	s_add_u32 s1, s1, s15
	s_mul_hi_u32 s24, s23, s7
	s_addc_u32 s0, s0, s25
	s_addc_u32 s1, s24, 0
	s_mul_i32 s7, s23, s7
	s_add_u32 s7, s0, s7
	s_addc_u32 s15, 0, s1
	s_mul_i32 s0, s18, s15
	s_mul_hi_u32 s1, s18, s7
	s_add_i32 s0, s1, s0
	s_mul_i32 s1, s19, s7
	s_add_i32 s24, s0, s1
	s_mul_i32 s1, s18, s7
	v_mov_b32_e32 v1, s1
	s_sub_i32 s0, s23, s24
	v_sub_co_u32_e32 v1, vcc, s22, v1
	s_cmp_lg_u64 vcc, 0
	s_subb_u32 s22, s0, s19
	v_subrev_co_u32_e64 v2, s[0:1], s18, v1
	s_cmp_lg_u64 s[0:1], 0
	s_subb_u32 s0, s22, 0
	s_cmp_ge_u32 s0, s19
	v_readfirstlane_b32 s22, v2
	s_cselect_b32 s1, -1, 0
	s_cmp_ge_u32 s22, s18
	s_cselect_b32 s22, -1, 0
	s_cmp_eq_u32 s0, s19
	s_cselect_b32 s0, s22, s1
	s_add_u32 s1, s7, 1
	s_addc_u32 s22, s15, 0
	s_add_u32 s25, s7, 2
	s_addc_u32 s26, s15, 0
	s_cmp_lg_u32 s0, 0
	s_cselect_b32 s0, s25, s1
	s_cselect_b32 s1, s26, s22
	s_cmp_lg_u64 vcc, 0
	s_subb_u32 s22, s23, s24
	s_cmp_ge_u32 s22, s19
	v_readfirstlane_b32 s24, v1
	s_cselect_b32 s23, -1, 0
	s_cmp_ge_u32 s24, s18
	s_cselect_b32 s18, -1, 0
	s_cmp_eq_u32 s22, s19
	s_cselect_b32 s18, s18, s23
	s_load_dwordx2 s[24:25], s[4:5], 0x1d0
	s_cmp_lg_u32 s18, 0
	s_cselect_b32 s1, s1, s15
	s_cselect_b32 s0, s0, s7
	s_xor_b64 s[8:9], s[20:21], s[8:9]
	s_xor_b64 s[0:1], s[0:1], s[8:9]
	s_sub_u32 s8, s0, s8
	s_subb_u32 s9, s1, s9
	s_cbranch_execnz .LBB21_7
.LBB21_6:
	s_waitcnt lgkmcnt(0)
	v_cvt_f32_u32_e32 v1, s24
	s_sub_i32 s0, 0, s24
	s_mov_b32 s9, 0
	v_rcp_iflag_f32_e32 v1, v1
	v_mul_f32_e32 v1, 0x4f7ffffe, v1
	v_cvt_u32_f32_e32 v1, v1
	v_readfirstlane_b32 s1, v1
	s_mul_i32 s0, s0, s1
	s_mul_hi_u32 s0, s1, s0
	s_add_i32 s1, s1, s0
	s_mul_hi_u32 s0, s28, s1
	s_mul_i32 s7, s0, s24
	s_sub_i32 s7, s28, s7
	s_add_i32 s1, s0, 1
	s_sub_i32 s8, s7, s24
	s_cmp_ge_u32 s7, s24
	s_cselect_b32 s0, s1, s0
	s_cselect_b32 s7, s8, s7
	s_add_i32 s1, s0, 1
	s_cmp_ge_u32 s7, s24
	s_cselect_b32 s8, s1, s0
.LBB21_7:
	s_mov_b32 s0, 0
	s_mov_b32 s1, s31
	v_writelane_b32 v52, s8, 2
	s_cmp_lg_u64 s[0:1], 0
	v_writelane_b32 v52, s9, 3
	s_cbranch_scc0 .LBB21_306
; %bb.8:
	s_ashr_i32 s10, s31, 31
	s_add_u32 s0, s30, s10
	s_mov_b32 s11, s10
	s_addc_u32 s1, s31, s10
	s_xor_b64 s[18:19], s[0:1], s[10:11]
	v_cvt_f32_u32_e32 v1, s18
	v_cvt_f32_u32_e32 v2, s19
	s_sub_u32 s0, 0, s18
	s_subb_u32 s1, 0, s19
	v_madmk_f32 v1, v2, 0x4f800000, v1
	v_rcp_f32_e32 v1, v1
	v_mul_f32_e32 v1, 0x5f7ffffc, v1
	v_mul_f32_e32 v2, 0x2f800000, v1
	v_trunc_f32_e32 v2, v2
	v_madmk_f32 v1, v2, 0xcf800000, v1
	v_cvt_u32_f32_e32 v2, v2
	v_cvt_u32_f32_e32 v1, v1
	v_readfirstlane_b32 s7, v2
	v_readfirstlane_b32 s15, v1
	s_mul_i32 s20, s0, s7
	s_mul_hi_u32 s22, s0, s15
	s_mul_i32 s21, s1, s15
	s_add_i32 s20, s22, s20
	s_add_i32 s20, s20, s21
	s_mul_i32 s23, s0, s15
	s_mul_hi_u32 s21, s15, s20
	s_mul_i32 s22, s15, s20
	s_mul_hi_u32 s15, s15, s23
	s_add_u32 s15, s15, s22
	s_addc_u32 s21, 0, s21
	s_waitcnt lgkmcnt(0)
	s_mul_hi_u32 s24, s7, s23
	s_mul_i32 s23, s7, s23
	s_add_u32 s15, s15, s23
	s_mul_hi_u32 s22, s7, s20
	s_addc_u32 s15, s21, s24
	s_addc_u32 s21, s22, 0
	s_mul_i32 s20, s7, s20
	s_add_u32 s15, s15, s20
	s_addc_u32 s20, 0, s21
	v_add_co_u32_e32 v1, vcc, s15, v1
	s_cmp_lg_u64 vcc, 0
	s_addc_u32 s7, s7, s20
	v_readfirstlane_b32 s20, v1
	s_mul_i32 s15, s0, s7
	s_mul_hi_u32 s21, s0, s20
	s_add_i32 s15, s21, s15
	s_mul_i32 s1, s1, s20
	s_add_i32 s15, s15, s1
	s_mul_i32 s0, s0, s20
	s_mul_hi_u32 s21, s7, s0
	s_mul_i32 s22, s7, s0
	s_mul_i32 s24, s20, s15
	s_mul_hi_u32 s0, s20, s0
	s_mul_hi_u32 s23, s20, s15
	s_add_u32 s0, s0, s24
	s_addc_u32 s20, 0, s23
	s_add_u32 s0, s0, s22
	s_mul_hi_u32 s1, s7, s15
	s_addc_u32 s0, s20, s21
	s_addc_u32 s1, s1, 0
	s_mul_i32 s15, s7, s15
	s_add_u32 s0, s0, s15
	s_addc_u32 s1, 0, s1
	v_add_co_u32_e32 v1, vcc, s0, v1
	s_cmp_lg_u64 vcc, 0
	s_addc_u32 s7, s7, s1
	s_ashr_i32 s20, 0, 31
	s_add_u32 s0, s28, s20
	s_mov_b32 s21, s20
	s_addc_u32 s1, 0, s20
	s_xor_b64 s[22:23], s[0:1], s[20:21]
	v_readfirstlane_b32 s15, v1
	s_mul_i32 s1, s22, s7
	s_mul_hi_u32 s24, s22, s15
	s_mul_hi_u32 s0, s22, s7
	s_add_u32 s1, s24, s1
	s_addc_u32 s0, 0, s0
	s_mul_hi_u32 s25, s23, s15
	s_mul_i32 s15, s23, s15
	s_add_u32 s1, s1, s15
	s_mul_hi_u32 s24, s23, s7
	s_addc_u32 s0, s0, s25
	s_addc_u32 s1, s24, 0
	s_mul_i32 s7, s23, s7
	s_add_u32 s7, s0, s7
	s_addc_u32 s15, 0, s1
	s_mul_i32 s0, s18, s15
	s_mul_hi_u32 s1, s18, s7
	s_add_i32 s0, s1, s0
	s_mul_i32 s1, s19, s7
	s_add_i32 s24, s0, s1
	s_mul_i32 s1, s18, s7
	v_mov_b32_e32 v1, s1
	s_sub_i32 s0, s23, s24
	v_sub_co_u32_e32 v1, vcc, s22, v1
	s_cmp_lg_u64 vcc, 0
	s_subb_u32 s22, s0, s19
	v_subrev_co_u32_e64 v2, s[0:1], s18, v1
	s_cmp_lg_u64 s[0:1], 0
	s_subb_u32 s0, s22, 0
	s_cmp_ge_u32 s0, s19
	v_readfirstlane_b32 s22, v2
	s_cselect_b32 s1, -1, 0
	s_cmp_ge_u32 s22, s18
	s_cselect_b32 s22, -1, 0
	s_cmp_eq_u32 s0, s19
	s_cselect_b32 s0, s22, s1
	s_add_u32 s1, s7, 1
	s_addc_u32 s22, s15, 0
	s_add_u32 s25, s7, 2
	s_addc_u32 s26, s15, 0
	s_cmp_lg_u32 s0, 0
	s_cselect_b32 s0, s25, s1
	s_cselect_b32 s1, s26, s22
	s_cmp_lg_u64 vcc, 0
	s_subb_u32 s22, s23, s24
	s_cmp_ge_u32 s22, s19
	v_readfirstlane_b32 s24, v1
	s_cselect_b32 s23, -1, 0
	s_cmp_ge_u32 s24, s18
	s_cselect_b32 s18, -1, 0
	s_cmp_eq_u32 s22, s19
	s_cselect_b32 s18, s18, s23
	s_cmp_lg_u32 s18, 0
	s_cselect_b32 s1, s1, s15
	s_cselect_b32 s0, s0, s7
	s_xor_b64 s[10:11], s[20:21], s[10:11]
	s_xor_b64 s[0:1], s[0:1], s[10:11]
	s_sub_u32 s0, s0, s10
	s_subb_u32 s1, s1, s11
	v_writelane_b32 v52, s0, 4
	v_writelane_b32 v52, s1, 5
	s_load_dwordx2 s[0:1], s[4:5], 0x0
	s_cbranch_execnz .LBB21_10
.LBB21_9:
	v_cvt_f32_u32_e32 v1, s30
	s_sub_i32 s7, 0, s30
	s_mov_b32 s11, 0
	v_rcp_iflag_f32_e32 v1, v1
	v_mul_f32_e32 v1, 0x4f7ffffe, v1
	v_cvt_u32_f32_e32 v1, v1
	v_readfirstlane_b32 s8, v1
	s_mul_i32 s7, s7, s8
	s_mul_hi_u32 s7, s8, s7
	s_add_i32 s8, s8, s7
	s_mul_hi_u32 s7, s28, s8
	s_mul_i32 s9, s7, s30
	s_sub_i32 s9, s28, s9
	s_add_i32 s8, s7, 1
	s_sub_i32 s10, s9, s30
	s_cmp_ge_u32 s9, s30
	s_cselect_b32 s7, s8, s7
	s_cselect_b32 s9, s10, s9
	s_add_i32 s8, s7, 1
	s_cmp_ge_u32 s9, s30
	s_cselect_b32 s10, s8, s7
	v_writelane_b32 v52, s10, 4
	v_writelane_b32 v52, s11, 5
.LBB21_10:
	s_load_dwordx2 s[8:9], s[4:5], 0x360
	v_writelane_b32 v52, s30, 6
	v_writelane_b32 v52, s31, 7
	s_mov_b32 s83, 0
	v_cmp_eq_u32_e64 s[20:21], 0, v0
	s_waitcnt lgkmcnt(0)
	v_writelane_b32 v52, s8, 8
	v_writelane_b32 v52, s9, 9
	s_load_dwordx2 s[8:9], s[4:5], 0x1c0
	s_waitcnt lgkmcnt(0)
	v_writelane_b32 v52, s8, 10
	v_writelane_b32 v52, s9, 11
	s_load_dwordx4 s[8:11], s[4:5], 0xd0
	s_mov_b64 s[18:19], exec
	v_writelane_b32 v52, s20, 12
	v_writelane_b32 v52, s21, 13
	s_and_b64 s[20:21], s[18:19], s[20:21]
	s_mov_b64 exec, s[20:21]
	s_cbranch_execz .LBB21_12
; %bb.11:
	v_mov_b32_e32 v2, 0
	v_mov_b32_e32 v4, s56
	;; [unrolled: 1-line block ×4, first 2 shown]
	ds_write_b32 v2, v2 offset:5136
	ds_write_b128 v2, v[2:5] offset:5120
.LBB21_12:
	s_or_b64 exec, exec, s[18:19]
	s_load_dwordx4 s[20:23], s[4:5], 0x430
                                        ; kill: killed $sgpr4 killed $sgpr5
	s_mul_i32 s3, s16, s3
	v_mov_b32_e32 v2, 0x300
	v_mov_b32_e32 v3, 0
	;; [unrolled: 1-line block ×3, first 2 shown]
	s_waitcnt lgkmcnt(0)
	v_writelane_b32 v52, s20, 14
	v_writelane_b32 v52, s21, 15
	;; [unrolled: 1-line block ×4, first 2 shown]
	s_load_dwordx4 s[20:23], s[4:5], 0x290
	s_mul_hi_u32 s4, s16, s2
	s_add_i32 s3, s4, s3
	s_mul_i32 s4, s17, s2
	s_add_i32 s3, s3, s4
	s_waitcnt lgkmcnt(0)
	v_writelane_b32 v52, s20, 18
	v_writelane_b32 v52, s21, 19
	;; [unrolled: 1-line block ×4, first 2 shown]
	s_mul_i32 s2, s16, s2
	s_mov_b32 s4, s28
	v_writelane_b32 v52, s4, 22
	s_sub_u32 s2, s28, s2
	v_writelane_b32 v52, s5, 23
	s_subb_u32 s3, 0, s3
	s_mul_i32 s4, s2, s11
	s_mul_hi_u32 s5, s2, s10
	s_add_i32 s4, s5, s4
	s_mul_i32 s3, s3, s10
	s_add_i32 s3, s4, s3
	s_mul_i32 s4, s16, s9
	s_mul_hi_u32 s5, s16, s8
	s_add_i32 s4, s5, s4
	s_mul_i32 s5, s17, s8
	s_mul_i32 s2, s2, s10
	s_add_i32 s5, s4, s5
	s_mul_i32 s4, s16, s8
	s_lshl_b64 s[4:5], s[4:5], 2
	s_lshl_b64 s[2:3], s[2:3], 2
	s_add_u32 s2, s4, s2
	s_addc_u32 s3, s5, s3
	s_add_u32 s86, s0, s2
	s_addc_u32 s87, s1, s3
	v_cmp_gt_u32_e64 s[0:1], 2, v0
	v_writelane_b32 v52, s0, 24
	v_mbcnt_lo_u32_b32 v1, -1, 0
	v_writelane_b32 v52, s1, 25
	v_cmp_gt_i64_e64 s[0:1], s[56:57], v[2:3]
	v_mbcnt_hi_u32_b32 v38, -1, v1
	v_mov_b32_e32 v1, v13
	v_writelane_b32 v52, s0, 26
	v_writelane_b32 v52, s1, 27
	v_cmp_gt_u64_e64 s[0:1], s[56:57], v[0:1]
	v_writelane_b32 v52, s0, 28
	v_writelane_b32 v52, s1, 29
	v_mad_u64_u32 v[2:3], s[0:1], v0, s62, 0
	v_mov_b32_e32 v4, v3
	v_mad_u64_u32 v[4:5], s[0:1], v0, s63, v[4:5]
	v_cmp_gt_i64_e64 s[0:1], s[56:57], v[0:1]
	v_writelane_b32 v52, s0, 30
	s_barrier
	v_writelane_b32 v52, s1, 31
	s_load_dword s0, s[12:13], 0xc
	v_cmp_gt_u32_e32 vcc, 64, v0
	v_cmp_gt_i32_e64 s[2:3], 4, v38
	s_and_b64 s[48:49], vcc, s[2:3]
	v_mov_b32_e32 v3, v4
	s_waitcnt lgkmcnt(0)
	v_cmp_gt_u16_e64 s[2:3], s0, 63
	s_and_b32 s33, s0, 0xffff
	s_bfe_u32 s1, s0, 0xa0006
	v_writelane_b32 v52, s2, 32
	v_writelane_b32 v52, s3, 33
	s_add_u32 s2, s33, -1
	s_addc_u32 s0, 0, -1
	s_add_u32 s95, s2, s56
	s_addc_u32 s93, s0, s57
	v_writelane_b32 v52, s2, 34
	s_cmp_lt_u32 s6, s14
	v_writelane_b32 v52, s0, 35
	s_cselect_b32 s0, 12, 18
	s_add_u32 s50, s12, s0
	s_addc_u32 s51, s13, 0
	s_add_i32 s0, s1, -1
	s_bfe_u32 s2, s33, 0x30006
	s_cmp_gt_u32 s0, 6
	v_lshlrev_b64 v[4:5], 2, v[2:3]
	s_cselect_b64 s[6:7], -1, 0
	v_add_co_u32_e32 v10, vcc, s86, v4
	v_lshrrev_b32_e32 v4, 4, v0
	v_writelane_b32 v52, s6, 36
	s_and_b32 s66, s1, 0x3f8
	v_mov_b32_e32 v6, s87
	v_and_b32_e32 v40, 60, v4
	v_lshlrev_b32_e32 v4, 2, v38
	v_writelane_b32 v52, s7, 37
	s_cmp_lg_u32 s2, 0
	v_addc_co_u32_e32 v11, vcc, v6, v5, vcc
	v_and_b32_e32 v41, 0x100, v4
	v_lshlrev_b64 v[4:5], v38, -1
	v_writelane_b32 v52, s2, 38
	s_cselect_b64 s[0:1], -1, 0
	v_lshlrev_b32_e32 v42, 4, v0
	v_not_b32_e32 v17, v5
	v_writelane_b32 v52, s0, 39
	v_or_b32_e32 v5, 12, v42
	v_writelane_b32 v52, s1, 40
	v_mad_u64_u32 v[18:19], s[0:1], s62, v5, 0
	v_not_b32_e32 v16, v4
	v_mov_b32_e32 v4, v19
	v_mad_u64_u32 v[4:5], s[0:1], s63, v5, v[4:5]
	s_lshl_b64 s[0:1], s[62:63], 4
	v_writelane_b32 v52, s0, 41
	v_or_b32_e32 v5, 8, v42
	v_writelane_b32 v52, s1, 42
	v_mad_u64_u32 v[20:21], s[0:1], s62, v5, 0
	v_mov_b32_e32 v19, v4
	v_mov_b32_e32 v4, v21
	v_mad_u64_u32 v[4:5], s[0:1], s63, v5, v[4:5]
	v_or_b32_e32 v5, 4, v42
	v_mad_u64_u32 v[22:23], s[0:1], s62, v5, 0
	v_mov_b32_e32 v21, v4
	v_mov_b32_e32 v4, v23
	v_mad_u64_u32 v[4:5], s[0:1], s63, v5, v[4:5]
	v_lshlrev_b64 v[24:25], 4, v[2:3]
	v_mov_b32_e32 v2, s57
	v_add_co_u32_e32 v43, vcc, s56, v0
	s_mul_i32 s0, s63, s33
	s_mul_hi_u32 s1, s62, s33
	v_writelane_b32 v52, s48, 43
	v_lshlrev_b32_e32 v14, 2, v0
	v_addc_co_u32_e32 v44, vcc, 0, v2, vcc
	v_mov_b32_e32 v2, 0xc00
	s_add_i32 s1, s1, s0
	s_mul_i32 s0, s62, s33
	v_writelane_b32 v52, s49, 44
	v_cmp_eq_u32_e64 s[4:5], 0, v38
	v_add_u32_e32 v39, 0xc00, v14
	v_mov_b32_e32 v15, v13
	s_mov_b32 s28, s83
	s_lshl_b64 s[64:65], s[62:63], 2
	v_mov_b32_e32 v23, v4
	v_lshl_or_b32 v45, v38, 3, v2
	s_lshl_b64 s[84:85], s[0:1], 2
	s_lshl_b32 s67, s33, 2
	s_mov_b32 s29, 30
	s_mov_b64 s[68:69], 0
	v_mov_b32_e32 v26, 1
	v_cvt_f32_ubyte0_e32 v46, 0
	v_mov_b32_e32 v29, 0
	s_mov_b32 s88, 0
	s_mov_b32 s94, 0
	;; [unrolled: 1-line block ×3, first 2 shown]
	v_writelane_b32 v52, s50, 45
                                        ; implicit-def: $sgpr60_sgpr61
                                        ; implicit-def: $sgpr74_sgpr75
                                        ; implicit-def: $sgpr72_sgpr73
                                        ; implicit-def: $sgpr76_sgpr77
                                        ; implicit-def: $sgpr70_sgpr71
                                        ; implicit-def: $sgpr10_sgpr11
	v_writelane_b32 v52, s51, 46
	s_branch .LBB21_17
.LBB21_13:                              ;   in Loop: Header=BB21_17 Depth=1
	s_xor_b32 s88, s88, 1
	s_add_i32 s8, s29, -2
	s_cmp_eq_u32 s29, 0
	s_mov_b64 s[2:3], 0
	s_cselect_b64 s[6:7], -1, 0
	s_mov_b32 s29, s8
.LBB21_14:                              ;   in Loop: Header=BB21_17 Depth=1
	s_andn2_b64 s[8:9], s[20:21], exec
	s_and_b64 s[2:3], s[2:3], exec
	s_or_b64 s[20:21], s[8:9], s[2:3]
	s_andn2_b64 s[22:23], s[22:23], exec
	s_andn2_b64 s[18:19], s[18:19], exec
	s_orn2_b64 s[14:15], s[6:7], exec
.LBB21_15:                              ;   in Loop: Header=BB21_17 Depth=1
	s_or_b64 exec, exec, s[0:1]
	s_andn2_b64 s[0:1], s[10:11], exec
	s_and_b64 s[2:3], s[20:21], exec
	s_or_b64 s[10:11], s[0:1], s[2:3]
	s_andn2_b64 s[0:1], s[70:71], exec
	s_and_b64 s[2:3], s[22:23], exec
	s_or_b64 s[70:71], s[0:1], s[2:3]
	;; [unrolled: 3-line block ×3, first 2 shown]
	s_orn2_b64 s[18:19], s[14:15], exec
.LBB21_16:                              ;   in Loop: Header=BB21_17 Depth=1
	s_or_b64 exec, exec, s[12:13]
	s_and_b64 s[0:1], exec, s[18:19]
	s_or_b64 s[68:69], s[0:1], s[68:69]
	s_andn2_b64 s[0:1], s[72:73], exec
	s_and_b64 s[2:3], s[10:11], exec
	s_or_b64 s[72:73], s[0:1], s[2:3]
	s_andn2_b64 s[0:1], s[74:75], exec
	s_and_b64 s[2:3], s[70:71], exec
	;; [unrolled: 3-line block ×3, first 2 shown]
	v_mov_b32_e32 v2, s94
	s_or_b64 s[60:61], s[0:1], s[2:3]
	s_andn2_b64 exec, exec, s[68:69]
	s_cbranch_execz .LBB21_287
.LBB21_17:                              ; =>This Loop Header: Depth=1
                                        ;     Child Loop BB21_25 Depth 2
                                        ;     Child Loop BB21_44 Depth 2
	;; [unrolled: 1-line block ×16, first 2 shown]
	ds_read_b128 v[2:5], v13 offset:5120
	s_waitcnt lgkmcnt(0)
	v_readfirstlane_b32 s79, v3
	v_readfirstlane_b32 s78, v2
	v_cmp_gt_i64_e64 s[0:1], s[78:79], 0
	s_and_b64 vcc, exec, s[0:1]
	s_cbranch_vccnz .LBB21_51
; %bb.18:                               ;   in Loop: Header=BB21_17 Depth=1
	v_readlane_b32 s0, v52, 26
	v_readlane_b32 s1, v52, 27
	s_and_b64 vcc, exec, s[0:1]
	s_cbranch_vccz .LBB21_33
; %bb.19:                               ;   in Loop: Header=BB21_17 Depth=1
	s_mov_b64 s[0:1], 0x301
	v_cmp_gt_i64_e32 vcc, s[0:1], v[4:5]
	s_mov_b64 s[0:1], 0
	s_mov_b64 s[2:3], 0
	s_cbranch_vccz .LBB21_38
; %bb.20:                               ;   in Loop: Header=BB21_17 Depth=1
	v_mov_b32_e32 v6, 0
	s_mov_b64 s[2:3], exec
	v_readlane_b32 s6, v52, 28
	v_readlane_b32 s7, v52, 29
	s_and_b64 s[6:7], s[2:3], s[6:7]
	s_mov_b64 exec, s[6:7]
	s_cbranch_execz .LBB21_22
; %bb.21:                               ;   in Loop: Header=BB21_17 Depth=1
	global_load_dword v6, v[10:11], off
.LBB21_22:                              ;   in Loop: Header=BB21_17 Depth=1
	s_or_b64 exec, exec, s[2:3]
	s_mov_b64 s[2:3], exec
	v_readlane_b32 s6, v52, 28
	v_readlane_b32 s7, v52, 29
	s_and_b64 s[6:7], s[2:3], s[6:7]
	s_mov_b64 exec, s[6:7]
	s_cbranch_execz .LBB21_34
; %bb.23:                               ;   in Loop: Header=BB21_17 Depth=1
	global_load_ushort v7, v13, s[50:51]
	v_pk_mov_b32 v[2:3], s[86:87], s[86:87] op_sel:[0,1]
	s_mov_b64 s[8:9], 0
	s_waitcnt vmcnt(0)
	v_readfirstlane_b32 s6, v7
	s_and_b32 s6, 0xffff, s6
	v_add_u32_e32 v5, s6, v0
	s_mul_i32 s12, s65, s6
	s_mul_hi_u32 s13, s64, s6
	s_mul_i32 s20, s64, s6
	v_mad_u64_u32 v[2:3], s[6:7], s64, v5, v[2:3]
	v_mov_b32_e32 v4, v3
	v_mad_u64_u32 v[4:5], s[6:7], s65, v5, v[4:5]
	s_add_i32 s21, s13, s12
	v_mov_b32_e32 v3, v4
	v_pk_mov_b32 v[4:5], v[0:1], v[0:1] op_sel:[0,1]
	s_branch .LBB21_25
.LBB21_24:                              ;   in Loop: Header=BB21_25 Depth=2
	s_or_b64 exec, exec, s[6:7]
	v_mov_b32_e32 v6, s21
	v_add_co_u32_e32 v2, vcc, s20, v2
	v_addc_co_u32_e32 v3, vcc, v3, v6, vcc
	s_waitcnt vmcnt(0)
	v_mov_b32_e32 v6, v8
	s_andn2_b64 exec, exec, s[8:9]
	s_cbranch_execz .LBB21_34
.LBB21_25:                              ;   Parent Loop BB21_17 Depth=1
                                        ; =>  This Inner Loop Header: Depth=2
	v_add_co_u32_sdwa v4, vcc, v4, v7 dst_sel:DWORD dst_unused:UNUSED_PAD src0_sel:DWORD src1_sel:WORD_0
	v_addc_co_u32_e32 v5, vcc, 0, v5, vcc
	v_cmp_gt_i64_e64 s[6:7], s[56:57], v[4:5]
	v_cmp_le_i64_e32 vcc, s[56:57], v[4:5]
	s_waitcnt lgkmcnt(0)
	v_mov_b32_e32 v9, 0
	v_mov_b32_e32 v8, 0
	s_and_saveexec_b64 s[12:13], s[6:7]
	s_cbranch_execz .LBB21_27
; %bb.26:                               ;   in Loop: Header=BB21_25 Depth=2
	global_load_dword v8, v[2:3], off
.LBB21_27:                              ;   in Loop: Header=BB21_25 Depth=2
	s_or_b64 exec, exec, s[12:13]
	v_xor_b32_e32 v12, 0x80000000, v6
	v_and_b32_e32 v12, s89, v12
	v_cmp_eq_u32_e64 s[12:13], s94, v12
	s_cmp_lg_u64 s[12:13], 0
	s_cselect_b64 s[6:7], -1, 0
	s_and_b64 s[6:7], s[4:5], s[6:7]
	s_and_saveexec_b64 s[14:15], s[6:7]
	s_cbranch_execz .LBB21_31
; %bb.28:                               ;   in Loop: Header=BB21_25 Depth=2
	s_mov_b64 s[18:19], exec
	v_mbcnt_lo_u32_b32 v9, s18, 0
	v_mbcnt_hi_u32_b32 v9, s19, v9
	s_bcnt1_i32_b64 s22, s[12:13]
	v_cmp_eq_u32_e64 s[6:7], 0, v9
                                        ; implicit-def: $vgpr12
	s_and_saveexec_b64 s[16:17], s[6:7]
	s_cbranch_execz .LBB21_30
; %bb.29:                               ;   in Loop: Header=BB21_25 Depth=2
	s_bcnt1_i32_b64 s6, s[18:19]
	s_mul_i32 s6, s22, s6
	v_mov_b32_e32 v12, s6
	ds_add_rtn_u32 v12, v13, v12 offset:5136
.LBB21_30:                              ;   in Loop: Header=BB21_25 Depth=2
	s_or_b64 exec, exec, s[16:17]
	s_waitcnt lgkmcnt(0)
	v_readfirstlane_b32 s6, v12
	v_mov_b32_e32 v12, s6
	v_mad_u32_u24 v9, s22, v9, v12
.LBB21_31:                              ;   in Loop: Header=BB21_25 Depth=2
	s_or_b64 exec, exec, s[14:15]
	ds_bpermute_b32 v9, v41, v9
	s_and_b64 s[6:7], exec, vcc
	s_or_b64 s[8:9], s[6:7], s[8:9]
	s_and_saveexec_b64 s[6:7], s[12:13]
	s_cbranch_execz .LBB21_24
; %bb.32:                               ;   in Loop: Header=BB21_25 Depth=2
	v_and_b32_e32 v27, s12, v16
	v_and_b32_e32 v12, s13, v17
	v_bcnt_u32_b32 v27, v27, 0
	v_bcnt_u32_b32 v12, v12, v27
	v_lshlrev_b32_e32 v12, 2, v12
	s_waitcnt lgkmcnt(0)
	v_lshl_add_u32 v9, v9, 2, v12
	ds_write_b32 v9, v6
	s_branch .LBB21_24
.LBB21_33:                              ;   in Loop: Header=BB21_17 Depth=1
	s_mov_b64 s[0:1], -1
	s_mov_b64 s[2:3], 0
	s_branch .LBB21_37
.LBB21_34:                              ;   in Loop: Header=BB21_17 Depth=1
	s_or_b64 exec, exec, s[2:3]
	s_waitcnt lgkmcnt(0)
	s_barrier
	s_mov_b64 s[2:3], exec
	v_readlane_b32 s6, v52, 12
	v_readlane_b32 s7, v52, 13
	s_and_b64 s[6:7], s[2:3], s[6:7]
	s_mov_b64 exec, s[6:7]
	s_cbranch_execz .LBB21_36
; %bb.35:                               ;   in Loop: Header=BB21_17 Depth=1
	ds_read_b32 v2, v13 offset:5136
	s_waitcnt lgkmcnt(0)
	v_ashrrev_i32_e32 v3, 31, v2
	ds_write_b64 v13, v[2:3] offset:5120
.LBB21_36:                              ;   in Loop: Header=BB21_17 Depth=1
	s_or_b64 exec, exec, s[2:3]
	s_waitcnt lgkmcnt(0)
	s_barrier
	s_mov_b64 s[2:3], -1
.LBB21_37:                              ;   in Loop: Header=BB21_17 Depth=1
                                        ; implicit-def: $sgpr78_sgpr79
.LBB21_38:                              ;   in Loop: Header=BB21_17 Depth=1
	s_and_b64 vcc, exec, s[0:1]
	s_cbranch_vccz .LBB21_49
; %bb.39:                               ;   in Loop: Header=BB21_17 Depth=1
	s_waitcnt vmcnt(0)
	v_mov_b32_e32 v6, 0
	s_mov_b64 s[0:1], exec
	v_readlane_b32 s2, v52, 30
	v_readlane_b32 s3, v52, 31
	s_and_b64 s[2:3], s[0:1], s[2:3]
	s_mov_b64 exec, s[2:3]
	s_cbranch_execz .LBB21_41
; %bb.40:                               ;   in Loop: Header=BB21_17 Depth=1
	global_load_dword v6, v[10:11], off
.LBB21_41:                              ;   in Loop: Header=BB21_17 Depth=1
	s_or_b64 exec, exec, s[0:1]
	s_mov_b64 s[0:1], exec
	v_readlane_b32 s2, v52, 30
	v_readlane_b32 s3, v52, 31
	s_and_b64 s[2:3], s[0:1], s[2:3]
	s_mov_b64 exec, s[2:3]
	s_cbranch_execz .LBB21_46
; %bb.42:                               ;   in Loop: Header=BB21_17 Depth=1
	global_load_ushort v7, v13, s[50:51]
	v_pk_mov_b32 v[2:3], s[86:87], s[86:87] op_sel:[0,1]
	s_mov_b64 s[2:3], 0
	v_mov_b32_e32 v8, v14
	s_waitcnt vmcnt(0)
	v_readfirstlane_b32 s6, v7
	s_and_b32 s6, 0xffff, s6
	v_add_u32_e32 v5, s6, v0
	s_lshl_b32 s12, s6, 2
	s_mul_i32 s8, s65, s6
	s_mul_hi_u32 s9, s64, s6
	s_mul_i32 s13, s64, s6
	v_mad_u64_u32 v[2:3], s[6:7], s64, v5, v[2:3]
	v_mov_b32_e32 v4, v3
	v_mad_u64_u32 v[4:5], s[6:7], s65, v5, v[4:5]
	s_add_i32 s14, s9, s8
	v_mov_b32_e32 v3, v4
	v_pk_mov_b32 v[4:5], v[0:1], v[0:1] op_sel:[0,1]
	s_branch .LBB21_44
.LBB21_43:                              ;   in Loop: Header=BB21_44 Depth=2
	s_or_b64 exec, exec, s[8:9]
	s_and_b64 s[6:7], exec, vcc
	ds_write_b32 v8, v6
	v_mov_b32_e32 v6, s14
	v_add_co_u32_e32 v2, vcc, s13, v2
	s_or_b64 s[2:3], s[6:7], s[2:3]
	v_add_u32_e32 v8, s12, v8
	v_addc_co_u32_e32 v3, vcc, v3, v6, vcc
	s_waitcnt vmcnt(0)
	v_mov_b32_e32 v6, v9
	s_andn2_b64 exec, exec, s[2:3]
	s_cbranch_execz .LBB21_46
.LBB21_44:                              ;   Parent Loop BB21_17 Depth=1
                                        ; =>  This Inner Loop Header: Depth=2
	v_add_co_u32_sdwa v4, vcc, v4, v7 dst_sel:DWORD dst_unused:UNUSED_PAD src0_sel:DWORD src1_sel:WORD_0
	v_addc_co_u32_e32 v5, vcc, 0, v5, vcc
	v_cmp_gt_i64_e64 s[6:7], s[56:57], v[4:5]
	v_cmp_le_i64_e32 vcc, s[56:57], v[4:5]
	v_mov_b32_e32 v9, 0
	s_and_saveexec_b64 s[8:9], s[6:7]
	s_cbranch_execz .LBB21_43
; %bb.45:                               ;   in Loop: Header=BB21_44 Depth=2
	global_load_dword v9, v[2:3], off
	s_branch .LBB21_43
.LBB21_46:                              ;   in Loop: Header=BB21_17 Depth=1
	s_or_b64 exec, exec, s[0:1]
	s_waitcnt lgkmcnt(0)
	s_barrier
	s_mov_b64 s[0:1], exec
	v_readlane_b32 s2, v52, 12
	v_readlane_b32 s3, v52, 13
	s_and_b64 s[2:3], s[0:1], s[2:3]
	s_mov_b64 exec, s[2:3]
	s_cbranch_execz .LBB21_48
; %bb.47:                               ;   in Loop: Header=BB21_17 Depth=1
	v_pk_mov_b32 v[2:3], s[56:57], s[56:57] op_sel:[0,1]
	ds_write_b64 v13, v[2:3] offset:5120
.LBB21_48:                              ;   in Loop: Header=BB21_17 Depth=1
	s_or_b64 exec, exec, s[0:1]
	s_mov_b64 s[2:3], -1
	s_waitcnt lgkmcnt(0)
	s_barrier
                                        ; implicit-def: $sgpr78_sgpr79
.LBB21_49:                              ;   in Loop: Header=BB21_17 Depth=1
	s_and_b64 vcc, exec, s[2:3]
	s_cbranch_vccz .LBB21_51
; %bb.50:                               ;   in Loop: Header=BB21_17 Depth=1
	ds_read_b64 v[2:3], v13 offset:5120
	s_waitcnt lgkmcnt(0)
	v_readfirstlane_b32 s78, v2
.LBB21_51:                              ;   in Loop: Header=BB21_17 Depth=1
	s_cmp_lt_i32 s78, 1
	s_cbranch_scc0 .LBB21_66
; %bb.52:                               ;   in Loop: Header=BB21_17 Depth=1
	global_load_ushort v2, v13, s[50:51]
	s_mov_b32 s0, s83
	s_waitcnt vmcnt(0)
	v_readfirstlane_b32 s1, v2
	s_and_b32 s1, 0xffff, s1
	s_lshl_b32 s79, s1, 2
	s_mov_b32 s1, s57
	s_cmp_lg_u64 s[0:1], 0
	s_cbranch_scc0 .LBB21_86
; %bb.53:                               ;   in Loop: Header=BB21_17 Depth=1
	v_cvt_f32_u32_e32 v3, s79
	s_sub_u32 s0, 0, s79
	s_subb_u32 s1, 0, 0
	v_mac_f32_e32 v3, 0x4f800000, v46
	v_rcp_f32_e32 v3, v3
	v_mul_f32_e32 v3, 0x5f7ffffc, v3
	v_mul_f32_e32 v4, 0x2f800000, v3
	v_trunc_f32_e32 v4, v4
	v_mac_f32_e32 v3, 0xcf800000, v4
	v_cvt_u32_f32_e32 v4, v4
	v_cvt_u32_f32_e32 v3, v3
	v_readfirstlane_b32 s2, v4
	v_readfirstlane_b32 s3, v3
	s_mul_i32 s6, s0, s2
	s_mul_hi_u32 s8, s0, s3
	s_mul_i32 s7, s1, s3
	s_add_i32 s6, s8, s6
	s_mul_i32 s9, s0, s3
	s_add_i32 s6, s6, s7
	s_mul_hi_u32 s8, s3, s9
	s_mul_hi_u32 s7, s3, s6
	s_mul_i32 s3, s3, s6
	s_add_u32 s3, s8, s3
	s_addc_u32 s7, 0, s7
	s_mul_hi_u32 s12, s2, s9
	s_mul_i32 s9, s2, s9
	s_add_u32 s3, s3, s9
	s_mul_hi_u32 s8, s2, s6
	s_addc_u32 s3, s7, s12
	s_addc_u32 s7, s8, 0
	s_mul_i32 s6, s2, s6
	s_add_u32 s3, s3, s6
	s_addc_u32 s6, 0, s7
	v_add_co_u32_e32 v3, vcc, s3, v3
	s_cmp_lg_u64 vcc, 0
	s_addc_u32 s2, s2, s6
	v_readfirstlane_b32 s6, v3
	s_mul_i32 s3, s0, s2
	s_mul_hi_u32 s7, s0, s6
	s_add_i32 s3, s7, s3
	s_mul_i32 s1, s1, s6
	s_add_i32 s3, s3, s1
	s_mul_i32 s0, s0, s6
	s_mul_hi_u32 s7, s2, s0
	s_mul_i32 s8, s2, s0
	s_mul_i32 s12, s6, s3
	s_mul_hi_u32 s0, s6, s0
	s_mul_hi_u32 s9, s6, s3
	s_add_u32 s0, s0, s12
	s_addc_u32 s6, 0, s9
	s_add_u32 s0, s0, s8
	s_mul_hi_u32 s1, s2, s3
	s_addc_u32 s0, s6, s7
	s_addc_u32 s1, s1, 0
	s_mul_i32 s3, s2, s3
	s_add_u32 s0, s0, s3
	s_addc_u32 s1, 0, s1
	v_add_co_u32_e32 v3, vcc, s0, v3
	s_cmp_lg_u64 vcc, 0
	s_addc_u32 s6, s2, s1
	s_ashr_i32 s0, s57, 31
	s_add_u32 s2, s56, s0
	s_mov_b32 s1, s0
	s_addc_u32 s3, s57, s0
	s_xor_b64 s[2:3], s[2:3], s[0:1]
	v_readfirstlane_b32 s8, v3
	s_mul_i32 s7, s2, s6
	s_mul_hi_u32 s9, s2, s8
	s_mul_hi_u32 s1, s2, s6
	s_add_u32 s7, s9, s7
	s_addc_u32 s1, 0, s1
	s_mul_hi_u32 s12, s3, s8
	s_mul_i32 s8, s3, s8
	s_add_u32 s7, s7, s8
	s_mul_hi_u32 s9, s3, s6
	s_addc_u32 s1, s1, s12
	s_addc_u32 s7, s9, 0
	s_mul_i32 s6, s3, s6
	s_add_u32 s1, s1, s6
	s_addc_u32 s6, 0, s7
	s_mul_hi_u32 s7, s79, s1
	s_mul_i32 s1, s79, s1
	s_mul_i32 s6, s79, s6
	v_mov_b32_e32 v3, s1
	s_add_i32 s7, s7, s6
	v_sub_co_u32_e32 v3, vcc, s2, v3
	s_cmp_lg_u64 vcc, 0
	s_subb_u32 s1, s3, s7
	v_subrev_co_u32_e32 v4, vcc, s79, v3
	s_cmp_lg_u64 vcc, 0
	s_subb_u32 s2, s1, 0
	v_subrev_co_u32_e32 v5, vcc, s79, v4
	s_cmp_lg_u64 vcc, 0
	s_subb_u32 s3, s2, 0
	v_cmp_le_u32_e32 vcc, s79, v4
	s_cmp_eq_u32 s2, 0
	v_cndmask_b32_e64 v6, 0, -1, vcc
	s_cselect_b64 vcc, -1, 0
	v_cndmask_b32_e32 v6, -1, v6, vcc
	v_mov_b32_e32 v7, s2
	v_mov_b32_e32 v8, s3
	v_cmp_ne_u32_e32 vcc, 0, v6
	v_cndmask_b32_e32 v6, v7, v8, vcc
	v_cndmask_b32_e32 v4, v4, v5, vcc
	v_cmp_le_u32_e32 vcc, s79, v3
	s_cmp_eq_u32 s1, 0
	v_cndmask_b32_e64 v5, 0, -1, vcc
	s_cselect_b64 vcc, -1, 0
	v_cndmask_b32_e32 v5, -1, v5, vcc
	v_cmp_ne_u32_e32 vcc, 0, v5
	v_mov_b32_e32 v7, s1
	v_cndmask_b32_e32 v3, v3, v4, vcc
	v_cndmask_b32_e32 v5, v7, v6, vcc
	v_xor_b32_e32 v3, s0, v3
	v_xor_b32_e32 v4, s0, v5
	v_mov_b32_e32 v5, s0
	v_subrev_co_u32_e32 v30, vcc, s0, v3
	v_subb_co_u32_e32 v31, vcc, v4, v5, vcc
	s_cbranch_execnz .LBB21_55
.LBB21_54:                              ;   in Loop: Header=BB21_17 Depth=1
	v_cvt_f32_u32_e32 v3, s79
	s_sub_i32 s0, 0, s79
	v_rcp_iflag_f32_e32 v3, v3
	v_mul_f32_e32 v3, 0x4f7ffffe, v3
	v_cvt_u32_f32_e32 v3, v3
	v_mul_lo_u32 v4, s0, v3
	v_mul_hi_u32 v4, v3, v4
	v_add_u32_e32 v3, v3, v4
	v_mul_hi_u32 v3, s56, v3
	v_mul_lo_u32 v3, v3, s79
	v_sub_u32_e32 v3, s56, v3
	v_subrev_u32_e32 v4, s79, v3
	v_cmp_le_u32_e32 vcc, s79, v3
	v_cndmask_b32_e32 v3, v3, v4, vcc
	v_subrev_u32_e32 v4, s79, v3
	v_cmp_le_u32_e32 vcc, s79, v3
	v_cndmask_b32_e32 v12, v3, v4, vcc
	v_pk_mov_b32 v[30:31], v[12:13], v[12:13] op_sel:[0,1]
.LBB21_55:                              ;   in Loop: Header=BB21_17 Depth=1
	v_and_b32_e32 v12, 0xffff, v2
	v_mov_b32_e32 v2, s57
	v_sub_co_u32_e32 v32, vcc, s56, v30
	v_subb_co_u32_e32 v33, vcc, v2, v31, vcc
	v_pk_mov_b32 v[2:3], 0, 0
	v_cmp_gt_i64_e32 vcc, v[32:33], v[14:15]
	s_mov_b64 s[54:55], 0
	v_pk_mov_b32 v[4:5], v[2:3], v[2:3] op_sel:[0,1]
	v_pk_mov_b32 v[6:7], v[2:3], v[2:3] op_sel:[0,1]
	;; [unrolled: 1-line block ×3, first 2 shown]
	s_and_saveexec_b64 s[80:81], vcc
	s_cbranch_execz .LBB21_59
; %bb.56:                               ;   in Loop: Header=BB21_17 Depth=1
	v_readlane_b32 s0, v52, 41
	v_readlane_b32 s1, v52, 42
	v_mul_lo_u32 v2, s1, v12
	v_mul_hi_u32 v3, s0, v12
	s_and_b32 s82, s29, 0xfe
	v_add_u32_e32 v27, v3, v2
	v_mul_lo_u32 v28, s0, v12
	v_pk_mov_b32 v[34:35], s[86:87], s[86:87] op_sel:[0,1]
	s_mov_b64 s[0:1], 0
	s_mov_b64 s[8:9], 0
	;; [unrolled: 1-line block ×4, first 2 shown]
	v_pk_mov_b32 v[36:37], v[14:15], v[14:15] op_sel:[0,1]
.LBB21_57:                              ;   Parent Loop BB21_17 Depth=1
                                        ; =>  This Inner Loop Header: Depth=2
	v_add_co_u32_e32 v2, vcc, v34, v24
	v_addc_co_u32_e32 v3, vcc, v35, v25, vcc
	v_add_co_u32_e32 v4, vcc, v34, v22
	v_addc_co_u32_e32 v5, vcc, v35, v23, vcc
	;; [unrolled: 2-line block ×4, first 2 shown]
	global_load_dword v2, v[2:3], off
	s_nop 0
	global_load_dword v3, v[4:5], off
	s_nop 0
	global_load_dword v4, v[6:7], off
	global_load_dword v5, v[8:9], off
	v_add_co_u32_e32 v36, vcc, s79, v36
	v_addc_co_u32_e32 v37, vcc, 0, v37, vcc
	v_add_co_u32_e32 v34, vcc, v34, v28
	v_addc_co_u32_e32 v35, vcc, v35, v27, vcc
	v_cmp_ge_i64_e32 vcc, v[36:37], v[32:33]
	s_waitcnt vmcnt(3)
	v_xor_b32_e32 v2, 0x80000000, v2
	s_waitcnt vmcnt(2)
	v_xor_b32_e32 v3, 0x80000000, v3
	v_and_b32_e32 v6, s89, v2
	v_bfe_u32 v2, v2, s82, 2
	s_waitcnt vmcnt(1)
	v_xor_b32_e32 v4, 0x80000000, v4
	v_and_b32_e32 v7, s89, v3
	v_bfe_u32 v3, v3, s82, 2
	v_cmp_eq_u32_e64 s[18:19], s94, v6
	v_cmp_eq_u32_e64 s[6:7], 0, v2
	s_waitcnt vmcnt(0)
	v_xor_b32_e32 v5, 0x80000000, v5
	v_and_b32_e32 v8, s89, v4
	v_bfe_u32 v4, v4, s82, 2
	v_cmp_eq_u32_e64 s[16:17], s94, v7
	v_cmp_eq_u32_e64 s[30:31], 0, v3
	s_and_b64 s[6:7], s[18:19], s[6:7]
	v_and_b32_e32 v9, s89, v5
	v_bfe_u32 v5, v5, s82, 2
	v_cmp_eq_u32_e64 s[14:15], s94, v8
	v_cmp_eq_u32_e64 s[34:35], 0, v4
	;; [unrolled: 1-line block ×5, first 2 shown]
	v_cndmask_b32_e64 v2, 0, 1, s[6:7]
	s_and_b64 s[6:7], s[16:17], s[30:31]
	v_cmp_eq_u32_e64 s[12:13], s94, v9
	v_cmp_eq_u32_e64 s[36:37], 0, v5
	;; [unrolled: 1-line block ×5, first 2 shown]
	v_cndmask_b32_e64 v3, 0, 1, s[6:7]
	s_and_b64 s[6:7], s[14:15], s[34:35]
	v_cmp_eq_u32_e64 s[42:43], 1, v4
	v_cmp_eq_u32_e64 s[50:51], 2, v4
	;; [unrolled: 1-line block ×3, first 2 shown]
	v_cndmask_b32_e64 v4, 0, 1, s[6:7]
	s_and_b64 s[6:7], s[12:13], s[36:37]
	v_cmp_eq_u32_e64 s[44:45], 1, v5
	v_cmp_eq_u32_e64 s[52:53], 2, v5
	v_cmp_eq_u32_e64 s[20:21], 3, v5
	v_cndmask_b32_e64 v5, 0, 1, s[6:7]
	v_cmp_ne_u32_e64 s[6:7], 0, v2
	v_cmp_ne_u32_e64 s[30:31], 0, v3
	v_cmp_ne_u32_e64 s[34:35], 0, v4
	v_cmp_ne_u32_e64 s[36:37], 0, v5
	s_bcnt1_i32_b64 s6, s[6:7]
	s_bcnt1_i32_b64 s7, s[30:31]
	s_bcnt1_i32_b64 s30, s[34:35]
	s_bcnt1_i32_b64 s31, s[36:37]
	s_add_u32 s2, s6, s2
	s_addc_u32 s3, 0, s3
	s_add_u32 s2, s2, s7
	s_addc_u32 s3, s3, 0
	s_add_u32 s2, s2, s30
	s_addc_u32 s3, s3, 0
	s_add_u32 s2, s2, s31
	s_addc_u32 s3, s3, 0
	s_and_b64 s[6:7], s[18:19], s[38:39]
	v_cndmask_b32_e64 v4, 0, 1, s[6:7]
	s_and_b64 s[6:7], s[16:17], s[40:41]
	v_cndmask_b32_e64 v5, 0, 1, s[6:7]
	s_and_b64 s[6:7], s[14:15], s[42:43]
	v_cndmask_b32_e64 v6, 0, 1, s[6:7]
	s_and_b64 s[6:7], s[12:13], s[44:45]
	v_cndmask_b32_e64 v7, 0, 1, s[6:7]
	v_cmp_ne_u32_e64 s[6:7], 0, v4
	v_cmp_ne_u32_e64 s[30:31], 0, v5
	v_cmp_ne_u32_e64 s[34:35], 0, v6
	v_cmp_ne_u32_e64 s[36:37], 0, v7
	s_bcnt1_i32_b64 s6, s[6:7]
	s_bcnt1_i32_b64 s7, s[30:31]
	s_bcnt1_i32_b64 s30, s[34:35]
	s_bcnt1_i32_b64 s31, s[36:37]
	s_add_u32 s6, s6, s90
	s_addc_u32 s34, 0, s91
	s_add_u32 s6, s6, s7
	s_addc_u32 s7, s34, 0
	s_add_u32 s6, s6, s30
	s_addc_u32 s7, s7, 0
	s_add_u32 s90, s6, s31
	s_addc_u32 s91, s7, 0
	s_and_b64 s[6:7], s[18:19], s[46:47]
	v_cndmask_b32_e64 v6, 0, 1, s[6:7]
	s_and_b64 s[6:7], s[16:17], s[48:49]
	v_cndmask_b32_e64 v7, 0, 1, s[6:7]
	s_and_b64 s[6:7], s[14:15], s[50:51]
	v_cndmask_b32_e64 v8, 0, 1, s[6:7]
	s_and_b64 s[6:7], s[12:13], s[52:53]
	;; [unrolled: 24-line block ×3, first 2 shown]
	v_cndmask_b32_e64 v48, 0, 1, s[6:7]
	v_cmp_ne_u32_e64 s[6:7], 0, v8
	v_cmp_ne_u32_e64 s[12:13], 0, v9
	;; [unrolled: 1-line block ×4, first 2 shown]
	s_bcnt1_i32_b64 s6, s[6:7]
	s_bcnt1_i32_b64 s7, s[12:13]
	;; [unrolled: 1-line block ×4, first 2 shown]
	s_add_u32 s0, s6, s0
	s_addc_u32 s1, 0, s1
	s_add_u32 s0, s0, s7
	s_addc_u32 s1, s1, 0
	s_add_u32 s0, s0, s12
	s_addc_u32 s1, s1, 0
	s_add_u32 s0, s0, s13
	s_addc_u32 s1, s1, 0
	v_pk_mov_b32 v[2:3], s[2:3], s[2:3] op_sel:[0,1]
	v_pk_mov_b32 v[4:5], s[90:91], s[90:91] op_sel:[0,1]
	;; [unrolled: 1-line block ×3, first 2 shown]
	s_or_b64 s[54:55], vcc, s[54:55]
	v_pk_mov_b32 v[8:9], s[0:1], s[0:1] op_sel:[0,1]
	s_andn2_b64 exec, exec, s[54:55]
	s_cbranch_execnz .LBB21_57
; %bb.58:                               ;   in Loop: Header=BB21_17 Depth=1
	s_or_b64 exec, exec, s[54:55]
	v_readlane_b32 s48, v52, 43
	v_readlane_b32 s50, v52, 45
	;; [unrolled: 1-line block ×4, first 2 shown]
.LBB21_59:                              ;   in Loop: Header=BB21_17 Depth=1
	s_or_b64 exec, exec, s[80:81]
	v_add_co_u32_e32 v32, vcc, v32, v0
	v_addc_co_u32_e32 v33, vcc, 0, v33, vcc
	v_cmp_gt_i64_e32 vcc, s[56:57], v[32:33]
	v_mov_b32_e32 v34, 0
	s_and_saveexec_b64 s[0:1], vcc
	s_cbranch_execz .LBB21_61
; %bb.60:                               ;   in Loop: Header=BB21_17 Depth=1
	v_mul_lo_u32 v27, v33, s62
	v_mul_lo_u32 v28, v32, s63
	v_mad_u64_u32 v[34:35], s[2:3], v32, s62, 0
	v_add3_u32 v35, v35, v28, v27
	v_lshlrev_b64 v[34:35], 2, v[34:35]
	v_mov_b32_e32 v27, s87
	v_add_co_u32_e64 v34, s[6:7], s86, v34
	v_addc_co_u32_e64 v35, s[6:7], v27, v35, s[6:7]
	global_load_dword v34, v[34:35], off
.LBB21_61:                              ;   in Loop: Header=BB21_17 Depth=1
	s_or_b64 exec, exec, s[0:1]
	s_and_saveexec_b64 s[0:1], vcc
	s_cbranch_execz .LBB21_68
; %bb.62:                               ;   in Loop: Header=BB21_17 Depth=1
	v_add_co_u32_e32 v27, vcc, v43, v12
	v_addc_co_u32_e32 v28, vcc, 0, v44, vcc
	v_sub_co_u32_e32 v27, vcc, v27, v30
	v_subb_co_u32_e32 v28, vcc, v28, v31, vcc
	v_pk_mov_b32 v[30:31], s[86:87], s[86:87] op_sel:[0,1]
	v_mul_lo_u32 v28, s64, v28
	v_mul_lo_u32 v35, s65, v27
	v_mad_u64_u32 v[30:31], s[2:3], s64, v27, v[30:31]
	v_add3_u32 v31, v35, v31, v28
	v_mul_lo_u32 v27, s65, v12
	v_mul_hi_u32 v28, s64, v12
	s_and_b32 s12, s29, 0xfe
	v_add_u32_e32 v27, v28, v27
	v_mul_lo_u32 v28, s64, v12
	s_mov_b64 s[2:3], 0
	s_branch .LBB21_64
.LBB21_63:                              ;   in Loop: Header=BB21_64 Depth=2
	s_or_b64 exec, exec, s[8:9]
	s_waitcnt vmcnt(0)
	v_xor_b32_e32 v34, 0x80000000, v34
	s_and_b64 s[6:7], exec, vcc
	v_and_b32_e32 v36, s89, v34
	v_bfe_u32 v34, v34, s12, 2
	s_or_b64 s[2:3], s[6:7], s[2:3]
	v_cmp_eq_u32_e32 vcc, s94, v36
	v_cmp_eq_u32_e64 s[6:7], 0, v34
	s_and_b64 s[6:7], vcc, s[6:7]
	v_cndmask_b32_e64 v36, 0, 1, s[6:7]
	v_cmp_ne_u32_e64 s[6:7], 0, v36
	s_bcnt1_i32_b64 s6, s[6:7]
	v_add_co_u32_e64 v2, s[6:7], s6, v2
	v_addc_co_u32_e64 v3, s[6:7], 0, v3, s[6:7]
	v_cmp_eq_u32_e64 s[6:7], 1, v34
	s_and_b64 s[6:7], vcc, s[6:7]
	v_cndmask_b32_e64 v36, 0, 1, s[6:7]
	v_cmp_ne_u32_e64 s[6:7], 0, v36
	s_bcnt1_i32_b64 s6, s[6:7]
	v_add_co_u32_e64 v4, s[6:7], s6, v4
	v_addc_co_u32_e64 v5, s[6:7], 0, v5, s[6:7]
	;; [unrolled: 7-line block ×3, first 2 shown]
	v_cmp_eq_u32_e64 s[6:7], 3, v34
	s_and_b64 s[6:7], vcc, s[6:7]
	v_cndmask_b32_e64 v34, 0, 1, s[6:7]
	v_cmp_ne_u32_e32 vcc, 0, v34
	s_bcnt1_i32_b64 s6, vcc
	v_add_co_u32_e32 v8, vcc, s6, v8
	v_addc_co_u32_e32 v9, vcc, 0, v9, vcc
	v_add_co_u32_e32 v30, vcc, v30, v28
	v_addc_co_u32_e32 v31, vcc, v31, v27, vcc
	v_mov_b32_e32 v34, v35
	s_andn2_b64 exec, exec, s[2:3]
	s_cbranch_execz .LBB21_67
.LBB21_64:                              ;   Parent Loop BB21_17 Depth=1
                                        ; =>  This Inner Loop Header: Depth=2
	v_add_co_u32_e32 v32, vcc, v32, v12
	v_addc_co_u32_e32 v33, vcc, 0, v33, vcc
	v_cmp_gt_i64_e64 s[6:7], s[56:57], v[32:33]
	v_cmp_le_i64_e32 vcc, s[56:57], v[32:33]
	v_mov_b32_e32 v35, 0
	s_and_saveexec_b64 s[8:9], s[6:7]
	s_cbranch_execz .LBB21_63
; %bb.65:                               ;   in Loop: Header=BB21_64 Depth=2
	global_load_dword v35, v[30:31], off
	s_branch .LBB21_63
.LBB21_66:                              ;   in Loop: Header=BB21_17 Depth=1
                                        ; implicit-def: $vgpr8_vgpr9
                                        ; implicit-def: $vgpr4_vgpr5
	s_cbranch_execnz .LBB21_69
	s_branch .LBB21_78
.LBB21_67:                              ;   in Loop: Header=BB21_17 Depth=1
	s_or_b64 exec, exec, s[2:3]
.LBB21_68:                              ;   in Loop: Header=BB21_17 Depth=1
	s_or_b64 exec, exec, s[0:1]
	s_branch .LBB21_78
.LBB21_69:                              ;   in Loop: Header=BB21_17 Depth=1
	global_load_ushort v8, v13, s[50:51]
	s_mov_b64 s[54:55], 0
	s_waitcnt vmcnt(0)
	v_readfirstlane_b32 s0, v8
	s_and_b32 s0, 0xffff, s0
	s_lshl_b32 s79, s0, 2
	v_cvt_f32_u32_e32 v2, s79
	s_sub_i32 s0, 0, s79
	v_and_b32_e32 v27, 0xffff, v8
	v_rcp_iflag_f32_e32 v6, v2
	v_pk_mov_b32 v[2:3], 0, 0
	v_pk_mov_b32 v[4:5], v[2:3], v[2:3] op_sel:[0,1]
	v_mul_f32_e32 v6, 0x4f7ffffe, v6
	v_cvt_u32_f32_e32 v9, v6
	v_pk_mov_b32 v[6:7], v[2:3], v[2:3] op_sel:[0,1]
	v_readfirstlane_b32 s1, v9
	s_mul_i32 s0, s0, s1
	s_mul_hi_u32 s0, s1, s0
	s_add_i32 s1, s1, s0
	s_mul_hi_u32 s0, s78, s1
	s_mul_i32 s0, s0, s79
	s_sub_i32 s0, s78, s0
	s_sub_i32 s1, s0, s79
	s_cmp_ge_u32 s0, s79
	s_cselect_b32 s0, s1, s0
	s_sub_i32 s1, s0, s79
	s_cmp_ge_u32 s0, s79
	s_cselect_b32 s0, s1, s0
	s_sub_i32 s82, s78, s0
	v_cmp_gt_u32_e32 vcc, s82, v14
	v_pk_mov_b32 v[8:9], v[2:3], v[2:3] op_sel:[0,1]
	s_and_saveexec_b64 s[0:1], vcc
	s_cbranch_execz .LBB21_73
; %bb.70:                               ;   in Loop: Header=BB21_17 Depth=1
	s_and_b32 s92, s29, 0xfe
	v_lshlrev_b32_e32 v12, 4, v27
	v_mov_b32_e32 v28, v42
	s_mov_b64 s[2:3], 0
	s_mov_b64 s[8:9], 0
	s_mov_b64 s[80:81], 0
	s_mov_b64 s[90:91], 0
	v_pk_mov_b32 v[30:31], v[14:15], v[14:15] op_sel:[0,1]
.LBB21_71:                              ;   Parent Loop BB21_17 Depth=1
                                        ; =>  This Inner Loop Header: Depth=2
	ds_read_b128 v[2:5], v28
	v_add_co_u32_e32 v30, vcc, s79, v30
	v_addc_co_u32_e32 v31, vcc, 0, v31, vcc
	s_waitcnt lgkmcnt(0)
	v_xor_b32_e32 v2, 0x80000000, v2
	v_xor_b32_e32 v3, 0x80000000, v3
	v_and_b32_e32 v6, s89, v2
	v_bfe_u32 v2, v2, s92, 2
	v_xor_b32_e32 v4, 0x80000000, v4
	v_and_b32_e32 v7, s89, v3
	v_bfe_u32 v3, v3, s92, 2
	v_cmp_eq_u32_e64 s[18:19], s94, v6
	v_cmp_eq_u32_e64 s[6:7], 0, v2
	v_xor_b32_e32 v5, 0x80000000, v5
	v_and_b32_e32 v8, s89, v4
	v_bfe_u32 v4, v4, s92, 2
	v_cmp_eq_u32_e64 s[16:17], s94, v7
	v_cmp_eq_u32_e64 s[30:31], 0, v3
	s_and_b64 s[6:7], s[18:19], s[6:7]
	v_and_b32_e32 v9, s89, v5
	v_bfe_u32 v5, v5, s92, 2
	v_cmp_eq_u32_e64 s[14:15], s94, v8
	v_cmp_eq_u32_e64 s[34:35], 0, v4
	;; [unrolled: 1-line block ×5, first 2 shown]
	v_cndmask_b32_e64 v2, 0, 1, s[6:7]
	s_and_b64 s[6:7], s[16:17], s[30:31]
	v_cmp_eq_u32_e64 s[12:13], s94, v9
	v_cmp_eq_u32_e64 s[36:37], 0, v5
	v_cmp_eq_u32_e64 s[40:41], 1, v3
	v_cmp_eq_u32_e64 s[48:49], 2, v3
	v_cmp_eq_u32_e64 s[24:25], 3, v3
	v_cndmask_b32_e64 v3, 0, 1, s[6:7]
	s_and_b64 s[6:7], s[14:15], s[34:35]
	v_cmp_eq_u32_e64 s[42:43], 1, v4
	v_cmp_eq_u32_e64 s[50:51], 2, v4
	;; [unrolled: 1-line block ×3, first 2 shown]
	v_cndmask_b32_e64 v4, 0, 1, s[6:7]
	s_and_b64 s[6:7], s[12:13], s[36:37]
	v_cmp_eq_u32_e64 s[44:45], 1, v5
	v_cmp_eq_u32_e64 s[52:53], 2, v5
	;; [unrolled: 1-line block ×3, first 2 shown]
	v_cndmask_b32_e64 v5, 0, 1, s[6:7]
	v_cmp_ne_u32_e64 s[6:7], 0, v2
	v_cmp_ne_u32_e64 s[30:31], 0, v3
	v_cmp_ne_u32_e64 s[34:35], 0, v4
	v_cmp_ne_u32_e64 s[36:37], 0, v5
	s_bcnt1_i32_b64 s6, s[6:7]
	s_bcnt1_i32_b64 s7, s[30:31]
	s_bcnt1_i32_b64 s30, s[34:35]
	s_bcnt1_i32_b64 s31, s[36:37]
	s_add_u32 s6, s6, s90
	s_addc_u32 s34, 0, s91
	s_add_u32 s6, s6, s7
	s_addc_u32 s7, s34, 0
	s_add_u32 s6, s6, s30
	s_addc_u32 s7, s7, 0
	s_add_u32 s90, s6, s31
	s_addc_u32 s91, s7, 0
	s_and_b64 s[6:7], s[18:19], s[38:39]
	v_cndmask_b32_e64 v4, 0, 1, s[6:7]
	s_and_b64 s[6:7], s[16:17], s[40:41]
	v_cndmask_b32_e64 v5, 0, 1, s[6:7]
	s_and_b64 s[6:7], s[14:15], s[42:43]
	v_cndmask_b32_e64 v6, 0, 1, s[6:7]
	s_and_b64 s[6:7], s[12:13], s[44:45]
	v_cndmask_b32_e64 v7, 0, 1, s[6:7]
	v_cmp_ne_u32_e64 s[6:7], 0, v4
	v_cmp_ne_u32_e64 s[30:31], 0, v5
	v_cmp_ne_u32_e64 s[34:35], 0, v6
	v_cmp_ne_u32_e64 s[36:37], 0, v7
	s_bcnt1_i32_b64 s6, s[6:7]
	s_bcnt1_i32_b64 s7, s[30:31]
	s_bcnt1_i32_b64 s30, s[34:35]
	s_bcnt1_i32_b64 s31, s[36:37]
	s_add_u32 s6, s6, s80
	s_addc_u32 s34, 0, s81
	s_add_u32 s6, s6, s7
	s_addc_u32 s7, s34, 0
	s_add_u32 s6, s6, s30
	s_addc_u32 s7, s7, 0
	s_add_u32 s80, s6, s31
	s_addc_u32 s81, s7, 0
	s_and_b64 s[6:7], s[18:19], s[46:47]
	v_cndmask_b32_e64 v6, 0, 1, s[6:7]
	s_and_b64 s[6:7], s[16:17], s[48:49]
	v_cndmask_b32_e64 v7, 0, 1, s[6:7]
	s_and_b64 s[6:7], s[14:15], s[50:51]
	v_cndmask_b32_e64 v8, 0, 1, s[6:7]
	s_and_b64 s[6:7], s[12:13], s[52:53]
	;; [unrolled: 24-line block ×3, first 2 shown]
	v_cndmask_b32_e64 v33, 0, 1, s[6:7]
	v_cmp_ne_u32_e64 s[6:7], 0, v8
	v_cmp_ne_u32_e64 s[12:13], 0, v9
	;; [unrolled: 1-line block ×4, first 2 shown]
	s_bcnt1_i32_b64 s6, s[6:7]
	s_bcnt1_i32_b64 s7, s[12:13]
	;; [unrolled: 1-line block ×4, first 2 shown]
	s_add_u32 s2, s6, s2
	s_addc_u32 s3, 0, s3
	s_add_u32 s2, s2, s7
	s_addc_u32 s3, s3, 0
	;; [unrolled: 2-line block ×3, first 2 shown]
	s_add_u32 s2, s2, s13
	v_cmp_le_u64_e32 vcc, s[82:83], v[30:31]
	s_addc_u32 s3, s3, 0
	v_add_u32_e32 v28, v28, v12
	v_pk_mov_b32 v[2:3], s[90:91], s[90:91] op_sel:[0,1]
	v_pk_mov_b32 v[4:5], s[80:81], s[80:81] op_sel:[0,1]
	;; [unrolled: 1-line block ×3, first 2 shown]
	s_or_b64 s[54:55], vcc, s[54:55]
	v_pk_mov_b32 v[8:9], s[2:3], s[2:3] op_sel:[0,1]
	s_andn2_b64 exec, exec, s[54:55]
	s_cbranch_execnz .LBB21_71
; %bb.72:                               ;   in Loop: Header=BB21_17 Depth=1
	s_or_b64 exec, exec, s[54:55]
	v_readlane_b32 s48, v52, 43
	v_readlane_b32 s50, v52, 45
	;; [unrolled: 1-line block ×4, first 2 shown]
.LBB21_73:                              ;   in Loop: Header=BB21_17 Depth=1
	s_or_b64 exec, exec, s[0:1]
	v_add_u32_e32 v12, s82, v0
	v_cmp_gt_u32_e32 vcc, s78, v12
	s_and_saveexec_b64 s[0:1], vcc
	s_cbranch_execz .LBB21_77
; %bb.74:                               ;   in Loop: Header=BB21_17 Depth=1
	s_and_b32 s82, s78, 0x7fffffff
	s_and_b32 s8, s29, 0xfe
	v_lshlrev_b32_e32 v28, 2, v12
	s_mov_b64 s[2:3], 0
	v_pk_mov_b32 v[30:31], v[12:13], v[12:13] op_sel:[0,1]
.LBB21_75:                              ;   Parent Loop BB21_17 Depth=1
                                        ; =>  This Inner Loop Header: Depth=2
	ds_read_b32 v12, v28
	v_add_co_u32_e32 v30, vcc, v30, v27
	v_addc_co_u32_e32 v31, vcc, 0, v31, vcc
	s_waitcnt lgkmcnt(0)
	v_xor_b32_e32 v12, 0x80000000, v12
	v_and_b32_e32 v32, s89, v12
	v_bfe_u32 v12, v12, s8, 2
	v_cmp_eq_u32_e64 s[6:7], s94, v32
	v_cmp_eq_u32_e64 s[12:13], 0, v12
	;; [unrolled: 1-line block ×3, first 2 shown]
	s_and_b64 s[12:13], s[6:7], s[12:13]
	v_cmp_eq_u32_e64 s[16:17], 2, v12
	v_cmp_eq_u32_e64 s[18:19], 3, v12
	v_cndmask_b32_e64 v12, 0, 1, s[12:13]
	s_and_b64 s[12:13], s[6:7], s[14:15]
	v_cndmask_b32_e64 v32, 0, 1, s[12:13]
	s_and_b64 s[12:13], s[6:7], s[16:17]
	s_and_b64 s[6:7], s[6:7], s[18:19]
	v_cndmask_b32_e64 v33, 0, 1, s[12:13]
	v_cndmask_b32_e64 v34, 0, 1, s[6:7]
	v_cmp_ne_u32_e64 s[6:7], 0, v12
	v_cmp_ne_u32_e64 s[12:13], 0, v32
	;; [unrolled: 1-line block ×4, first 2 shown]
	v_cmp_le_u64_e32 vcc, s[82:83], v[30:31]
	s_bcnt1_i32_b64 s6, s[6:7]
	s_bcnt1_i32_b64 s7, s[12:13]
	;; [unrolled: 1-line block ×4, first 2 shown]
	s_or_b64 s[2:3], vcc, s[2:3]
	v_add_co_u32_e32 v2, vcc, s6, v2
	v_addc_co_u32_e32 v3, vcc, 0, v3, vcc
	v_add_co_u32_e32 v4, vcc, s7, v4
	v_addc_co_u32_e32 v5, vcc, 0, v5, vcc
	;; [unrolled: 2-line block ×3, first 2 shown]
	v_add_co_u32_e32 v8, vcc, s12, v8
	v_add_u32_e32 v28, s79, v28
	v_addc_co_u32_e32 v9, vcc, 0, v9, vcc
	s_andn2_b64 exec, exec, s[2:3]
	s_cbranch_execnz .LBB21_75
; %bb.76:                               ;   in Loop: Header=BB21_17 Depth=1
	s_or_b64 exec, exec, s[2:3]
.LBB21_77:                              ;   in Loop: Header=BB21_17 Depth=1
	s_or_b64 exec, exec, s[0:1]
.LBB21_78:                              ;   in Loop: Header=BB21_17 Depth=1
	s_lshl_b32 s2, s88, 6
	s_and_saveexec_b64 s[0:1], s[4:5]
	s_cbranch_execz .LBB21_80
; %bb.79:                               ;   in Loop: Header=BB21_17 Depth=1
	v_or_b32_e32 v12, s2, v40
	v_lshlrev_b32_e32 v12, 3, v12
	ds_write_b128 v12, v[2:5] offset:3072
	s_waitcnt vmcnt(0)
	ds_write_b128 v12, v[6:9] offset:3088
.LBB21_80:                              ;   in Loop: Header=BB21_17 Depth=1
	s_or_b64 exec, exec, s[0:1]
	s_waitcnt lgkmcnt(0)
	s_barrier
	s_and_saveexec_b64 s[0:1], s[48:49]
	s_cbranch_execz .LBB21_92
; %bb.81:                               ;   in Loop: Header=BB21_17 Depth=1
	v_readlane_b32 s6, v52, 32
	v_readlane_b32 s7, v52, 33
	s_andn2_b64 vcc, exec, s[6:7]
	v_pk_mov_b32 v[2:3], 0, 0
	s_cbranch_vccnz .LBB21_91
; %bb.82:                               ;   in Loop: Header=BB21_17 Depth=1
	v_readlane_b32 s6, v52, 36
	v_readlane_b32 s7, v52, 37
	s_andn2_b64 vcc, exec, s[6:7]
	s_cbranch_vccnz .LBB21_87
; %bb.83:                               ;   in Loop: Header=BB21_17 Depth=1
	v_lshl_add_u32 v4, s88, 9, v45
	s_mov_b32 s3, 0
	v_pk_mov_b32 v[2:3], 0, 0
.LBB21_84:                              ;   Parent Loop BB21_17 Depth=1
                                        ; =>  This Inner Loop Header: Depth=2
	s_waitcnt vmcnt(0)
	ds_read2_b64 v[6:9], v4 offset1:4
	ds_read2_b64 v[30:33], v4 offset0:8 offset1:12
	ds_read2_b64 v[34:37], v4 offset0:16 offset1:20
	;; [unrolled: 1-line block ×3, first 2 shown]
	s_add_i32 s3, s3, 8
	s_waitcnt lgkmcnt(3)
	v_add_co_u32_e32 v2, vcc, v6, v2
	v_addc_co_u32_e32 v3, vcc, v7, v3, vcc
	v_add_co_u32_e32 v2, vcc, v8, v2
	v_addc_co_u32_e32 v3, vcc, v9, v3, vcc
	s_waitcnt lgkmcnt(2)
	v_add_co_u32_e32 v2, vcc, v30, v2
	v_addc_co_u32_e32 v3, vcc, v31, v3, vcc
	v_add_co_u32_e32 v2, vcc, v32, v2
	v_addc_co_u32_e32 v3, vcc, v33, v3, vcc
	;; [unrolled: 5-line block ×3, first 2 shown]
	s_waitcnt lgkmcnt(0)
	v_add_co_u32_e32 v2, vcc, v48, v2
	v_addc_co_u32_e32 v3, vcc, v49, v3, vcc
	v_add_co_u32_e32 v2, vcc, v50, v2
	v_add_u32_e32 v4, 0x100, v4
	s_cmp_eq_u32 s66, s3
	v_addc_co_u32_e32 v3, vcc, v51, v3, vcc
	s_cbranch_scc0 .LBB21_84
; %bb.85:                               ;   in Loop: Header=BB21_17 Depth=1
	s_mov_b32 s3, s66
	s_branch .LBB21_88
.LBB21_86:                              ;   in Loop: Header=BB21_17 Depth=1
                                        ; implicit-def: $vgpr30_vgpr31
	s_branch .LBB21_54
.LBB21_87:                              ;   in Loop: Header=BB21_17 Depth=1
	s_mov_b32 s3, 0
	v_pk_mov_b32 v[2:3], 0, 0
.LBB21_88:                              ;   in Loop: Header=BB21_17 Depth=1
	v_readlane_b32 s6, v52, 39
	v_readlane_b32 s7, v52, 40
	s_andn2_b64 vcc, exec, s[6:7]
	s_cbranch_vccnz .LBB21_91
; %bb.89:                               ;   in Loop: Header=BB21_17 Depth=1
	s_lshl_b32 s6, s88, 9
	s_lshl_b32 s3, s3, 5
	s_add_i32 s6, s6, s3
	v_add_u32_e32 v4, s6, v45
	v_readlane_b32 s3, v52, 38
.LBB21_90:                              ;   Parent Loop BB21_17 Depth=1
                                        ; =>  This Inner Loop Header: Depth=2
	s_waitcnt vmcnt(0)
	ds_read_b64 v[6:7], v4
	s_add_i32 s3, s3, -1
	v_add_u32_e32 v4, 32, v4
	s_cmp_lg_u32 s3, 0
	s_waitcnt lgkmcnt(0)
	v_add_co_u32_e32 v2, vcc, v6, v2
	v_addc_co_u32_e32 v3, vcc, v7, v3, vcc
	s_cbranch_scc1 .LBB21_90
.LBB21_91:                              ;   in Loop: Header=BB21_17 Depth=1
	v_add_lshl_u32 v4, s2, v38, 3
	ds_write_b64 v4, v[2:3] offset:3072
.LBB21_92:                              ;   in Loop: Header=BB21_17 Depth=1
	s_or_b64 exec, exec, s[0:1]
	s_lshl_b32 s0, s2, 3
	s_waitcnt vmcnt(0)
	v_mov_b32_e32 v6, s0
	s_waitcnt lgkmcnt(0)
	s_barrier
	ds_read_b128 v[2:5], v6 offset:3072
	ds_read_b128 v[6:9], v6 offset:3088
	s_and_b32 s40, s29, 0xfe
	s_lshl_b32 s46, 3, s40
	s_not_b32 s41, s46
	s_waitcnt lgkmcnt(1)
	v_readfirstlane_b32 s15, v3
	v_readfirstlane_b32 s14, v2
	s_cmp_eq_u64 s[14:15], 1
	s_cselect_b64 s[0:1], -1, 0
	s_cmp_eq_u64 s[58:59], 1
	s_cselect_b64 s[2:3], -1, 0
	s_and_b64 s[20:21], s[0:1], s[2:3]
	v_readfirstlane_b32 s26, v4
	v_readfirstlane_b32 s27, v5
	s_waitcnt lgkmcnt(0)
	v_readfirstlane_b32 s16, v6
	v_readfirstlane_b32 s17, v7
	;; [unrolled: 1-line block ×4, first 2 shown]
	s_mov_b64 s[18:19], -1
	s_and_b64 vcc, exec, s[20:21]
	s_cbranch_vccz .LBB21_107
; %bb.93:                               ;   in Loop: Header=BB21_17 Depth=1
	ds_read_b64 v[2:3], v13 offset:5120
	s_waitcnt lgkmcnt(0)
	s_barrier
	v_readfirstlane_b32 s12, v2
	v_readfirstlane_b32 s13, v3
	s_mov_b64 s[0:1], exec
	v_readlane_b32 s2, v52, 24
	v_readlane_b32 s3, v52, 25
	s_and_b64 s[2:3], s[0:1], s[2:3]
	s_mov_b64 exec, s[2:3]
	s_cbranch_execz .LBB21_95
; %bb.94:                               ;   in Loop: Header=BB21_17 Depth=1
	ds_write_b32 v39, v13
.LBB21_95:                              ;   in Loop: Header=BB21_17 Depth=1
	s_or_b64 exec, exec, s[0:1]
	v_cmp_lt_i64_e64 s[0:1], s[12:13], 1
	s_and_b32 s94, s94, s41
	s_or_b32 s89, s89, s46
	s_and_b64 vcc, exec, s[0:1]
	s_waitcnt lgkmcnt(0)
	s_barrier
	s_cbranch_vccz .LBB21_108
; %bb.96:                               ;   in Loop: Header=BB21_17 Depth=1
	s_mov_b32 s92, s83
	s_cmp_lg_u64 s[92:93], 0
	s_cbranch_scc0 .LBB21_153
; %bb.97:                               ;   in Loop: Header=BB21_17 Depth=1
	v_cvt_f32_u32_e32 v2, s33
	s_sub_u32 s0, 0, s33
	s_subb_u32 s1, 0, 0
	v_mac_f32_e32 v2, 0x4f800000, v46
	v_rcp_f32_e32 v2, v2
	v_mul_f32_e32 v2, 0x5f7ffffc, v2
	v_mul_f32_e32 v3, 0x2f800000, v2
	v_trunc_f32_e32 v3, v3
	v_mac_f32_e32 v2, 0xcf800000, v3
	v_cvt_u32_f32_e32 v3, v3
	v_cvt_u32_f32_e32 v2, v2
	v_readfirstlane_b32 s2, v3
	v_readfirstlane_b32 s3, v2
	s_mul_i32 s8, s0, s2
	s_mul_hi_u32 s22, s0, s3
	s_mul_i32 s9, s1, s3
	s_add_i32 s8, s22, s8
	s_mul_i32 s23, s0, s3
	s_add_i32 s8, s8, s9
	s_mul_hi_u32 s22, s3, s23
	s_mul_hi_u32 s9, s3, s8
	s_mul_i32 s3, s3, s8
	s_add_u32 s3, s22, s3
	s_addc_u32 s9, 0, s9
	s_mul_hi_u32 s24, s2, s23
	s_mul_i32 s23, s2, s23
	s_add_u32 s3, s3, s23
	s_mul_hi_u32 s22, s2, s8
	s_addc_u32 s3, s9, s24
	s_addc_u32 s9, s22, 0
	s_mul_i32 s8, s2, s8
	s_add_u32 s3, s3, s8
	s_addc_u32 s8, 0, s9
	v_add_co_u32_e32 v2, vcc, s3, v2
	s_cmp_lg_u64 vcc, 0
	s_addc_u32 s2, s2, s8
	v_readfirstlane_b32 s8, v2
	s_mul_i32 s3, s0, s2
	s_mul_hi_u32 s9, s0, s8
	s_add_i32 s3, s9, s3
	s_mul_i32 s1, s1, s8
	s_add_i32 s3, s3, s1
	s_mul_i32 s0, s0, s8
	s_mul_hi_u32 s9, s2, s0
	s_mul_i32 s22, s2, s0
	s_mul_i32 s24, s8, s3
	s_mul_hi_u32 s0, s8, s0
	s_mul_hi_u32 s23, s8, s3
	s_add_u32 s0, s0, s24
	s_addc_u32 s8, 0, s23
	s_add_u32 s0, s0, s22
	s_mul_hi_u32 s1, s2, s3
	s_addc_u32 s0, s8, s9
	s_addc_u32 s1, s1, 0
	s_mul_i32 s3, s2, s3
	s_add_u32 s0, s0, s3
	s_addc_u32 s1, 0, s1
	v_add_co_u32_e32 v2, vcc, s0, v2
	s_cmp_lg_u64 vcc, 0
	s_addc_u32 s8, s2, s1
	s_ashr_i32 s0, s93, 31
	s_add_u32 s2, s95, s0
	s_mov_b32 s1, s0
	s_addc_u32 s3, s93, s0
	s_xor_b64 s[2:3], s[2:3], s[0:1]
	v_readfirstlane_b32 s22, v2
	s_mul_i32 s9, s2, s8
	s_mul_hi_u32 s23, s2, s22
	s_mul_hi_u32 s1, s2, s8
	s_add_u32 s9, s23, s9
	s_addc_u32 s1, 0, s1
	s_mul_hi_u32 s24, s3, s22
	s_mul_i32 s22, s3, s22
	s_add_u32 s9, s9, s22
	s_mul_hi_u32 s23, s3, s8
	s_addc_u32 s1, s1, s24
	s_addc_u32 s9, s23, 0
	s_mul_i32 s8, s3, s8
	s_add_u32 s1, s1, s8
	s_addc_u32 s8, 0, s9
	s_mul_hi_u32 s9, s33, s1
	s_mul_i32 s1, s33, s1
	s_mul_i32 s8, s33, s8
	v_mov_b32_e32 v2, s1
	s_add_i32 s9, s9, s8
	v_sub_co_u32_e32 v2, vcc, s2, v2
	s_cmp_lg_u64 vcc, 0
	s_subb_u32 s1, s3, s9
	v_subrev_co_u32_e32 v3, vcc, s33, v2
	s_cmp_lg_u64 vcc, 0
	s_subb_u32 s2, s1, 0
	v_subrev_co_u32_e32 v4, vcc, s33, v3
	s_cmp_lg_u64 vcc, 0
	s_subb_u32 s3, s2, 0
	v_cmp_le_u32_e32 vcc, s33, v3
	s_cmp_eq_u32 s2, 0
	v_cndmask_b32_e64 v5, 0, -1, vcc
	s_cselect_b64 vcc, -1, 0
	v_cndmask_b32_e32 v5, -1, v5, vcc
	v_mov_b32_e32 v6, s2
	v_mov_b32_e32 v7, s3
	v_cmp_ne_u32_e32 vcc, 0, v5
	v_cndmask_b32_e32 v5, v6, v7, vcc
	v_cndmask_b32_e32 v3, v3, v4, vcc
	v_cmp_le_u32_e32 vcc, s33, v2
	s_cmp_eq_u32 s1, 0
	v_cndmask_b32_e64 v4, 0, -1, vcc
	s_cselect_b64 vcc, -1, 0
	v_cndmask_b32_e32 v4, -1, v4, vcc
	v_cmp_ne_u32_e32 vcc, 0, v4
	v_mov_b32_e32 v6, s1
	v_cndmask_b32_e32 v2, v2, v3, vcc
	v_cndmask_b32_e32 v4, v6, v5, vcc
	v_xor_b32_e32 v2, s0, v2
	v_xor_b32_e32 v3, s0, v4
	v_mov_b32_e32 v4, s0
	v_subrev_co_u32_e32 v2, vcc, s0, v2
	v_subb_co_u32_e32 v3, vcc, v3, v4, vcc
	s_cbranch_execnz .LBB21_99
.LBB21_98:                              ;   in Loop: Header=BB21_17 Depth=1
	v_cvt_f32_u32_e32 v2, s33
	s_sub_i32 s0, 0, s33
	v_rcp_iflag_f32_e32 v2, v2
	v_mul_f32_e32 v2, 0x4f7ffffe, v2
	v_cvt_u32_f32_e32 v2, v2
	v_mul_lo_u32 v3, s0, v2
	v_mul_hi_u32 v3, v2, v3
	v_add_u32_e32 v2, v2, v3
	s_mov_b32 s0, s95
	v_mul_hi_u32 v2, s0, v2
	v_mul_lo_u32 v2, v2, s33
	v_sub_u32_e32 v2, s0, v2
	v_subrev_u32_e32 v3, s33, v2
	v_cmp_le_u32_e32 vcc, s33, v2
	v_cndmask_b32_e32 v2, v2, v3, vcc
	v_subrev_u32_e32 v3, s33, v2
	v_cmp_le_u32_e32 vcc, s33, v2
	v_cndmask_b32_e32 v12, v2, v3, vcc
	v_pk_mov_b32 v[2:3], v[12:13], v[12:13] op_sel:[0,1]
.LBB21_99:                              ;   in Loop: Header=BB21_17 Depth=1
	v_mov_b32_e32 v4, s93
	v_sub_co_u32_e32 v2, vcc, s95, v2
	v_subb_co_u32_e32 v3, vcc, v4, v3, vcc
	v_cmp_gt_i64_e32 vcc, v[2:3], v[0:1]
	s_mov_b64 s[0:1], 0
                                        ; implicit-def: $vgpr29
	s_and_saveexec_b64 s[2:3], vcc
	s_cbranch_execz .LBB21_110
; %bb.100:                              ;   in Loop: Header=BB21_17 Depth=1
	v_pk_mov_b32 v[4:5], v[10:11], v[10:11] op_sel:[0,1]
	v_pk_mov_b32 v[6:7], v[0:1], v[0:1] op_sel:[0,1]
                                        ; implicit-def: $sgpr8_sgpr9
	s_branch .LBB21_102
.LBB21_101:                             ;   in Loop: Header=BB21_102 Depth=2
	s_or_b64 exec, exec, s[22:23]
	s_waitcnt lgkmcnt(0)
	s_barrier
	ds_read_b64 v[28:29], v13 offset:3072
	v_mov_b32_e32 v8, s28
	v_add_co_u32_e32 v6, vcc, s33, v6
	v_addc_co_u32_e32 v7, vcc, v7, v8, vcc
	s_waitcnt lgkmcnt(0)
	v_readfirstlane_b32 s22, v28
	s_cmp_lg_u32 s22, 0
	s_cselect_b64 s[22:23], -1, 0
	v_cmp_ge_i64_e32 vcc, v[6:7], v[2:3]
	s_or_b64 s[24:25], s[22:23], vcc
	s_and_b64 s[24:25], exec, s[24:25]
	s_or_b64 s[0:1], s[24:25], s[0:1]
	v_mov_b32_e32 v8, s85
	v_add_co_u32_e32 v4, vcc, s84, v4
	s_andn2_b64 s[8:9], s[8:9], exec
	s_and_b64 s[22:23], s[22:23], exec
	v_addc_co_u32_e32 v5, vcc, v5, v8, vcc
	s_or_b64 s[8:9], s[8:9], s[22:23]
	s_barrier
	s_andn2_b64 exec, exec, s[0:1]
	s_cbranch_execz .LBB21_109
.LBB21_102:                             ;   Parent Loop BB21_17 Depth=1
                                        ; =>  This Inner Loop Header: Depth=2
	v_cmp_gt_i64_e32 vcc, s[56:57], v[6:7]
	s_waitcnt vmcnt(0)
	v_mov_b32_e32 v27, 0
	s_and_saveexec_b64 s[22:23], vcc
	s_cbranch_execz .LBB21_104
; %bb.103:                              ;   in Loop: Header=BB21_102 Depth=2
	global_load_dword v27, v[4:5], off
.LBB21_104:                             ;   in Loop: Header=BB21_102 Depth=2
	s_or_b64 exec, exec, s[22:23]
	s_and_saveexec_b64 s[22:23], vcc
	s_cbranch_execz .LBB21_101
; %bb.105:                              ;   in Loop: Header=BB21_102 Depth=2
	s_waitcnt vmcnt(0)
	v_xor_b32_e32 v8, 0x80000000, v27
	v_and_b32_e32 v8, s89, v8
	v_cmp_eq_u32_e32 vcc, s94, v8
	s_and_b64 exec, exec, vcc
	s_cbranch_execz .LBB21_101
; %bb.106:                              ;   in Loop: Header=BB21_102 Depth=2
	ds_write_b64 v13, v[26:27] offset:3072
	s_branch .LBB21_101
.LBB21_107:                             ;   in Loop: Header=BB21_17 Depth=1
	s_mov_b64 s[0:1], -1
                                        ; implicit-def: $sgpr2_sgpr3
                                        ; implicit-def: $sgpr22_sgpr23
                                        ; implicit-def: $sgpr8_sgpr9
	s_branch .LBB21_124
.LBB21_108:                             ;   in Loop: Header=BB21_17 Depth=1
	s_mov_b64 s[2:3], -1
	s_mov_b64 s[0:1], 0
                                        ; implicit-def: $sgpr8_sgpr9
                                        ; implicit-def: $vgpr29
	s_mov_b64 s[22:23], s[2:3]
	s_cbranch_execnz .LBB21_111
	s_branch .LBB21_124
.LBB21_109:                             ;   in Loop: Header=BB21_17 Depth=1
	s_or_b64 exec, exec, s[0:1]
	s_and_b64 s[0:1], s[8:9], exec
.LBB21_110:                             ;   in Loop: Header=BB21_17 Depth=1
	s_or_b64 exec, exec, s[2:3]
	s_mov_b64 s[8:9], -1
	s_mov_b64 s[2:3], 0
	s_mov_b64 s[22:23], s[2:3]
	s_branch .LBB21_124
.LBB21_111:                             ;   in Loop: Header=BB21_17 Depth=1
	v_readlane_b32 s0, v52, 34
	s_add_u32 s8, s0, s12
	v_readlane_b32 s0, v52, 35
	s_addc_u32 s1, s0, s13
	s_mov_b32 s0, s83
	s_cmp_lg_u64 s[0:1], 0
	s_cbranch_scc0 .LBB21_154
; %bb.112:                              ;   in Loop: Header=BB21_17 Depth=1
	v_cvt_f32_u32_e32 v2, s33
	s_sub_u32 s0, 0, s33
	s_subb_u32 s2, 0, 0
	v_mac_f32_e32 v2, 0x4f800000, v46
	v_rcp_f32_e32 v2, v2
	v_mul_f32_e32 v2, 0x5f7ffffc, v2
	v_mul_f32_e32 v3, 0x2f800000, v2
	v_trunc_f32_e32 v3, v3
	v_mac_f32_e32 v2, 0xcf800000, v3
	v_cvt_u32_f32_e32 v3, v3
	v_cvt_u32_f32_e32 v2, v2
	v_readfirstlane_b32 s3, v3
	v_readfirstlane_b32 s9, v2
	s_mul_i32 s22, s0, s3
	s_mul_hi_u32 s24, s0, s9
	s_mul_i32 s23, s2, s9
	s_add_i32 s22, s24, s22
	s_mul_i32 s25, s0, s9
	s_add_i32 s22, s22, s23
	s_mul_hi_u32 s24, s9, s25
	s_mul_hi_u32 s23, s9, s22
	s_mul_i32 s9, s9, s22
	s_add_u32 s9, s24, s9
	s_addc_u32 s23, 0, s23
	s_mul_hi_u32 s30, s3, s25
	s_mul_i32 s25, s3, s25
	s_add_u32 s9, s9, s25
	s_mul_hi_u32 s24, s3, s22
	s_addc_u32 s9, s23, s30
	s_addc_u32 s23, s24, 0
	s_mul_i32 s22, s3, s22
	s_add_u32 s9, s9, s22
	s_addc_u32 s22, 0, s23
	v_add_co_u32_e32 v2, vcc, s9, v2
	s_cmp_lg_u64 vcc, 0
	s_addc_u32 s3, s3, s22
	v_readfirstlane_b32 s22, v2
	s_mul_i32 s9, s0, s3
	s_mul_hi_u32 s23, s0, s22
	s_add_i32 s9, s23, s9
	s_mul_i32 s2, s2, s22
	s_add_i32 s9, s9, s2
	s_mul_i32 s0, s0, s22
	s_mul_hi_u32 s23, s3, s0
	s_mul_i32 s24, s3, s0
	s_mul_i32 s30, s22, s9
	s_mul_hi_u32 s0, s22, s0
	s_mul_hi_u32 s25, s22, s9
	s_add_u32 s0, s0, s30
	s_addc_u32 s22, 0, s25
	s_add_u32 s0, s0, s24
	s_mul_hi_u32 s2, s3, s9
	s_addc_u32 s0, s22, s23
	s_addc_u32 s2, s2, 0
	s_mul_i32 s9, s3, s9
	s_add_u32 s0, s0, s9
	s_addc_u32 s2, 0, s2
	v_add_co_u32_e32 v2, vcc, s0, v2
	s_cmp_lg_u64 vcc, 0
	s_addc_u32 s0, s3, s2
	s_ashr_i32 s2, s1, 31
	s_add_u32 s22, s8, s2
	s_mov_b32 s3, s2
	s_addc_u32 s23, s1, s2
	s_xor_b64 s[22:23], s[22:23], s[2:3]
	v_readfirstlane_b32 s24, v2
	s_mul_i32 s9, s22, s0
	s_mul_hi_u32 s25, s22, s24
	s_mul_hi_u32 s3, s22, s0
	s_add_u32 s9, s25, s9
	s_addc_u32 s3, 0, s3
	s_mul_hi_u32 s30, s23, s24
	s_mul_i32 s24, s23, s24
	s_add_u32 s9, s9, s24
	s_mul_hi_u32 s25, s23, s0
	s_addc_u32 s3, s3, s30
	s_addc_u32 s9, s25, 0
	s_mul_i32 s0, s23, s0
	s_add_u32 s0, s3, s0
	s_addc_u32 s3, 0, s9
	s_mul_hi_u32 s9, s33, s0
	s_mul_i32 s0, s33, s0
	s_mul_i32 s3, s33, s3
	v_mov_b32_e32 v2, s0
	s_add_i32 s9, s9, s3
	v_sub_co_u32_e32 v2, vcc, s22, v2
	s_cmp_lg_u64 vcc, 0
	s_subb_u32 s0, s23, s9
	v_subrev_co_u32_e32 v3, vcc, s33, v2
	s_cmp_lg_u64 vcc, 0
	s_subb_u32 s3, s0, 0
	v_subrev_co_u32_e32 v4, vcc, s33, v3
	s_cmp_lg_u64 vcc, 0
	s_subb_u32 s9, s3, 0
	v_cmp_le_u32_e32 vcc, s33, v3
	s_cmp_eq_u32 s3, 0
	v_cndmask_b32_e64 v5, 0, -1, vcc
	s_cselect_b64 vcc, -1, 0
	v_cndmask_b32_e32 v5, -1, v5, vcc
	v_mov_b32_e32 v6, s3
	v_mov_b32_e32 v7, s9
	v_cmp_ne_u32_e32 vcc, 0, v5
	v_cndmask_b32_e32 v5, v6, v7, vcc
	v_cndmask_b32_e32 v3, v3, v4, vcc
	v_cmp_le_u32_e32 vcc, s33, v2
	s_cmp_eq_u32 s0, 0
	v_cndmask_b32_e64 v4, 0, -1, vcc
	s_cselect_b64 vcc, -1, 0
	v_cndmask_b32_e32 v4, -1, v4, vcc
	v_cmp_ne_u32_e32 vcc, 0, v4
	v_mov_b32_e32 v6, s0
	v_cndmask_b32_e32 v2, v2, v3, vcc
	v_cndmask_b32_e32 v4, v6, v5, vcc
	v_xor_b32_e32 v2, s2, v2
	v_xor_b32_e32 v3, s2, v4
	v_mov_b32_e32 v4, s2
	v_subrev_co_u32_e32 v2, vcc, s2, v2
	v_subb_co_u32_e32 v3, vcc, v3, v4, vcc
	s_cbranch_execnz .LBB21_114
.LBB21_113:                             ;   in Loop: Header=BB21_17 Depth=1
	v_cvt_f32_u32_e32 v2, s33
	s_sub_i32 s0, 0, s33
	v_rcp_iflag_f32_e32 v2, v2
	v_mul_f32_e32 v2, 0x4f7ffffe, v2
	v_cvt_u32_f32_e32 v2, v2
	v_mul_lo_u32 v3, s0, v2
	v_mul_hi_u32 v3, v2, v3
	v_add_u32_e32 v2, v2, v3
	v_mul_hi_u32 v2, s8, v2
	v_mul_lo_u32 v2, v2, s33
	v_sub_u32_e32 v2, s8, v2
	v_subrev_u32_e32 v3, s33, v2
	v_cmp_le_u32_e32 vcc, s33, v2
	v_cndmask_b32_e32 v2, v2, v3, vcc
	v_subrev_u32_e32 v3, s33, v2
	v_cmp_le_u32_e32 vcc, s33, v2
	v_cndmask_b32_e32 v12, v2, v3, vcc
	v_pk_mov_b32 v[2:3], v[12:13], v[12:13] op_sel:[0,1]
.LBB21_114:                             ;   in Loop: Header=BB21_17 Depth=1
	v_mov_b32_e32 v4, s1
	v_sub_co_u32_e32 v2, vcc, s8, v2
	v_subb_co_u32_e32 v3, vcc, v4, v3, vcc
	v_cmp_gt_i64_e32 vcc, v[2:3], v[0:1]
	s_mov_b64 s[0:1], 0
                                        ; implicit-def: $vgpr29
	s_and_saveexec_b64 s[2:3], vcc
	s_cbranch_execz .LBB21_123
; %bb.115:                              ;   in Loop: Header=BB21_17 Depth=1
	v_mov_b32_e32 v6, v14
	v_pk_mov_b32 v[4:5], v[0:1], v[0:1] op_sel:[0,1]
                                        ; implicit-def: $sgpr8_sgpr9
	s_branch .LBB21_117
.LBB21_116:                             ;   in Loop: Header=BB21_117 Depth=2
	s_or_b64 exec, exec, s[22:23]
	s_waitcnt lgkmcnt(0)
	s_barrier
	ds_read_b64 v[28:29], v13 offset:3072
	v_mov_b32_e32 v7, s28
	v_add_co_u32_e32 v4, vcc, s33, v4
	v_addc_co_u32_e32 v5, vcc, v5, v7, vcc
	s_waitcnt lgkmcnt(0)
	v_readfirstlane_b32 s22, v28
	s_cmp_lg_u32 s22, 0
	s_cselect_b64 s[22:23], -1, 0
	v_cmp_ge_i64_e32 vcc, v[4:5], v[2:3]
	s_or_b64 s[24:25], s[22:23], vcc
	s_and_b64 s[24:25], exec, s[24:25]
	s_or_b64 s[0:1], s[24:25], s[0:1]
	s_andn2_b64 s[8:9], s[8:9], exec
	s_and_b64 s[22:23], s[22:23], exec
	v_add_u32_e32 v6, s67, v6
	s_or_b64 s[8:9], s[8:9], s[22:23]
	s_barrier
	s_andn2_b64 exec, exec, s[0:1]
	s_cbranch_execz .LBB21_122
.LBB21_117:                             ;   Parent Loop BB21_17 Depth=1
                                        ; =>  This Inner Loop Header: Depth=2
	v_cmp_gt_i64_e32 vcc, s[12:13], v[4:5]
	s_waitcnt vmcnt(0)
	v_mov_b32_e32 v27, 0
	s_and_saveexec_b64 s[22:23], vcc
	s_cbranch_execz .LBB21_119
; %bb.118:                              ;   in Loop: Header=BB21_117 Depth=2
	ds_read_b32 v27, v6
.LBB21_119:                             ;   in Loop: Header=BB21_117 Depth=2
	s_or_b64 exec, exec, s[22:23]
	s_and_saveexec_b64 s[22:23], vcc
	s_cbranch_execz .LBB21_116
; %bb.120:                              ;   in Loop: Header=BB21_117 Depth=2
	s_waitcnt lgkmcnt(0)
	v_xor_b32_e32 v7, 0x80000000, v27
	v_and_b32_e32 v7, s89, v7
	v_cmp_eq_u32_e32 vcc, s94, v7
	s_and_b64 exec, exec, vcc
	s_cbranch_execz .LBB21_116
; %bb.121:                              ;   in Loop: Header=BB21_117 Depth=2
	ds_write_b64 v13, v[26:27] offset:3072
	s_branch .LBB21_116
.LBB21_122:                             ;   in Loop: Header=BB21_17 Depth=1
	s_or_b64 exec, exec, s[0:1]
	s_and_b64 s[0:1], s[8:9], exec
.LBB21_123:                             ;   in Loop: Header=BB21_17 Depth=1
	s_or_b64 exec, exec, s[2:3]
	s_mov_b64 s[22:23], -1
	s_mov_b64 s[2:3], 0
	s_mov_b64 s[8:9], 0
.LBB21_124:                             ;   in Loop: Header=BB21_17 Depth=1
	s_andn2_b64 s[10:11], s[10:11], exec
	s_and_b64 s[2:3], s[2:3], exec
	s_or_b64 s[10:11], s[10:11], s[2:3]
	s_andn2_b64 s[2:3], s[70:71], exec
	s_and_b64 s[12:13], s[22:23], exec
	s_or_b64 s[70:71], s[2:3], s[12:13]
	;; [unrolled: 3-line block ×3, first 2 shown]
	s_and_saveexec_b64 s[12:13], s[0:1]
	s_cbranch_execz .LBB21_16
; %bb.125:                              ;   in Loop: Header=BB21_17 Depth=1
	s_xor_b64 s[0:1], s[20:21], -1
	s_andn2_b64 vcc, exec, s[0:1]
	s_mov_b32 s47, 1
	s_cbranch_vccnz .LBB21_136
; %bb.126:                              ;   in Loop: Header=BB21_17 Depth=1
	v_pk_mov_b32 v[2:3], s[14:15], s[14:15] op_sel:[0,1]
	v_cmp_gt_i64_e32 vcc, s[58:59], v[2:3]
	s_mov_b64 s[0:1], -1
                                        ; implicit-def: $sgpr47
                                        ; implicit-def: $sgpr2
                                        ; implicit-def: $sgpr3
	s_cbranch_vccnz .LBB21_132
; %bb.127:                              ;   in Loop: Header=BB21_17 Depth=1
	ds_read_b64 v[2:3], v13 offset:5120
	s_waitcnt lgkmcnt(0)
	v_cmp_ne_u64_e32 vcc, 0, v[2:3]
	s_cbranch_vccnz .LBB21_131
; %bb.128:                              ;   in Loop: Header=BB21_17 Depth=1
	s_mov_b64 s[0:1], exec
	v_readlane_b32 s2, v52, 12
	v_readlane_b32 s3, v52, 13
	s_and_b64 s[2:3], s[0:1], s[2:3]
	s_mov_b64 exec, s[2:3]
	s_cbranch_execz .LBB21_130
; %bb.129:                              ;   in Loop: Header=BB21_17 Depth=1
	v_pk_mov_b32 v[2:3], s[14:15], s[14:15] op_sel:[0,1]
	ds_write_b64 v13, v[2:3] offset:5128
.LBB21_130:                             ;   in Loop: Header=BB21_17 Depth=1
	s_or_b64 exec, exec, s[0:1]
	s_waitcnt lgkmcnt(0)
	s_barrier
.LBB21_131:                             ;   in Loop: Header=BB21_17 Depth=1
	s_and_b32 s2, s94, s41
	s_or_b32 s3, s89, s46
	s_mov_b64 s[0:1], 0
	s_mov_b32 s47, 8
.LBB21_132:                             ;   in Loop: Header=BB21_17 Depth=1
	s_andn2_b64 vcc, exec, s[0:1]
	s_cbranch_vccnz .LBB21_134
; %bb.133:                              ;   in Loop: Header=BB21_17 Depth=1
	s_sub_u32 s58, s58, s14
	s_subb_u32 s59, s59, s15
	s_mov_b64 s[0:1], -1
	s_mov_b32 s47, 0
	s_mov_b32 s2, s94
	;; [unrolled: 1-line block ×3, first 2 shown]
.LBB21_134:                             ;   in Loop: Header=BB21_17 Depth=1
	s_mov_b32 s89, s3
	s_mov_b32 s94, s2
	s_mov_b64 s[14:15], -1
	s_and_b64 vcc, exec, s[0:1]
	s_cbranch_vccnz .LBB21_137
.LBB21_135:                             ;   in Loop: Header=BB21_17 Depth=1
	s_mov_b64 s[2:3], -1
                                        ; implicit-def: $sgpr18_sgpr19
                                        ; implicit-def: $sgpr22_sgpr23
                                        ; implicit-def: $sgpr20_sgpr21
	s_and_saveexec_b64 s[0:1], s[2:3]
	s_xor_b64 s[0:1], exec, s[0:1]
	s_cbranch_execz .LBB21_15
	s_branch .LBB21_283
.LBB21_136:                             ;   in Loop: Header=BB21_17 Depth=1
	s_mov_b64 s[58:59], 1
	s_mov_b64 s[14:15], -1
	s_branch .LBB21_135
.LBB21_137:                             ;   in Loop: Header=BB21_17 Depth=1
	s_cmp_eq_u64 s[26:27], 1
	s_cselect_b64 s[0:1], -1, 0
	s_cmp_eq_u64 s[58:59], 1
	s_cselect_b64 s[2:3], -1, 0
	s_and_b64 s[30:31], s[0:1], s[2:3]
	s_mov_b64 s[0:1], -1
	s_and_b64 vcc, exec, s[30:31]
	s_cbranch_vccz .LBB21_152
; %bb.138:                              ;   in Loop: Header=BB21_17 Depth=1
	ds_read_b64 v[2:3], v13 offset:5120
	s_waitcnt lgkmcnt(0)
	s_barrier
	v_readfirstlane_b32 s24, v2
	v_readfirstlane_b32 s25, v3
	s_mov_b64 s[0:1], exec
	v_readlane_b32 s2, v52, 24
	v_readlane_b32 s3, v52, 25
	s_and_b64 s[2:3], s[0:1], s[2:3]
	s_mov_b64 exec, s[2:3]
	s_cbranch_execz .LBB21_140
; %bb.139:                              ;   in Loop: Header=BB21_17 Depth=1
	ds_write_b32 v39, v13
.LBB21_140:                             ;   in Loop: Header=BB21_17 Depth=1
	s_or_b64 exec, exec, s[0:1]
	s_lshl_b32 s0, 1, s40
	s_and_b32 s1, s94, s41
	s_or_b32 s94, s1, s0
	v_cmp_gt_i64_e64 s[0:1], s[24:25], 0
	s_or_b32 s89, s89, s46
	s_and_b64 vcc, exec, s[0:1]
	s_waitcnt lgkmcnt(0)
	s_barrier
	s_cbranch_vccnz .LBB21_155
; %bb.141:                              ;   in Loop: Header=BB21_17 Depth=1
	s_mov_b32 s92, s83
	s_cmp_lg_u64 s[92:93], 0
	s_cbranch_scc0 .LBB21_200
; %bb.142:                              ;   in Loop: Header=BB21_17 Depth=1
	v_cvt_f32_u32_e32 v2, s33
	s_sub_u32 s0, 0, s33
	s_subb_u32 s1, 0, 0
	v_mac_f32_e32 v2, 0x4f800000, v46
	v_rcp_f32_e32 v2, v2
	v_mul_f32_e32 v2, 0x5f7ffffc, v2
	v_mul_f32_e32 v3, 0x2f800000, v2
	v_trunc_f32_e32 v3, v3
	v_mac_f32_e32 v2, 0xcf800000, v3
	v_cvt_u32_f32_e32 v3, v3
	v_cvt_u32_f32_e32 v2, v2
	v_readfirstlane_b32 s2, v3
	v_readfirstlane_b32 s3, v2
	s_mul_i32 s8, s0, s2
	s_mul_hi_u32 s18, s0, s3
	s_mul_i32 s9, s1, s3
	s_add_i32 s8, s18, s8
	s_mul_i32 s19, s0, s3
	s_add_i32 s8, s8, s9
	s_mul_hi_u32 s18, s3, s19
	s_mul_hi_u32 s9, s3, s8
	s_mul_i32 s3, s3, s8
	s_add_u32 s3, s18, s3
	s_addc_u32 s9, 0, s9
	s_mul_hi_u32 s20, s2, s19
	s_mul_i32 s19, s2, s19
	s_add_u32 s3, s3, s19
	s_mul_hi_u32 s18, s2, s8
	s_addc_u32 s3, s9, s20
	s_addc_u32 s9, s18, 0
	s_mul_i32 s8, s2, s8
	s_add_u32 s3, s3, s8
	s_addc_u32 s8, 0, s9
	v_add_co_u32_e32 v2, vcc, s3, v2
	s_cmp_lg_u64 vcc, 0
	s_addc_u32 s2, s2, s8
	v_readfirstlane_b32 s8, v2
	s_mul_i32 s3, s0, s2
	s_mul_hi_u32 s9, s0, s8
	s_add_i32 s3, s9, s3
	s_mul_i32 s1, s1, s8
	s_add_i32 s3, s3, s1
	s_mul_i32 s0, s0, s8
	s_mul_hi_u32 s9, s2, s0
	s_mul_i32 s18, s2, s0
	s_mul_i32 s20, s8, s3
	s_mul_hi_u32 s0, s8, s0
	s_mul_hi_u32 s19, s8, s3
	s_add_u32 s0, s0, s20
	s_addc_u32 s8, 0, s19
	s_add_u32 s0, s0, s18
	s_mul_hi_u32 s1, s2, s3
	s_addc_u32 s0, s8, s9
	s_addc_u32 s1, s1, 0
	s_mul_i32 s3, s2, s3
	s_add_u32 s0, s0, s3
	s_addc_u32 s1, 0, s1
	v_add_co_u32_e32 v2, vcc, s0, v2
	s_cmp_lg_u64 vcc, 0
	s_addc_u32 s8, s2, s1
	s_ashr_i32 s0, s93, 31
	s_add_u32 s2, s95, s0
	s_mov_b32 s1, s0
	s_addc_u32 s3, s93, s0
	s_xor_b64 s[2:3], s[2:3], s[0:1]
	v_readfirstlane_b32 s18, v2
	s_mul_i32 s9, s2, s8
	s_mul_hi_u32 s19, s2, s18
	s_mul_hi_u32 s1, s2, s8
	s_add_u32 s9, s19, s9
	s_addc_u32 s1, 0, s1
	s_mul_hi_u32 s20, s3, s18
	s_mul_i32 s18, s3, s18
	s_add_u32 s9, s9, s18
	s_mul_hi_u32 s19, s3, s8
	s_addc_u32 s1, s1, s20
	s_addc_u32 s9, s19, 0
	s_mul_i32 s8, s3, s8
	s_add_u32 s1, s1, s8
	s_addc_u32 s8, 0, s9
	s_mul_hi_u32 s9, s33, s1
	s_mul_i32 s1, s33, s1
	s_mul_i32 s8, s33, s8
	v_mov_b32_e32 v2, s1
	s_add_i32 s9, s9, s8
	v_sub_co_u32_e32 v2, vcc, s2, v2
	s_cmp_lg_u64 vcc, 0
	s_subb_u32 s1, s3, s9
	v_subrev_co_u32_e32 v3, vcc, s33, v2
	s_cmp_lg_u64 vcc, 0
	s_subb_u32 s2, s1, 0
	v_subrev_co_u32_e32 v4, vcc, s33, v3
	s_cmp_lg_u64 vcc, 0
	s_subb_u32 s3, s2, 0
	v_cmp_le_u32_e32 vcc, s33, v3
	s_cmp_eq_u32 s2, 0
	v_cndmask_b32_e64 v5, 0, -1, vcc
	s_cselect_b64 vcc, -1, 0
	v_cndmask_b32_e32 v5, -1, v5, vcc
	v_mov_b32_e32 v6, s2
	v_mov_b32_e32 v7, s3
	v_cmp_ne_u32_e32 vcc, 0, v5
	v_cndmask_b32_e32 v5, v6, v7, vcc
	v_cndmask_b32_e32 v3, v3, v4, vcc
	v_cmp_le_u32_e32 vcc, s33, v2
	s_cmp_eq_u32 s1, 0
	v_cndmask_b32_e64 v4, 0, -1, vcc
	s_cselect_b64 vcc, -1, 0
	v_cndmask_b32_e32 v4, -1, v4, vcc
	v_cmp_ne_u32_e32 vcc, 0, v4
	v_mov_b32_e32 v6, s1
	v_cndmask_b32_e32 v2, v2, v3, vcc
	v_cndmask_b32_e32 v4, v6, v5, vcc
	v_xor_b32_e32 v2, s0, v2
	v_xor_b32_e32 v3, s0, v4
	v_mov_b32_e32 v4, s0
	v_subrev_co_u32_e32 v2, vcc, s0, v2
	v_subb_co_u32_e32 v3, vcc, v3, v4, vcc
	s_cbranch_execnz .LBB21_144
.LBB21_143:                             ;   in Loop: Header=BB21_17 Depth=1
	v_cvt_f32_u32_e32 v2, s33
	s_sub_i32 s0, 0, s33
	v_rcp_iflag_f32_e32 v2, v2
	v_mul_f32_e32 v2, 0x4f7ffffe, v2
	v_cvt_u32_f32_e32 v2, v2
	v_mul_lo_u32 v3, s0, v2
	v_mul_hi_u32 v3, v2, v3
	v_add_u32_e32 v2, v2, v3
	s_mov_b32 s0, s95
	v_mul_hi_u32 v2, s0, v2
	v_mul_lo_u32 v2, v2, s33
	v_sub_u32_e32 v2, s0, v2
	v_subrev_u32_e32 v3, s33, v2
	v_cmp_le_u32_e32 vcc, s33, v2
	v_cndmask_b32_e32 v2, v2, v3, vcc
	v_subrev_u32_e32 v3, s33, v2
	v_cmp_le_u32_e32 vcc, s33, v2
	v_cndmask_b32_e32 v12, v2, v3, vcc
	v_pk_mov_b32 v[2:3], v[12:13], v[12:13] op_sel:[0,1]
.LBB21_144:                             ;   in Loop: Header=BB21_17 Depth=1
	v_mov_b32_e32 v4, s93
	v_sub_co_u32_e32 v2, vcc, s95, v2
	v_subb_co_u32_e32 v3, vcc, v4, v3, vcc
	v_cmp_gt_i64_e32 vcc, v[2:3], v[0:1]
	s_mov_b64 s[0:1], 0
                                        ; implicit-def: $vgpr29
	s_and_saveexec_b64 s[2:3], vcc
	s_cbranch_execz .LBB21_157
; %bb.145:                              ;   in Loop: Header=BB21_17 Depth=1
	v_pk_mov_b32 v[4:5], v[10:11], v[10:11] op_sel:[0,1]
	v_pk_mov_b32 v[6:7], v[0:1], v[0:1] op_sel:[0,1]
                                        ; implicit-def: $sgpr8_sgpr9
	s_branch .LBB21_147
.LBB21_146:                             ;   in Loop: Header=BB21_147 Depth=2
	s_or_b64 exec, exec, s[18:19]
	s_waitcnt lgkmcnt(0)
	s_barrier
	ds_read_b64 v[28:29], v13 offset:3072
	v_mov_b32_e32 v8, s28
	v_add_co_u32_e32 v6, vcc, s33, v6
	v_addc_co_u32_e32 v7, vcc, v7, v8, vcc
	s_waitcnt lgkmcnt(0)
	v_readfirstlane_b32 s18, v28
	s_cmp_lg_u32 s18, 0
	s_cselect_b64 s[18:19], -1, 0
	v_cmp_ge_i64_e32 vcc, v[6:7], v[2:3]
	s_or_b64 s[20:21], s[18:19], vcc
	s_and_b64 s[20:21], exec, s[20:21]
	s_or_b64 s[0:1], s[20:21], s[0:1]
	v_mov_b32_e32 v8, s85
	v_add_co_u32_e32 v4, vcc, s84, v4
	s_andn2_b64 s[8:9], s[8:9], exec
	s_and_b64 s[18:19], s[18:19], exec
	v_addc_co_u32_e32 v5, vcc, v5, v8, vcc
	s_or_b64 s[8:9], s[8:9], s[18:19]
	s_barrier
	s_andn2_b64 exec, exec, s[0:1]
	s_cbranch_execz .LBB21_156
.LBB21_147:                             ;   Parent Loop BB21_17 Depth=1
                                        ; =>  This Inner Loop Header: Depth=2
	v_cmp_gt_i64_e32 vcc, s[56:57], v[6:7]
	s_waitcnt vmcnt(0)
	v_mov_b32_e32 v27, 0
	s_and_saveexec_b64 s[18:19], vcc
	s_cbranch_execz .LBB21_149
; %bb.148:                              ;   in Loop: Header=BB21_147 Depth=2
	global_load_dword v27, v[4:5], off
.LBB21_149:                             ;   in Loop: Header=BB21_147 Depth=2
	s_or_b64 exec, exec, s[18:19]
	s_and_saveexec_b64 s[18:19], vcc
	s_cbranch_execz .LBB21_146
; %bb.150:                              ;   in Loop: Header=BB21_147 Depth=2
	s_waitcnt vmcnt(0)
	v_xor_b32_e32 v8, 0x80000000, v27
	v_and_b32_e32 v8, s89, v8
	v_cmp_eq_u32_e32 vcc, s94, v8
	s_and_b64 exec, exec, vcc
	s_cbranch_execz .LBB21_146
; %bb.151:                              ;   in Loop: Header=BB21_147 Depth=2
	ds_write_b64 v13, v[26:27] offset:3072
	s_branch .LBB21_146
.LBB21_152:                             ;   in Loop: Header=BB21_17 Depth=1
                                        ; implicit-def: $sgpr20_sgpr21
                                        ; implicit-def: $sgpr22_sgpr23
                                        ; implicit-def: $sgpr18_sgpr19
	s_branch .LBB21_171
.LBB21_153:                             ;   in Loop: Header=BB21_17 Depth=1
                                        ; implicit-def: $vgpr2_vgpr3
	s_branch .LBB21_98
.LBB21_154:                             ;   in Loop: Header=BB21_17 Depth=1
                                        ; implicit-def: $vgpr2_vgpr3
	s_branch .LBB21_113
.LBB21_155:                             ;   in Loop: Header=BB21_17 Depth=1
	s_mov_b64 s[20:21], -1
	s_mov_b64 s[0:1], 0
                                        ; implicit-def: $sgpr18_sgpr19
                                        ; implicit-def: $vgpr29
	s_mov_b64 s[22:23], s[20:21]
	s_cbranch_execnz .LBB21_158
	s_branch .LBB21_171
.LBB21_156:                             ;   in Loop: Header=BB21_17 Depth=1
	s_or_b64 exec, exec, s[0:1]
	s_and_b64 s[0:1], s[8:9], exec
.LBB21_157:                             ;   in Loop: Header=BB21_17 Depth=1
	s_or_b64 exec, exec, s[2:3]
	s_mov_b64 s[18:19], -1
	s_mov_b64 s[20:21], 0
	s_mov_b64 s[22:23], s[20:21]
	s_branch .LBB21_171
.LBB21_158:                             ;   in Loop: Header=BB21_17 Depth=1
	v_readlane_b32 s0, v52, 34
	s_add_u32 s8, s0, s24
	v_readlane_b32 s0, v52, 35
	s_addc_u32 s1, s0, s25
	s_mov_b32 s0, s83
	s_cmp_lg_u64 s[0:1], 0
	s_cbranch_scc0 .LBB21_201
; %bb.159:                              ;   in Loop: Header=BB21_17 Depth=1
	v_cvt_f32_u32_e32 v2, s33
	s_sub_u32 s0, 0, s33
	s_subb_u32 s2, 0, 0
	v_mac_f32_e32 v2, 0x4f800000, v46
	v_rcp_f32_e32 v2, v2
	v_mul_f32_e32 v2, 0x5f7ffffc, v2
	v_mul_f32_e32 v3, 0x2f800000, v2
	v_trunc_f32_e32 v3, v3
	v_mac_f32_e32 v2, 0xcf800000, v3
	v_cvt_u32_f32_e32 v3, v3
	v_cvt_u32_f32_e32 v2, v2
	v_readfirstlane_b32 s3, v3
	v_readfirstlane_b32 s9, v2
	s_mul_i32 s18, s0, s3
	s_mul_hi_u32 s20, s0, s9
	s_mul_i32 s19, s2, s9
	s_add_i32 s18, s20, s18
	s_mul_i32 s21, s0, s9
	s_add_i32 s18, s18, s19
	s_mul_hi_u32 s20, s9, s21
	s_mul_hi_u32 s19, s9, s18
	s_mul_i32 s9, s9, s18
	s_add_u32 s9, s20, s9
	s_addc_u32 s19, 0, s19
	s_mul_hi_u32 s22, s3, s21
	s_mul_i32 s21, s3, s21
	s_add_u32 s9, s9, s21
	s_mul_hi_u32 s20, s3, s18
	s_addc_u32 s9, s19, s22
	s_addc_u32 s19, s20, 0
	s_mul_i32 s18, s3, s18
	s_add_u32 s9, s9, s18
	s_addc_u32 s18, 0, s19
	v_add_co_u32_e32 v2, vcc, s9, v2
	s_cmp_lg_u64 vcc, 0
	s_addc_u32 s3, s3, s18
	v_readfirstlane_b32 s18, v2
	s_mul_i32 s9, s0, s3
	s_mul_hi_u32 s19, s0, s18
	s_add_i32 s9, s19, s9
	s_mul_i32 s2, s2, s18
	s_add_i32 s9, s9, s2
	s_mul_i32 s0, s0, s18
	s_mul_hi_u32 s19, s3, s0
	s_mul_i32 s20, s3, s0
	s_mul_i32 s22, s18, s9
	s_mul_hi_u32 s0, s18, s0
	s_mul_hi_u32 s21, s18, s9
	s_add_u32 s0, s0, s22
	s_addc_u32 s18, 0, s21
	s_add_u32 s0, s0, s20
	s_mul_hi_u32 s2, s3, s9
	s_addc_u32 s0, s18, s19
	s_addc_u32 s2, s2, 0
	s_mul_i32 s9, s3, s9
	s_add_u32 s0, s0, s9
	s_addc_u32 s2, 0, s2
	v_add_co_u32_e32 v2, vcc, s0, v2
	s_cmp_lg_u64 vcc, 0
	s_addc_u32 s0, s3, s2
	s_ashr_i32 s2, s1, 31
	s_add_u32 s18, s8, s2
	s_mov_b32 s3, s2
	s_addc_u32 s19, s1, s2
	s_xor_b64 s[18:19], s[18:19], s[2:3]
	v_readfirstlane_b32 s20, v2
	s_mul_i32 s9, s18, s0
	s_mul_hi_u32 s21, s18, s20
	s_mul_hi_u32 s3, s18, s0
	s_add_u32 s9, s21, s9
	s_addc_u32 s3, 0, s3
	s_mul_hi_u32 s22, s19, s20
	s_mul_i32 s20, s19, s20
	s_add_u32 s9, s9, s20
	s_mul_hi_u32 s21, s19, s0
	s_addc_u32 s3, s3, s22
	s_addc_u32 s9, s21, 0
	s_mul_i32 s0, s19, s0
	s_add_u32 s0, s3, s0
	s_addc_u32 s3, 0, s9
	s_mul_hi_u32 s9, s33, s0
	s_mul_i32 s0, s33, s0
	s_mul_i32 s3, s33, s3
	v_mov_b32_e32 v2, s0
	s_add_i32 s9, s9, s3
	v_sub_co_u32_e32 v2, vcc, s18, v2
	s_cmp_lg_u64 vcc, 0
	s_subb_u32 s0, s19, s9
	v_subrev_co_u32_e32 v3, vcc, s33, v2
	s_cmp_lg_u64 vcc, 0
	s_subb_u32 s3, s0, 0
	v_subrev_co_u32_e32 v4, vcc, s33, v3
	s_cmp_lg_u64 vcc, 0
	s_subb_u32 s9, s3, 0
	v_cmp_le_u32_e32 vcc, s33, v3
	s_cmp_eq_u32 s3, 0
	v_cndmask_b32_e64 v5, 0, -1, vcc
	s_cselect_b64 vcc, -1, 0
	v_cndmask_b32_e32 v5, -1, v5, vcc
	v_mov_b32_e32 v6, s3
	v_mov_b32_e32 v7, s9
	v_cmp_ne_u32_e32 vcc, 0, v5
	v_cndmask_b32_e32 v5, v6, v7, vcc
	v_cndmask_b32_e32 v3, v3, v4, vcc
	v_cmp_le_u32_e32 vcc, s33, v2
	s_cmp_eq_u32 s0, 0
	v_cndmask_b32_e64 v4, 0, -1, vcc
	s_cselect_b64 vcc, -1, 0
	v_cndmask_b32_e32 v4, -1, v4, vcc
	v_cmp_ne_u32_e32 vcc, 0, v4
	v_mov_b32_e32 v6, s0
	v_cndmask_b32_e32 v2, v2, v3, vcc
	v_cndmask_b32_e32 v4, v6, v5, vcc
	v_xor_b32_e32 v2, s2, v2
	v_xor_b32_e32 v3, s2, v4
	v_mov_b32_e32 v4, s2
	v_subrev_co_u32_e32 v2, vcc, s2, v2
	v_subb_co_u32_e32 v3, vcc, v3, v4, vcc
	s_cbranch_execnz .LBB21_161
.LBB21_160:                             ;   in Loop: Header=BB21_17 Depth=1
	v_cvt_f32_u32_e32 v2, s33
	s_sub_i32 s0, 0, s33
	v_rcp_iflag_f32_e32 v2, v2
	v_mul_f32_e32 v2, 0x4f7ffffe, v2
	v_cvt_u32_f32_e32 v2, v2
	v_mul_lo_u32 v3, s0, v2
	v_mul_hi_u32 v3, v2, v3
	v_add_u32_e32 v2, v2, v3
	v_mul_hi_u32 v2, s8, v2
	v_mul_lo_u32 v2, v2, s33
	v_sub_u32_e32 v2, s8, v2
	v_subrev_u32_e32 v3, s33, v2
	v_cmp_le_u32_e32 vcc, s33, v2
	v_cndmask_b32_e32 v2, v2, v3, vcc
	v_subrev_u32_e32 v3, s33, v2
	v_cmp_le_u32_e32 vcc, s33, v2
	v_cndmask_b32_e32 v12, v2, v3, vcc
	v_pk_mov_b32 v[2:3], v[12:13], v[12:13] op_sel:[0,1]
.LBB21_161:                             ;   in Loop: Header=BB21_17 Depth=1
	v_mov_b32_e32 v4, s1
	v_sub_co_u32_e32 v2, vcc, s8, v2
	v_subb_co_u32_e32 v3, vcc, v4, v3, vcc
	v_cmp_gt_i64_e32 vcc, v[2:3], v[0:1]
	s_mov_b64 s[0:1], 0
                                        ; implicit-def: $vgpr29
	s_and_saveexec_b64 s[2:3], vcc
	s_cbranch_execz .LBB21_170
; %bb.162:                              ;   in Loop: Header=BB21_17 Depth=1
	v_mov_b32_e32 v6, v14
	v_pk_mov_b32 v[4:5], v[0:1], v[0:1] op_sel:[0,1]
                                        ; implicit-def: $sgpr8_sgpr9
	s_branch .LBB21_164
.LBB21_163:                             ;   in Loop: Header=BB21_164 Depth=2
	s_or_b64 exec, exec, s[18:19]
	s_waitcnt lgkmcnt(0)
	s_barrier
	ds_read_b64 v[28:29], v13 offset:3072
	v_mov_b32_e32 v7, s28
	v_add_co_u32_e32 v4, vcc, s33, v4
	v_addc_co_u32_e32 v5, vcc, v5, v7, vcc
	s_waitcnt lgkmcnt(0)
	v_readfirstlane_b32 s18, v28
	s_cmp_lg_u32 s18, 0
	s_cselect_b64 s[18:19], -1, 0
	v_cmp_ge_i64_e32 vcc, v[4:5], v[2:3]
	s_or_b64 s[20:21], s[18:19], vcc
	s_and_b64 s[20:21], exec, s[20:21]
	s_or_b64 s[0:1], s[20:21], s[0:1]
	s_andn2_b64 s[8:9], s[8:9], exec
	s_and_b64 s[18:19], s[18:19], exec
	v_add_u32_e32 v6, s67, v6
	s_or_b64 s[8:9], s[8:9], s[18:19]
	s_barrier
	s_andn2_b64 exec, exec, s[0:1]
	s_cbranch_execz .LBB21_169
.LBB21_164:                             ;   Parent Loop BB21_17 Depth=1
                                        ; =>  This Inner Loop Header: Depth=2
	v_cmp_gt_i64_e32 vcc, s[24:25], v[4:5]
	s_waitcnt vmcnt(0)
	v_mov_b32_e32 v27, 0
	s_and_saveexec_b64 s[18:19], vcc
	s_cbranch_execz .LBB21_166
; %bb.165:                              ;   in Loop: Header=BB21_164 Depth=2
	ds_read_b32 v27, v6
.LBB21_166:                             ;   in Loop: Header=BB21_164 Depth=2
	s_or_b64 exec, exec, s[18:19]
	s_and_saveexec_b64 s[18:19], vcc
	s_cbranch_execz .LBB21_163
; %bb.167:                              ;   in Loop: Header=BB21_164 Depth=2
	s_waitcnt lgkmcnt(0)
	v_xor_b32_e32 v7, 0x80000000, v27
	v_and_b32_e32 v7, s89, v7
	v_cmp_eq_u32_e32 vcc, s94, v7
	s_and_b64 exec, exec, vcc
	s_cbranch_execz .LBB21_163
; %bb.168:                              ;   in Loop: Header=BB21_164 Depth=2
	ds_write_b64 v13, v[26:27] offset:3072
	s_branch .LBB21_163
.LBB21_169:                             ;   in Loop: Header=BB21_17 Depth=1
	s_or_b64 exec, exec, s[0:1]
	s_and_b64 s[0:1], s[8:9], exec
.LBB21_170:                             ;   in Loop: Header=BB21_17 Depth=1
	s_or_b64 exec, exec, s[2:3]
	s_mov_b64 s[22:23], -1
	s_mov_b64 s[20:21], 0
	s_mov_b64 s[18:19], 0
.LBB21_171:                             ;   in Loop: Header=BB21_17 Depth=1
	s_mov_b64 s[2:3], 0
                                        ; implicit-def: $sgpr47
	s_and_saveexec_b64 s[24:25], s[0:1]
	s_cbranch_execz .LBB21_282
; %bb.172:                              ;   in Loop: Header=BB21_17 Depth=1
	s_xor_b64 s[0:1], s[30:31], -1
	s_andn2_b64 vcc, exec, s[0:1]
	s_mov_b32 s47, 1
	s_cbranch_vccnz .LBB21_183
; %bb.173:                              ;   in Loop: Header=BB21_17 Depth=1
	v_pk_mov_b32 v[2:3], s[26:27], s[26:27] op_sel:[0,1]
	v_cmp_gt_i64_e32 vcc, s[58:59], v[2:3]
	s_mov_b64 s[0:1], -1
                                        ; implicit-def: $sgpr47
                                        ; implicit-def: $sgpr2
                                        ; implicit-def: $sgpr3
	s_cbranch_vccnz .LBB21_179
; %bb.174:                              ;   in Loop: Header=BB21_17 Depth=1
	ds_read_b64 v[2:3], v13 offset:5120
	s_waitcnt lgkmcnt(0)
	v_cmp_ne_u64_e32 vcc, 0, v[2:3]
	s_cbranch_vccnz .LBB21_178
; %bb.175:                              ;   in Loop: Header=BB21_17 Depth=1
	s_mov_b64 s[0:1], exec
	v_readlane_b32 s2, v52, 12
	v_readlane_b32 s3, v52, 13
	s_and_b64 s[2:3], s[0:1], s[2:3]
	s_mov_b64 exec, s[2:3]
	s_cbranch_execz .LBB21_177
; %bb.176:                              ;   in Loop: Header=BB21_17 Depth=1
	v_pk_mov_b32 v[2:3], s[26:27], s[26:27] op_sel:[0,1]
	ds_write_b64 v13, v[2:3] offset:5128
.LBB21_177:                             ;   in Loop: Header=BB21_17 Depth=1
	s_or_b64 exec, exec, s[0:1]
	s_waitcnt lgkmcnt(0)
	s_barrier
.LBB21_178:                             ;   in Loop: Header=BB21_17 Depth=1
	s_lshl_b32 s0, 1, s40
	s_and_b32 s1, s94, s41
	s_or_b32 s2, s1, s0
	s_or_b32 s3, s89, s46
	s_mov_b64 s[0:1], 0
	s_mov_b32 s47, 8
.LBB21_179:                             ;   in Loop: Header=BB21_17 Depth=1
	s_andn2_b64 vcc, exec, s[0:1]
	s_cbranch_vccnz .LBB21_181
; %bb.180:                              ;   in Loop: Header=BB21_17 Depth=1
	s_sub_u32 s58, s58, s26
	s_subb_u32 s59, s59, s27
	s_mov_b64 s[0:1], -1
	s_mov_b32 s47, 0
	s_mov_b32 s2, s94
	;; [unrolled: 1-line block ×3, first 2 shown]
.LBB21_181:                             ;   in Loop: Header=BB21_17 Depth=1
	s_mov_b32 s89, s3
	s_mov_b32 s94, s2
	s_andn2_b64 vcc, exec, s[0:1]
	s_mov_b64 s[2:3], -1
	s_cbranch_vccz .LBB21_184
.LBB21_182:                             ;   in Loop: Header=BB21_17 Depth=1
                                        ; implicit-def: $sgpr30_sgpr31
                                        ; implicit-def: $sgpr34_sgpr35
                                        ; implicit-def: $sgpr26_sgpr27
	s_branch .LBB21_281
.LBB21_183:                             ;   in Loop: Header=BB21_17 Depth=1
	s_mov_b64 s[58:59], 1
	s_mov_b64 s[2:3], -1
	s_cbranch_execnz .LBB21_182
.LBB21_184:                             ;   in Loop: Header=BB21_17 Depth=1
	s_cmp_eq_u64 s[16:17], 1
	s_cselect_b64 s[0:1], -1, 0
	s_cmp_eq_u64 s[58:59], 1
	s_cselect_b64 s[2:3], -1, 0
	s_and_b64 s[38:39], s[0:1], s[2:3]
	s_mov_b64 s[0:1], -1
	s_and_b64 vcc, exec, s[38:39]
	s_cbranch_vccz .LBB21_199
; %bb.185:                              ;   in Loop: Header=BB21_17 Depth=1
	ds_read_b64 v[2:3], v13 offset:5120
	s_waitcnt lgkmcnt(0)
	s_barrier
	v_readfirstlane_b32 s36, v2
	v_readfirstlane_b32 s37, v3
	s_mov_b64 s[0:1], exec
	v_readlane_b32 s2, v52, 24
	v_readlane_b32 s3, v52, 25
	s_and_b64 s[2:3], s[0:1], s[2:3]
	s_mov_b64 exec, s[2:3]
	s_cbranch_execz .LBB21_187
; %bb.186:                              ;   in Loop: Header=BB21_17 Depth=1
	ds_write_b32 v39, v13
.LBB21_187:                             ;   in Loop: Header=BB21_17 Depth=1
	s_or_b64 exec, exec, s[0:1]
	s_lshl_b32 s0, 2, s40
	s_and_b32 s1, s94, s41
	s_or_b32 s94, s1, s0
	v_cmp_gt_i64_e64 s[0:1], s[36:37], 0
	s_or_b32 s89, s89, s46
	s_and_b64 vcc, exec, s[0:1]
	s_waitcnt lgkmcnt(0)
	s_barrier
	s_cbranch_vccnz .LBB21_202
; %bb.188:                              ;   in Loop: Header=BB21_17 Depth=1
	s_mov_b32 s92, s83
	s_cmp_lg_u64 s[92:93], 0
	s_cbranch_scc0 .LBB21_247
; %bb.189:                              ;   in Loop: Header=BB21_17 Depth=1
	v_cvt_f32_u32_e32 v2, s33
	s_sub_u32 s0, 0, s33
	s_subb_u32 s1, 0, 0
	v_mac_f32_e32 v2, 0x4f800000, v46
	v_rcp_f32_e32 v2, v2
	v_mul_f32_e32 v2, 0x5f7ffffc, v2
	v_mul_f32_e32 v3, 0x2f800000, v2
	v_trunc_f32_e32 v3, v3
	v_mac_f32_e32 v2, 0xcf800000, v3
	v_cvt_u32_f32_e32 v3, v3
	v_cvt_u32_f32_e32 v2, v2
	v_readfirstlane_b32 s2, v3
	v_readfirstlane_b32 s3, v2
	s_mul_i32 s8, s0, s2
	s_mul_hi_u32 s26, s0, s3
	s_mul_i32 s9, s1, s3
	s_add_i32 s8, s26, s8
	s_mul_i32 s27, s0, s3
	s_add_i32 s8, s8, s9
	s_mul_hi_u32 s26, s3, s27
	s_mul_hi_u32 s9, s3, s8
	s_mul_i32 s3, s3, s8
	s_add_u32 s3, s26, s3
	s_addc_u32 s9, 0, s9
	s_mul_hi_u32 s30, s2, s27
	s_mul_i32 s27, s2, s27
	s_add_u32 s3, s3, s27
	s_mul_hi_u32 s26, s2, s8
	s_addc_u32 s3, s9, s30
	s_addc_u32 s9, s26, 0
	s_mul_i32 s8, s2, s8
	s_add_u32 s3, s3, s8
	s_addc_u32 s8, 0, s9
	v_add_co_u32_e32 v2, vcc, s3, v2
	s_cmp_lg_u64 vcc, 0
	s_addc_u32 s2, s2, s8
	v_readfirstlane_b32 s8, v2
	s_mul_i32 s3, s0, s2
	s_mul_hi_u32 s9, s0, s8
	s_add_i32 s3, s9, s3
	s_mul_i32 s1, s1, s8
	s_add_i32 s3, s3, s1
	s_mul_i32 s0, s0, s8
	s_mul_hi_u32 s9, s2, s0
	s_mul_i32 s26, s2, s0
	s_mul_i32 s30, s8, s3
	s_mul_hi_u32 s0, s8, s0
	s_mul_hi_u32 s27, s8, s3
	s_add_u32 s0, s0, s30
	s_addc_u32 s8, 0, s27
	s_add_u32 s0, s0, s26
	s_mul_hi_u32 s1, s2, s3
	s_addc_u32 s0, s8, s9
	s_addc_u32 s1, s1, 0
	s_mul_i32 s3, s2, s3
	s_add_u32 s0, s0, s3
	s_addc_u32 s1, 0, s1
	v_add_co_u32_e32 v2, vcc, s0, v2
	s_cmp_lg_u64 vcc, 0
	s_addc_u32 s8, s2, s1
	s_ashr_i32 s0, s93, 31
	s_add_u32 s2, s95, s0
	s_mov_b32 s1, s0
	s_addc_u32 s3, s93, s0
	s_xor_b64 s[2:3], s[2:3], s[0:1]
	v_readfirstlane_b32 s26, v2
	s_mul_i32 s9, s2, s8
	s_mul_hi_u32 s27, s2, s26
	s_mul_hi_u32 s1, s2, s8
	s_add_u32 s9, s27, s9
	s_addc_u32 s1, 0, s1
	s_mul_hi_u32 s30, s3, s26
	s_mul_i32 s26, s3, s26
	s_add_u32 s9, s9, s26
	s_mul_hi_u32 s27, s3, s8
	s_addc_u32 s1, s1, s30
	s_addc_u32 s9, s27, 0
	s_mul_i32 s8, s3, s8
	s_add_u32 s1, s1, s8
	s_addc_u32 s8, 0, s9
	s_mul_hi_u32 s9, s33, s1
	s_mul_i32 s1, s33, s1
	s_mul_i32 s8, s33, s8
	v_mov_b32_e32 v2, s1
	s_add_i32 s9, s9, s8
	v_sub_co_u32_e32 v2, vcc, s2, v2
	s_cmp_lg_u64 vcc, 0
	s_subb_u32 s1, s3, s9
	v_subrev_co_u32_e32 v3, vcc, s33, v2
	s_cmp_lg_u64 vcc, 0
	s_subb_u32 s2, s1, 0
	v_subrev_co_u32_e32 v4, vcc, s33, v3
	s_cmp_lg_u64 vcc, 0
	s_subb_u32 s3, s2, 0
	v_cmp_le_u32_e32 vcc, s33, v3
	s_cmp_eq_u32 s2, 0
	v_cndmask_b32_e64 v5, 0, -1, vcc
	s_cselect_b64 vcc, -1, 0
	v_cndmask_b32_e32 v5, -1, v5, vcc
	v_mov_b32_e32 v6, s2
	v_mov_b32_e32 v7, s3
	v_cmp_ne_u32_e32 vcc, 0, v5
	v_cndmask_b32_e32 v5, v6, v7, vcc
	v_cndmask_b32_e32 v3, v3, v4, vcc
	v_cmp_le_u32_e32 vcc, s33, v2
	s_cmp_eq_u32 s1, 0
	v_cndmask_b32_e64 v4, 0, -1, vcc
	s_cselect_b64 vcc, -1, 0
	v_cndmask_b32_e32 v4, -1, v4, vcc
	v_cmp_ne_u32_e32 vcc, 0, v4
	v_mov_b32_e32 v6, s1
	v_cndmask_b32_e32 v2, v2, v3, vcc
	v_cndmask_b32_e32 v4, v6, v5, vcc
	v_xor_b32_e32 v2, s0, v2
	v_xor_b32_e32 v3, s0, v4
	v_mov_b32_e32 v4, s0
	v_subrev_co_u32_e32 v2, vcc, s0, v2
	v_subb_co_u32_e32 v3, vcc, v3, v4, vcc
	s_cbranch_execnz .LBB21_191
.LBB21_190:                             ;   in Loop: Header=BB21_17 Depth=1
	v_cvt_f32_u32_e32 v2, s33
	s_sub_i32 s0, 0, s33
	v_rcp_iflag_f32_e32 v2, v2
	v_mul_f32_e32 v2, 0x4f7ffffe, v2
	v_cvt_u32_f32_e32 v2, v2
	v_mul_lo_u32 v3, s0, v2
	v_mul_hi_u32 v3, v2, v3
	v_add_u32_e32 v2, v2, v3
	s_mov_b32 s0, s95
	v_mul_hi_u32 v2, s0, v2
	v_mul_lo_u32 v2, v2, s33
	v_sub_u32_e32 v2, s0, v2
	v_subrev_u32_e32 v3, s33, v2
	v_cmp_le_u32_e32 vcc, s33, v2
	v_cndmask_b32_e32 v2, v2, v3, vcc
	v_subrev_u32_e32 v3, s33, v2
	v_cmp_le_u32_e32 vcc, s33, v2
	v_cndmask_b32_e32 v12, v2, v3, vcc
	v_pk_mov_b32 v[2:3], v[12:13], v[12:13] op_sel:[0,1]
.LBB21_191:                             ;   in Loop: Header=BB21_17 Depth=1
	v_mov_b32_e32 v4, s93
	v_sub_co_u32_e32 v2, vcc, s95, v2
	v_subb_co_u32_e32 v3, vcc, v4, v3, vcc
	v_cmp_gt_i64_e32 vcc, v[2:3], v[0:1]
	s_mov_b64 s[0:1], 0
                                        ; implicit-def: $vgpr29
	s_and_saveexec_b64 s[2:3], vcc
	s_cbranch_execz .LBB21_204
; %bb.192:                              ;   in Loop: Header=BB21_17 Depth=1
	v_pk_mov_b32 v[4:5], v[10:11], v[10:11] op_sel:[0,1]
	v_pk_mov_b32 v[6:7], v[0:1], v[0:1] op_sel:[0,1]
                                        ; implicit-def: $sgpr8_sgpr9
	s_branch .LBB21_194
.LBB21_193:                             ;   in Loop: Header=BB21_194 Depth=2
	s_or_b64 exec, exec, s[26:27]
	s_waitcnt lgkmcnt(0)
	s_barrier
	ds_read_b64 v[28:29], v13 offset:3072
	v_mov_b32_e32 v8, s28
	v_add_co_u32_e32 v6, vcc, s33, v6
	v_addc_co_u32_e32 v7, vcc, v7, v8, vcc
	s_waitcnt lgkmcnt(0)
	v_readfirstlane_b32 s26, v28
	s_cmp_lg_u32 s26, 0
	s_cselect_b64 s[26:27], -1, 0
	v_cmp_ge_i64_e32 vcc, v[6:7], v[2:3]
	s_or_b64 s[30:31], s[26:27], vcc
	s_and_b64 s[30:31], exec, s[30:31]
	s_or_b64 s[0:1], s[30:31], s[0:1]
	v_mov_b32_e32 v8, s85
	v_add_co_u32_e32 v4, vcc, s84, v4
	s_andn2_b64 s[8:9], s[8:9], exec
	s_and_b64 s[26:27], s[26:27], exec
	v_addc_co_u32_e32 v5, vcc, v5, v8, vcc
	s_or_b64 s[8:9], s[8:9], s[26:27]
	s_barrier
	s_andn2_b64 exec, exec, s[0:1]
	s_cbranch_execz .LBB21_203
.LBB21_194:                             ;   Parent Loop BB21_17 Depth=1
                                        ; =>  This Inner Loop Header: Depth=2
	v_cmp_gt_i64_e32 vcc, s[56:57], v[6:7]
	s_waitcnt vmcnt(0)
	v_mov_b32_e32 v27, 0
	s_and_saveexec_b64 s[26:27], vcc
	s_cbranch_execz .LBB21_196
; %bb.195:                              ;   in Loop: Header=BB21_194 Depth=2
	global_load_dword v27, v[4:5], off
.LBB21_196:                             ;   in Loop: Header=BB21_194 Depth=2
	s_or_b64 exec, exec, s[26:27]
	s_and_saveexec_b64 s[26:27], vcc
	s_cbranch_execz .LBB21_193
; %bb.197:                              ;   in Loop: Header=BB21_194 Depth=2
	s_waitcnt vmcnt(0)
	v_xor_b32_e32 v8, 0x80000000, v27
	v_and_b32_e32 v8, s89, v8
	v_cmp_eq_u32_e32 vcc, s94, v8
	s_and_b64 exec, exec, vcc
	s_cbranch_execz .LBB21_193
; %bb.198:                              ;   in Loop: Header=BB21_194 Depth=2
	ds_write_b64 v13, v[26:27] offset:3072
	s_branch .LBB21_193
.LBB21_199:                             ;   in Loop: Header=BB21_17 Depth=1
                                        ; implicit-def: $sgpr26_sgpr27
                                        ; implicit-def: $sgpr34_sgpr35
                                        ; implicit-def: $sgpr30_sgpr31
	s_branch .LBB21_218
.LBB21_200:                             ;   in Loop: Header=BB21_17 Depth=1
                                        ; implicit-def: $vgpr2_vgpr3
	s_branch .LBB21_143
.LBB21_201:                             ;   in Loop: Header=BB21_17 Depth=1
                                        ; implicit-def: $vgpr2_vgpr3
	s_branch .LBB21_160
.LBB21_202:                             ;   in Loop: Header=BB21_17 Depth=1
	s_mov_b64 s[26:27], -1
	s_mov_b64 s[0:1], 0
                                        ; implicit-def: $sgpr30_sgpr31
                                        ; implicit-def: $vgpr29
	s_mov_b64 s[34:35], s[26:27]
	s_cbranch_execnz .LBB21_205
	s_branch .LBB21_218
.LBB21_203:                             ;   in Loop: Header=BB21_17 Depth=1
	s_or_b64 exec, exec, s[0:1]
	s_and_b64 s[0:1], s[8:9], exec
.LBB21_204:                             ;   in Loop: Header=BB21_17 Depth=1
	s_or_b64 exec, exec, s[2:3]
	s_mov_b64 s[30:31], -1
	s_mov_b64 s[26:27], 0
	s_mov_b64 s[34:35], s[26:27]
	s_branch .LBB21_218
.LBB21_205:                             ;   in Loop: Header=BB21_17 Depth=1
	v_readlane_b32 s0, v52, 34
	s_add_u32 s8, s0, s36
	v_readlane_b32 s0, v52, 35
	s_addc_u32 s1, s0, s37
	s_mov_b32 s0, s83
	s_cmp_lg_u64 s[0:1], 0
	s_cbranch_scc0 .LBB21_248
; %bb.206:                              ;   in Loop: Header=BB21_17 Depth=1
	v_cvt_f32_u32_e32 v2, s33
	s_sub_u32 s0, 0, s33
	s_subb_u32 s2, 0, 0
	v_mac_f32_e32 v2, 0x4f800000, v46
	v_rcp_f32_e32 v2, v2
	v_mul_f32_e32 v2, 0x5f7ffffc, v2
	v_mul_f32_e32 v3, 0x2f800000, v2
	v_trunc_f32_e32 v3, v3
	v_mac_f32_e32 v2, 0xcf800000, v3
	v_cvt_u32_f32_e32 v3, v3
	v_cvt_u32_f32_e32 v2, v2
	v_readfirstlane_b32 s3, v3
	v_readfirstlane_b32 s9, v2
	s_mul_i32 s26, s0, s3
	s_mul_hi_u32 s30, s0, s9
	s_mul_i32 s27, s2, s9
	s_add_i32 s26, s30, s26
	s_mul_i32 s31, s0, s9
	s_add_i32 s26, s26, s27
	s_mul_hi_u32 s30, s9, s31
	s_mul_hi_u32 s27, s9, s26
	s_mul_i32 s9, s9, s26
	s_add_u32 s9, s30, s9
	s_addc_u32 s27, 0, s27
	s_mul_hi_u32 s34, s3, s31
	s_mul_i32 s31, s3, s31
	s_add_u32 s9, s9, s31
	s_mul_hi_u32 s30, s3, s26
	s_addc_u32 s9, s27, s34
	s_addc_u32 s27, s30, 0
	s_mul_i32 s26, s3, s26
	s_add_u32 s9, s9, s26
	s_addc_u32 s26, 0, s27
	v_add_co_u32_e32 v2, vcc, s9, v2
	s_cmp_lg_u64 vcc, 0
	s_addc_u32 s3, s3, s26
	v_readfirstlane_b32 s26, v2
	s_mul_i32 s9, s0, s3
	s_mul_hi_u32 s27, s0, s26
	s_add_i32 s9, s27, s9
	s_mul_i32 s2, s2, s26
	s_add_i32 s9, s9, s2
	s_mul_i32 s0, s0, s26
	s_mul_hi_u32 s27, s3, s0
	s_mul_i32 s30, s3, s0
	s_mul_i32 s34, s26, s9
	s_mul_hi_u32 s0, s26, s0
	s_mul_hi_u32 s31, s26, s9
	s_add_u32 s0, s0, s34
	s_addc_u32 s26, 0, s31
	s_add_u32 s0, s0, s30
	s_mul_hi_u32 s2, s3, s9
	s_addc_u32 s0, s26, s27
	s_addc_u32 s2, s2, 0
	s_mul_i32 s9, s3, s9
	s_add_u32 s0, s0, s9
	s_addc_u32 s2, 0, s2
	v_add_co_u32_e32 v2, vcc, s0, v2
	s_cmp_lg_u64 vcc, 0
	s_addc_u32 s0, s3, s2
	s_ashr_i32 s2, s1, 31
	s_add_u32 s26, s8, s2
	s_mov_b32 s3, s2
	s_addc_u32 s27, s1, s2
	s_xor_b64 s[26:27], s[26:27], s[2:3]
	v_readfirstlane_b32 s30, v2
	s_mul_i32 s9, s26, s0
	s_mul_hi_u32 s31, s26, s30
	s_mul_hi_u32 s3, s26, s0
	s_add_u32 s9, s31, s9
	s_addc_u32 s3, 0, s3
	s_mul_hi_u32 s34, s27, s30
	s_mul_i32 s30, s27, s30
	s_add_u32 s9, s9, s30
	s_mul_hi_u32 s31, s27, s0
	s_addc_u32 s3, s3, s34
	s_addc_u32 s9, s31, 0
	s_mul_i32 s0, s27, s0
	s_add_u32 s0, s3, s0
	s_addc_u32 s3, 0, s9
	s_mul_hi_u32 s9, s33, s0
	s_mul_i32 s0, s33, s0
	s_mul_i32 s3, s33, s3
	v_mov_b32_e32 v2, s0
	s_add_i32 s9, s9, s3
	v_sub_co_u32_e32 v2, vcc, s26, v2
	s_cmp_lg_u64 vcc, 0
	s_subb_u32 s0, s27, s9
	v_subrev_co_u32_e32 v3, vcc, s33, v2
	s_cmp_lg_u64 vcc, 0
	s_subb_u32 s3, s0, 0
	v_subrev_co_u32_e32 v4, vcc, s33, v3
	s_cmp_lg_u64 vcc, 0
	s_subb_u32 s9, s3, 0
	v_cmp_le_u32_e32 vcc, s33, v3
	s_cmp_eq_u32 s3, 0
	v_cndmask_b32_e64 v5, 0, -1, vcc
	s_cselect_b64 vcc, -1, 0
	v_cndmask_b32_e32 v5, -1, v5, vcc
	v_mov_b32_e32 v6, s3
	v_mov_b32_e32 v7, s9
	v_cmp_ne_u32_e32 vcc, 0, v5
	v_cndmask_b32_e32 v5, v6, v7, vcc
	v_cndmask_b32_e32 v3, v3, v4, vcc
	v_cmp_le_u32_e32 vcc, s33, v2
	s_cmp_eq_u32 s0, 0
	v_cndmask_b32_e64 v4, 0, -1, vcc
	s_cselect_b64 vcc, -1, 0
	v_cndmask_b32_e32 v4, -1, v4, vcc
	v_cmp_ne_u32_e32 vcc, 0, v4
	v_mov_b32_e32 v6, s0
	v_cndmask_b32_e32 v2, v2, v3, vcc
	v_cndmask_b32_e32 v4, v6, v5, vcc
	v_xor_b32_e32 v2, s2, v2
	v_xor_b32_e32 v3, s2, v4
	v_mov_b32_e32 v4, s2
	v_subrev_co_u32_e32 v2, vcc, s2, v2
	v_subb_co_u32_e32 v3, vcc, v3, v4, vcc
	s_cbranch_execnz .LBB21_208
.LBB21_207:                             ;   in Loop: Header=BB21_17 Depth=1
	v_cvt_f32_u32_e32 v2, s33
	s_sub_i32 s0, 0, s33
	v_rcp_iflag_f32_e32 v2, v2
	v_mul_f32_e32 v2, 0x4f7ffffe, v2
	v_cvt_u32_f32_e32 v2, v2
	v_mul_lo_u32 v3, s0, v2
	v_mul_hi_u32 v3, v2, v3
	v_add_u32_e32 v2, v2, v3
	v_mul_hi_u32 v2, s8, v2
	v_mul_lo_u32 v2, v2, s33
	v_sub_u32_e32 v2, s8, v2
	v_subrev_u32_e32 v3, s33, v2
	v_cmp_le_u32_e32 vcc, s33, v2
	v_cndmask_b32_e32 v2, v2, v3, vcc
	v_subrev_u32_e32 v3, s33, v2
	v_cmp_le_u32_e32 vcc, s33, v2
	v_cndmask_b32_e32 v12, v2, v3, vcc
	v_pk_mov_b32 v[2:3], v[12:13], v[12:13] op_sel:[0,1]
.LBB21_208:                             ;   in Loop: Header=BB21_17 Depth=1
	v_mov_b32_e32 v4, s1
	v_sub_co_u32_e32 v2, vcc, s8, v2
	v_subb_co_u32_e32 v3, vcc, v4, v3, vcc
	v_cmp_gt_i64_e32 vcc, v[2:3], v[0:1]
	s_mov_b64 s[0:1], 0
                                        ; implicit-def: $vgpr29
	s_and_saveexec_b64 s[2:3], vcc
	s_cbranch_execz .LBB21_217
; %bb.209:                              ;   in Loop: Header=BB21_17 Depth=1
	v_mov_b32_e32 v6, v14
	v_pk_mov_b32 v[4:5], v[0:1], v[0:1] op_sel:[0,1]
                                        ; implicit-def: $sgpr8_sgpr9
	s_branch .LBB21_211
.LBB21_210:                             ;   in Loop: Header=BB21_211 Depth=2
	s_or_b64 exec, exec, s[26:27]
	s_waitcnt lgkmcnt(0)
	s_barrier
	ds_read_b64 v[28:29], v13 offset:3072
	v_mov_b32_e32 v7, s28
	v_add_co_u32_e32 v4, vcc, s33, v4
	v_addc_co_u32_e32 v5, vcc, v5, v7, vcc
	s_waitcnt lgkmcnt(0)
	v_readfirstlane_b32 s26, v28
	s_cmp_lg_u32 s26, 0
	s_cselect_b64 s[26:27], -1, 0
	v_cmp_ge_i64_e32 vcc, v[4:5], v[2:3]
	s_or_b64 s[30:31], s[26:27], vcc
	s_and_b64 s[30:31], exec, s[30:31]
	s_or_b64 s[0:1], s[30:31], s[0:1]
	s_andn2_b64 s[8:9], s[8:9], exec
	s_and_b64 s[26:27], s[26:27], exec
	v_add_u32_e32 v6, s67, v6
	s_or_b64 s[8:9], s[8:9], s[26:27]
	s_barrier
	s_andn2_b64 exec, exec, s[0:1]
	s_cbranch_execz .LBB21_216
.LBB21_211:                             ;   Parent Loop BB21_17 Depth=1
                                        ; =>  This Inner Loop Header: Depth=2
	v_cmp_gt_i64_e32 vcc, s[36:37], v[4:5]
	s_waitcnt vmcnt(0)
	v_mov_b32_e32 v27, 0
	s_and_saveexec_b64 s[26:27], vcc
	s_cbranch_execz .LBB21_213
; %bb.212:                              ;   in Loop: Header=BB21_211 Depth=2
	ds_read_b32 v27, v6
.LBB21_213:                             ;   in Loop: Header=BB21_211 Depth=2
	s_or_b64 exec, exec, s[26:27]
	s_and_saveexec_b64 s[26:27], vcc
	s_cbranch_execz .LBB21_210
; %bb.214:                              ;   in Loop: Header=BB21_211 Depth=2
	s_waitcnt lgkmcnt(0)
	v_xor_b32_e32 v7, 0x80000000, v27
	v_and_b32_e32 v7, s89, v7
	v_cmp_eq_u32_e32 vcc, s94, v7
	s_and_b64 exec, exec, vcc
	s_cbranch_execz .LBB21_210
; %bb.215:                              ;   in Loop: Header=BB21_211 Depth=2
	ds_write_b64 v13, v[26:27] offset:3072
	s_branch .LBB21_210
.LBB21_216:                             ;   in Loop: Header=BB21_17 Depth=1
	s_or_b64 exec, exec, s[0:1]
	s_and_b64 s[0:1], s[8:9], exec
.LBB21_217:                             ;   in Loop: Header=BB21_17 Depth=1
	s_or_b64 exec, exec, s[2:3]
	s_mov_b64 s[34:35], -1
	s_mov_b64 s[26:27], 0
	s_mov_b64 s[30:31], 0
.LBB21_218:                             ;   in Loop: Header=BB21_17 Depth=1
	s_mov_b64 s[2:3], 0
                                        ; implicit-def: $sgpr47
	s_and_saveexec_b64 s[36:37], s[0:1]
	s_cbranch_execz .LBB21_280
; %bb.219:                              ;   in Loop: Header=BB21_17 Depth=1
	s_xor_b64 s[0:1], s[38:39], -1
	s_andn2_b64 vcc, exec, s[0:1]
	s_mov_b32 s47, 1
	s_cbranch_vccnz .LBB21_230
; %bb.220:                              ;   in Loop: Header=BB21_17 Depth=1
	v_pk_mov_b32 v[2:3], s[16:17], s[16:17] op_sel:[0,1]
	v_cmp_gt_i64_e32 vcc, s[58:59], v[2:3]
	s_mov_b64 s[0:1], -1
                                        ; implicit-def: $sgpr47
                                        ; implicit-def: $sgpr2
                                        ; implicit-def: $sgpr3
	s_cbranch_vccnz .LBB21_226
; %bb.221:                              ;   in Loop: Header=BB21_17 Depth=1
	ds_read_b64 v[2:3], v13 offset:5120
	s_waitcnt lgkmcnt(0)
	v_cmp_ne_u64_e32 vcc, 0, v[2:3]
	s_cbranch_vccnz .LBB21_225
; %bb.222:                              ;   in Loop: Header=BB21_17 Depth=1
	s_mov_b64 s[0:1], exec
	v_readlane_b32 s2, v52, 12
	v_readlane_b32 s3, v52, 13
	s_and_b64 s[2:3], s[0:1], s[2:3]
	s_mov_b64 exec, s[2:3]
	s_cbranch_execz .LBB21_224
; %bb.223:                              ;   in Loop: Header=BB21_17 Depth=1
	v_pk_mov_b32 v[2:3], s[16:17], s[16:17] op_sel:[0,1]
	ds_write_b64 v13, v[2:3] offset:5128
.LBB21_224:                             ;   in Loop: Header=BB21_17 Depth=1
	s_or_b64 exec, exec, s[0:1]
	s_waitcnt lgkmcnt(0)
	s_barrier
.LBB21_225:                             ;   in Loop: Header=BB21_17 Depth=1
	s_lshl_b32 s0, 2, s40
	s_and_b32 s1, s94, s41
	s_or_b32 s2, s1, s0
	s_or_b32 s3, s89, s46
	s_mov_b64 s[0:1], 0
	s_mov_b32 s47, 8
.LBB21_226:                             ;   in Loop: Header=BB21_17 Depth=1
	s_andn2_b64 vcc, exec, s[0:1]
	s_cbranch_vccnz .LBB21_228
; %bb.227:                              ;   in Loop: Header=BB21_17 Depth=1
	s_sub_u32 s58, s58, s16
	s_subb_u32 s59, s59, s17
	s_mov_b64 s[0:1], -1
	s_mov_b32 s47, 0
	s_mov_b32 s2, s94
	;; [unrolled: 1-line block ×3, first 2 shown]
.LBB21_228:                             ;   in Loop: Header=BB21_17 Depth=1
	s_mov_b32 s89, s3
	s_mov_b32 s94, s2
	s_andn2_b64 vcc, exec, s[0:1]
	s_mov_b64 s[42:43], -1
	s_cbranch_vccz .LBB21_231
.LBB21_229:                             ;   in Loop: Header=BB21_17 Depth=1
                                        ; implicit-def: $sgpr0_sgpr1
                                        ; implicit-def: $sgpr8_sgpr9
                                        ; implicit-def: $sgpr2_sgpr3
	s_branch .LBB21_279
.LBB21_230:                             ;   in Loop: Header=BB21_17 Depth=1
	s_mov_b64 s[58:59], 1
	s_mov_b64 s[42:43], -1
	s_cbranch_execnz .LBB21_229
.LBB21_231:                             ;   in Loop: Header=BB21_17 Depth=1
	s_cmp_eq_u64 s[6:7], 1
	s_cselect_b64 s[0:1], -1, 0
	s_cmp_eq_u64 s[58:59], 1
	s_cselect_b64 s[2:3], -1, 0
	s_and_b64 s[16:17], s[0:1], s[2:3]
	s_mov_b64 s[40:41], -1
	s_and_b64 vcc, exec, s[16:17]
	s_cbranch_vccz .LBB21_246
; %bb.232:                              ;   in Loop: Header=BB21_17 Depth=1
	ds_read_b64 v[2:3], v13 offset:5120
	s_waitcnt lgkmcnt(0)
	s_barrier
	v_readfirstlane_b32 s38, v2
	v_readfirstlane_b32 s39, v3
	s_mov_b64 s[0:1], exec
	v_readlane_b32 s2, v52, 24
	v_readlane_b32 s3, v52, 25
	s_and_b64 s[2:3], s[0:1], s[2:3]
	s_mov_b64 exec, s[2:3]
	s_cbranch_execz .LBB21_234
; %bb.233:                              ;   in Loop: Header=BB21_17 Depth=1
	ds_write_b32 v39, v13
.LBB21_234:                             ;   in Loop: Header=BB21_17 Depth=1
	s_or_b64 exec, exec, s[0:1]
	v_cmp_gt_i64_e64 s[0:1], s[38:39], 0
	s_or_b32 s94, s94, s46
	s_or_b32 s89, s89, s46
	s_and_b64 vcc, exec, s[0:1]
	s_waitcnt lgkmcnt(0)
	s_barrier
	s_cbranch_vccnz .LBB21_249
; %bb.235:                              ;   in Loop: Header=BB21_17 Depth=1
	s_mov_b32 s92, s83
	s_cmp_lg_u64 s[92:93], 0
	s_cbranch_scc0 .LBB21_285
; %bb.236:                              ;   in Loop: Header=BB21_17 Depth=1
	v_cvt_f32_u32_e32 v2, s33
	s_sub_u32 s0, 0, s33
	s_subb_u32 s1, 0, 0
	v_mac_f32_e32 v2, 0x4f800000, v46
	v_rcp_f32_e32 v2, v2
	v_mul_f32_e32 v2, 0x5f7ffffc, v2
	v_mul_f32_e32 v3, 0x2f800000, v2
	v_trunc_f32_e32 v3, v3
	v_mac_f32_e32 v2, 0xcf800000, v3
	v_cvt_u32_f32_e32 v3, v3
	v_cvt_u32_f32_e32 v2, v2
	v_readfirstlane_b32 s2, v3
	v_readfirstlane_b32 s3, v2
	s_mul_i32 s8, s0, s2
	s_mul_hi_u32 s40, s0, s3
	s_mul_i32 s9, s1, s3
	s_add_i32 s8, s40, s8
	s_mul_i32 s41, s0, s3
	s_add_i32 s8, s8, s9
	s_mul_hi_u32 s40, s3, s41
	s_mul_hi_u32 s9, s3, s8
	s_mul_i32 s3, s3, s8
	s_add_u32 s3, s40, s3
	s_addc_u32 s9, 0, s9
	s_mul_hi_u32 s42, s2, s41
	s_mul_i32 s41, s2, s41
	s_add_u32 s3, s3, s41
	s_mul_hi_u32 s40, s2, s8
	s_addc_u32 s3, s9, s42
	s_addc_u32 s9, s40, 0
	s_mul_i32 s8, s2, s8
	s_add_u32 s3, s3, s8
	s_addc_u32 s8, 0, s9
	v_add_co_u32_e32 v2, vcc, s3, v2
	s_cmp_lg_u64 vcc, 0
	s_addc_u32 s2, s2, s8
	v_readfirstlane_b32 s8, v2
	s_mul_i32 s3, s0, s2
	s_mul_hi_u32 s9, s0, s8
	s_add_i32 s3, s9, s3
	s_mul_i32 s1, s1, s8
	s_add_i32 s3, s3, s1
	s_mul_i32 s0, s0, s8
	s_mul_hi_u32 s9, s2, s0
	s_mul_i32 s40, s2, s0
	s_mul_i32 s42, s8, s3
	s_mul_hi_u32 s0, s8, s0
	s_mul_hi_u32 s41, s8, s3
	s_add_u32 s0, s0, s42
	s_addc_u32 s8, 0, s41
	s_add_u32 s0, s0, s40
	s_mul_hi_u32 s1, s2, s3
	s_addc_u32 s0, s8, s9
	s_addc_u32 s1, s1, 0
	s_mul_i32 s3, s2, s3
	s_add_u32 s0, s0, s3
	s_addc_u32 s1, 0, s1
	v_add_co_u32_e32 v2, vcc, s0, v2
	s_cmp_lg_u64 vcc, 0
	s_addc_u32 s8, s2, s1
	s_ashr_i32 s0, s93, 31
	s_add_u32 s2, s95, s0
	s_mov_b32 s1, s0
	s_addc_u32 s3, s93, s0
	s_xor_b64 s[2:3], s[2:3], s[0:1]
	v_readfirstlane_b32 s40, v2
	s_mul_i32 s9, s2, s8
	s_mul_hi_u32 s41, s2, s40
	s_mul_hi_u32 s1, s2, s8
	s_add_u32 s9, s41, s9
	s_addc_u32 s1, 0, s1
	s_mul_hi_u32 s42, s3, s40
	s_mul_i32 s40, s3, s40
	s_add_u32 s9, s9, s40
	s_mul_hi_u32 s41, s3, s8
	s_addc_u32 s1, s1, s42
	s_addc_u32 s9, s41, 0
	s_mul_i32 s8, s3, s8
	s_add_u32 s1, s1, s8
	s_addc_u32 s8, 0, s9
	s_mul_hi_u32 s9, s33, s1
	s_mul_i32 s1, s33, s1
	s_mul_i32 s8, s33, s8
	v_mov_b32_e32 v2, s1
	s_add_i32 s9, s9, s8
	v_sub_co_u32_e32 v2, vcc, s2, v2
	s_cmp_lg_u64 vcc, 0
	s_subb_u32 s1, s3, s9
	v_subrev_co_u32_e32 v3, vcc, s33, v2
	s_cmp_lg_u64 vcc, 0
	s_subb_u32 s2, s1, 0
	v_subrev_co_u32_e32 v4, vcc, s33, v3
	s_cmp_lg_u64 vcc, 0
	s_subb_u32 s3, s2, 0
	v_cmp_le_u32_e32 vcc, s33, v3
	s_cmp_eq_u32 s2, 0
	v_cndmask_b32_e64 v5, 0, -1, vcc
	s_cselect_b64 vcc, -1, 0
	v_cndmask_b32_e32 v5, -1, v5, vcc
	v_mov_b32_e32 v6, s2
	v_mov_b32_e32 v7, s3
	v_cmp_ne_u32_e32 vcc, 0, v5
	v_cndmask_b32_e32 v5, v6, v7, vcc
	v_cndmask_b32_e32 v3, v3, v4, vcc
	v_cmp_le_u32_e32 vcc, s33, v2
	s_cmp_eq_u32 s1, 0
	v_cndmask_b32_e64 v4, 0, -1, vcc
	s_cselect_b64 vcc, -1, 0
	v_cndmask_b32_e32 v4, -1, v4, vcc
	v_cmp_ne_u32_e32 vcc, 0, v4
	v_mov_b32_e32 v6, s1
	v_cndmask_b32_e32 v2, v2, v3, vcc
	v_cndmask_b32_e32 v4, v6, v5, vcc
	v_xor_b32_e32 v2, s0, v2
	v_xor_b32_e32 v3, s0, v4
	v_mov_b32_e32 v4, s0
	v_subrev_co_u32_e32 v2, vcc, s0, v2
	v_subb_co_u32_e32 v3, vcc, v3, v4, vcc
	s_cbranch_execnz .LBB21_238
.LBB21_237:                             ;   in Loop: Header=BB21_17 Depth=1
	v_cvt_f32_u32_e32 v2, s33
	s_sub_i32 s0, 0, s33
	v_rcp_iflag_f32_e32 v2, v2
	v_mul_f32_e32 v2, 0x4f7ffffe, v2
	v_cvt_u32_f32_e32 v2, v2
	v_mul_lo_u32 v3, s0, v2
	v_mul_hi_u32 v3, v2, v3
	v_add_u32_e32 v2, v2, v3
	s_mov_b32 s0, s95
	v_mul_hi_u32 v2, s0, v2
	v_mul_lo_u32 v2, v2, s33
	v_sub_u32_e32 v2, s0, v2
	v_subrev_u32_e32 v3, s33, v2
	v_cmp_le_u32_e32 vcc, s33, v2
	v_cndmask_b32_e32 v2, v2, v3, vcc
	v_subrev_u32_e32 v3, s33, v2
	v_cmp_le_u32_e32 vcc, s33, v2
	v_cndmask_b32_e32 v12, v2, v3, vcc
	v_pk_mov_b32 v[2:3], v[12:13], v[12:13] op_sel:[0,1]
.LBB21_238:                             ;   in Loop: Header=BB21_17 Depth=1
	v_mov_b32_e32 v4, s93
	v_sub_co_u32_e32 v2, vcc, s95, v2
	v_subb_co_u32_e32 v3, vcc, v4, v3, vcc
	v_cmp_gt_i64_e32 vcc, v[2:3], v[0:1]
	s_mov_b64 s[40:41], 0
                                        ; implicit-def: $vgpr29
	s_and_saveexec_b64 s[0:1], vcc
	s_cbranch_execz .LBB21_251
; %bb.239:                              ;   in Loop: Header=BB21_17 Depth=1
	s_mov_b64 s[2:3], 0
	v_pk_mov_b32 v[4:5], v[10:11], v[10:11] op_sel:[0,1]
	v_pk_mov_b32 v[6:7], v[0:1], v[0:1] op_sel:[0,1]
                                        ; implicit-def: $sgpr8_sgpr9
	s_branch .LBB21_241
.LBB21_240:                             ;   in Loop: Header=BB21_241 Depth=2
	s_or_b64 exec, exec, s[40:41]
	s_waitcnt lgkmcnt(0)
	s_barrier
	ds_read_b64 v[28:29], v13 offset:3072
	v_mov_b32_e32 v8, s28
	v_add_co_u32_e32 v6, vcc, s33, v6
	v_addc_co_u32_e32 v7, vcc, v7, v8, vcc
	s_waitcnt lgkmcnt(0)
	v_readfirstlane_b32 s40, v28
	s_cmp_lg_u32 s40, 0
	s_cselect_b64 s[40:41], -1, 0
	v_cmp_ge_i64_e32 vcc, v[6:7], v[2:3]
	s_or_b64 s[42:43], s[40:41], vcc
	s_and_b64 s[42:43], exec, s[42:43]
	s_or_b64 s[2:3], s[42:43], s[2:3]
	v_mov_b32_e32 v8, s85
	v_add_co_u32_e32 v4, vcc, s84, v4
	s_andn2_b64 s[8:9], s[8:9], exec
	s_and_b64 s[40:41], s[40:41], exec
	v_addc_co_u32_e32 v5, vcc, v5, v8, vcc
	s_or_b64 s[8:9], s[8:9], s[40:41]
	s_barrier
	s_andn2_b64 exec, exec, s[2:3]
	s_cbranch_execz .LBB21_250
.LBB21_241:                             ;   Parent Loop BB21_17 Depth=1
                                        ; =>  This Inner Loop Header: Depth=2
	v_cmp_gt_i64_e32 vcc, s[56:57], v[6:7]
	s_waitcnt vmcnt(0)
	v_mov_b32_e32 v27, 0
	s_and_saveexec_b64 s[40:41], vcc
	s_cbranch_execz .LBB21_243
; %bb.242:                              ;   in Loop: Header=BB21_241 Depth=2
	global_load_dword v27, v[4:5], off
.LBB21_243:                             ;   in Loop: Header=BB21_241 Depth=2
	s_or_b64 exec, exec, s[40:41]
	s_and_saveexec_b64 s[40:41], vcc
	s_cbranch_execz .LBB21_240
; %bb.244:                              ;   in Loop: Header=BB21_241 Depth=2
	s_waitcnt vmcnt(0)
	v_xor_b32_e32 v8, 0x80000000, v27
	v_and_b32_e32 v8, s89, v8
	v_cmp_eq_u32_e32 vcc, s94, v8
	s_and_b64 exec, exec, vcc
	s_cbranch_execz .LBB21_240
; %bb.245:                              ;   in Loop: Header=BB21_241 Depth=2
	ds_write_b64 v13, v[26:27] offset:3072
	s_branch .LBB21_240
.LBB21_246:                             ;   in Loop: Header=BB21_17 Depth=1
                                        ; implicit-def: $sgpr0_sgpr1
                                        ; implicit-def: $sgpr8_sgpr9
                                        ; implicit-def: $sgpr2_sgpr3
	s_branch .LBB21_265
.LBB21_247:                             ;   in Loop: Header=BB21_17 Depth=1
                                        ; implicit-def: $vgpr2_vgpr3
	s_branch .LBB21_190
.LBB21_248:                             ;   in Loop: Header=BB21_17 Depth=1
                                        ; implicit-def: $vgpr2_vgpr3
	s_branch .LBB21_207
.LBB21_249:                             ;   in Loop: Header=BB21_17 Depth=1
	s_mov_b64 s[0:1], -1
	s_mov_b64 s[40:41], 0
                                        ; implicit-def: $sgpr2_sgpr3
                                        ; implicit-def: $vgpr29
	s_mov_b64 s[8:9], s[0:1]
	s_cbranch_execnz .LBB21_252
	s_branch .LBB21_265
.LBB21_250:                             ;   in Loop: Header=BB21_17 Depth=1
	s_or_b64 exec, exec, s[2:3]
	s_and_b64 s[40:41], s[8:9], exec
.LBB21_251:                             ;   in Loop: Header=BB21_17 Depth=1
	s_or_b64 exec, exec, s[0:1]
	s_mov_b64 s[2:3], -1
	s_mov_b64 s[0:1], 0
	s_mov_b64 s[8:9], s[0:1]
	s_branch .LBB21_265
.LBB21_252:                             ;   in Loop: Header=BB21_17 Depth=1
	v_readlane_b32 s0, v52, 34
	s_add_u32 s8, s0, s38
	v_readlane_b32 s0, v52, 35
	s_addc_u32 s1, s0, s39
	s_mov_b32 s0, s83
	s_cmp_lg_u64 s[0:1], 0
	s_cbranch_scc0 .LBB21_286
; %bb.253:                              ;   in Loop: Header=BB21_17 Depth=1
	v_cvt_f32_u32_e32 v2, s33
	s_sub_u32 s0, 0, s33
	s_subb_u32 s2, 0, 0
	v_mac_f32_e32 v2, 0x4f800000, v46
	v_rcp_f32_e32 v2, v2
	v_mul_f32_e32 v2, 0x5f7ffffc, v2
	v_mul_f32_e32 v3, 0x2f800000, v2
	v_trunc_f32_e32 v3, v3
	v_mac_f32_e32 v2, 0xcf800000, v3
	v_cvt_u32_f32_e32 v3, v3
	v_cvt_u32_f32_e32 v2, v2
	v_readfirstlane_b32 s3, v3
	v_readfirstlane_b32 s9, v2
	s_mul_i32 s40, s0, s3
	s_mul_hi_u32 s42, s0, s9
	s_mul_i32 s41, s2, s9
	s_add_i32 s40, s42, s40
	s_mul_i32 s43, s0, s9
	s_add_i32 s40, s40, s41
	s_mul_hi_u32 s42, s9, s43
	s_mul_hi_u32 s41, s9, s40
	s_mul_i32 s9, s9, s40
	s_add_u32 s9, s42, s9
	s_addc_u32 s41, 0, s41
	s_mul_hi_u32 s44, s3, s43
	s_mul_i32 s43, s3, s43
	s_add_u32 s9, s9, s43
	s_mul_hi_u32 s42, s3, s40
	s_addc_u32 s9, s41, s44
	s_addc_u32 s41, s42, 0
	s_mul_i32 s40, s3, s40
	s_add_u32 s9, s9, s40
	s_addc_u32 s40, 0, s41
	v_add_co_u32_e32 v2, vcc, s9, v2
	s_cmp_lg_u64 vcc, 0
	s_addc_u32 s3, s3, s40
	v_readfirstlane_b32 s40, v2
	s_mul_i32 s9, s0, s3
	s_mul_hi_u32 s41, s0, s40
	s_add_i32 s9, s41, s9
	s_mul_i32 s2, s2, s40
	s_add_i32 s9, s9, s2
	s_mul_i32 s0, s0, s40
	s_mul_hi_u32 s41, s3, s0
	s_mul_i32 s42, s3, s0
	s_mul_i32 s44, s40, s9
	s_mul_hi_u32 s0, s40, s0
	s_mul_hi_u32 s43, s40, s9
	s_add_u32 s0, s0, s44
	s_addc_u32 s40, 0, s43
	s_add_u32 s0, s0, s42
	s_mul_hi_u32 s2, s3, s9
	s_addc_u32 s0, s40, s41
	s_addc_u32 s2, s2, 0
	s_mul_i32 s9, s3, s9
	s_add_u32 s0, s0, s9
	s_addc_u32 s2, 0, s2
	v_add_co_u32_e32 v2, vcc, s0, v2
	s_cmp_lg_u64 vcc, 0
	s_addc_u32 s0, s3, s2
	s_ashr_i32 s2, s1, 31
	s_add_u32 s40, s8, s2
	s_mov_b32 s3, s2
	s_addc_u32 s41, s1, s2
	s_xor_b64 s[40:41], s[40:41], s[2:3]
	v_readfirstlane_b32 s42, v2
	s_mul_i32 s9, s40, s0
	s_mul_hi_u32 s43, s40, s42
	s_mul_hi_u32 s3, s40, s0
	s_add_u32 s9, s43, s9
	s_addc_u32 s3, 0, s3
	s_mul_hi_u32 s44, s41, s42
	s_mul_i32 s42, s41, s42
	s_add_u32 s9, s9, s42
	s_mul_hi_u32 s43, s41, s0
	s_addc_u32 s3, s3, s44
	s_addc_u32 s9, s43, 0
	s_mul_i32 s0, s41, s0
	s_add_u32 s0, s3, s0
	s_addc_u32 s3, 0, s9
	s_mul_hi_u32 s9, s33, s0
	s_mul_i32 s0, s33, s0
	s_mul_i32 s3, s33, s3
	v_mov_b32_e32 v2, s0
	s_add_i32 s9, s9, s3
	v_sub_co_u32_e32 v2, vcc, s40, v2
	s_cmp_lg_u64 vcc, 0
	s_subb_u32 s0, s41, s9
	v_subrev_co_u32_e32 v3, vcc, s33, v2
	s_cmp_lg_u64 vcc, 0
	s_subb_u32 s3, s0, 0
	v_subrev_co_u32_e32 v4, vcc, s33, v3
	s_cmp_lg_u64 vcc, 0
	s_subb_u32 s9, s3, 0
	v_cmp_le_u32_e32 vcc, s33, v3
	s_cmp_eq_u32 s3, 0
	v_cndmask_b32_e64 v5, 0, -1, vcc
	s_cselect_b64 vcc, -1, 0
	v_cndmask_b32_e32 v5, -1, v5, vcc
	v_mov_b32_e32 v6, s3
	v_mov_b32_e32 v7, s9
	v_cmp_ne_u32_e32 vcc, 0, v5
	v_cndmask_b32_e32 v5, v6, v7, vcc
	v_cndmask_b32_e32 v3, v3, v4, vcc
	v_cmp_le_u32_e32 vcc, s33, v2
	s_cmp_eq_u32 s0, 0
	v_cndmask_b32_e64 v4, 0, -1, vcc
	s_cselect_b64 vcc, -1, 0
	v_cndmask_b32_e32 v4, -1, v4, vcc
	v_cmp_ne_u32_e32 vcc, 0, v4
	v_mov_b32_e32 v6, s0
	v_cndmask_b32_e32 v2, v2, v3, vcc
	v_cndmask_b32_e32 v4, v6, v5, vcc
	v_xor_b32_e32 v2, s2, v2
	v_xor_b32_e32 v3, s2, v4
	v_mov_b32_e32 v4, s2
	v_subrev_co_u32_e32 v2, vcc, s2, v2
	v_subb_co_u32_e32 v3, vcc, v3, v4, vcc
	s_cbranch_execnz .LBB21_255
.LBB21_254:                             ;   in Loop: Header=BB21_17 Depth=1
	v_cvt_f32_u32_e32 v2, s33
	s_sub_i32 s0, 0, s33
	v_rcp_iflag_f32_e32 v2, v2
	v_mul_f32_e32 v2, 0x4f7ffffe, v2
	v_cvt_u32_f32_e32 v2, v2
	v_mul_lo_u32 v3, s0, v2
	v_mul_hi_u32 v3, v2, v3
	v_add_u32_e32 v2, v2, v3
	v_mul_hi_u32 v2, s8, v2
	v_mul_lo_u32 v2, v2, s33
	v_sub_u32_e32 v2, s8, v2
	v_subrev_u32_e32 v3, s33, v2
	v_cmp_le_u32_e32 vcc, s33, v2
	v_cndmask_b32_e32 v2, v2, v3, vcc
	v_subrev_u32_e32 v3, s33, v2
	v_cmp_le_u32_e32 vcc, s33, v2
	v_cndmask_b32_e32 v12, v2, v3, vcc
	v_pk_mov_b32 v[2:3], v[12:13], v[12:13] op_sel:[0,1]
.LBB21_255:                             ;   in Loop: Header=BB21_17 Depth=1
	v_mov_b32_e32 v4, s1
	v_sub_co_u32_e32 v2, vcc, s8, v2
	v_subb_co_u32_e32 v3, vcc, v4, v3, vcc
	v_cmp_gt_i64_e32 vcc, v[2:3], v[0:1]
	s_mov_b64 s[40:41], 0
                                        ; implicit-def: $vgpr29
	s_and_saveexec_b64 s[0:1], vcc
	s_cbranch_execz .LBB21_264
; %bb.256:                              ;   in Loop: Header=BB21_17 Depth=1
	s_mov_b64 s[2:3], 0
	v_mov_b32_e32 v6, v14
	v_pk_mov_b32 v[4:5], v[0:1], v[0:1] op_sel:[0,1]
                                        ; implicit-def: $sgpr8_sgpr9
	s_branch .LBB21_258
.LBB21_257:                             ;   in Loop: Header=BB21_258 Depth=2
	s_or_b64 exec, exec, s[40:41]
	s_waitcnt lgkmcnt(0)
	s_barrier
	ds_read_b64 v[28:29], v13 offset:3072
	v_mov_b32_e32 v7, s28
	v_add_co_u32_e32 v4, vcc, s33, v4
	v_addc_co_u32_e32 v5, vcc, v5, v7, vcc
	s_waitcnt lgkmcnt(0)
	v_readfirstlane_b32 s40, v28
	s_cmp_lg_u32 s40, 0
	s_cselect_b64 s[40:41], -1, 0
	v_cmp_ge_i64_e32 vcc, v[4:5], v[2:3]
	s_or_b64 s[42:43], s[40:41], vcc
	s_and_b64 s[42:43], exec, s[42:43]
	s_or_b64 s[2:3], s[42:43], s[2:3]
	s_andn2_b64 s[8:9], s[8:9], exec
	s_and_b64 s[40:41], s[40:41], exec
	v_add_u32_e32 v6, s67, v6
	s_or_b64 s[8:9], s[8:9], s[40:41]
	s_barrier
	s_andn2_b64 exec, exec, s[2:3]
	s_cbranch_execz .LBB21_263
.LBB21_258:                             ;   Parent Loop BB21_17 Depth=1
                                        ; =>  This Inner Loop Header: Depth=2
	v_cmp_gt_i64_e32 vcc, s[38:39], v[4:5]
	s_waitcnt vmcnt(0)
	v_mov_b32_e32 v27, 0
	s_and_saveexec_b64 s[40:41], vcc
	s_cbranch_execz .LBB21_260
; %bb.259:                              ;   in Loop: Header=BB21_258 Depth=2
	ds_read_b32 v27, v6
.LBB21_260:                             ;   in Loop: Header=BB21_258 Depth=2
	s_or_b64 exec, exec, s[40:41]
	s_and_saveexec_b64 s[40:41], vcc
	s_cbranch_execz .LBB21_257
; %bb.261:                              ;   in Loop: Header=BB21_258 Depth=2
	s_waitcnt lgkmcnt(0)
	v_xor_b32_e32 v7, 0x80000000, v27
	v_and_b32_e32 v7, s89, v7
	v_cmp_eq_u32_e32 vcc, s94, v7
	s_and_b64 exec, exec, vcc
	s_cbranch_execz .LBB21_257
; %bb.262:                              ;   in Loop: Header=BB21_258 Depth=2
	ds_write_b64 v13, v[26:27] offset:3072
	s_branch .LBB21_257
.LBB21_263:                             ;   in Loop: Header=BB21_17 Depth=1
	s_or_b64 exec, exec, s[2:3]
	s_and_b64 s[40:41], s[8:9], exec
.LBB21_264:                             ;   in Loop: Header=BB21_17 Depth=1
	s_or_b64 exec, exec, s[0:1]
	s_mov_b64 s[8:9], -1
	s_mov_b64 s[0:1], 0
	s_mov_b64 s[2:3], 0
.LBB21_265:                             ;   in Loop: Header=BB21_17 Depth=1
	s_mov_b64 s[42:43], 0
                                        ; implicit-def: $sgpr47
                                        ; implicit-def: $sgpr44_sgpr45
	s_and_saveexec_b64 s[38:39], s[40:41]
	s_cbranch_execz .LBB21_278
; %bb.266:                              ;   in Loop: Header=BB21_17 Depth=1
	s_xor_b64 s[16:17], s[16:17], -1
	s_mov_b64 s[44:45], 1
	s_andn2_b64 vcc, exec, s[16:17]
	s_mov_b32 s47, 1
	s_cbranch_vccnz .LBB21_277
; %bb.267:                              ;   in Loop: Header=BB21_17 Depth=1
	v_pk_mov_b32 v[2:3], s[6:7], s[6:7] op_sel:[0,1]
	v_cmp_gt_i64_e32 vcc, s[58:59], v[2:3]
	s_cbranch_vccnz .LBB21_273
; %bb.268:                              ;   in Loop: Header=BB21_17 Depth=1
	ds_read_b64 v[2:3], v13 offset:5120
	s_waitcnt lgkmcnt(0)
	v_cmp_ne_u64_e32 vcc, 0, v[2:3]
	s_cbranch_vccnz .LBB21_272
; %bb.269:                              ;   in Loop: Header=BB21_17 Depth=1
	s_mov_b64 s[16:17], exec
	v_readlane_b32 s40, v52, 12
	v_readlane_b32 s41, v52, 13
	s_and_b64 s[40:41], s[16:17], s[40:41]
	s_mov_b64 exec, s[40:41]
	s_cbranch_execz .LBB21_271
; %bb.270:                              ;   in Loop: Header=BB21_17 Depth=1
	v_pk_mov_b32 v[2:3], s[6:7], s[6:7] op_sel:[0,1]
	ds_write_b64 v13, v[2:3] offset:5128
.LBB21_271:                             ;   in Loop: Header=BB21_17 Depth=1
	s_or_b64 exec, exec, s[16:17]
	s_waitcnt lgkmcnt(0)
	s_barrier
.LBB21_272:                             ;   in Loop: Header=BB21_17 Depth=1
	s_or_b32 s40, s94, s46
	s_or_b32 s41, s89, s46
	s_mov_b64 s[16:17], 0
	s_mov_b32 s47, 8
	s_branch .LBB21_274
.LBB21_273:                             ;   in Loop: Header=BB21_17 Depth=1
	s_mov_b64 s[16:17], -1
                                        ; implicit-def: $sgpr47
                                        ; implicit-def: $sgpr40
                                        ; implicit-def: $sgpr41
.LBB21_274:                             ;   in Loop: Header=BB21_17 Depth=1
	s_andn2_b64 vcc, exec, s[16:17]
	s_cbranch_vccnz .LBB21_276
; %bb.275:                              ;   in Loop: Header=BB21_17 Depth=1
	s_sub_u32 s58, s58, s6
	s_subb_u32 s59, s59, s7
	s_mov_b32 s47, 8
	s_mov_b32 s40, s94
	;; [unrolled: 1-line block ×3, first 2 shown]
.LBB21_276:                             ;   in Loop: Header=BB21_17 Depth=1
	s_mov_b64 s[44:45], s[58:59]
	s_mov_b32 s94, s40
	s_mov_b32 s89, s41
.LBB21_277:                             ;   in Loop: Header=BB21_17 Depth=1
	s_mov_b64 s[42:43], exec
.LBB21_278:                             ;   in Loop: Header=BB21_17 Depth=1
	s_or_b64 exec, exec, s[38:39]
	s_mov_b64 s[58:59], s[44:45]
.LBB21_279:                             ;   in Loop: Header=BB21_17 Depth=1
	s_andn2_b64 s[6:7], s[26:27], exec
	s_and_b64 s[0:1], s[0:1], exec
	s_or_b64 s[26:27], s[6:7], s[0:1]
	s_andn2_b64 s[0:1], s[34:35], exec
	s_and_b64 s[6:7], s[8:9], exec
	s_or_b64 s[34:35], s[0:1], s[6:7]
	;; [unrolled: 3-line block ×3, first 2 shown]
	s_and_b64 s[2:3], s[42:43], exec
.LBB21_280:                             ;   in Loop: Header=BB21_17 Depth=1
	s_or_b64 exec, exec, s[36:37]
.LBB21_281:                             ;   in Loop: Header=BB21_17 Depth=1
	s_andn2_b64 s[0:1], s[20:21], exec
	s_and_b64 s[6:7], s[26:27], exec
	s_or_b64 s[20:21], s[0:1], s[6:7]
	s_andn2_b64 s[0:1], s[22:23], exec
	s_and_b64 s[6:7], s[34:35], exec
	s_or_b64 s[22:23], s[0:1], s[6:7]
	;; [unrolled: 3-line block ×3, first 2 shown]
	s_and_b64 s[2:3], s[2:3], exec
.LBB21_282:                             ;   in Loop: Header=BB21_17 Depth=1
	s_or_b64 exec, exec, s[24:25]
	s_and_saveexec_b64 s[0:1], s[2:3]
	s_xor_b64 s[0:1], exec, s[0:1]
	s_cbranch_execz .LBB21_15
.LBB21_283:                             ;   in Loop: Header=BB21_17 Depth=1
	s_and_b32 s2, s47, -9
	s_cmp_eq_u32 s2, 0
	s_cbranch_scc1 .LBB21_13
; %bb.284:                              ;   in Loop: Header=BB21_17 Depth=1
	s_mov_b64 s[2:3], -1
                                        ; implicit-def: $sgpr89
                                        ; implicit-def: $sgpr29
                                        ; implicit-def: $sgpr88
	s_mov_b64 s[6:7], -1
	s_branch .LBB21_14
.LBB21_285:                             ;   in Loop: Header=BB21_17 Depth=1
                                        ; implicit-def: $vgpr2_vgpr3
	s_branch .LBB21_237
.LBB21_286:                             ;   in Loop: Header=BB21_17 Depth=1
                                        ; implicit-def: $vgpr2_vgpr3
	s_branch .LBB21_254
.LBB21_287:
	s_or_b64 exec, exec, s[68:69]
	s_xor_b64 s[6:7], s[74:75], -1
	s_xor_b64 s[0:1], s[60:61], -1
	;; [unrolled: 1-line block ×3, first 2 shown]
	s_mov_b64 s[2:3], 0
	s_and_saveexec_b64 s[8:9], s[0:1]
	s_xor_b64 s[0:1], exec, s[8:9]
	s_cbranch_execnz .LBB21_292
; %bb.288:
	s_andn2_saveexec_b64 s[0:1], s[0:1]
	s_cbranch_execnz .LBB21_317
.LBB21_289:
	s_or_b64 exec, exec, s[0:1]
	s_and_saveexec_b64 s[0:1], s[2:3]
.LBB21_290:
	; divergent unreachable
.LBB21_291:
	s_endpgm
.LBB21_292:
	s_and_saveexec_b64 s[2:3], s[6:7]
	s_xor_b64 s[2:3], exec, s[2:3]
	s_cbranch_execz .LBB21_315
; %bb.293:
	s_and_saveexec_b64 s[6:7], s[4:5]
	s_xor_b64 s[4:5], exec, s[6:7]
; %bb.294:
	v_xor_b32_e32 v29, 0x80000000, v2
; %bb.295:
	s_or_b64 exec, exec, s[4:5]
	s_mov_b64 s[4:5], exec
	v_readlane_b32 s6, v52, 12
	v_readlane_b32 s7, v52, 13
	;; [unrolled: 1-line block ×3, first 2 shown]
	s_and_b64 s[6:7], s[4:5], s[6:7]
	v_readlane_b32 s24, v52, 22
	v_readlane_b32 s27, v52, 7
	;; [unrolled: 1-line block ×3, first 2 shown]
	s_mov_b64 exec, s[6:7]
	s_cbranch_execz .LBB21_297
; %bb.296:
	v_mov_b32_e32 v2, 0
	v_mov_b32_e32 v3, s56
	ds_write_b32 v2, v3 offset:5140
.LBB21_297:
	s_or_b64 exec, exec, s[4:5]
	s_waitcnt lgkmcnt(0)
	s_barrier
	s_mov_b64 s[4:5], exec
	v_readlane_b32 s6, v52, 30
	v_readlane_b32 s7, v52, 31
	s_and_b64 s[6:7], s[4:5], s[6:7]
	s_mov_b64 exec, s[6:7]
	s_cbranch_execz .LBB21_312
; %bb.298:
	v_mov_b32_e32 v2, 0
	ds_read_b32 v4, v2 offset:5140
	s_mov_b64 s[6:7], 0
                                        ; implicit-def: $sgpr8_sgpr9
                                        ; implicit-def: $sgpr10_sgpr11
                                        ; implicit-def: $sgpr12_sgpr13
	s_waitcnt lgkmcnt(0)
	v_ashrrev_i32_e32 v5, 31, v4
	s_branch .LBB21_301
.LBB21_299:                             ;   in Loop: Header=BB21_301 Depth=1
	s_or_b64 exec, exec, s[18:19]
	s_andn2_b64 s[12:13], s[12:13], exec
	s_and_b64 s[16:17], s[16:17], exec
	s_or_b64 s[12:13], s[12:13], s[16:17]
	s_andn2_b64 s[10:11], s[10:11], exec
	s_and_b64 s[16:17], s[20:21], exec
	s_or_b64 s[10:11], s[10:11], s[16:17]
.LBB21_300:                             ;   in Loop: Header=BB21_301 Depth=1
	s_or_b64 exec, exec, s[14:15]
	s_and_b64 s[14:15], exec, s[10:11]
	s_or_b64 s[6:7], s[14:15], s[6:7]
	s_andn2_b64 s[8:9], s[8:9], exec
	s_and_b64 s[14:15], s[12:13], exec
	s_or_b64 s[8:9], s[8:9], s[14:15]
	s_andn2_b64 exec, exec, s[6:7]
	s_cbranch_execz .LBB21_307
.LBB21_301:                             ; =>This Inner Loop Header: Depth=1
	v_pk_mov_b32 v[2:3], v[0:1], v[0:1] op_sel:[0,1]
	v_cmp_lt_i64_e32 vcc, v[2:3], v[4:5]
	s_or_b64 s[12:13], s[12:13], exec
	s_or_b64 s[10:11], s[10:11], exec
                                        ; implicit-def: $vgpr0_vgpr1
	s_and_saveexec_b64 s[14:15], vcc
	s_cbranch_execz .LBB21_300
; %bb.302:                              ;   in Loop: Header=BB21_301 Depth=1
	global_load_dword v0, v[10:11], off
	s_mov_b64 s[20:21], -1
	s_mov_b64 s[16:17], 0
	s_waitcnt vmcnt(0)
	v_cmp_ne_u32_e32 vcc, v0, v29
                                        ; implicit-def: $vgpr0_vgpr1
	s_and_saveexec_b64 s[18:19], vcc
	s_cbranch_execz .LBB21_299
; %bb.303:                              ;   in Loop: Header=BB21_301 Depth=1
	v_mov_b32_e32 v1, s28
	v_add_co_u32_e32 v0, vcc, s33, v2
	v_addc_co_u32_e32 v1, vcc, v3, v1, vcc
	v_mov_b32_e32 v3, s85
	v_add_co_u32_e32 v10, vcc, s84, v10
	v_addc_co_u32_e32 v11, vcc, v11, v3, vcc
	v_cmp_le_i64_e32 vcc, s[56:57], v[0:1]
	s_mov_b64 s[16:17], exec
	s_orn2_b64 s[20:21], vcc, exec
	s_branch .LBB21_299
.LBB21_304:
                                        ; implicit-def: $sgpr16_sgpr17
	s_branch .LBB21_3
.LBB21_305:
                                        ; implicit-def: $sgpr8_sgpr9
	s_branch .LBB21_6
.LBB21_306:
                                        ; implicit-def: $sgpr0_sgpr1
                                        ; kill: killed $sgpr0_sgpr1
	s_load_dwordx2 s[0:1], s[4:5], 0x0
	s_branch .LBB21_9
.LBB21_307:
	s_or_b64 exec, exec, s[6:7]
	s_xor_b64 s[6:7], s[8:9], -1
	s_and_saveexec_b64 s[8:9], s[6:7]
	s_xor_b64 s[8:9], exec, s[8:9]
	s_cbranch_execz .LBB21_312
; %bb.308:
	s_mov_b64 s[6:7], exec
	s_brev_b32 s8, -2
.LBB21_309:                             ; =>This Inner Loop Header: Depth=1
	s_ff1_i32_b64 s9, s[6:7]
	v_readlane_b32 s12, v2, s9
	s_lshl_b64 s[10:11], 1, s9
	s_min_i32 s8, s8, s12
	s_andn2_b64 s[6:7], s[6:7], s[10:11]
	s_cmp_lg_u64 s[6:7], 0
	s_cbranch_scc1 .LBB21_309
; %bb.310:
	v_mbcnt_lo_u32_b32 v0, exec_lo, 0
	v_mbcnt_hi_u32_b32 v0, exec_hi, v0
	v_cmp_eq_u32_e32 vcc, 0, v0
	s_and_saveexec_b64 s[6:7], vcc
	s_xor_b64 s[6:7], exec, s[6:7]
	s_cbranch_execz .LBB21_312
; %bb.311:
	v_mov_b32_e32 v0, 0
	v_mov_b32_e32 v1, s8
	ds_min_i32 v0, v1 offset:5140
.LBB21_312:
	s_or_b64 exec, exec, s[4:5]
	s_waitcnt lgkmcnt(0)
	s_barrier
	s_mov_b64 s[4:5], exec
	v_readlane_b32 s6, v52, 12
	v_readlane_b32 s7, v52, 13
	s_and_b64 s[6:7], s[4:5], s[6:7]
	s_mov_b64 exec, s[6:7]
	s_cbranch_execz .LBB21_314
; %bb.313:
	v_readlane_b32 s8, v52, 0
	v_readlane_b32 s9, v52, 1
	;; [unrolled: 1-line block ×4, first 2 shown]
	s_mul_i32 s6, s10, s9
	s_mul_hi_u32 s7, s10, s8
	s_add_i32 s6, s7, s6
	s_mul_i32 s7, s11, s8
	s_add_i32 s6, s6, s7
	s_mul_i32 s7, s10, s8
	v_readlane_b32 s12, v52, 18
	s_sub_u32 s8, s24, s7
	v_readlane_b32 s14, v52, 20
	v_readlane_b32 s15, v52, 21
	s_subb_u32 s6, 0, s6
	s_mul_i32 s7, s8, s15
	s_mul_hi_u32 s9, s8, s14
	v_readlane_b32 s13, v52, 19
	s_add_i32 s7, s9, s7
	s_mul_i32 s6, s6, s14
	s_add_i32 s7, s7, s6
	s_mul_i32 s6, s8, s14
	s_mul_i32 s8, s10, s13
	s_mul_hi_u32 s9, s10, s12
	s_add_i32 s8, s9, s8
	s_mul_i32 s9, s11, s12
	v_readlane_b32 s14, v52, 4
	s_add_i32 s9, s8, s9
	s_mul_i32 s8, s10, s12
	v_readlane_b32 s15, v52, 5
	s_mul_i32 s10, s14, s27
	s_mul_hi_u32 s11, s14, s26
	s_add_i32 s10, s11, s10
	s_mul_i32 s11, s15, s26
	s_add_i32 s10, s10, s11
	s_mul_i32 s11, s14, s26
	v_readlane_b32 s16, v52, 14
	s_sub_u32 s12, s24, s11
	v_readlane_b32 s18, v52, 16
	v_readlane_b32 s19, v52, 17
	s_subb_u32 s10, 0, s10
	s_mul_i32 s11, s12, s19
	s_mul_hi_u32 s13, s12, s18
	v_readlane_b32 s17, v52, 15
	s_add_i32 s11, s13, s11
	s_mul_i32 s10, s10, s18
	s_add_i32 s11, s11, s10
	s_mul_i32 s10, s12, s18
	s_mul_i32 s12, s14, s17
	s_mul_hi_u32 s13, s14, s16
	s_add_i32 s12, s13, s12
	s_mul_i32 s13, s15, s16
	s_add_i32 s13, s12, s13
	s_mul_i32 s12, s14, s16
	s_lshl_b64 s[8:9], s[8:9], 2
	v_readlane_b32 s14, v52, 10
	v_readlane_b32 s15, v52, 11
	s_add_u32 s8, s14, s8
	s_addc_u32 s9, s15, s9
	s_lshl_b64 s[6:7], s[6:7], 2
	v_mov_b32_e32 v2, 0
	s_add_u32 s6, s8, s6
	ds_read_b32 v0, v2 offset:5140
	s_addc_u32 s7, s9, s7
	s_lshl_b64 s[8:9], s[12:13], 3
	v_readlane_b32 s12, v52, 8
	v_readlane_b32 s13, v52, 9
	s_add_u32 s12, s12, s8
	s_addc_u32 s13, s13, s9
	s_lshl_b64 s[8:9], s[10:11], 3
	s_add_u32 s8, s12, s8
	s_addc_u32 s9, s13, s9
	s_waitcnt lgkmcnt(0)
	v_ashrrev_i32_e32 v1, 31, v0
	global_store_dwordx2 v2, v[0:1], s[8:9]
	global_store_dword v2, v29, s[6:7]
.LBB21_314:
	s_or_b64 exec, exec, s[4:5]
.LBB21_315:
	s_or_saveexec_b64 s[2:3], s[2:3]
	s_mov_b64 s[4:5], 0
	s_xor_b64 exec, exec, s[2:3]
	s_cbranch_execnz .LBB21_318
.LBB21_316:
	s_or_b64 exec, exec, s[2:3]
	s_and_b64 s[2:3], s[4:5], exec
	s_andn2_saveexec_b64 s[0:1], s[0:1]
	s_cbranch_execz .LBB21_289
.LBB21_317:
	s_or_b64 s[2:3], s[2:3], exec
	s_trap 2
	s_or_b64 exec, exec, s[0:1]
	s_and_saveexec_b64 s[0:1], s[2:3]
	s_cbranch_execnz .LBB21_290
	s_branch .LBB21_291
.LBB21_318:
	s_mov_b64 s[4:5], exec
	s_trap 2
	s_branch .LBB21_316
	.section	.rodata,"a",@progbits
	.p2align	6, 0x0
	.amdhsa_kernel _ZN2at6native12_GLOBAL__N_114gatherKthValueIilLi2EEEvNS_4cuda6detail10TensorInfoIKT_T0_EES8_S8_S8_S8_NS5_IS6_S8_EENS5_IlS8_EE
		.amdhsa_group_segment_fixed_size 5144
		.amdhsa_private_segment_fixed_size 0
		.amdhsa_kernarg_size 1536
		.amdhsa_user_sgpr_count 6
		.amdhsa_user_sgpr_private_segment_buffer 1
		.amdhsa_user_sgpr_dispatch_ptr 0
		.amdhsa_user_sgpr_queue_ptr 0
		.amdhsa_user_sgpr_kernarg_segment_ptr 1
		.amdhsa_user_sgpr_dispatch_id 0
		.amdhsa_user_sgpr_flat_scratch_init 0
		.amdhsa_user_sgpr_kernarg_preload_length 0
		.amdhsa_user_sgpr_kernarg_preload_offset 0
		.amdhsa_user_sgpr_private_segment_size 0
		.amdhsa_uses_dynamic_stack 0
		.amdhsa_system_sgpr_private_segment_wavefront_offset 0
		.amdhsa_system_sgpr_workgroup_id_x 1
		.amdhsa_system_sgpr_workgroup_id_y 1
		.amdhsa_system_sgpr_workgroup_id_z 1
		.amdhsa_system_sgpr_workgroup_info 0
		.amdhsa_system_vgpr_workitem_id 0
		.amdhsa_next_free_vgpr 53
		.amdhsa_next_free_sgpr 96
		.amdhsa_accum_offset 56
		.amdhsa_reserve_vcc 1
		.amdhsa_reserve_flat_scratch 0
		.amdhsa_float_round_mode_32 0
		.amdhsa_float_round_mode_16_64 0
		.amdhsa_float_denorm_mode_32 3
		.amdhsa_float_denorm_mode_16_64 3
		.amdhsa_dx10_clamp 1
		.amdhsa_ieee_mode 1
		.amdhsa_fp16_overflow 0
		.amdhsa_tg_split 0
		.amdhsa_exception_fp_ieee_invalid_op 0
		.amdhsa_exception_fp_denorm_src 0
		.amdhsa_exception_fp_ieee_div_zero 0
		.amdhsa_exception_fp_ieee_overflow 0
		.amdhsa_exception_fp_ieee_underflow 0
		.amdhsa_exception_fp_ieee_inexact 0
		.amdhsa_exception_int_div_zero 0
	.end_amdhsa_kernel
	.section	.text._ZN2at6native12_GLOBAL__N_114gatherKthValueIilLi2EEEvNS_4cuda6detail10TensorInfoIKT_T0_EES8_S8_S8_S8_NS5_IS6_S8_EENS5_IlS8_EE,"axG",@progbits,_ZN2at6native12_GLOBAL__N_114gatherKthValueIilLi2EEEvNS_4cuda6detail10TensorInfoIKT_T0_EES8_S8_S8_S8_NS5_IS6_S8_EENS5_IlS8_EE,comdat
.Lfunc_end21:
	.size	_ZN2at6native12_GLOBAL__N_114gatherKthValueIilLi2EEEvNS_4cuda6detail10TensorInfoIKT_T0_EES8_S8_S8_S8_NS5_IS6_S8_EENS5_IlS8_EE, .Lfunc_end21-_ZN2at6native12_GLOBAL__N_114gatherKthValueIilLi2EEEvNS_4cuda6detail10TensorInfoIKT_T0_EES8_S8_S8_S8_NS5_IS6_S8_EENS5_IlS8_EE
                                        ; -- End function
	.section	.AMDGPU.csdata,"",@progbits
; Kernel info:
; codeLenInByte = 18200
; NumSgprs: 100
; NumVgprs: 53
; NumAgprs: 0
; TotalNumVgprs: 53
; ScratchSize: 0
; MemoryBound: 0
; FloatMode: 240
; IeeeMode: 1
; LDSByteSize: 5144 bytes/workgroup (compile time only)
; SGPRBlocks: 12
; VGPRBlocks: 6
; NumSGPRsForWavesPerEU: 100
; NumVGPRsForWavesPerEU: 53
; AccumOffset: 56
; Occupancy: 8
; WaveLimiterHint : 1
; COMPUTE_PGM_RSRC2:SCRATCH_EN: 0
; COMPUTE_PGM_RSRC2:USER_SGPR: 6
; COMPUTE_PGM_RSRC2:TRAP_HANDLER: 0
; COMPUTE_PGM_RSRC2:TGID_X_EN: 1
; COMPUTE_PGM_RSRC2:TGID_Y_EN: 1
; COMPUTE_PGM_RSRC2:TGID_Z_EN: 1
; COMPUTE_PGM_RSRC2:TIDIG_COMP_CNT: 0
; COMPUTE_PGM_RSRC3_GFX90A:ACCUM_OFFSET: 13
; COMPUTE_PGM_RSRC3_GFX90A:TG_SPLIT: 0
	.section	.text._ZN2at6native12_GLOBAL__N_114gatherKthValueIilLi3EEEvNS_4cuda6detail10TensorInfoIKT_T0_EES8_S8_S8_S8_NS5_IS6_S8_EENS5_IlS8_EE,"axG",@progbits,_ZN2at6native12_GLOBAL__N_114gatherKthValueIilLi3EEEvNS_4cuda6detail10TensorInfoIKT_T0_EES8_S8_S8_S8_NS5_IS6_S8_EENS5_IlS8_EE,comdat
	.globl	_ZN2at6native12_GLOBAL__N_114gatherKthValueIilLi3EEEvNS_4cuda6detail10TensorInfoIKT_T0_EES8_S8_S8_S8_NS5_IS6_S8_EENS5_IlS8_EE ; -- Begin function _ZN2at6native12_GLOBAL__N_114gatherKthValueIilLi3EEEvNS_4cuda6detail10TensorInfoIKT_T0_EES8_S8_S8_S8_NS5_IS6_S8_EENS5_IlS8_EE
	.p2align	8
	.type	_ZN2at6native12_GLOBAL__N_114gatherKthValueIilLi3EEEvNS_4cuda6detail10TensorInfoIKT_T0_EES8_S8_S8_S8_NS5_IS6_S8_EENS5_IlS8_EE,@function
_ZN2at6native12_GLOBAL__N_114gatherKthValueIilLi3EEEvNS_4cuda6detail10TensorInfoIKT_T0_EES8_S8_S8_S8_NS5_IS6_S8_EENS5_IlS8_EE: ; @_ZN2at6native12_GLOBAL__N_114gatherKthValueIilLi3EEEvNS_4cuda6detail10TensorInfoIKT_T0_EES8_S8_S8_S8_NS5_IS6_S8_EENS5_IlS8_EE
; %bb.0:
	s_load_dwordx8 s[56:63], s[4:5], 0x1a0
	s_load_dwordx2 s[18:19], s[4:5], 0x500
	s_add_u32 s16, s4, 0x500
	s_addc_u32 s17, s5, 0
	s_mov_b32 s39, 0
	s_waitcnt lgkmcnt(0)
	v_mov_b32_e32 v2, s60
	s_mul_i32 s0, s19, s8
	s_add_i32 s0, s0, s7
	s_mul_i32 s0, s0, s18
	v_mov_b32_e32 v3, s61
	s_add_i32 s38, s0, s6
	v_cmp_ge_i64_e32 vcc, s[38:39], v[2:3]
	s_cbranch_vccnz .LBB22_308
; %bb.1:
	s_load_dwordx4 s[8:11], s[4:5], 0x10
	s_mov_b32 s0, s39
	s_waitcnt lgkmcnt(0)
	s_mov_b32 s1, s11
	s_cmp_lg_u64 s[0:1], 0
	s_cbranch_scc0 .LBB22_12
; %bb.2:
	s_ashr_i32 s2, s11, 31
	s_add_u32 s0, s10, s2
	s_mov_b32 s3, s2
	s_addc_u32 s1, s11, s2
	s_xor_b64 s[14:15], s[0:1], s[2:3]
	v_cvt_f32_u32_e32 v1, s14
	v_cvt_f32_u32_e32 v2, s15
	s_sub_u32 s0, 0, s14
	s_subb_u32 s1, 0, s15
	v_madmk_f32 v1, v2, 0x4f800000, v1
	v_rcp_f32_e32 v1, v1
	v_mul_f32_e32 v1, 0x5f7ffffc, v1
	v_mul_f32_e32 v2, 0x2f800000, v1
	v_trunc_f32_e32 v2, v2
	v_madmk_f32 v1, v2, 0xcf800000, v1
	v_cvt_u32_f32_e32 v2, v2
	v_cvt_u32_f32_e32 v1, v1
	v_readfirstlane_b32 s7, v2
	v_readfirstlane_b32 s19, v1
	s_mul_i32 s20, s0, s7
	s_mul_hi_u32 s22, s0, s19
	s_mul_i32 s21, s1, s19
	s_add_i32 s20, s22, s20
	s_add_i32 s20, s20, s21
	s_mul_i32 s23, s0, s19
	s_mul_hi_u32 s21, s19, s20
	s_mul_i32 s22, s19, s20
	s_mul_hi_u32 s19, s19, s23
	s_add_u32 s19, s19, s22
	s_addc_u32 s21, 0, s21
	s_mul_hi_u32 s24, s7, s23
	s_mul_i32 s23, s7, s23
	s_add_u32 s19, s19, s23
	s_mul_hi_u32 s22, s7, s20
	s_addc_u32 s19, s21, s24
	s_addc_u32 s21, s22, 0
	s_mul_i32 s20, s7, s20
	s_add_u32 s19, s19, s20
	s_addc_u32 s20, 0, s21
	v_add_co_u32_e32 v1, vcc, s19, v1
	s_cmp_lg_u64 vcc, 0
	s_addc_u32 s7, s7, s20
	v_readfirstlane_b32 s20, v1
	s_mul_i32 s19, s0, s7
	s_mul_hi_u32 s21, s0, s20
	s_add_i32 s19, s21, s19
	s_mul_i32 s1, s1, s20
	s_add_i32 s19, s19, s1
	s_mul_i32 s0, s0, s20
	s_mul_hi_u32 s21, s7, s0
	s_mul_i32 s22, s7, s0
	s_mul_i32 s24, s20, s19
	s_mul_hi_u32 s0, s20, s0
	s_mul_hi_u32 s23, s20, s19
	s_add_u32 s0, s0, s24
	s_addc_u32 s20, 0, s23
	s_add_u32 s0, s0, s22
	s_mul_hi_u32 s1, s7, s19
	s_addc_u32 s0, s20, s21
	s_addc_u32 s1, s1, 0
	s_mul_i32 s19, s7, s19
	s_add_u32 s0, s0, s19
	s_addc_u32 s1, 0, s1
	v_add_co_u32_e32 v1, vcc, s0, v1
	s_cmp_lg_u64 vcc, 0
	s_addc_u32 s7, s7, s1
	s_ashr_i32 s20, 0, 31
	s_add_u32 s0, s38, s20
	s_mov_b32 s21, s20
	s_addc_u32 s1, 0, s20
	s_xor_b64 s[22:23], s[0:1], s[20:21]
	v_readfirstlane_b32 s19, v1
	s_mul_i32 s1, s22, s7
	s_mul_hi_u32 s24, s22, s19
	s_mul_hi_u32 s0, s22, s7
	s_add_u32 s1, s24, s1
	s_addc_u32 s0, 0, s0
	s_mul_hi_u32 s25, s23, s19
	s_mul_i32 s19, s23, s19
	s_add_u32 s1, s1, s19
	s_mul_hi_u32 s24, s23, s7
	s_addc_u32 s0, s0, s25
	s_addc_u32 s1, s24, 0
	s_mul_i32 s7, s23, s7
	s_add_u32 s7, s0, s7
	s_addc_u32 s19, 0, s1
	s_mul_i32 s0, s14, s19
	s_mul_hi_u32 s1, s14, s7
	s_add_i32 s0, s1, s0
	s_mul_i32 s1, s15, s7
	s_add_i32 s24, s0, s1
	s_mul_i32 s1, s14, s7
	v_mov_b32_e32 v1, s1
	s_sub_i32 s0, s23, s24
	v_sub_co_u32_e32 v1, vcc, s22, v1
	s_cmp_lg_u64 vcc, 0
	s_subb_u32 s22, s0, s15
	v_subrev_co_u32_e64 v2, s[0:1], s14, v1
	s_cmp_lg_u64 s[0:1], 0
	s_subb_u32 s0, s22, 0
	s_cmp_ge_u32 s0, s15
	v_readfirstlane_b32 s22, v2
	s_cselect_b32 s1, -1, 0
	s_cmp_ge_u32 s22, s14
	s_cselect_b32 s22, -1, 0
	s_cmp_eq_u32 s0, s15
	s_cselect_b32 s0, s22, s1
	s_add_u32 s1, s7, 1
	s_addc_u32 s22, s19, 0
	s_add_u32 s25, s7, 2
	s_addc_u32 s26, s19, 0
	s_cmp_lg_u32 s0, 0
	s_cselect_b32 s0, s25, s1
	s_cselect_b32 s1, s26, s22
	s_cmp_lg_u64 vcc, 0
	s_subb_u32 s22, s23, s24
	s_cmp_ge_u32 s22, s15
	v_readfirstlane_b32 s24, v1
	s_cselect_b32 s23, -1, 0
	s_cmp_ge_u32 s24, s14
	s_cselect_b32 s14, -1, 0
	s_cmp_eq_u32 s22, s15
	s_cselect_b32 s14, s14, s23
	s_cmp_lg_u32 s14, 0
	s_cselect_b32 s1, s1, s19
	s_cselect_b32 s0, s0, s7
	s_xor_b64 s[2:3], s[20:21], s[2:3]
	s_xor_b64 s[0:1], s[0:1], s[2:3]
	s_sub_u32 s2, s0, s2
	s_subb_u32 s3, s1, s3
	s_cbranch_execnz .LBB22_4
.LBB22_3:
	v_cvt_f32_u32_e32 v1, s10
	s_sub_i32 s0, 0, s10
	s_mov_b32 s3, 0
	v_rcp_iflag_f32_e32 v1, v1
	v_mul_f32_e32 v1, 0x4f7ffffe, v1
	v_cvt_u32_f32_e32 v1, v1
	v_readfirstlane_b32 s1, v1
	s_mul_i32 s0, s0, s1
	s_mul_hi_u32 s0, s1, s0
	s_add_i32 s1, s1, s0
	s_mul_hi_u32 s0, s38, s1
	s_mul_i32 s2, s0, s10
	s_sub_i32 s2, s38, s2
	s_add_i32 s1, s0, 1
	s_sub_i32 s7, s2, s10
	s_cmp_ge_u32 s2, s10
	s_cselect_b32 s0, s1, s0
	s_cselect_b32 s2, s7, s2
	s_add_i32 s1, s0, 1
	s_cmp_ge_u32 s2, s10
	s_cselect_b32 s2, s1, s0
.LBB22_4:
	s_or_b64 s[0:1], s[2:3], s[8:9]
	s_mov_b32 s0, 0
	s_cmp_lg_u64 s[0:1], 0
	s_cbranch_scc0 .LBB22_13
; %bb.5:
	s_ashr_i32 s14, s9, 31
	s_add_u32 s0, s8, s14
	s_mov_b32 s15, s14
	s_addc_u32 s1, s9, s14
	s_xor_b64 s[20:21], s[0:1], s[14:15]
	v_cvt_f32_u32_e32 v1, s20
	v_cvt_f32_u32_e32 v2, s21
	s_sub_u32 s0, 0, s20
	s_subb_u32 s1, 0, s21
	v_madmk_f32 v1, v2, 0x4f800000, v1
	v_rcp_f32_e32 v1, v1
	v_mul_f32_e32 v1, 0x5f7ffffc, v1
	v_mul_f32_e32 v2, 0x2f800000, v1
	v_trunc_f32_e32 v2, v2
	v_madmk_f32 v1, v2, 0xcf800000, v1
	v_cvt_u32_f32_e32 v2, v2
	v_cvt_u32_f32_e32 v1, v1
	v_readfirstlane_b32 s7, v2
	v_readfirstlane_b32 s19, v1
	s_mul_i32 s22, s0, s7
	s_mul_hi_u32 s24, s0, s19
	s_mul_i32 s23, s1, s19
	s_add_i32 s22, s24, s22
	s_add_i32 s22, s22, s23
	s_mul_i32 s25, s0, s19
	s_mul_hi_u32 s23, s19, s22
	s_mul_i32 s24, s19, s22
	s_mul_hi_u32 s19, s19, s25
	s_add_u32 s19, s19, s24
	s_addc_u32 s23, 0, s23
	s_mul_hi_u32 s26, s7, s25
	s_mul_i32 s25, s7, s25
	s_add_u32 s19, s19, s25
	s_mul_hi_u32 s24, s7, s22
	s_addc_u32 s19, s23, s26
	s_addc_u32 s23, s24, 0
	s_mul_i32 s22, s7, s22
	s_add_u32 s19, s19, s22
	s_addc_u32 s22, 0, s23
	v_add_co_u32_e32 v1, vcc, s19, v1
	s_cmp_lg_u64 vcc, 0
	s_addc_u32 s7, s7, s22
	v_readfirstlane_b32 s22, v1
	s_mul_i32 s19, s0, s7
	s_mul_hi_u32 s23, s0, s22
	s_add_i32 s19, s23, s19
	s_mul_i32 s1, s1, s22
	s_add_i32 s19, s19, s1
	s_mul_i32 s0, s0, s22
	s_mul_hi_u32 s23, s7, s0
	s_mul_i32 s24, s7, s0
	s_mul_i32 s26, s22, s19
	s_mul_hi_u32 s0, s22, s0
	s_mul_hi_u32 s25, s22, s19
	s_add_u32 s0, s0, s26
	s_addc_u32 s22, 0, s25
	s_add_u32 s0, s0, s24
	s_mul_hi_u32 s1, s7, s19
	s_addc_u32 s0, s22, s23
	s_addc_u32 s1, s1, 0
	s_mul_i32 s19, s7, s19
	s_add_u32 s0, s0, s19
	s_addc_u32 s1, 0, s1
	v_add_co_u32_e32 v1, vcc, s0, v1
	s_cmp_lg_u64 vcc, 0
	s_addc_u32 s7, s7, s1
	s_ashr_i32 s22, s3, 31
	s_add_u32 s0, s2, s22
	s_mov_b32 s23, s22
	s_addc_u32 s1, s3, s22
	s_xor_b64 s[24:25], s[0:1], s[22:23]
	v_readfirstlane_b32 s19, v1
	s_mul_i32 s1, s24, s7
	s_mul_hi_u32 s26, s24, s19
	s_mul_hi_u32 s0, s24, s7
	s_add_u32 s1, s26, s1
	s_addc_u32 s0, 0, s0
	s_mul_hi_u32 s27, s25, s19
	s_mul_i32 s19, s25, s19
	s_add_u32 s1, s1, s19
	s_mul_hi_u32 s26, s25, s7
	s_addc_u32 s0, s0, s27
	s_addc_u32 s1, s26, 0
	s_mul_i32 s7, s25, s7
	s_add_u32 s7, s0, s7
	s_addc_u32 s19, 0, s1
	s_mul_i32 s0, s20, s19
	s_mul_hi_u32 s1, s20, s7
	s_add_i32 s0, s1, s0
	s_mul_i32 s1, s21, s7
	s_add_i32 s26, s0, s1
	s_mul_i32 s1, s20, s7
	v_mov_b32_e32 v1, s1
	s_sub_i32 s0, s25, s26
	v_sub_co_u32_e32 v1, vcc, s24, v1
	s_cmp_lg_u64 vcc, 0
	s_subb_u32 s24, s0, s21
	v_subrev_co_u32_e64 v2, s[0:1], s20, v1
	s_cmp_lg_u64 s[0:1], 0
	s_subb_u32 s0, s24, 0
	s_cmp_ge_u32 s0, s21
	v_readfirstlane_b32 s24, v2
	s_cselect_b32 s1, -1, 0
	s_cmp_ge_u32 s24, s20
	s_cselect_b32 s24, -1, 0
	s_cmp_eq_u32 s0, s21
	s_cselect_b32 s0, s24, s1
	s_add_u32 s1, s7, 1
	s_addc_u32 s24, s19, 0
	s_add_u32 s27, s7, 2
	s_addc_u32 s28, s19, 0
	s_cmp_lg_u32 s0, 0
	s_cselect_b32 s0, s27, s1
	s_cselect_b32 s1, s28, s24
	s_cmp_lg_u64 vcc, 0
	s_subb_u32 s24, s25, s26
	s_cmp_ge_u32 s24, s21
	v_readfirstlane_b32 s26, v1
	s_cselect_b32 s25, -1, 0
	s_cmp_ge_u32 s26, s20
	s_cselect_b32 s20, -1, 0
	s_cmp_eq_u32 s24, s21
	s_cselect_b32 s20, s20, s25
	s_cmp_lg_u32 s20, 0
	s_cselect_b32 s1, s1, s19
	s_cselect_b32 s0, s0, s7
	s_xor_b64 s[14:15], s[22:23], s[14:15]
	s_xor_b64 s[0:1], s[0:1], s[14:15]
	s_sub_u32 s20, s0, s14
	s_subb_u32 s21, s1, s15
	s_load_dwordx4 s[24:27], s[4:5], 0x1d0
	s_cbranch_execnz .LBB22_7
.LBB22_6:
	v_cvt_f32_u32_e32 v1, s8
	s_sub_i32 s0, 0, s8
	s_mov_b32 s21, 0
	v_rcp_iflag_f32_e32 v1, v1
	v_mul_f32_e32 v1, 0x4f7ffffe, v1
	v_cvt_u32_f32_e32 v1, v1
	v_readfirstlane_b32 s1, v1
	s_mul_i32 s0, s0, s1
	s_mul_hi_u32 s0, s1, s0
	s_add_i32 s1, s1, s0
	s_mul_hi_u32 s0, s2, s1
	s_mul_i32 s7, s0, s8
	s_sub_i32 s7, s2, s7
	s_add_i32 s1, s0, 1
	s_sub_i32 s12, s7, s8
	s_cmp_ge_u32 s7, s8
	s_cselect_b32 s0, s1, s0
	s_cselect_b32 s7, s12, s7
	s_add_i32 s1, s0, 1
	s_cmp_ge_u32 s7, s8
	s_cselect_b32 s20, s1, s0
.LBB22_7:
                                        ; implicit-def: $vgpr54 : SGPR spill to VGPR lane
	s_waitcnt lgkmcnt(0)
	s_mov_b32 s1, s27
	v_writelane_b32 v54, s24, 0
	s_mov_b32 s0, 0
	v_writelane_b32 v54, s25, 1
	s_cmp_lg_u64 s[0:1], 0
	v_writelane_b32 v54, s26, 2
	v_writelane_b32 v54, s27, 3
	s_cbranch_scc0 .LBB22_14
; %bb.8:
	s_ashr_i32 s12, s27, 31
	s_add_u32 s0, s26, s12
	s_mov_b32 s13, s12
	s_addc_u32 s1, s27, s12
	s_xor_b64 s[22:23], s[0:1], s[12:13]
	v_cvt_f32_u32_e32 v1, s22
	v_cvt_f32_u32_e32 v2, s23
	s_sub_u32 s0, 0, s22
	s_subb_u32 s1, 0, s23
	v_madmk_f32 v1, v2, 0x4f800000, v1
	v_rcp_f32_e32 v1, v1
	v_mul_f32_e32 v1, 0x5f7ffffc, v1
	v_mul_f32_e32 v2, 0x2f800000, v1
	v_trunc_f32_e32 v2, v2
	v_madmk_f32 v1, v2, 0xcf800000, v1
	v_cvt_u32_f32_e32 v2, v2
	v_cvt_u32_f32_e32 v1, v1
	v_readfirstlane_b32 s7, v2
	v_readfirstlane_b32 s19, v1
	s_mul_i32 s24, s0, s7
	s_mul_hi_u32 s26, s0, s19
	s_mul_i32 s25, s1, s19
	s_add_i32 s24, s26, s24
	s_add_i32 s24, s24, s25
	s_mul_i32 s27, s0, s19
	s_mul_hi_u32 s25, s19, s24
	s_mul_i32 s26, s19, s24
	s_mul_hi_u32 s19, s19, s27
	s_add_u32 s19, s19, s26
	s_addc_u32 s25, 0, s25
	s_mul_hi_u32 s28, s7, s27
	s_mul_i32 s27, s7, s27
	s_add_u32 s19, s19, s27
	s_mul_hi_u32 s26, s7, s24
	s_addc_u32 s19, s25, s28
	s_addc_u32 s25, s26, 0
	s_mul_i32 s24, s7, s24
	s_add_u32 s19, s19, s24
	s_addc_u32 s24, 0, s25
	v_add_co_u32_e32 v1, vcc, s19, v1
	s_cmp_lg_u64 vcc, 0
	s_addc_u32 s7, s7, s24
	v_readfirstlane_b32 s24, v1
	s_mul_i32 s19, s0, s7
	s_mul_hi_u32 s25, s0, s24
	s_add_i32 s19, s25, s19
	s_mul_i32 s1, s1, s24
	s_add_i32 s19, s19, s1
	s_mul_i32 s0, s0, s24
	s_mul_hi_u32 s25, s7, s0
	s_mul_i32 s26, s7, s0
	s_mul_i32 s28, s24, s19
	s_mul_hi_u32 s0, s24, s0
	s_mul_hi_u32 s27, s24, s19
	s_add_u32 s0, s0, s28
	s_addc_u32 s24, 0, s27
	s_add_u32 s0, s0, s26
	s_mul_hi_u32 s1, s7, s19
	s_addc_u32 s0, s24, s25
	s_addc_u32 s1, s1, 0
	s_mul_i32 s19, s7, s19
	s_add_u32 s0, s0, s19
	s_addc_u32 s1, 0, s1
	v_add_co_u32_e32 v1, vcc, s0, v1
	s_cmp_lg_u64 vcc, 0
	s_addc_u32 s7, s7, s1
	s_ashr_i32 s24, 0, 31
	s_add_u32 s0, s38, s24
	s_mov_b32 s25, s24
	s_addc_u32 s1, 0, s24
	s_xor_b64 s[26:27], s[0:1], s[24:25]
	v_readfirstlane_b32 s19, v1
	s_mul_i32 s1, s26, s7
	s_mul_hi_u32 s28, s26, s19
	s_mul_hi_u32 s0, s26, s7
	s_add_u32 s1, s28, s1
	s_addc_u32 s0, 0, s0
	s_mul_hi_u32 s29, s27, s19
	s_mul_i32 s19, s27, s19
	s_add_u32 s1, s1, s19
	s_mul_hi_u32 s28, s27, s7
	s_addc_u32 s0, s0, s29
	s_addc_u32 s1, s28, 0
	s_mul_i32 s7, s27, s7
	s_add_u32 s7, s0, s7
	s_addc_u32 s19, 0, s1
	s_mul_i32 s0, s22, s19
	s_mul_hi_u32 s1, s22, s7
	s_add_i32 s0, s1, s0
	s_mul_i32 s1, s23, s7
	s_add_i32 s28, s0, s1
	s_mul_i32 s1, s22, s7
	v_mov_b32_e32 v1, s1
	s_sub_i32 s0, s27, s28
	v_sub_co_u32_e32 v1, vcc, s26, v1
	s_cmp_lg_u64 vcc, 0
	s_subb_u32 s26, s0, s23
	v_subrev_co_u32_e64 v2, s[0:1], s22, v1
	s_cmp_lg_u64 s[0:1], 0
	s_subb_u32 s0, s26, 0
	s_cmp_ge_u32 s0, s23
	v_readfirstlane_b32 s26, v2
	s_cselect_b32 s1, -1, 0
	s_cmp_ge_u32 s26, s22
	s_cselect_b32 s26, -1, 0
	s_cmp_eq_u32 s0, s23
	s_cselect_b32 s0, s26, s1
	s_add_u32 s1, s7, 1
	s_addc_u32 s26, s19, 0
	s_add_u32 s29, s7, 2
	s_addc_u32 s30, s19, 0
	s_cmp_lg_u32 s0, 0
	s_cselect_b32 s0, s29, s1
	s_cselect_b32 s1, s30, s26
	s_cmp_lg_u64 vcc, 0
	s_subb_u32 s26, s27, s28
	s_cmp_ge_u32 s26, s23
	v_readfirstlane_b32 s28, v1
	s_cselect_b32 s27, -1, 0
	s_cmp_ge_u32 s28, s22
	s_cselect_b32 s22, -1, 0
	s_cmp_eq_u32 s26, s23
	s_cselect_b32 s22, s22, s27
	s_cmp_lg_u32 s22, 0
	s_cselect_b32 s1, s1, s19
	s_cselect_b32 s0, s0, s7
	s_xor_b64 s[12:13], s[24:25], s[12:13]
	s_load_dwordx4 s[24:27], s[4:5], 0x1d0
	s_xor_b64 s[0:1], s[0:1], s[12:13]
	s_sub_u32 s30, s0, s12
	s_subb_u32 s31, s1, s13
	s_cbranch_execnz .LBB22_10
.LBB22_9:
	s_waitcnt lgkmcnt(0)
	v_cvt_f32_u32_e32 v1, s26
	s_sub_i32 s0, 0, s26
	s_mov_b32 s31, 0
	v_rcp_iflag_f32_e32 v1, v1
	v_mul_f32_e32 v1, 0x4f7ffffe, v1
	v_cvt_u32_f32_e32 v1, v1
	v_readfirstlane_b32 s1, v1
	s_mul_i32 s0, s0, s1
	s_mul_hi_u32 s0, s1, s0
	s_add_i32 s1, s1, s0
	s_mul_hi_u32 s0, s38, s1
	s_mul_i32 s7, s0, s26
	s_sub_i32 s7, s38, s7
	s_add_i32 s1, s0, 1
	s_sub_i32 s12, s7, s26
	s_cmp_ge_u32 s7, s26
	s_cselect_b32 s0, s1, s0
	s_cselect_b32 s7, s12, s7
	s_add_i32 s1, s0, 1
	s_cmp_ge_u32 s7, s26
	s_cselect_b32 s30, s1, s0
.LBB22_10:
	s_waitcnt lgkmcnt(0)
	s_or_b64 s[0:1], s[30:31], s[24:25]
	s_mov_b32 s0, 0
	s_cmp_lg_u64 s[0:1], 0
	v_writelane_b32 v54, s30, 4
	v_writelane_b32 v54, s31, 5
	s_cbranch_scc0 .LBB22_15
; %bb.11:
	s_ashr_i32 s14, s25, 31
	s_add_u32 s0, s24, s14
	s_mov_b32 s15, s14
	s_addc_u32 s1, s25, s14
	s_xor_b64 s[22:23], s[0:1], s[14:15]
	v_cvt_f32_u32_e32 v1, s22
	v_cvt_f32_u32_e32 v2, s23
	s_sub_u32 s0, 0, s22
	s_subb_u32 s1, 0, s23
	s_mov_b64 s[12:13], 0
	v_madmk_f32 v1, v2, 0x4f800000, v1
	v_rcp_f32_e32 v1, v1
	v_mul_f32_e32 v1, 0x5f7ffffc, v1
	v_mul_f32_e32 v2, 0x2f800000, v1
	v_trunc_f32_e32 v2, v2
	v_madmk_f32 v1, v2, 0xcf800000, v1
	v_cvt_u32_f32_e32 v2, v2
	v_cvt_u32_f32_e32 v1, v1
	v_readfirstlane_b32 s7, v2
	v_readfirstlane_b32 s19, v1
	s_mul_i32 s24, s0, s7
	s_mul_hi_u32 s26, s0, s19
	s_mul_i32 s25, s1, s19
	s_add_i32 s24, s26, s24
	s_add_i32 s24, s24, s25
	s_mul_i32 s27, s0, s19
	s_mul_hi_u32 s25, s19, s24
	s_mul_i32 s26, s19, s24
	s_mul_hi_u32 s19, s19, s27
	s_add_u32 s19, s19, s26
	s_addc_u32 s25, 0, s25
	s_mul_hi_u32 s28, s7, s27
	s_mul_i32 s27, s7, s27
	s_add_u32 s19, s19, s27
	s_mul_hi_u32 s26, s7, s24
	s_addc_u32 s19, s25, s28
	s_addc_u32 s25, s26, 0
	s_mul_i32 s24, s7, s24
	s_add_u32 s19, s19, s24
	s_addc_u32 s24, 0, s25
	v_add_co_u32_e32 v1, vcc, s19, v1
	s_cmp_lg_u64 vcc, 0
	s_addc_u32 s7, s7, s24
	v_readfirstlane_b32 s24, v1
	s_mul_i32 s19, s0, s7
	s_mul_hi_u32 s25, s0, s24
	s_add_i32 s19, s25, s19
	s_mul_i32 s1, s1, s24
	s_add_i32 s19, s19, s1
	s_mul_i32 s0, s0, s24
	s_mul_hi_u32 s25, s7, s0
	s_mul_i32 s26, s7, s0
	s_mul_i32 s28, s24, s19
	s_mul_hi_u32 s0, s24, s0
	s_mul_hi_u32 s27, s24, s19
	s_add_u32 s0, s0, s28
	s_addc_u32 s24, 0, s27
	s_add_u32 s0, s0, s26
	s_mul_hi_u32 s1, s7, s19
	s_addc_u32 s0, s24, s25
	s_addc_u32 s1, s1, 0
	s_mul_i32 s19, s7, s19
	s_add_u32 s0, s0, s19
	s_addc_u32 s1, 0, s1
	v_add_co_u32_e32 v1, vcc, s0, v1
	s_cmp_lg_u64 vcc, 0
	s_addc_u32 s7, s7, s1
	s_ashr_i32 s24, s31, 31
	s_add_u32 s0, s30, s24
	s_mov_b32 s25, s24
	s_addc_u32 s1, s31, s24
	s_xor_b64 s[26:27], s[0:1], s[24:25]
	v_readfirstlane_b32 s19, v1
	s_mul_i32 s1, s26, s7
	s_mul_hi_u32 s28, s26, s19
	s_mul_hi_u32 s0, s26, s7
	s_add_u32 s1, s28, s1
	s_addc_u32 s0, 0, s0
	s_mul_hi_u32 s29, s27, s19
	s_mul_i32 s19, s27, s19
	s_add_u32 s1, s1, s19
	s_mul_hi_u32 s28, s27, s7
	s_addc_u32 s0, s0, s29
	s_addc_u32 s1, s28, 0
	s_mul_i32 s7, s27, s7
	s_add_u32 s7, s0, s7
	s_addc_u32 s19, 0, s1
	s_mul_i32 s0, s22, s19
	s_mul_hi_u32 s1, s22, s7
	s_add_i32 s0, s1, s0
	s_mul_i32 s1, s23, s7
	s_add_i32 s28, s0, s1
	s_mul_i32 s1, s22, s7
	v_mov_b32_e32 v1, s1
	s_sub_i32 s0, s27, s28
	v_sub_co_u32_e32 v1, vcc, s26, v1
	s_cmp_lg_u64 vcc, 0
	s_subb_u32 s26, s0, s23
	v_subrev_co_u32_e64 v2, s[0:1], s22, v1
	s_cmp_lg_u64 s[0:1], 0
	s_subb_u32 s0, s26, 0
	s_cmp_ge_u32 s0, s23
	v_readfirstlane_b32 s26, v2
	s_cselect_b32 s1, -1, 0
	s_cmp_ge_u32 s26, s22
	s_cselect_b32 s26, -1, 0
	s_cmp_eq_u32 s0, s23
	s_cselect_b32 s0, s26, s1
	s_add_u32 s1, s7, 1
	s_addc_u32 s26, s19, 0
	s_add_u32 s29, s7, 2
	s_addc_u32 s30, s19, 0
	s_cmp_lg_u32 s0, 0
	s_cselect_b32 s0, s29, s1
	s_cselect_b32 s1, s30, s26
	s_cmp_lg_u64 vcc, 0
	s_subb_u32 s26, s27, s28
	s_cmp_ge_u32 s26, s23
	v_readfirstlane_b32 s28, v1
	s_cselect_b32 s27, -1, 0
	s_cmp_ge_u32 s28, s22
	s_cselect_b32 s22, -1, 0
	s_cmp_eq_u32 s26, s23
	s_cselect_b32 s22, s22, s27
	s_cmp_lg_u32 s22, 0
	s_cselect_b32 s1, s1, s19
	s_cselect_b32 s0, s0, s7
	s_xor_b64 s[14:15], s[24:25], s[14:15]
	s_load_dwordx4 s[24:27], s[4:5], 0x1d0
	s_xor_b64 s[0:1], s[0:1], s[14:15]
	s_sub_u32 s14, s0, s14
	s_subb_u32 s15, s1, s15
	s_branch .LBB22_16
.LBB22_12:
                                        ; implicit-def: $sgpr2_sgpr3
	s_branch .LBB22_3
.LBB22_13:
                                        ; implicit-def: $sgpr20_sgpr21
	s_load_dwordx4 s[24:27], s[4:5], 0x1d0
	s_branch .LBB22_6
.LBB22_14:
                                        ; implicit-def: $sgpr30_sgpr31
	s_branch .LBB22_9
.LBB22_15:
	s_mov_b64 s[12:13], -1
                                        ; implicit-def: $sgpr14_sgpr15
.LBB22_16:
	s_load_dwordx4 s[28:31], s[4:5], 0x370
	s_andn2_b64 vcc, exec, s[12:13]
	s_waitcnt lgkmcnt(0)
	v_writelane_b32 v54, s28, 6
	v_writelane_b32 v54, s29, 7
	;; [unrolled: 1-line block ×4, first 2 shown]
	s_cbranch_vccnz .LBB22_18
; %bb.17:
	v_cvt_f32_u32_e32 v1, s24
	s_sub_i32 s0, 0, s24
	v_readlane_b32 s12, v54, 4
	s_mov_b32 s15, 0
	v_rcp_iflag_f32_e32 v1, v1
	v_readlane_b32 s13, v54, 5
	v_mul_f32_e32 v1, 0x4f7ffffe, v1
	v_cvt_u32_f32_e32 v1, v1
	v_readfirstlane_b32 s1, v1
	s_mul_i32 s0, s0, s1
	s_mul_hi_u32 s0, s1, s0
	s_add_i32 s1, s1, s0
	s_mul_hi_u32 s0, s12, s1
	s_mul_i32 s7, s0, s24
	s_sub_i32 s7, s12, s7
	s_add_i32 s1, s0, 1
	s_sub_i32 s12, s7, s24
	s_cmp_ge_u32 s7, s24
	s_cselect_b32 s0, s1, s0
	s_cselect_b32 s7, s12, s7
	s_add_i32 s1, s0, 1
	s_cmp_ge_u32 s7, s24
	s_cselect_b32 s14, s1, s0
.LBB22_18:
	s_load_dwordx4 s[24:27], s[4:5], 0x370
	s_mov_b32 s0, 0
	v_writelane_b32 v54, s14, 10
	v_writelane_b32 v54, s15, 11
	s_waitcnt lgkmcnt(0)
	s_mov_b32 s1, s27
	s_cmp_lg_u64 s[0:1], 0
	s_cbranch_scc0 .LBB22_23
; %bb.19:
	s_ashr_i32 s12, s27, 31
	s_add_u32 s0, s26, s12
	s_mov_b32 s13, s12
	s_addc_u32 s1, s27, s12
	s_xor_b64 s[22:23], s[0:1], s[12:13]
	v_cvt_f32_u32_e32 v1, s22
	v_cvt_f32_u32_e32 v2, s23
	s_sub_u32 s0, 0, s22
	s_subb_u32 s1, 0, s23
	v_madmk_f32 v1, v2, 0x4f800000, v1
	v_rcp_f32_e32 v1, v1
	v_mul_f32_e32 v1, 0x5f7ffffc, v1
	v_mul_f32_e32 v2, 0x2f800000, v1
	v_trunc_f32_e32 v2, v2
	v_madmk_f32 v1, v2, 0xcf800000, v1
	v_cvt_u32_f32_e32 v2, v2
	v_cvt_u32_f32_e32 v1, v1
	v_readfirstlane_b32 s7, v2
	v_readfirstlane_b32 s19, v1
	s_mul_i32 s24, s0, s7
	s_mul_hi_u32 s26, s0, s19
	s_mul_i32 s25, s1, s19
	s_add_i32 s24, s26, s24
	s_add_i32 s24, s24, s25
	s_mul_i32 s27, s0, s19
	s_mul_hi_u32 s25, s19, s24
	s_mul_i32 s26, s19, s24
	s_mul_hi_u32 s19, s19, s27
	s_add_u32 s19, s19, s26
	s_addc_u32 s25, 0, s25
	s_mul_hi_u32 s28, s7, s27
	s_mul_i32 s27, s7, s27
	s_add_u32 s19, s19, s27
	s_mul_hi_u32 s26, s7, s24
	s_addc_u32 s19, s25, s28
	s_addc_u32 s25, s26, 0
	s_mul_i32 s24, s7, s24
	s_add_u32 s19, s19, s24
	s_addc_u32 s24, 0, s25
	v_add_co_u32_e32 v1, vcc, s19, v1
	s_cmp_lg_u64 vcc, 0
	s_addc_u32 s7, s7, s24
	v_readfirstlane_b32 s24, v1
	s_mul_i32 s19, s0, s7
	s_mul_hi_u32 s25, s0, s24
	s_add_i32 s19, s25, s19
	s_mul_i32 s1, s1, s24
	s_add_i32 s19, s19, s1
	s_mul_i32 s0, s0, s24
	s_mul_hi_u32 s25, s7, s0
	s_mul_i32 s26, s7, s0
	s_mul_i32 s28, s24, s19
	s_mul_hi_u32 s0, s24, s0
	s_mul_hi_u32 s27, s24, s19
	s_add_u32 s0, s0, s28
	s_addc_u32 s24, 0, s27
	s_add_u32 s0, s0, s26
	s_mul_hi_u32 s1, s7, s19
	s_addc_u32 s0, s24, s25
	s_addc_u32 s1, s1, 0
	s_mul_i32 s19, s7, s19
	s_add_u32 s0, s0, s19
	s_addc_u32 s1, 0, s1
	v_add_co_u32_e32 v1, vcc, s0, v1
	s_cmp_lg_u64 vcc, 0
	s_addc_u32 s7, s7, s1
	s_ashr_i32 s24, 0, 31
	s_add_u32 s0, s38, s24
	s_mov_b32 s25, s24
	s_addc_u32 s1, 0, s24
	s_xor_b64 s[26:27], s[0:1], s[24:25]
	v_readfirstlane_b32 s19, v1
	s_mul_i32 s1, s26, s7
	s_mul_hi_u32 s28, s26, s19
	s_mul_hi_u32 s0, s26, s7
	s_add_u32 s1, s28, s1
	s_addc_u32 s0, 0, s0
	s_mul_hi_u32 s29, s27, s19
	s_mul_i32 s19, s27, s19
	s_add_u32 s1, s1, s19
	s_mul_hi_u32 s28, s27, s7
	s_addc_u32 s0, s0, s29
	s_addc_u32 s1, s28, 0
	s_mul_i32 s7, s27, s7
	s_add_u32 s7, s0, s7
	s_addc_u32 s19, 0, s1
	s_mul_i32 s0, s22, s19
	s_mul_hi_u32 s1, s22, s7
	s_add_i32 s0, s1, s0
	s_mul_i32 s1, s23, s7
	s_add_i32 s28, s0, s1
	s_mul_i32 s1, s22, s7
	v_mov_b32_e32 v1, s1
	s_sub_i32 s0, s27, s28
	v_sub_co_u32_e32 v1, vcc, s26, v1
	s_cmp_lg_u64 vcc, 0
	s_subb_u32 s26, s0, s23
	v_subrev_co_u32_e64 v2, s[0:1], s22, v1
	s_cmp_lg_u64 s[0:1], 0
	s_subb_u32 s0, s26, 0
	s_cmp_ge_u32 s0, s23
	v_readfirstlane_b32 s26, v2
	s_cselect_b32 s1, -1, 0
	s_cmp_ge_u32 s26, s22
	s_cselect_b32 s26, -1, 0
	s_cmp_eq_u32 s0, s23
	s_cselect_b32 s0, s26, s1
	s_add_u32 s1, s7, 1
	s_addc_u32 s26, s19, 0
	s_add_u32 s29, s7, 2
	s_addc_u32 s30, s19, 0
	s_cmp_lg_u32 s0, 0
	s_cselect_b32 s0, s29, s1
	s_cselect_b32 s1, s30, s26
	s_cmp_lg_u64 vcc, 0
	s_subb_u32 s26, s27, s28
	s_cmp_ge_u32 s26, s23
	v_readfirstlane_b32 s28, v1
	s_cselect_b32 s27, -1, 0
	s_cmp_ge_u32 s28, s22
	s_cselect_b32 s22, -1, 0
	s_cmp_eq_u32 s26, s23
	s_cselect_b32 s22, s22, s27
	s_cmp_lg_u32 s22, 0
	s_cselect_b32 s1, s1, s19
	s_cselect_b32 s0, s0, s7
	s_xor_b64 s[12:13], s[24:25], s[12:13]
	s_load_dwordx4 s[24:27], s[4:5], 0x370
	s_xor_b64 s[0:1], s[0:1], s[12:13]
	s_sub_u32 s40, s0, s12
	s_subb_u32 s41, s1, s13
	s_cbranch_execnz .LBB22_21
.LBB22_20:
	s_waitcnt lgkmcnt(0)
	v_cvt_f32_u32_e32 v1, s26
	s_sub_i32 s0, 0, s26
	s_mov_b32 s41, 0
	v_rcp_iflag_f32_e32 v1, v1
	v_mul_f32_e32 v1, 0x4f7ffffe, v1
	v_cvt_u32_f32_e32 v1, v1
	v_readfirstlane_b32 s1, v1
	s_mul_i32 s0, s0, s1
	s_mul_hi_u32 s0, s1, s0
	s_add_i32 s1, s1, s0
	s_mul_hi_u32 s0, s38, s1
	s_mul_i32 s7, s0, s26
	s_sub_i32 s7, s38, s7
	s_add_i32 s1, s0, 1
	s_sub_i32 s12, s7, s26
	s_cmp_ge_u32 s7, s26
	s_cselect_b32 s0, s1, s0
	s_cselect_b32 s7, s12, s7
	s_add_i32 s1, s0, 1
	s_cmp_ge_u32 s7, s26
	s_cselect_b32 s40, s1, s0
.LBB22_21:
	s_load_dwordx2 s[22:23], s[4:5], 0xe0
	s_load_dwordx4 s[12:15], s[4:5], 0xd0
	s_waitcnt lgkmcnt(0)
	s_or_b64 s[0:1], s[40:41], s[24:25]
	s_mov_b32 s0, 0
	s_cmp_lg_u64 s[0:1], 0
	s_cbranch_scc0 .LBB22_24
; %bb.22:
	s_ashr_i32 s26, s25, 31
	s_add_u32 s0, s24, s26
	s_mov_b32 s27, s26
	s_addc_u32 s1, s25, s26
	s_xor_b64 s[28:29], s[0:1], s[26:27]
	v_cvt_f32_u32_e32 v1, s28
	v_cvt_f32_u32_e32 v2, s29
	s_sub_u32 s0, 0, s28
	s_subb_u32 s1, 0, s29
	s_mov_b64 s[24:25], 0
	v_madmk_f32 v1, v2, 0x4f800000, v1
	v_rcp_f32_e32 v1, v1
	v_mul_f32_e32 v1, 0x5f7ffffc, v1
	v_mul_f32_e32 v2, 0x2f800000, v1
	v_trunc_f32_e32 v2, v2
	v_madmk_f32 v1, v2, 0xcf800000, v1
	v_cvt_u32_f32_e32 v2, v2
	v_cvt_u32_f32_e32 v1, v1
	v_readfirstlane_b32 s7, v2
	v_readfirstlane_b32 s19, v1
	s_mul_i32 s30, s0, s7
	s_mul_hi_u32 s33, s0, s19
	s_mul_i32 s31, s1, s19
	s_add_i32 s30, s33, s30
	s_add_i32 s30, s30, s31
	s_mul_i32 s34, s0, s19
	s_mul_hi_u32 s31, s19, s30
	s_mul_i32 s33, s19, s30
	s_mul_hi_u32 s19, s19, s34
	s_add_u32 s19, s19, s33
	s_addc_u32 s31, 0, s31
	s_mul_hi_u32 s35, s7, s34
	s_mul_i32 s34, s7, s34
	s_add_u32 s19, s19, s34
	s_mul_hi_u32 s33, s7, s30
	s_addc_u32 s19, s31, s35
	s_addc_u32 s31, s33, 0
	s_mul_i32 s30, s7, s30
	s_add_u32 s19, s19, s30
	s_addc_u32 s30, 0, s31
	v_add_co_u32_e32 v1, vcc, s19, v1
	s_cmp_lg_u64 vcc, 0
	s_addc_u32 s7, s7, s30
	v_readfirstlane_b32 s30, v1
	s_mul_i32 s19, s0, s7
	s_mul_hi_u32 s31, s0, s30
	s_add_i32 s19, s31, s19
	s_mul_i32 s1, s1, s30
	s_add_i32 s19, s19, s1
	s_mul_i32 s0, s0, s30
	s_mul_hi_u32 s31, s7, s0
	s_mul_i32 s33, s7, s0
	s_mul_i32 s35, s30, s19
	s_mul_hi_u32 s0, s30, s0
	s_mul_hi_u32 s34, s30, s19
	s_add_u32 s0, s0, s35
	s_addc_u32 s30, 0, s34
	s_add_u32 s0, s0, s33
	s_mul_hi_u32 s1, s7, s19
	s_addc_u32 s0, s30, s31
	s_addc_u32 s1, s1, 0
	s_mul_i32 s19, s7, s19
	s_add_u32 s0, s0, s19
	s_addc_u32 s1, 0, s1
	v_add_co_u32_e32 v1, vcc, s0, v1
	s_cmp_lg_u64 vcc, 0
	s_addc_u32 s7, s7, s1
	s_ashr_i32 s30, s41, 31
	s_add_u32 s0, s40, s30
	s_mov_b32 s31, s30
	s_addc_u32 s1, s41, s30
	s_xor_b64 s[34:35], s[0:1], s[30:31]
	v_readfirstlane_b32 s19, v1
	s_mul_i32 s1, s34, s7
	s_mul_hi_u32 s33, s34, s19
	s_mul_hi_u32 s0, s34, s7
	s_add_u32 s1, s33, s1
	s_addc_u32 s0, 0, s0
	s_mul_hi_u32 s36, s35, s19
	s_mul_i32 s19, s35, s19
	s_add_u32 s1, s1, s19
	s_mul_hi_u32 s33, s35, s7
	s_addc_u32 s0, s0, s36
	s_addc_u32 s1, s33, 0
	s_mul_i32 s7, s35, s7
	s_add_u32 s7, s0, s7
	s_addc_u32 s19, 0, s1
	s_mul_i32 s0, s28, s19
	s_mul_hi_u32 s1, s28, s7
	s_add_i32 s0, s1, s0
	s_mul_i32 s1, s29, s7
	s_add_i32 s33, s0, s1
	s_mul_i32 s1, s28, s7
	v_mov_b32_e32 v1, s1
	s_sub_i32 s0, s35, s33
	v_sub_co_u32_e32 v1, vcc, s34, v1
	s_cmp_lg_u64 vcc, 0
	s_subb_u32 s34, s0, s29
	v_subrev_co_u32_e64 v2, s[0:1], s28, v1
	s_cmp_lg_u64 s[0:1], 0
	s_subb_u32 s0, s34, 0
	s_cmp_ge_u32 s0, s29
	v_readfirstlane_b32 s34, v2
	s_cselect_b32 s1, -1, 0
	s_cmp_ge_u32 s34, s28
	s_cselect_b32 s34, -1, 0
	s_cmp_eq_u32 s0, s29
	s_cselect_b32 s0, s34, s1
	s_add_u32 s1, s7, 1
	s_addc_u32 s34, s19, 0
	s_add_u32 s36, s7, 2
	s_addc_u32 s37, s19, 0
	s_cmp_lg_u32 s0, 0
	s_cselect_b32 s0, s36, s1
	s_cselect_b32 s1, s37, s34
	s_cmp_lg_u64 vcc, 0
	s_subb_u32 s33, s35, s33
	s_cmp_ge_u32 s33, s29
	v_readfirstlane_b32 s35, v1
	s_cselect_b32 s34, -1, 0
	s_cmp_ge_u32 s35, s28
	s_cselect_b32 s28, -1, 0
	s_cmp_eq_u32 s33, s29
	s_cselect_b32 s28, s28, s34
	s_cmp_lg_u32 s28, 0
	s_cselect_b32 s1, s1, s19
	s_cselect_b32 s0, s0, s7
	s_xor_b64 s[26:27], s[30:31], s[26:27]
	s_xor_b64 s[0:1], s[0:1], s[26:27]
	s_sub_u32 s0, s0, s26
	s_subb_u32 s1, s1, s27
	v_writelane_b32 v54, s0, 24
	v_writelane_b32 v54, s1, 25
	s_branch .LBB22_25
.LBB22_23:
                                        ; implicit-def: $sgpr40_sgpr41
	s_branch .LBB22_20
.LBB22_24:
	s_mov_b64 s[24:25], -1
                                        ; implicit-def: $sgpr0_sgpr1
                                        ; kill: killed $sgpr0_sgpr1
.LBB22_25:
	s_load_dwordx2 s[0:1], s[4:5], 0x440
	s_load_dwordx4 s[28:31], s[4:5], 0x430
	s_andn2_b64 vcc, exec, s[24:25]
	s_waitcnt lgkmcnt(0)
	v_writelane_b32 v54, s0, 12
	v_writelane_b32 v54, s1, 13
	s_load_dwordx2 s[0:1], s[4:5], 0x2a0
	v_writelane_b32 v54, s28, 14
	v_writelane_b32 v54, s29, 15
	;; [unrolled: 1-line block ×4, first 2 shown]
	s_load_dwordx4 s[28:31], s[4:5], 0x290
	s_waitcnt lgkmcnt(0)
	v_writelane_b32 v54, s0, 18
	v_writelane_b32 v54, s1, 19
	s_load_dwordx2 s[0:1], s[4:5], 0x0
	v_writelane_b32 v54, s28, 20
	v_writelane_b32 v54, s29, 21
	;; [unrolled: 1-line block ×4, first 2 shown]
	s_cbranch_vccnz .LBB22_27
; %bb.26:
	s_load_dwordx4 s[28:31], s[4:5], 0x370
	s_mov_b32 s27, 0
	s_waitcnt lgkmcnt(0)
	v_cvt_f32_u32_e32 v1, s28
	s_sub_i32 s7, 0, s28
	v_rcp_iflag_f32_e32 v1, v1
	v_mul_f32_e32 v1, 0x4f7ffffe, v1
	v_cvt_u32_f32_e32 v1, v1
	v_readfirstlane_b32 s19, v1
	s_mul_i32 s7, s7, s19
	s_mul_hi_u32 s7, s19, s7
	s_add_i32 s19, s19, s7
	s_mul_hi_u32 s7, s40, s19
	s_mul_i32 s24, s7, s28
	s_sub_i32 s24, s40, s24
	s_add_i32 s19, s7, 1
	s_sub_i32 s25, s24, s28
	s_cmp_ge_u32 s24, s28
	s_cselect_b32 s7, s19, s7
	s_cselect_b32 s24, s25, s24
	s_add_i32 s19, s7, 1
	s_cmp_ge_u32 s24, s28
	s_cselect_b32 s26, s19, s7
	v_writelane_b32 v54, s26, 24
	v_writelane_b32 v54, s27, 25
.LBB22_27:
	s_load_dwordx2 s[24:25], s[4:5], 0x360
	v_writelane_b32 v54, s40, 26
	s_load_dwordx2 s[4:5], s[4:5], 0x1c0
	v_writelane_b32 v54, s41, 27
	s_mov_b32 s95, 0
	s_waitcnt lgkmcnt(0)
	v_writelane_b32 v54, s24, 28
	v_writelane_b32 v54, s25, 29
	;; [unrolled: 1-line block ×4, first 2 shown]
	v_cmp_eq_u32_e64 s[24:25], 0, v0
	s_mov_b64 s[4:5], exec
	v_writelane_b32 v54, s24, 32
	v_writelane_b32 v54, s25, 33
	s_and_b64 s[24:25], s[4:5], s[24:25]
	s_mov_b64 exec, s[24:25]
	s_cbranch_execz .LBB22_29
; %bb.28:
	v_mov_b32_e32 v2, 0
	v_mov_b32_e32 v4, s56
	;; [unrolled: 1-line block ×4, first 2 shown]
	ds_write_b32 v2, v2 offset:5136
	ds_write_b128 v2, v[2:5] offset:5120
.LBB22_29:
	s_or_b64 exec, exec, s[4:5]
	s_mul_i32 s4, s20, s9
	s_mul_hi_u32 s5, s20, s8
	s_add_i32 s4, s5, s4
	s_mul_i32 s5, s21, s8
	s_add_i32 s4, s4, s5
	s_mul_i32 s5, s20, s8
	s_sub_u32 s7, s2, s5
	s_subb_u32 s4, s3, s4
	s_mul_i32 s5, s7, s15
	s_mul_hi_u32 s8, s7, s14
	s_add_i32 s5, s8, s5
	s_mul_i32 s4, s4, s14
	s_add_i32 s5, s5, s4
	s_mul_i32 s4, s7, s14
	s_mul_i32 s7, s20, s13
	s_mul_hi_u32 s8, s20, s12
	s_add_i32 s7, s8, s7
	s_mul_i32 s8, s21, s12
	s_add_i32 s9, s7, s8
	s_mul_i32 s7, s2, s11
	s_mul_hi_u32 s11, s2, s10
	s_add_i32 s7, s11, s7
	s_mul_i32 s3, s3, s10
	s_add_i32 s7, s7, s3
	s_mul_i32 s2, s2, s10
	s_mov_b32 s10, s38
	v_writelane_b32 v54, s10, 34
	s_sub_u32 s2, s38, s2
	v_writelane_b32 v54, s11, 35
	s_subb_u32 s3, 0, s7
	s_mul_i32 s7, s2, s23
	s_mul_hi_u32 s10, s2, s22
	s_mul_i32 s8, s20, s12
	s_add_i32 s7, s10, s7
	s_mul_i32 s3, s3, s22
	s_add_i32 s3, s7, s3
	s_lshl_b64 s[8:9], s[8:9], 2
	s_add_u32 s7, s0, s8
	s_addc_u32 s12, s1, s9
	s_lshl_b64 s[10:11], s[4:5], 2
	s_mul_i32 s2, s2, s22
	s_add_u32 s4, s7, s10
	v_mbcnt_lo_u32_b32 v1, -1, 0
	s_addc_u32 s5, s12, s11
	s_lshl_b64 s[12:13], s[2:3], 2
	v_mbcnt_hi_u32_b32 v40, -1, v1
	s_add_u32 s14, s4, s12
	v_cmp_gt_u32_e32 vcc, 64, v0
	v_cmp_gt_i32_e64 s[2:3], 4, v40
	s_addc_u32 s15, s5, s13
	s_and_b64 s[48:49], vcc, s[2:3]
	v_cmp_gt_u32_e64 s[2:3], 2, v0
	v_mov_b32_e32 v2, 0x300
	v_writelane_b32 v54, s2, 36
	v_mov_b32_e32 v3, 0
	v_mov_b32_e32 v13, 0
	v_writelane_b32 v54, s3, 37
	v_cmp_gt_i64_e64 s[2:3], s[56:57], v[2:3]
	v_mov_b32_e32 v1, v13
	v_writelane_b32 v54, s2, 38
	v_writelane_b32 v54, s3, 39
	v_cmp_gt_u64_e64 s[2:3], s[56:57], v[0:1]
	v_writelane_b32 v54, s2, 40
	v_writelane_b32 v54, s3, 41
	v_mad_u64_u32 v[2:3], s[2:3], v0, s62, 0
	v_mov_b32_e32 v4, v3
	v_mad_u64_u32 v[4:5], s[2:3], v0, s63, v[4:5]
	v_mov_b32_e32 v6, s15
	v_writelane_b32 v54, s14, 42
	v_writelane_b32 v54, s15, 43
	v_cmp_gt_i64_e64 s[2:3], s[56:57], v[0:1]
	v_writelane_b32 v54, s2, 44
	s_waitcnt lgkmcnt(0)
	s_barrier
	v_writelane_b32 v54, s3, 45
	s_load_dword s2, s[16:17], 0xc
	v_mov_b32_e32 v3, v4
	v_lshlrev_b64 v[4:5], 2, v[2:3]
	v_add_co_u32_e32 v16, vcc, s14, v4
	s_waitcnt lgkmcnt(0)
	s_and_b32 s33, s2, 0xffff
	s_bfe_u32 s3, s2, 0xa0006
	s_add_u32 s7, s33, -1
	v_cmp_gt_u16_e64 s[14:15], s2, 63
	s_addc_u32 s2, 0, -1
	v_writelane_b32 v54, s14, 46
	s_add_u32 s87, s7, s56
	v_writelane_b32 v54, s15, 47
	s_addc_u32 s73, s2, s57
	v_writelane_b32 v54, s7, 48
	s_cmp_lt_u32 s6, s18
	v_writelane_b32 v54, s2, 49
	s_cselect_b32 s2, 12, 18
	s_add_u32 s74, s16, s2
	s_addc_u32 s75, s17, 0
	s_add_i32 s2, s3, -1
	s_bfe_u32 s6, s33, 0x30006
	s_cmp_gt_u32 s2, 6
	s_cselect_b64 s[14:15], -1, 0
	v_writelane_b32 v54, s14, 50
	s_and_b32 s64, s3, 0x3f8
	v_writelane_b32 v54, s15, 51
	s_cmp_lg_u32 s6, 0
	v_writelane_b32 v54, s6, 52
	s_cselect_b64 s[2:3], -1, 0
	v_writelane_b32 v54, s2, 53
	v_writelane_b32 v54, s3, 54
	s_add_u32 s2, s8, s12
	v_addc_co_u32_e32 v17, vcc, v6, v5, vcc
	v_lshrrev_b32_e32 v6, 4, v0
	s_addc_u32 s3, s9, s13
	v_and_b32_e32 v42, 60, v6
	v_lshlrev_b32_e32 v6, 2, v40
	s_add_u32 s2, s2, s10
	v_and_b32_e32 v43, 0x100, v6
	v_lshlrev_b64 v[6:7], v40, -1
	s_addc_u32 s3, s3, s11
	v_lshlrev_b32_e32 v44, 4, v0
	v_not_b32_e32 v19, v7
	s_add_u32 s2, s0, s2
	v_or_b32_e32 v7, 12, v44
	s_addc_u32 s3, s1, s3
	v_mad_u64_u32 v[20:21], s[0:1], s62, v7, 0
	v_not_b32_e32 v18, v6
	v_mov_b32_e32 v6, v21
	v_mad_u64_u32 v[6:7], s[0:1], s63, v7, v[6:7]
	s_lshl_b64 s[0:1], s[62:63], 4
	v_writelane_b32 v54, s0, 55
	v_or_b32_e32 v7, 8, v44
	v_writelane_b32 v54, s1, 56
	v_mad_u64_u32 v[22:23], s[0:1], s62, v7, 0
	v_mov_b32_e32 v21, v6
	v_mov_b32_e32 v6, v23
	v_mad_u64_u32 v[6:7], s[0:1], s63, v7, v[6:7]
	v_or_b32_e32 v7, 4, v44
	v_mad_u64_u32 v[24:25], s[0:1], s62, v7, 0
	v_mov_b32_e32 v23, v6
	v_mov_b32_e32 v6, v25
	v_lshlrev_b64 v[26:27], 4, v[2:3]
	v_mov_b32_e32 v2, s57
	v_add_co_u32_e32 v45, vcc, s56, v0
	v_mad_u64_u32 v[6:7], s[0:1], s63, v7, v[6:7]
	v_addc_co_u32_e32 v46, vcc, 0, v2, vcc
	v_mov_b32_e32 v2, 0xc00
	v_lshl_or_b32 v47, v40, 3, v2
	v_mov_b32_e32 v2, s3
	v_writelane_b32 v54, s2, 57
	s_mul_i32 s0, s63, s33
	s_mul_hi_u32 s1, s62, s33
	v_lshlrev_b32_e32 v14, 2, v0
	v_writelane_b32 v54, s3, 58
	v_add_co_u32_e32 v10, vcc, s2, v4
	s_add_i32 s1, s1, s0
	s_mul_i32 s0, s62, s33
	v_cmp_eq_u32_e64 s[4:5], 0, v40
	v_add_u32_e32 v41, 0xc00, v14
	v_mov_b32_e32 v15, v13
	s_mov_b32 s28, s95
	s_lshl_b64 s[84:85], s[62:63], 2
	v_mov_b32_e32 v25, v6
	v_addc_co_u32_e32 v11, vcc, v2, v5, vcc
	s_lshl_b64 s[88:89], s[0:1], 2
	s_lshl_b32 s65, s33, 2
	s_mov_b32 s29, 30
	s_mov_b64 s[66:67], 0
	v_mov_b32_e32 v28, 1
	v_cvt_f32_ubyte0_e32 v48, 0
	v_mov_b32_e32 v31, 0
	s_mov_b32 s90, 0
	s_mov_b32 s86, 0
	;; [unrolled: 1-line block ×3, first 2 shown]
	v_writelane_b32 v54, s48, 59
                                        ; implicit-def: $sgpr68_sgpr69
                                        ; implicit-def: $sgpr60_sgpr61
                                        ; implicit-def: $sgpr70_sgpr71
                                        ; implicit-def: $sgpr82_sgpr83
                                        ; implicit-def: $sgpr10_sgpr11
                                        ; implicit-def: $sgpr76_sgpr77
	v_writelane_b32 v54, s49, 60
	s_branch .LBB22_34
.LBB22_30:                              ;   in Loop: Header=BB22_34 Depth=1
	s_xor_b32 s90, s90, 1
	s_add_i32 s8, s29, -2
	s_cmp_eq_u32 s29, 0
	s_mov_b64 s[2:3], 0
	s_cselect_b64 s[6:7], -1, 0
	s_mov_b32 s29, s8
.LBB22_31:                              ;   in Loop: Header=BB22_34 Depth=1
	s_andn2_b64 s[8:9], s[20:21], exec
	s_and_b64 s[2:3], s[2:3], exec
	s_or_b64 s[20:21], s[8:9], s[2:3]
	s_andn2_b64 s[22:23], s[22:23], exec
	s_andn2_b64 s[18:19], s[18:19], exec
	s_orn2_b64 s[14:15], s[6:7], exec
.LBB22_32:                              ;   in Loop: Header=BB22_34 Depth=1
	s_or_b64 exec, exec, s[0:1]
	s_andn2_b64 s[0:1], s[76:77], exec
	s_and_b64 s[2:3], s[20:21], exec
	s_or_b64 s[76:77], s[0:1], s[2:3]
	s_andn2_b64 s[0:1], s[10:11], exec
	s_and_b64 s[2:3], s[22:23], exec
	s_or_b64 s[10:11], s[0:1], s[2:3]
	;; [unrolled: 3-line block ×3, first 2 shown]
	s_orn2_b64 s[18:19], s[14:15], exec
.LBB22_33:                              ;   in Loop: Header=BB22_34 Depth=1
	s_or_b64 exec, exec, s[12:13]
	s_and_b64 s[0:1], exec, s[18:19]
	s_or_b64 s[66:67], s[0:1], s[66:67]
	s_andn2_b64 s[0:1], s[70:71], exec
	s_and_b64 s[2:3], s[76:77], exec
	s_or_b64 s[70:71], s[0:1], s[2:3]
	s_andn2_b64 s[0:1], s[60:61], exec
	s_and_b64 s[2:3], s[10:11], exec
	;; [unrolled: 3-line block ×3, first 2 shown]
	v_mov_b32_e32 v2, s86
	s_or_b64 s[68:69], s[0:1], s[2:3]
	s_andn2_b64 exec, exec, s[66:67]
	s_cbranch_execz .LBB22_304
.LBB22_34:                              ; =>This Loop Header: Depth=1
                                        ;     Child Loop BB22_42 Depth 2
                                        ;     Child Loop BB22_61 Depth 2
	;; [unrolled: 1-line block ×16, first 2 shown]
	ds_read_b128 v[2:5], v13 offset:5120
	s_waitcnt lgkmcnt(0)
	v_readfirstlane_b32 s79, v3
	v_readfirstlane_b32 s78, v2
	v_cmp_gt_i64_e64 s[0:1], s[78:79], 0
	s_and_b64 vcc, exec, s[0:1]
	s_cbranch_vccnz .LBB22_68
; %bb.35:                               ;   in Loop: Header=BB22_34 Depth=1
	v_readlane_b32 s0, v54, 38
	v_readlane_b32 s1, v54, 39
	s_and_b64 vcc, exec, s[0:1]
	s_cbranch_vccz .LBB22_50
; %bb.36:                               ;   in Loop: Header=BB22_34 Depth=1
	s_mov_b64 s[0:1], 0x301
	v_cmp_gt_i64_e32 vcc, s[0:1], v[4:5]
	s_mov_b64 s[0:1], 0
	s_mov_b64 s[2:3], 0
	s_cbranch_vccz .LBB22_55
; %bb.37:                               ;   in Loop: Header=BB22_34 Depth=1
	v_mov_b32_e32 v6, 0
	s_mov_b64 s[2:3], exec
	v_readlane_b32 s6, v54, 40
	v_readlane_b32 s7, v54, 41
	s_and_b64 s[6:7], s[2:3], s[6:7]
	s_mov_b64 exec, s[6:7]
	s_cbranch_execz .LBB22_39
; %bb.38:                               ;   in Loop: Header=BB22_34 Depth=1
	global_load_dword v6, v[16:17], off
.LBB22_39:                              ;   in Loop: Header=BB22_34 Depth=1
	s_or_b64 exec, exec, s[2:3]
	s_mov_b64 s[2:3], exec
	v_readlane_b32 s6, v54, 40
	v_readlane_b32 s7, v54, 41
	s_and_b64 s[6:7], s[2:3], s[6:7]
	s_mov_b64 exec, s[6:7]
	s_cbranch_execz .LBB22_51
; %bb.40:                               ;   in Loop: Header=BB22_34 Depth=1
	global_load_ushort v7, v13, s[74:75]
	v_readlane_b32 s6, v54, 57
	v_readlane_b32 s7, v54, 58
	v_pk_mov_b32 v[2:3], s[6:7], s[6:7] op_sel:[0,1]
	s_mov_b64 s[8:9], 0
	s_waitcnt vmcnt(0)
	v_readfirstlane_b32 s6, v7
	s_and_b32 s6, 0xffff, s6
	v_add_u32_e32 v5, s6, v0
	s_mul_i32 s12, s85, s6
	s_mul_hi_u32 s13, s84, s6
	s_mul_i32 s20, s84, s6
	v_mad_u64_u32 v[2:3], s[6:7], s84, v5, v[2:3]
	v_mov_b32_e32 v4, v3
	v_mad_u64_u32 v[4:5], s[6:7], s85, v5, v[4:5]
	s_add_i32 s21, s13, s12
	v_mov_b32_e32 v3, v4
	v_pk_mov_b32 v[4:5], v[0:1], v[0:1] op_sel:[0,1]
	s_branch .LBB22_42
.LBB22_41:                              ;   in Loop: Header=BB22_42 Depth=2
	s_or_b64 exec, exec, s[6:7]
	v_mov_b32_e32 v6, s21
	v_add_co_u32_e32 v2, vcc, s20, v2
	v_addc_co_u32_e32 v3, vcc, v3, v6, vcc
	s_waitcnt vmcnt(0)
	v_mov_b32_e32 v6, v8
	s_andn2_b64 exec, exec, s[8:9]
	s_cbranch_execz .LBB22_51
.LBB22_42:                              ;   Parent Loop BB22_34 Depth=1
                                        ; =>  This Inner Loop Header: Depth=2
	v_add_co_u32_sdwa v4, vcc, v4, v7 dst_sel:DWORD dst_unused:UNUSED_PAD src0_sel:DWORD src1_sel:WORD_0
	v_addc_co_u32_e32 v5, vcc, 0, v5, vcc
	v_cmp_gt_i64_e64 s[6:7], s[56:57], v[4:5]
	v_cmp_le_i64_e32 vcc, s[56:57], v[4:5]
	s_waitcnt lgkmcnt(0)
	v_mov_b32_e32 v9, 0
	v_mov_b32_e32 v8, 0
	s_and_saveexec_b64 s[12:13], s[6:7]
	s_cbranch_execz .LBB22_44
; %bb.43:                               ;   in Loop: Header=BB22_42 Depth=2
	global_load_dword v8, v[2:3], off
.LBB22_44:                              ;   in Loop: Header=BB22_42 Depth=2
	s_or_b64 exec, exec, s[12:13]
	v_xor_b32_e32 v12, 0x80000000, v6
	v_and_b32_e32 v12, s91, v12
	v_cmp_eq_u32_e64 s[12:13], s86, v12
	s_cmp_lg_u64 s[12:13], 0
	s_cselect_b64 s[6:7], -1, 0
	s_and_b64 s[6:7], s[4:5], s[6:7]
	s_and_saveexec_b64 s[14:15], s[6:7]
	s_cbranch_execz .LBB22_48
; %bb.45:                               ;   in Loop: Header=BB22_42 Depth=2
	s_mov_b64 s[18:19], exec
	v_mbcnt_lo_u32_b32 v9, s18, 0
	v_mbcnt_hi_u32_b32 v9, s19, v9
	s_bcnt1_i32_b64 s22, s[12:13]
	v_cmp_eq_u32_e64 s[6:7], 0, v9
                                        ; implicit-def: $vgpr12
	s_and_saveexec_b64 s[16:17], s[6:7]
	s_cbranch_execz .LBB22_47
; %bb.46:                               ;   in Loop: Header=BB22_42 Depth=2
	s_bcnt1_i32_b64 s6, s[18:19]
	s_mul_i32 s6, s22, s6
	v_mov_b32_e32 v12, s6
	ds_add_rtn_u32 v12, v13, v12 offset:5136
.LBB22_47:                              ;   in Loop: Header=BB22_42 Depth=2
	s_or_b64 exec, exec, s[16:17]
	s_waitcnt lgkmcnt(0)
	v_readfirstlane_b32 s6, v12
	v_mov_b32_e32 v12, s6
	v_mad_u32_u24 v9, s22, v9, v12
.LBB22_48:                              ;   in Loop: Header=BB22_42 Depth=2
	s_or_b64 exec, exec, s[14:15]
	ds_bpermute_b32 v9, v43, v9
	s_and_b64 s[6:7], exec, vcc
	s_or_b64 s[8:9], s[6:7], s[8:9]
	s_and_saveexec_b64 s[6:7], s[12:13]
	s_cbranch_execz .LBB22_41
; %bb.49:                               ;   in Loop: Header=BB22_42 Depth=2
	v_and_b32_e32 v29, s12, v18
	v_and_b32_e32 v12, s13, v19
	v_bcnt_u32_b32 v29, v29, 0
	v_bcnt_u32_b32 v12, v12, v29
	v_lshlrev_b32_e32 v12, 2, v12
	s_waitcnt lgkmcnt(0)
	v_lshl_add_u32 v9, v9, 2, v12
	ds_write_b32 v9, v6
	s_branch .LBB22_41
.LBB22_50:                              ;   in Loop: Header=BB22_34 Depth=1
	s_mov_b64 s[0:1], -1
	s_mov_b64 s[2:3], 0
	s_branch .LBB22_54
.LBB22_51:                              ;   in Loop: Header=BB22_34 Depth=1
	s_or_b64 exec, exec, s[2:3]
	s_waitcnt lgkmcnt(0)
	s_barrier
	s_mov_b64 s[2:3], exec
	v_readlane_b32 s6, v54, 32
	v_readlane_b32 s7, v54, 33
	s_and_b64 s[6:7], s[2:3], s[6:7]
	s_mov_b64 exec, s[6:7]
	s_cbranch_execz .LBB22_53
; %bb.52:                               ;   in Loop: Header=BB22_34 Depth=1
	ds_read_b32 v2, v13 offset:5136
	s_waitcnt lgkmcnt(0)
	v_ashrrev_i32_e32 v3, 31, v2
	ds_write_b64 v13, v[2:3] offset:5120
.LBB22_53:                              ;   in Loop: Header=BB22_34 Depth=1
	s_or_b64 exec, exec, s[2:3]
	s_waitcnt lgkmcnt(0)
	s_barrier
	s_mov_b64 s[2:3], -1
.LBB22_54:                              ;   in Loop: Header=BB22_34 Depth=1
                                        ; implicit-def: $sgpr78_sgpr79
.LBB22_55:                              ;   in Loop: Header=BB22_34 Depth=1
	s_and_b64 vcc, exec, s[0:1]
	s_cbranch_vccz .LBB22_66
; %bb.56:                               ;   in Loop: Header=BB22_34 Depth=1
	s_waitcnt vmcnt(0)
	v_mov_b32_e32 v6, 0
	s_mov_b64 s[0:1], exec
	v_readlane_b32 s2, v54, 44
	v_readlane_b32 s3, v54, 45
	s_and_b64 s[2:3], s[0:1], s[2:3]
	s_mov_b64 exec, s[2:3]
	s_cbranch_execz .LBB22_58
; %bb.57:                               ;   in Loop: Header=BB22_34 Depth=1
	global_load_dword v6, v[16:17], off
.LBB22_58:                              ;   in Loop: Header=BB22_34 Depth=1
	s_or_b64 exec, exec, s[0:1]
	s_mov_b64 s[0:1], exec
	v_readlane_b32 s2, v54, 44
	v_readlane_b32 s3, v54, 45
	s_and_b64 s[2:3], s[0:1], s[2:3]
	s_mov_b64 exec, s[2:3]
	s_cbranch_execz .LBB22_63
; %bb.59:                               ;   in Loop: Header=BB22_34 Depth=1
	global_load_ushort v7, v13, s[74:75]
	v_readlane_b32 s2, v54, 57
	v_readlane_b32 s3, v54, 58
	v_pk_mov_b32 v[2:3], s[2:3], s[2:3] op_sel:[0,1]
	s_mov_b64 s[2:3], 0
	v_mov_b32_e32 v8, v14
	s_waitcnt vmcnt(0)
	v_readfirstlane_b32 s6, v7
	s_and_b32 s6, 0xffff, s6
	v_add_u32_e32 v5, s6, v0
	s_lshl_b32 s12, s6, 2
	s_mul_i32 s8, s85, s6
	s_mul_hi_u32 s9, s84, s6
	s_mul_i32 s13, s84, s6
	v_mad_u64_u32 v[2:3], s[6:7], s84, v5, v[2:3]
	v_mov_b32_e32 v4, v3
	v_mad_u64_u32 v[4:5], s[6:7], s85, v5, v[4:5]
	s_add_i32 s14, s9, s8
	v_mov_b32_e32 v3, v4
	v_pk_mov_b32 v[4:5], v[0:1], v[0:1] op_sel:[0,1]
	s_branch .LBB22_61
.LBB22_60:                              ;   in Loop: Header=BB22_61 Depth=2
	s_or_b64 exec, exec, s[8:9]
	s_and_b64 s[6:7], exec, vcc
	ds_write_b32 v8, v6
	v_mov_b32_e32 v6, s14
	v_add_co_u32_e32 v2, vcc, s13, v2
	s_or_b64 s[2:3], s[6:7], s[2:3]
	v_add_u32_e32 v8, s12, v8
	v_addc_co_u32_e32 v3, vcc, v3, v6, vcc
	s_waitcnt vmcnt(0)
	v_mov_b32_e32 v6, v9
	s_andn2_b64 exec, exec, s[2:3]
	s_cbranch_execz .LBB22_63
.LBB22_61:                              ;   Parent Loop BB22_34 Depth=1
                                        ; =>  This Inner Loop Header: Depth=2
	v_add_co_u32_sdwa v4, vcc, v4, v7 dst_sel:DWORD dst_unused:UNUSED_PAD src0_sel:DWORD src1_sel:WORD_0
	v_addc_co_u32_e32 v5, vcc, 0, v5, vcc
	v_cmp_gt_i64_e64 s[6:7], s[56:57], v[4:5]
	v_cmp_le_i64_e32 vcc, s[56:57], v[4:5]
	v_mov_b32_e32 v9, 0
	s_and_saveexec_b64 s[8:9], s[6:7]
	s_cbranch_execz .LBB22_60
; %bb.62:                               ;   in Loop: Header=BB22_61 Depth=2
	global_load_dword v9, v[2:3], off
	s_branch .LBB22_60
.LBB22_63:                              ;   in Loop: Header=BB22_34 Depth=1
	s_or_b64 exec, exec, s[0:1]
	s_waitcnt lgkmcnt(0)
	s_barrier
	s_mov_b64 s[0:1], exec
	v_readlane_b32 s2, v54, 32
	v_readlane_b32 s3, v54, 33
	s_and_b64 s[2:3], s[0:1], s[2:3]
	s_mov_b64 exec, s[2:3]
	s_cbranch_execz .LBB22_65
; %bb.64:                               ;   in Loop: Header=BB22_34 Depth=1
	v_pk_mov_b32 v[2:3], s[56:57], s[56:57] op_sel:[0,1]
	ds_write_b64 v13, v[2:3] offset:5120
.LBB22_65:                              ;   in Loop: Header=BB22_34 Depth=1
	s_or_b64 exec, exec, s[0:1]
	s_mov_b64 s[2:3], -1
	s_waitcnt lgkmcnt(0)
	s_barrier
                                        ; implicit-def: $sgpr78_sgpr79
.LBB22_66:                              ;   in Loop: Header=BB22_34 Depth=1
	s_and_b64 vcc, exec, s[2:3]
	s_cbranch_vccz .LBB22_68
; %bb.67:                               ;   in Loop: Header=BB22_34 Depth=1
	ds_read_b64 v[2:3], v13 offset:5120
	s_waitcnt lgkmcnt(0)
	v_readfirstlane_b32 s78, v2
.LBB22_68:                              ;   in Loop: Header=BB22_34 Depth=1
	s_cmp_lt_i32 s78, 1
	s_cbranch_scc0 .LBB22_83
; %bb.69:                               ;   in Loop: Header=BB22_34 Depth=1
	global_load_ushort v2, v13, s[74:75]
	s_mov_b32 s0, s95
	s_waitcnt vmcnt(0)
	v_readfirstlane_b32 s1, v2
	s_and_b32 s1, 0xffff, s1
	s_lshl_b32 s72, s1, 2
	s_mov_b32 s1, s57
	s_cmp_lg_u64 s[0:1], 0
	s_cbranch_scc0 .LBB22_103
; %bb.70:                               ;   in Loop: Header=BB22_34 Depth=1
	v_cvt_f32_u32_e32 v3, s72
	s_sub_u32 s0, 0, s72
	s_subb_u32 s1, 0, 0
	v_mac_f32_e32 v3, 0x4f800000, v48
	v_rcp_f32_e32 v3, v3
	v_mul_f32_e32 v3, 0x5f7ffffc, v3
	v_mul_f32_e32 v4, 0x2f800000, v3
	v_trunc_f32_e32 v4, v4
	v_mac_f32_e32 v3, 0xcf800000, v4
	v_cvt_u32_f32_e32 v4, v4
	v_cvt_u32_f32_e32 v3, v3
	v_readfirstlane_b32 s2, v4
	v_readfirstlane_b32 s3, v3
	s_mul_i32 s6, s0, s2
	s_mul_hi_u32 s8, s0, s3
	s_mul_i32 s7, s1, s3
	s_add_i32 s6, s8, s6
	s_mul_i32 s9, s0, s3
	s_add_i32 s6, s6, s7
	s_mul_hi_u32 s8, s3, s9
	s_mul_hi_u32 s7, s3, s6
	s_mul_i32 s3, s3, s6
	s_add_u32 s3, s8, s3
	s_addc_u32 s7, 0, s7
	s_mul_hi_u32 s12, s2, s9
	s_mul_i32 s9, s2, s9
	s_add_u32 s3, s3, s9
	s_mul_hi_u32 s8, s2, s6
	s_addc_u32 s3, s7, s12
	s_addc_u32 s7, s8, 0
	s_mul_i32 s6, s2, s6
	s_add_u32 s3, s3, s6
	s_addc_u32 s6, 0, s7
	v_add_co_u32_e32 v3, vcc, s3, v3
	s_cmp_lg_u64 vcc, 0
	s_addc_u32 s2, s2, s6
	v_readfirstlane_b32 s6, v3
	s_mul_i32 s3, s0, s2
	s_mul_hi_u32 s7, s0, s6
	s_add_i32 s3, s7, s3
	s_mul_i32 s1, s1, s6
	s_add_i32 s3, s3, s1
	s_mul_i32 s0, s0, s6
	s_mul_hi_u32 s7, s2, s0
	s_mul_i32 s8, s2, s0
	s_mul_i32 s12, s6, s3
	s_mul_hi_u32 s0, s6, s0
	s_mul_hi_u32 s9, s6, s3
	s_add_u32 s0, s0, s12
	s_addc_u32 s6, 0, s9
	s_add_u32 s0, s0, s8
	s_mul_hi_u32 s1, s2, s3
	s_addc_u32 s0, s6, s7
	s_addc_u32 s1, s1, 0
	s_mul_i32 s3, s2, s3
	s_add_u32 s0, s0, s3
	s_addc_u32 s1, 0, s1
	v_add_co_u32_e32 v3, vcc, s0, v3
	s_cmp_lg_u64 vcc, 0
	s_addc_u32 s6, s2, s1
	s_ashr_i32 s0, s57, 31
	s_add_u32 s2, s56, s0
	s_mov_b32 s1, s0
	s_addc_u32 s3, s57, s0
	s_xor_b64 s[2:3], s[2:3], s[0:1]
	v_readfirstlane_b32 s8, v3
	s_mul_i32 s7, s2, s6
	s_mul_hi_u32 s9, s2, s8
	s_mul_hi_u32 s1, s2, s6
	s_add_u32 s7, s9, s7
	s_addc_u32 s1, 0, s1
	s_mul_hi_u32 s12, s3, s8
	s_mul_i32 s8, s3, s8
	s_add_u32 s7, s7, s8
	s_mul_hi_u32 s9, s3, s6
	s_addc_u32 s1, s1, s12
	s_addc_u32 s7, s9, 0
	s_mul_i32 s6, s3, s6
	s_add_u32 s1, s1, s6
	s_addc_u32 s6, 0, s7
	s_mul_hi_u32 s7, s72, s1
	s_mul_i32 s1, s72, s1
	s_mul_i32 s6, s72, s6
	v_mov_b32_e32 v3, s1
	s_add_i32 s7, s7, s6
	v_sub_co_u32_e32 v3, vcc, s2, v3
	s_cmp_lg_u64 vcc, 0
	s_subb_u32 s1, s3, s7
	v_subrev_co_u32_e32 v4, vcc, s72, v3
	s_cmp_lg_u64 vcc, 0
	s_subb_u32 s2, s1, 0
	v_subrev_co_u32_e32 v5, vcc, s72, v4
	s_cmp_lg_u64 vcc, 0
	s_subb_u32 s3, s2, 0
	v_cmp_le_u32_e32 vcc, s72, v4
	s_cmp_eq_u32 s2, 0
	v_cndmask_b32_e64 v6, 0, -1, vcc
	s_cselect_b64 vcc, -1, 0
	v_cndmask_b32_e32 v6, -1, v6, vcc
	v_mov_b32_e32 v7, s2
	v_mov_b32_e32 v8, s3
	v_cmp_ne_u32_e32 vcc, 0, v6
	v_cndmask_b32_e32 v6, v7, v8, vcc
	v_cndmask_b32_e32 v4, v4, v5, vcc
	v_cmp_le_u32_e32 vcc, s72, v3
	s_cmp_eq_u32 s1, 0
	v_cndmask_b32_e64 v5, 0, -1, vcc
	s_cselect_b64 vcc, -1, 0
	v_cndmask_b32_e32 v5, -1, v5, vcc
	v_cmp_ne_u32_e32 vcc, 0, v5
	v_mov_b32_e32 v7, s1
	v_cndmask_b32_e32 v3, v3, v4, vcc
	v_cndmask_b32_e32 v5, v7, v6, vcc
	v_xor_b32_e32 v3, s0, v3
	v_xor_b32_e32 v4, s0, v5
	v_mov_b32_e32 v5, s0
	v_subrev_co_u32_e32 v32, vcc, s0, v3
	v_subb_co_u32_e32 v33, vcc, v4, v5, vcc
	s_cbranch_execnz .LBB22_72
.LBB22_71:                              ;   in Loop: Header=BB22_34 Depth=1
	v_cvt_f32_u32_e32 v3, s72
	s_sub_i32 s0, 0, s72
	v_rcp_iflag_f32_e32 v3, v3
	v_mul_f32_e32 v3, 0x4f7ffffe, v3
	v_cvt_u32_f32_e32 v3, v3
	v_mul_lo_u32 v4, s0, v3
	v_mul_hi_u32 v4, v3, v4
	v_add_u32_e32 v3, v3, v4
	v_mul_hi_u32 v3, s56, v3
	v_mul_lo_u32 v3, v3, s72
	v_sub_u32_e32 v3, s56, v3
	v_subrev_u32_e32 v4, s72, v3
	v_cmp_le_u32_e32 vcc, s72, v3
	v_cndmask_b32_e32 v3, v3, v4, vcc
	v_subrev_u32_e32 v4, s72, v3
	v_cmp_le_u32_e32 vcc, s72, v3
	v_cndmask_b32_e32 v12, v3, v4, vcc
	v_pk_mov_b32 v[32:33], v[12:13], v[12:13] op_sel:[0,1]
.LBB22_72:                              ;   in Loop: Header=BB22_34 Depth=1
	v_and_b32_e32 v12, 0xffff, v2
	v_mov_b32_e32 v2, s57
	v_sub_co_u32_e32 v34, vcc, s56, v32
	v_subb_co_u32_e32 v35, vcc, v2, v33, vcc
	v_pk_mov_b32 v[2:3], 0, 0
	v_cmp_gt_i64_e32 vcc, v[34:35], v[14:15]
	s_mov_b64 s[0:1], 0
	v_pk_mov_b32 v[4:5], v[2:3], v[2:3] op_sel:[0,1]
	v_pk_mov_b32 v[6:7], v[2:3], v[2:3] op_sel:[0,1]
	;; [unrolled: 1-line block ×3, first 2 shown]
	s_and_saveexec_b64 s[54:55], vcc
	s_cbranch_execz .LBB22_76
; %bb.73:                               ;   in Loop: Header=BB22_34 Depth=1
	v_readlane_b32 s2, v54, 55
	v_readlane_b32 s3, v54, 56
	v_mul_lo_u32 v2, s3, v12
	v_mul_hi_u32 v3, s2, v12
	v_mul_lo_u32 v30, s2, v12
	v_readlane_b32 s2, v54, 42
	v_readlane_b32 s3, v54, 43
	s_and_b32 s79, s29, 0xfe
	v_add_u32_e32 v29, v3, v2
	v_pk_mov_b32 v[36:37], s[2:3], s[2:3] op_sel:[0,1]
	s_mov_b64 s[8:9], 0
	s_mov_b64 s[92:93], 0
	;; [unrolled: 1-line block ×4, first 2 shown]
	v_pk_mov_b32 v[38:39], v[14:15], v[14:15] op_sel:[0,1]
.LBB22_74:                              ;   Parent Loop BB22_34 Depth=1
                                        ; =>  This Inner Loop Header: Depth=2
	v_add_co_u32_e32 v2, vcc, v36, v26
	v_addc_co_u32_e32 v3, vcc, v37, v27, vcc
	v_add_co_u32_e32 v4, vcc, v36, v24
	v_addc_co_u32_e32 v5, vcc, v37, v25, vcc
	;; [unrolled: 2-line block ×4, first 2 shown]
	global_load_dword v2, v[2:3], off
	s_nop 0
	global_load_dword v3, v[4:5], off
	s_nop 0
	global_load_dword v4, v[6:7], off
	global_load_dword v5, v[8:9], off
	v_add_co_u32_e32 v38, vcc, s72, v38
	v_addc_co_u32_e32 v39, vcc, 0, v39, vcc
	v_add_co_u32_e32 v36, vcc, v36, v30
	v_addc_co_u32_e32 v37, vcc, v37, v29, vcc
	v_cmp_ge_i64_e32 vcc, v[38:39], v[34:35]
	s_waitcnt vmcnt(3)
	v_xor_b32_e32 v2, 0x80000000, v2
	s_waitcnt vmcnt(2)
	v_xor_b32_e32 v3, 0x80000000, v3
	v_and_b32_e32 v6, s91, v2
	v_bfe_u32 v2, v2, s79, 2
	s_waitcnt vmcnt(1)
	v_xor_b32_e32 v4, 0x80000000, v4
	v_and_b32_e32 v7, s91, v3
	v_bfe_u32 v3, v3, s79, 2
	v_cmp_eq_u32_e64 s[18:19], s86, v6
	v_cmp_eq_u32_e64 s[6:7], 0, v2
	s_waitcnt vmcnt(0)
	v_xor_b32_e32 v5, 0x80000000, v5
	v_and_b32_e32 v8, s91, v4
	v_bfe_u32 v4, v4, s79, 2
	v_cmp_eq_u32_e64 s[16:17], s86, v7
	v_cmp_eq_u32_e64 s[30:31], 0, v3
	s_and_b64 s[6:7], s[18:19], s[6:7]
	v_and_b32_e32 v9, s91, v5
	v_bfe_u32 v5, v5, s79, 2
	v_cmp_eq_u32_e64 s[14:15], s86, v8
	v_cmp_eq_u32_e64 s[34:35], 0, v4
	;; [unrolled: 1-line block ×5, first 2 shown]
	v_cndmask_b32_e64 v2, 0, 1, s[6:7]
	s_and_b64 s[6:7], s[16:17], s[30:31]
	v_cmp_eq_u32_e64 s[12:13], s86, v9
	v_cmp_eq_u32_e64 s[36:37], 0, v5
	;; [unrolled: 1-line block ×5, first 2 shown]
	v_cndmask_b32_e64 v3, 0, 1, s[6:7]
	s_and_b64 s[6:7], s[14:15], s[34:35]
	v_cmp_eq_u32_e64 s[42:43], 1, v4
	v_cmp_eq_u32_e64 s[50:51], 2, v4
	;; [unrolled: 1-line block ×3, first 2 shown]
	v_cndmask_b32_e64 v4, 0, 1, s[6:7]
	s_and_b64 s[6:7], s[12:13], s[36:37]
	v_cmp_eq_u32_e64 s[44:45], 1, v5
	v_cmp_eq_u32_e64 s[52:53], 2, v5
	;; [unrolled: 1-line block ×3, first 2 shown]
	v_cndmask_b32_e64 v5, 0, 1, s[6:7]
	v_cmp_ne_u32_e64 s[6:7], 0, v2
	v_cmp_ne_u32_e64 s[30:31], 0, v3
	v_cmp_ne_u32_e64 s[34:35], 0, v4
	v_cmp_ne_u32_e64 s[36:37], 0, v5
	s_bcnt1_i32_b64 s6, s[6:7]
	s_bcnt1_i32_b64 s7, s[30:31]
	s_bcnt1_i32_b64 s30, s[34:35]
	s_bcnt1_i32_b64 s31, s[36:37]
	s_add_u32 s6, s6, s80
	s_addc_u32 s34, 0, s81
	s_add_u32 s6, s6, s7
	s_addc_u32 s7, s34, 0
	s_add_u32 s6, s6, s30
	s_addc_u32 s7, s7, 0
	s_add_u32 s80, s6, s31
	s_addc_u32 s81, s7, 0
	s_and_b64 s[6:7], s[18:19], s[38:39]
	v_cndmask_b32_e64 v4, 0, 1, s[6:7]
	s_and_b64 s[6:7], s[16:17], s[40:41]
	v_cndmask_b32_e64 v5, 0, 1, s[6:7]
	s_and_b64 s[6:7], s[14:15], s[42:43]
	v_cndmask_b32_e64 v6, 0, 1, s[6:7]
	s_and_b64 s[6:7], s[12:13], s[44:45]
	v_cndmask_b32_e64 v7, 0, 1, s[6:7]
	v_cmp_ne_u32_e64 s[6:7], 0, v4
	v_cmp_ne_u32_e64 s[30:31], 0, v5
	v_cmp_ne_u32_e64 s[34:35], 0, v6
	v_cmp_ne_u32_e64 s[36:37], 0, v7
	s_bcnt1_i32_b64 s6, s[6:7]
	s_bcnt1_i32_b64 s7, s[30:31]
	s_bcnt1_i32_b64 s30, s[34:35]
	s_bcnt1_i32_b64 s31, s[36:37]
	s_add_u32 s2, s6, s2
	s_addc_u32 s3, 0, s3
	s_add_u32 s2, s2, s7
	s_addc_u32 s3, s3, 0
	s_add_u32 s2, s2, s30
	s_addc_u32 s3, s3, 0
	s_add_u32 s2, s2, s31
	s_addc_u32 s3, s3, 0
	s_and_b64 s[6:7], s[18:19], s[46:47]
	v_cndmask_b32_e64 v6, 0, 1, s[6:7]
	s_and_b64 s[6:7], s[16:17], s[48:49]
	v_cndmask_b32_e64 v7, 0, 1, s[6:7]
	s_and_b64 s[6:7], s[14:15], s[50:51]
	v_cndmask_b32_e64 v8, 0, 1, s[6:7]
	s_and_b64 s[6:7], s[12:13], s[52:53]
	;; [unrolled: 24-line block ×3, first 2 shown]
	v_cndmask_b32_e64 v50, 0, 1, s[6:7]
	v_cmp_ne_u32_e64 s[6:7], 0, v8
	v_cmp_ne_u32_e64 s[12:13], 0, v9
	;; [unrolled: 1-line block ×4, first 2 shown]
	s_bcnt1_i32_b64 s6, s[6:7]
	s_bcnt1_i32_b64 s7, s[12:13]
	;; [unrolled: 1-line block ×4, first 2 shown]
	s_add_u32 s6, s6, s8
	s_addc_u32 s8, 0, s9
	s_add_u32 s6, s6, s7
	s_addc_u32 s7, s8, 0
	;; [unrolled: 2-line block ×4, first 2 shown]
	v_pk_mov_b32 v[2:3], s[80:81], s[80:81] op_sel:[0,1]
	v_pk_mov_b32 v[4:5], s[2:3], s[2:3] op_sel:[0,1]
	;; [unrolled: 1-line block ×3, first 2 shown]
	s_or_b64 s[0:1], vcc, s[0:1]
	v_pk_mov_b32 v[8:9], s[8:9], s[8:9] op_sel:[0,1]
	s_andn2_b64 exec, exec, s[0:1]
	s_cbranch_execnz .LBB22_74
; %bb.75:                               ;   in Loop: Header=BB22_34 Depth=1
	s_or_b64 exec, exec, s[0:1]
	v_readlane_b32 s48, v54, 59
	v_readlane_b32 s49, v54, 60
.LBB22_76:                              ;   in Loop: Header=BB22_34 Depth=1
	s_or_b64 exec, exec, s[54:55]
	v_add_co_u32_e32 v34, vcc, v34, v0
	v_addc_co_u32_e32 v35, vcc, 0, v35, vcc
	v_cmp_gt_i64_e32 vcc, s[56:57], v[34:35]
	v_mov_b32_e32 v36, 0
	s_and_saveexec_b64 s[0:1], vcc
	s_cbranch_execz .LBB22_78
; %bb.77:                               ;   in Loop: Header=BB22_34 Depth=1
	v_mul_lo_u32 v29, v35, s62
	v_mul_lo_u32 v30, v34, s63
	v_mad_u64_u32 v[36:37], s[2:3], v34, s62, 0
	v_add3_u32 v37, v37, v30, v29
	v_readlane_b32 s2, v54, 42
	v_lshlrev_b64 v[36:37], 2, v[36:37]
	v_readlane_b32 s3, v54, 43
	v_mov_b32_e32 v29, s3
	v_add_co_u32_e64 v36, s[6:7], s2, v36
	v_addc_co_u32_e64 v37, s[6:7], v29, v37, s[6:7]
	global_load_dword v36, v[36:37], off
.LBB22_78:                              ;   in Loop: Header=BB22_34 Depth=1
	s_or_b64 exec, exec, s[0:1]
	s_and_saveexec_b64 s[0:1], vcc
	s_cbranch_execz .LBB22_85
; %bb.79:                               ;   in Loop: Header=BB22_34 Depth=1
	v_add_co_u32_e32 v29, vcc, v45, v12
	v_addc_co_u32_e32 v30, vcc, 0, v46, vcc
	v_readlane_b32 s2, v54, 57
	v_sub_co_u32_e32 v29, vcc, v29, v32
	v_readlane_b32 s3, v54, 58
	v_subb_co_u32_e32 v30, vcc, v30, v33, vcc
	v_pk_mov_b32 v[32:33], s[2:3], s[2:3] op_sel:[0,1]
	v_mul_lo_u32 v30, s84, v30
	v_mul_lo_u32 v37, s85, v29
	v_mad_u64_u32 v[32:33], s[2:3], s84, v29, v[32:33]
	v_add3_u32 v33, v37, v33, v30
	v_mul_lo_u32 v29, s85, v12
	v_mul_hi_u32 v30, s84, v12
	s_and_b32 s12, s29, 0xfe
	v_add_u32_e32 v29, v30, v29
	v_mul_lo_u32 v30, s84, v12
	s_mov_b64 s[2:3], 0
	s_branch .LBB22_81
.LBB22_80:                              ;   in Loop: Header=BB22_81 Depth=2
	s_or_b64 exec, exec, s[8:9]
	s_waitcnt vmcnt(0)
	v_xor_b32_e32 v36, 0x80000000, v36
	s_and_b64 s[6:7], exec, vcc
	v_and_b32_e32 v38, s91, v36
	v_bfe_u32 v36, v36, s12, 2
	s_or_b64 s[2:3], s[6:7], s[2:3]
	v_cmp_eq_u32_e32 vcc, s86, v38
	v_cmp_eq_u32_e64 s[6:7], 0, v36
	s_and_b64 s[6:7], vcc, s[6:7]
	v_cndmask_b32_e64 v38, 0, 1, s[6:7]
	v_cmp_ne_u32_e64 s[6:7], 0, v38
	s_bcnt1_i32_b64 s6, s[6:7]
	v_add_co_u32_e64 v2, s[6:7], s6, v2
	v_addc_co_u32_e64 v3, s[6:7], 0, v3, s[6:7]
	v_cmp_eq_u32_e64 s[6:7], 1, v36
	s_and_b64 s[6:7], vcc, s[6:7]
	v_cndmask_b32_e64 v38, 0, 1, s[6:7]
	v_cmp_ne_u32_e64 s[6:7], 0, v38
	s_bcnt1_i32_b64 s6, s[6:7]
	v_add_co_u32_e64 v4, s[6:7], s6, v4
	v_addc_co_u32_e64 v5, s[6:7], 0, v5, s[6:7]
	;; [unrolled: 7-line block ×3, first 2 shown]
	v_cmp_eq_u32_e64 s[6:7], 3, v36
	s_and_b64 s[6:7], vcc, s[6:7]
	v_cndmask_b32_e64 v36, 0, 1, s[6:7]
	v_cmp_ne_u32_e32 vcc, 0, v36
	s_bcnt1_i32_b64 s6, vcc
	v_add_co_u32_e32 v8, vcc, s6, v8
	v_addc_co_u32_e32 v9, vcc, 0, v9, vcc
	v_add_co_u32_e32 v32, vcc, v32, v30
	v_addc_co_u32_e32 v33, vcc, v33, v29, vcc
	v_mov_b32_e32 v36, v37
	s_andn2_b64 exec, exec, s[2:3]
	s_cbranch_execz .LBB22_84
.LBB22_81:                              ;   Parent Loop BB22_34 Depth=1
                                        ; =>  This Inner Loop Header: Depth=2
	v_add_co_u32_e32 v34, vcc, v34, v12
	v_addc_co_u32_e32 v35, vcc, 0, v35, vcc
	v_cmp_gt_i64_e64 s[6:7], s[56:57], v[34:35]
	v_cmp_le_i64_e32 vcc, s[56:57], v[34:35]
	v_mov_b32_e32 v37, 0
	s_and_saveexec_b64 s[8:9], s[6:7]
	s_cbranch_execz .LBB22_80
; %bb.82:                               ;   in Loop: Header=BB22_81 Depth=2
	global_load_dword v37, v[32:33], off
	s_branch .LBB22_80
.LBB22_83:                              ;   in Loop: Header=BB22_34 Depth=1
                                        ; implicit-def: $vgpr8_vgpr9
                                        ; implicit-def: $vgpr4_vgpr5
	s_cbranch_execnz .LBB22_86
	s_branch .LBB22_95
.LBB22_84:                              ;   in Loop: Header=BB22_34 Depth=1
	s_or_b64 exec, exec, s[2:3]
.LBB22_85:                              ;   in Loop: Header=BB22_34 Depth=1
	s_or_b64 exec, exec, s[0:1]
	s_branch .LBB22_95
.LBB22_86:                              ;   in Loop: Header=BB22_34 Depth=1
	global_load_ushort v8, v13, s[74:75]
	s_waitcnt vmcnt(0)
	v_readfirstlane_b32 s0, v8
	s_and_b32 s0, 0xffff, s0
	s_lshl_b32 s72, s0, 2
	v_cvt_f32_u32_e32 v2, s72
	s_sub_i32 s2, 0, s72
	s_mov_b64 s[0:1], 0
	v_and_b32_e32 v29, 0xffff, v8
	v_rcp_iflag_f32_e32 v6, v2
	v_pk_mov_b32 v[2:3], 0, 0
	v_pk_mov_b32 v[4:5], v[2:3], v[2:3] op_sel:[0,1]
	v_mul_f32_e32 v6, 0x4f7ffffe, v6
	v_cvt_u32_f32_e32 v9, v6
	v_pk_mov_b32 v[6:7], v[2:3], v[2:3] op_sel:[0,1]
	v_readfirstlane_b32 s3, v9
	s_mul_i32 s2, s2, s3
	s_mul_hi_u32 s2, s3, s2
	s_add_i32 s3, s3, s2
	s_mul_hi_u32 s2, s78, s3
	s_mul_i32 s2, s2, s72
	s_sub_i32 s2, s78, s2
	s_sub_i32 s3, s2, s72
	s_cmp_ge_u32 s2, s72
	s_cselect_b32 s2, s3, s2
	s_sub_i32 s3, s2, s72
	s_cmp_ge_u32 s2, s72
	s_cselect_b32 s2, s3, s2
	s_sub_i32 s94, s78, s2
	v_cmp_gt_u32_e32 vcc, s94, v14
	v_pk_mov_b32 v[8:9], v[2:3], v[2:3] op_sel:[0,1]
	s_and_saveexec_b64 s[2:3], vcc
	s_cbranch_execz .LBB22_90
; %bb.87:                               ;   in Loop: Header=BB22_34 Depth=1
	s_and_b32 s79, s29, 0xfe
	v_lshlrev_b32_e32 v12, 4, v29
	v_mov_b32_e32 v30, v44
	s_mov_b64 s[8:9], 0
	s_mov_b64 s[54:55], 0
	;; [unrolled: 1-line block ×4, first 2 shown]
	v_pk_mov_b32 v[32:33], v[14:15], v[14:15] op_sel:[0,1]
.LBB22_88:                              ;   Parent Loop BB22_34 Depth=1
                                        ; =>  This Inner Loop Header: Depth=2
	ds_read_b128 v[2:5], v30
	v_add_co_u32_e32 v32, vcc, s72, v32
	v_addc_co_u32_e32 v33, vcc, 0, v33, vcc
	s_waitcnt lgkmcnt(0)
	v_xor_b32_e32 v2, 0x80000000, v2
	v_xor_b32_e32 v3, 0x80000000, v3
	v_and_b32_e32 v6, s91, v2
	v_bfe_u32 v2, v2, s79, 2
	v_xor_b32_e32 v4, 0x80000000, v4
	v_and_b32_e32 v7, s91, v3
	v_bfe_u32 v3, v3, s79, 2
	v_cmp_eq_u32_e64 s[18:19], s86, v6
	v_cmp_eq_u32_e64 s[6:7], 0, v2
	v_xor_b32_e32 v5, 0x80000000, v5
	v_and_b32_e32 v8, s91, v4
	v_bfe_u32 v4, v4, s79, 2
	v_cmp_eq_u32_e64 s[16:17], s86, v7
	v_cmp_eq_u32_e64 s[30:31], 0, v3
	s_and_b64 s[6:7], s[18:19], s[6:7]
	v_and_b32_e32 v9, s91, v5
	v_bfe_u32 v5, v5, s79, 2
	v_cmp_eq_u32_e64 s[14:15], s86, v8
	v_cmp_eq_u32_e64 s[34:35], 0, v4
	;; [unrolled: 1-line block ×5, first 2 shown]
	v_cndmask_b32_e64 v2, 0, 1, s[6:7]
	s_and_b64 s[6:7], s[16:17], s[30:31]
	v_cmp_eq_u32_e64 s[12:13], s86, v9
	v_cmp_eq_u32_e64 s[36:37], 0, v5
	;; [unrolled: 1-line block ×5, first 2 shown]
	v_cndmask_b32_e64 v3, 0, 1, s[6:7]
	s_and_b64 s[6:7], s[14:15], s[34:35]
	v_cmp_eq_u32_e64 s[42:43], 1, v4
	v_cmp_eq_u32_e64 s[50:51], 2, v4
	;; [unrolled: 1-line block ×3, first 2 shown]
	v_cndmask_b32_e64 v4, 0, 1, s[6:7]
	s_and_b64 s[6:7], s[12:13], s[36:37]
	v_cmp_eq_u32_e64 s[44:45], 1, v5
	v_cmp_eq_u32_e64 s[52:53], 2, v5
	;; [unrolled: 1-line block ×3, first 2 shown]
	v_cndmask_b32_e64 v5, 0, 1, s[6:7]
	v_cmp_ne_u32_e64 s[6:7], 0, v2
	v_cmp_ne_u32_e64 s[30:31], 0, v3
	v_cmp_ne_u32_e64 s[34:35], 0, v4
	v_cmp_ne_u32_e64 s[36:37], 0, v5
	s_bcnt1_i32_b64 s6, s[6:7]
	s_bcnt1_i32_b64 s7, s[30:31]
	s_bcnt1_i32_b64 s30, s[34:35]
	s_bcnt1_i32_b64 s31, s[36:37]
	s_add_u32 s6, s6, s92
	s_addc_u32 s34, 0, s93
	s_add_u32 s6, s6, s7
	s_addc_u32 s7, s34, 0
	s_add_u32 s6, s6, s30
	s_addc_u32 s7, s7, 0
	s_add_u32 s92, s6, s31
	s_addc_u32 s93, s7, 0
	s_and_b64 s[6:7], s[18:19], s[38:39]
	v_cndmask_b32_e64 v4, 0, 1, s[6:7]
	s_and_b64 s[6:7], s[16:17], s[40:41]
	v_cndmask_b32_e64 v5, 0, 1, s[6:7]
	s_and_b64 s[6:7], s[14:15], s[42:43]
	v_cndmask_b32_e64 v6, 0, 1, s[6:7]
	s_and_b64 s[6:7], s[12:13], s[44:45]
	v_cndmask_b32_e64 v7, 0, 1, s[6:7]
	v_cmp_ne_u32_e64 s[6:7], 0, v4
	v_cmp_ne_u32_e64 s[30:31], 0, v5
	v_cmp_ne_u32_e64 s[34:35], 0, v6
	v_cmp_ne_u32_e64 s[36:37], 0, v7
	s_bcnt1_i32_b64 s6, s[6:7]
	s_bcnt1_i32_b64 s7, s[30:31]
	s_bcnt1_i32_b64 s30, s[34:35]
	s_bcnt1_i32_b64 s31, s[36:37]
	s_add_u32 s6, s6, s80
	s_addc_u32 s34, 0, s81
	s_add_u32 s6, s6, s7
	s_addc_u32 s7, s34, 0
	s_add_u32 s6, s6, s30
	s_addc_u32 s7, s7, 0
	s_add_u32 s80, s6, s31
	s_addc_u32 s81, s7, 0
	s_and_b64 s[6:7], s[18:19], s[46:47]
	v_cndmask_b32_e64 v6, 0, 1, s[6:7]
	s_and_b64 s[6:7], s[16:17], s[48:49]
	v_cndmask_b32_e64 v7, 0, 1, s[6:7]
	s_and_b64 s[6:7], s[14:15], s[50:51]
	v_cndmask_b32_e64 v8, 0, 1, s[6:7]
	s_and_b64 s[6:7], s[12:13], s[52:53]
	;; [unrolled: 24-line block ×3, first 2 shown]
	v_cndmask_b32_e64 v35, 0, 1, s[6:7]
	v_cmp_ne_u32_e64 s[6:7], 0, v8
	v_cmp_ne_u32_e64 s[12:13], 0, v9
	;; [unrolled: 1-line block ×4, first 2 shown]
	s_bcnt1_i32_b64 s6, s[6:7]
	s_bcnt1_i32_b64 s7, s[12:13]
	s_bcnt1_i32_b64 s12, s[14:15]
	s_bcnt1_i32_b64 s13, s[16:17]
	s_add_u32 s6, s6, s8
	s_addc_u32 s8, 0, s9
	s_add_u32 s6, s6, s7
	s_addc_u32 s7, s8, 0
	;; [unrolled: 2-line block ×3, first 2 shown]
	s_add_u32 s8, s6, s13
	v_cmp_le_u64_e32 vcc, s[94:95], v[32:33]
	s_addc_u32 s9, s7, 0
	v_add_u32_e32 v30, v30, v12
	v_pk_mov_b32 v[2:3], s[92:93], s[92:93] op_sel:[0,1]
	v_pk_mov_b32 v[4:5], s[80:81], s[80:81] op_sel:[0,1]
	;; [unrolled: 1-line block ×3, first 2 shown]
	s_or_b64 s[0:1], vcc, s[0:1]
	v_pk_mov_b32 v[8:9], s[8:9], s[8:9] op_sel:[0,1]
	s_andn2_b64 exec, exec, s[0:1]
	s_cbranch_execnz .LBB22_88
; %bb.89:                               ;   in Loop: Header=BB22_34 Depth=1
	s_or_b64 exec, exec, s[0:1]
	v_readlane_b32 s48, v54, 59
	v_readlane_b32 s49, v54, 60
.LBB22_90:                              ;   in Loop: Header=BB22_34 Depth=1
	s_or_b64 exec, exec, s[2:3]
	v_add_u32_e32 v12, s94, v0
	v_cmp_gt_u32_e32 vcc, s78, v12
	s_and_saveexec_b64 s[0:1], vcc
	s_cbranch_execz .LBB22_94
; %bb.91:                               ;   in Loop: Header=BB22_34 Depth=1
	s_and_b32 s94, s78, 0x7fffffff
	s_and_b32 s8, s29, 0xfe
	v_lshlrev_b32_e32 v30, 2, v12
	s_mov_b64 s[2:3], 0
	v_pk_mov_b32 v[32:33], v[12:13], v[12:13] op_sel:[0,1]
.LBB22_92:                              ;   Parent Loop BB22_34 Depth=1
                                        ; =>  This Inner Loop Header: Depth=2
	ds_read_b32 v12, v30
	v_add_co_u32_e32 v32, vcc, v32, v29
	v_addc_co_u32_e32 v33, vcc, 0, v33, vcc
	s_waitcnt lgkmcnt(0)
	v_xor_b32_e32 v12, 0x80000000, v12
	v_and_b32_e32 v34, s91, v12
	v_bfe_u32 v12, v12, s8, 2
	v_cmp_eq_u32_e64 s[6:7], s86, v34
	v_cmp_eq_u32_e64 s[12:13], 0, v12
	;; [unrolled: 1-line block ×3, first 2 shown]
	s_and_b64 s[12:13], s[6:7], s[12:13]
	v_cmp_eq_u32_e64 s[16:17], 2, v12
	v_cmp_eq_u32_e64 s[18:19], 3, v12
	v_cndmask_b32_e64 v12, 0, 1, s[12:13]
	s_and_b64 s[12:13], s[6:7], s[14:15]
	v_cndmask_b32_e64 v34, 0, 1, s[12:13]
	s_and_b64 s[12:13], s[6:7], s[16:17]
	s_and_b64 s[6:7], s[6:7], s[18:19]
	v_cndmask_b32_e64 v35, 0, 1, s[12:13]
	v_cndmask_b32_e64 v36, 0, 1, s[6:7]
	v_cmp_ne_u32_e64 s[6:7], 0, v12
	v_cmp_ne_u32_e64 s[12:13], 0, v34
	;; [unrolled: 1-line block ×4, first 2 shown]
	v_cmp_le_u64_e32 vcc, s[94:95], v[32:33]
	s_bcnt1_i32_b64 s6, s[6:7]
	s_bcnt1_i32_b64 s7, s[12:13]
	;; [unrolled: 1-line block ×4, first 2 shown]
	s_or_b64 s[2:3], vcc, s[2:3]
	v_add_co_u32_e32 v2, vcc, s6, v2
	v_addc_co_u32_e32 v3, vcc, 0, v3, vcc
	v_add_co_u32_e32 v4, vcc, s7, v4
	v_addc_co_u32_e32 v5, vcc, 0, v5, vcc
	;; [unrolled: 2-line block ×3, first 2 shown]
	v_add_co_u32_e32 v8, vcc, s12, v8
	v_add_u32_e32 v30, s72, v30
	v_addc_co_u32_e32 v9, vcc, 0, v9, vcc
	s_andn2_b64 exec, exec, s[2:3]
	s_cbranch_execnz .LBB22_92
; %bb.93:                               ;   in Loop: Header=BB22_34 Depth=1
	s_or_b64 exec, exec, s[2:3]
.LBB22_94:                              ;   in Loop: Header=BB22_34 Depth=1
	s_or_b64 exec, exec, s[0:1]
.LBB22_95:                              ;   in Loop: Header=BB22_34 Depth=1
	s_lshl_b32 s2, s90, 6
	s_and_saveexec_b64 s[0:1], s[4:5]
	s_cbranch_execz .LBB22_97
; %bb.96:                               ;   in Loop: Header=BB22_34 Depth=1
	v_or_b32_e32 v12, s2, v42
	v_lshlrev_b32_e32 v12, 3, v12
	ds_write_b128 v12, v[2:5] offset:3072
	s_waitcnt vmcnt(0)
	ds_write_b128 v12, v[6:9] offset:3088
.LBB22_97:                              ;   in Loop: Header=BB22_34 Depth=1
	s_or_b64 exec, exec, s[0:1]
	s_waitcnt lgkmcnt(0)
	s_barrier
	s_and_saveexec_b64 s[0:1], s[48:49]
	s_cbranch_execz .LBB22_109
; %bb.98:                               ;   in Loop: Header=BB22_34 Depth=1
	v_readlane_b32 s6, v54, 46
	v_readlane_b32 s7, v54, 47
	s_andn2_b64 vcc, exec, s[6:7]
	v_pk_mov_b32 v[2:3], 0, 0
	s_cbranch_vccnz .LBB22_108
; %bb.99:                               ;   in Loop: Header=BB22_34 Depth=1
	v_readlane_b32 s6, v54, 50
	v_readlane_b32 s7, v54, 51
	s_andn2_b64 vcc, exec, s[6:7]
	s_cbranch_vccnz .LBB22_104
; %bb.100:                              ;   in Loop: Header=BB22_34 Depth=1
	v_lshl_add_u32 v4, s90, 9, v47
	s_mov_b32 s3, 0
	v_pk_mov_b32 v[2:3], 0, 0
.LBB22_101:                             ;   Parent Loop BB22_34 Depth=1
                                        ; =>  This Inner Loop Header: Depth=2
	s_waitcnt vmcnt(0)
	ds_read2_b64 v[6:9], v4 offset1:4
	ds_read2_b64 v[32:35], v4 offset0:8 offset1:12
	ds_read2_b64 v[36:39], v4 offset0:16 offset1:20
	;; [unrolled: 1-line block ×3, first 2 shown]
	s_add_i32 s3, s3, 8
	s_waitcnt lgkmcnt(3)
	v_add_co_u32_e32 v2, vcc, v6, v2
	v_addc_co_u32_e32 v3, vcc, v7, v3, vcc
	v_add_co_u32_e32 v2, vcc, v8, v2
	v_addc_co_u32_e32 v3, vcc, v9, v3, vcc
	s_waitcnt lgkmcnt(2)
	v_add_co_u32_e32 v2, vcc, v32, v2
	v_addc_co_u32_e32 v3, vcc, v33, v3, vcc
	v_add_co_u32_e32 v2, vcc, v34, v2
	v_addc_co_u32_e32 v3, vcc, v35, v3, vcc
	;; [unrolled: 5-line block ×3, first 2 shown]
	s_waitcnt lgkmcnt(0)
	v_add_co_u32_e32 v2, vcc, v50, v2
	v_addc_co_u32_e32 v3, vcc, v51, v3, vcc
	v_add_co_u32_e32 v2, vcc, v52, v2
	v_add_u32_e32 v4, 0x100, v4
	s_cmp_eq_u32 s64, s3
	v_addc_co_u32_e32 v3, vcc, v53, v3, vcc
	s_cbranch_scc0 .LBB22_101
; %bb.102:                              ;   in Loop: Header=BB22_34 Depth=1
	s_mov_b32 s3, s64
	s_branch .LBB22_105
.LBB22_103:                             ;   in Loop: Header=BB22_34 Depth=1
                                        ; implicit-def: $vgpr32_vgpr33
	s_branch .LBB22_71
.LBB22_104:                             ;   in Loop: Header=BB22_34 Depth=1
	s_mov_b32 s3, 0
	v_pk_mov_b32 v[2:3], 0, 0
.LBB22_105:                             ;   in Loop: Header=BB22_34 Depth=1
	v_readlane_b32 s6, v54, 53
	v_readlane_b32 s7, v54, 54
	s_andn2_b64 vcc, exec, s[6:7]
	s_cbranch_vccnz .LBB22_108
; %bb.106:                              ;   in Loop: Header=BB22_34 Depth=1
	s_lshl_b32 s6, s90, 9
	s_lshl_b32 s3, s3, 5
	s_add_i32 s6, s6, s3
	v_add_u32_e32 v4, s6, v47
	v_readlane_b32 s3, v54, 52
.LBB22_107:                             ;   Parent Loop BB22_34 Depth=1
                                        ; =>  This Inner Loop Header: Depth=2
	s_waitcnt vmcnt(0)
	ds_read_b64 v[6:7], v4
	s_add_i32 s3, s3, -1
	v_add_u32_e32 v4, 32, v4
	s_cmp_lg_u32 s3, 0
	s_waitcnt lgkmcnt(0)
	v_add_co_u32_e32 v2, vcc, v6, v2
	v_addc_co_u32_e32 v3, vcc, v7, v3, vcc
	s_cbranch_scc1 .LBB22_107
.LBB22_108:                             ;   in Loop: Header=BB22_34 Depth=1
	v_add_lshl_u32 v4, s2, v40, 3
	ds_write_b64 v4, v[2:3] offset:3072
.LBB22_109:                             ;   in Loop: Header=BB22_34 Depth=1
	s_or_b64 exec, exec, s[0:1]
	s_lshl_b32 s0, s2, 3
	s_waitcnt vmcnt(0)
	v_mov_b32_e32 v6, s0
	s_waitcnt lgkmcnt(0)
	s_barrier
	ds_read_b128 v[2:5], v6 offset:3072
	ds_read_b128 v[6:9], v6 offset:3088
	s_and_b32 s40, s29, 0xfe
	s_lshl_b32 s46, 3, s40
	s_not_b32 s41, s46
	s_waitcnt lgkmcnt(1)
	v_readfirstlane_b32 s15, v3
	v_readfirstlane_b32 s14, v2
	s_cmp_eq_u64 s[14:15], 1
	s_cselect_b64 s[0:1], -1, 0
	s_cmp_eq_u64 s[58:59], 1
	s_cselect_b64 s[2:3], -1, 0
	s_and_b64 s[20:21], s[0:1], s[2:3]
	v_readfirstlane_b32 s26, v4
	v_readfirstlane_b32 s27, v5
	s_waitcnt lgkmcnt(0)
	v_readfirstlane_b32 s16, v6
	v_readfirstlane_b32 s17, v7
	;; [unrolled: 1-line block ×4, first 2 shown]
	s_mov_b64 s[18:19], -1
	s_and_b64 vcc, exec, s[20:21]
	s_cbranch_vccz .LBB22_124
; %bb.110:                              ;   in Loop: Header=BB22_34 Depth=1
	ds_read_b64 v[2:3], v13 offset:5120
	s_waitcnt lgkmcnt(0)
	s_barrier
	v_readfirstlane_b32 s12, v2
	v_readfirstlane_b32 s13, v3
	s_mov_b64 s[0:1], exec
	v_readlane_b32 s2, v54, 36
	v_readlane_b32 s3, v54, 37
	s_and_b64 s[2:3], s[0:1], s[2:3]
	s_mov_b64 exec, s[2:3]
	s_cbranch_execz .LBB22_112
; %bb.111:                              ;   in Loop: Header=BB22_34 Depth=1
	ds_write_b32 v41, v13
.LBB22_112:                             ;   in Loop: Header=BB22_34 Depth=1
	s_or_b64 exec, exec, s[0:1]
	v_cmp_lt_i64_e64 s[0:1], s[12:13], 1
	s_and_b32 s86, s86, s41
	s_or_b32 s91, s91, s46
	s_and_b64 vcc, exec, s[0:1]
	s_waitcnt lgkmcnt(0)
	s_barrier
	s_cbranch_vccz .LBB22_125
; %bb.113:                              ;   in Loop: Header=BB22_34 Depth=1
	s_mov_b32 s72, s95
	s_cmp_lg_u64 s[72:73], 0
	s_cbranch_scc0 .LBB22_170
; %bb.114:                              ;   in Loop: Header=BB22_34 Depth=1
	v_cvt_f32_u32_e32 v2, s33
	s_sub_u32 s0, 0, s33
	s_subb_u32 s1, 0, 0
	v_mac_f32_e32 v2, 0x4f800000, v48
	v_rcp_f32_e32 v2, v2
	v_mul_f32_e32 v2, 0x5f7ffffc, v2
	v_mul_f32_e32 v3, 0x2f800000, v2
	v_trunc_f32_e32 v3, v3
	v_mac_f32_e32 v2, 0xcf800000, v3
	v_cvt_u32_f32_e32 v3, v3
	v_cvt_u32_f32_e32 v2, v2
	v_readfirstlane_b32 s2, v3
	v_readfirstlane_b32 s3, v2
	s_mul_i32 s8, s0, s2
	s_mul_hi_u32 s22, s0, s3
	s_mul_i32 s9, s1, s3
	s_add_i32 s8, s22, s8
	s_mul_i32 s23, s0, s3
	s_add_i32 s8, s8, s9
	s_mul_hi_u32 s22, s3, s23
	s_mul_hi_u32 s9, s3, s8
	s_mul_i32 s3, s3, s8
	s_add_u32 s3, s22, s3
	s_addc_u32 s9, 0, s9
	s_mul_hi_u32 s24, s2, s23
	s_mul_i32 s23, s2, s23
	s_add_u32 s3, s3, s23
	s_mul_hi_u32 s22, s2, s8
	s_addc_u32 s3, s9, s24
	s_addc_u32 s9, s22, 0
	s_mul_i32 s8, s2, s8
	s_add_u32 s3, s3, s8
	s_addc_u32 s8, 0, s9
	v_add_co_u32_e32 v2, vcc, s3, v2
	s_cmp_lg_u64 vcc, 0
	s_addc_u32 s2, s2, s8
	v_readfirstlane_b32 s8, v2
	s_mul_i32 s3, s0, s2
	s_mul_hi_u32 s9, s0, s8
	s_add_i32 s3, s9, s3
	s_mul_i32 s1, s1, s8
	s_add_i32 s3, s3, s1
	s_mul_i32 s0, s0, s8
	s_mul_hi_u32 s9, s2, s0
	s_mul_i32 s22, s2, s0
	s_mul_i32 s24, s8, s3
	s_mul_hi_u32 s0, s8, s0
	s_mul_hi_u32 s23, s8, s3
	s_add_u32 s0, s0, s24
	s_addc_u32 s8, 0, s23
	s_add_u32 s0, s0, s22
	s_mul_hi_u32 s1, s2, s3
	s_addc_u32 s0, s8, s9
	s_addc_u32 s1, s1, 0
	s_mul_i32 s3, s2, s3
	s_add_u32 s0, s0, s3
	s_addc_u32 s1, 0, s1
	v_add_co_u32_e32 v2, vcc, s0, v2
	s_cmp_lg_u64 vcc, 0
	s_addc_u32 s8, s2, s1
	s_ashr_i32 s0, s73, 31
	s_add_u32 s2, s87, s0
	s_mov_b32 s1, s0
	s_addc_u32 s3, s73, s0
	s_xor_b64 s[2:3], s[2:3], s[0:1]
	v_readfirstlane_b32 s22, v2
	s_mul_i32 s9, s2, s8
	s_mul_hi_u32 s23, s2, s22
	s_mul_hi_u32 s1, s2, s8
	s_add_u32 s9, s23, s9
	s_addc_u32 s1, 0, s1
	s_mul_hi_u32 s24, s3, s22
	s_mul_i32 s22, s3, s22
	s_add_u32 s9, s9, s22
	s_mul_hi_u32 s23, s3, s8
	s_addc_u32 s1, s1, s24
	s_addc_u32 s9, s23, 0
	s_mul_i32 s8, s3, s8
	s_add_u32 s1, s1, s8
	s_addc_u32 s8, 0, s9
	s_mul_hi_u32 s9, s33, s1
	s_mul_i32 s1, s33, s1
	s_mul_i32 s8, s33, s8
	v_mov_b32_e32 v2, s1
	s_add_i32 s9, s9, s8
	v_sub_co_u32_e32 v2, vcc, s2, v2
	s_cmp_lg_u64 vcc, 0
	s_subb_u32 s1, s3, s9
	v_subrev_co_u32_e32 v3, vcc, s33, v2
	s_cmp_lg_u64 vcc, 0
	s_subb_u32 s2, s1, 0
	v_subrev_co_u32_e32 v4, vcc, s33, v3
	s_cmp_lg_u64 vcc, 0
	s_subb_u32 s3, s2, 0
	v_cmp_le_u32_e32 vcc, s33, v3
	s_cmp_eq_u32 s2, 0
	v_cndmask_b32_e64 v5, 0, -1, vcc
	s_cselect_b64 vcc, -1, 0
	v_cndmask_b32_e32 v5, -1, v5, vcc
	v_mov_b32_e32 v6, s2
	v_mov_b32_e32 v7, s3
	v_cmp_ne_u32_e32 vcc, 0, v5
	v_cndmask_b32_e32 v5, v6, v7, vcc
	v_cndmask_b32_e32 v3, v3, v4, vcc
	v_cmp_le_u32_e32 vcc, s33, v2
	s_cmp_eq_u32 s1, 0
	v_cndmask_b32_e64 v4, 0, -1, vcc
	s_cselect_b64 vcc, -1, 0
	v_cndmask_b32_e32 v4, -1, v4, vcc
	v_cmp_ne_u32_e32 vcc, 0, v4
	v_mov_b32_e32 v6, s1
	v_cndmask_b32_e32 v2, v2, v3, vcc
	v_cndmask_b32_e32 v4, v6, v5, vcc
	v_xor_b32_e32 v2, s0, v2
	v_xor_b32_e32 v3, s0, v4
	v_mov_b32_e32 v4, s0
	v_subrev_co_u32_e32 v2, vcc, s0, v2
	v_subb_co_u32_e32 v3, vcc, v3, v4, vcc
	s_cbranch_execnz .LBB22_116
.LBB22_115:                             ;   in Loop: Header=BB22_34 Depth=1
	v_cvt_f32_u32_e32 v2, s33
	s_sub_i32 s0, 0, s33
	v_rcp_iflag_f32_e32 v2, v2
	v_mul_f32_e32 v2, 0x4f7ffffe, v2
	v_cvt_u32_f32_e32 v2, v2
	v_mul_lo_u32 v3, s0, v2
	v_mul_hi_u32 v3, v2, v3
	v_add_u32_e32 v2, v2, v3
	s_mov_b32 s0, s87
	v_mul_hi_u32 v2, s0, v2
	v_mul_lo_u32 v2, v2, s33
	v_sub_u32_e32 v2, s0, v2
	v_subrev_u32_e32 v3, s33, v2
	v_cmp_le_u32_e32 vcc, s33, v2
	v_cndmask_b32_e32 v2, v2, v3, vcc
	v_subrev_u32_e32 v3, s33, v2
	v_cmp_le_u32_e32 vcc, s33, v2
	v_cndmask_b32_e32 v12, v2, v3, vcc
	v_pk_mov_b32 v[2:3], v[12:13], v[12:13] op_sel:[0,1]
.LBB22_116:                             ;   in Loop: Header=BB22_34 Depth=1
	v_mov_b32_e32 v4, s73
	v_sub_co_u32_e32 v2, vcc, s87, v2
	v_subb_co_u32_e32 v3, vcc, v4, v3, vcc
	v_cmp_gt_i64_e32 vcc, v[2:3], v[0:1]
	s_mov_b64 s[0:1], 0
                                        ; implicit-def: $vgpr31
	s_and_saveexec_b64 s[2:3], vcc
	s_cbranch_execz .LBB22_127
; %bb.117:                              ;   in Loop: Header=BB22_34 Depth=1
	v_pk_mov_b32 v[4:5], v[10:11], v[10:11] op_sel:[0,1]
	v_pk_mov_b32 v[6:7], v[0:1], v[0:1] op_sel:[0,1]
                                        ; implicit-def: $sgpr8_sgpr9
	s_branch .LBB22_119
.LBB22_118:                             ;   in Loop: Header=BB22_119 Depth=2
	s_or_b64 exec, exec, s[22:23]
	s_waitcnt lgkmcnt(0)
	s_barrier
	ds_read_b64 v[30:31], v13 offset:3072
	v_mov_b32_e32 v8, s28
	v_add_co_u32_e32 v6, vcc, s33, v6
	v_addc_co_u32_e32 v7, vcc, v7, v8, vcc
	s_waitcnt lgkmcnt(0)
	v_readfirstlane_b32 s22, v30
	s_cmp_lg_u32 s22, 0
	s_cselect_b64 s[22:23], -1, 0
	v_cmp_ge_i64_e32 vcc, v[6:7], v[2:3]
	s_or_b64 s[24:25], s[22:23], vcc
	s_and_b64 s[24:25], exec, s[24:25]
	s_or_b64 s[0:1], s[24:25], s[0:1]
	v_mov_b32_e32 v8, s89
	v_add_co_u32_e32 v4, vcc, s88, v4
	s_andn2_b64 s[8:9], s[8:9], exec
	s_and_b64 s[22:23], s[22:23], exec
	v_addc_co_u32_e32 v5, vcc, v5, v8, vcc
	s_or_b64 s[8:9], s[8:9], s[22:23]
	s_barrier
	s_andn2_b64 exec, exec, s[0:1]
	s_cbranch_execz .LBB22_126
.LBB22_119:                             ;   Parent Loop BB22_34 Depth=1
                                        ; =>  This Inner Loop Header: Depth=2
	v_cmp_gt_i64_e32 vcc, s[56:57], v[6:7]
	s_waitcnt vmcnt(0)
	v_mov_b32_e32 v29, 0
	s_and_saveexec_b64 s[22:23], vcc
	s_cbranch_execz .LBB22_121
; %bb.120:                              ;   in Loop: Header=BB22_119 Depth=2
	global_load_dword v29, v[4:5], off
.LBB22_121:                             ;   in Loop: Header=BB22_119 Depth=2
	s_or_b64 exec, exec, s[22:23]
	s_and_saveexec_b64 s[22:23], vcc
	s_cbranch_execz .LBB22_118
; %bb.122:                              ;   in Loop: Header=BB22_119 Depth=2
	s_waitcnt vmcnt(0)
	v_xor_b32_e32 v8, 0x80000000, v29
	v_and_b32_e32 v8, s91, v8
	v_cmp_eq_u32_e32 vcc, s86, v8
	s_and_b64 exec, exec, vcc
	s_cbranch_execz .LBB22_118
; %bb.123:                              ;   in Loop: Header=BB22_119 Depth=2
	ds_write_b64 v13, v[28:29] offset:3072
	s_branch .LBB22_118
.LBB22_124:                             ;   in Loop: Header=BB22_34 Depth=1
	s_mov_b64 s[0:1], -1
                                        ; implicit-def: $sgpr2_sgpr3
                                        ; implicit-def: $sgpr22_sgpr23
                                        ; implicit-def: $sgpr8_sgpr9
	s_branch .LBB22_141
.LBB22_125:                             ;   in Loop: Header=BB22_34 Depth=1
	s_mov_b64 s[2:3], -1
	s_mov_b64 s[0:1], 0
                                        ; implicit-def: $sgpr8_sgpr9
                                        ; implicit-def: $vgpr31
	s_mov_b64 s[22:23], s[2:3]
	s_cbranch_execnz .LBB22_128
	s_branch .LBB22_141
.LBB22_126:                             ;   in Loop: Header=BB22_34 Depth=1
	s_or_b64 exec, exec, s[0:1]
	s_and_b64 s[0:1], s[8:9], exec
.LBB22_127:                             ;   in Loop: Header=BB22_34 Depth=1
	s_or_b64 exec, exec, s[2:3]
	s_mov_b64 s[8:9], -1
	s_mov_b64 s[2:3], 0
	s_mov_b64 s[22:23], s[2:3]
	s_branch .LBB22_141
.LBB22_128:                             ;   in Loop: Header=BB22_34 Depth=1
	v_readlane_b32 s0, v54, 48
	s_add_u32 s8, s0, s12
	v_readlane_b32 s0, v54, 49
	s_addc_u32 s1, s0, s13
	s_mov_b32 s0, s95
	s_cmp_lg_u64 s[0:1], 0
	s_cbranch_scc0 .LBB22_171
; %bb.129:                              ;   in Loop: Header=BB22_34 Depth=1
	v_cvt_f32_u32_e32 v2, s33
	s_sub_u32 s0, 0, s33
	s_subb_u32 s2, 0, 0
	v_mac_f32_e32 v2, 0x4f800000, v48
	v_rcp_f32_e32 v2, v2
	v_mul_f32_e32 v2, 0x5f7ffffc, v2
	v_mul_f32_e32 v3, 0x2f800000, v2
	v_trunc_f32_e32 v3, v3
	v_mac_f32_e32 v2, 0xcf800000, v3
	v_cvt_u32_f32_e32 v3, v3
	v_cvt_u32_f32_e32 v2, v2
	v_readfirstlane_b32 s3, v3
	v_readfirstlane_b32 s9, v2
	s_mul_i32 s22, s0, s3
	s_mul_hi_u32 s24, s0, s9
	s_mul_i32 s23, s2, s9
	s_add_i32 s22, s24, s22
	s_mul_i32 s25, s0, s9
	s_add_i32 s22, s22, s23
	s_mul_hi_u32 s24, s9, s25
	s_mul_hi_u32 s23, s9, s22
	s_mul_i32 s9, s9, s22
	s_add_u32 s9, s24, s9
	s_addc_u32 s23, 0, s23
	s_mul_hi_u32 s30, s3, s25
	s_mul_i32 s25, s3, s25
	s_add_u32 s9, s9, s25
	s_mul_hi_u32 s24, s3, s22
	s_addc_u32 s9, s23, s30
	s_addc_u32 s23, s24, 0
	s_mul_i32 s22, s3, s22
	s_add_u32 s9, s9, s22
	s_addc_u32 s22, 0, s23
	v_add_co_u32_e32 v2, vcc, s9, v2
	s_cmp_lg_u64 vcc, 0
	s_addc_u32 s3, s3, s22
	v_readfirstlane_b32 s22, v2
	s_mul_i32 s9, s0, s3
	s_mul_hi_u32 s23, s0, s22
	s_add_i32 s9, s23, s9
	s_mul_i32 s2, s2, s22
	s_add_i32 s9, s9, s2
	s_mul_i32 s0, s0, s22
	s_mul_hi_u32 s23, s3, s0
	s_mul_i32 s24, s3, s0
	s_mul_i32 s30, s22, s9
	s_mul_hi_u32 s0, s22, s0
	s_mul_hi_u32 s25, s22, s9
	s_add_u32 s0, s0, s30
	s_addc_u32 s22, 0, s25
	s_add_u32 s0, s0, s24
	s_mul_hi_u32 s2, s3, s9
	s_addc_u32 s0, s22, s23
	s_addc_u32 s2, s2, 0
	s_mul_i32 s9, s3, s9
	s_add_u32 s0, s0, s9
	s_addc_u32 s2, 0, s2
	v_add_co_u32_e32 v2, vcc, s0, v2
	s_cmp_lg_u64 vcc, 0
	s_addc_u32 s0, s3, s2
	s_ashr_i32 s2, s1, 31
	s_add_u32 s22, s8, s2
	s_mov_b32 s3, s2
	s_addc_u32 s23, s1, s2
	s_xor_b64 s[22:23], s[22:23], s[2:3]
	v_readfirstlane_b32 s24, v2
	s_mul_i32 s9, s22, s0
	s_mul_hi_u32 s25, s22, s24
	s_mul_hi_u32 s3, s22, s0
	s_add_u32 s9, s25, s9
	s_addc_u32 s3, 0, s3
	s_mul_hi_u32 s30, s23, s24
	s_mul_i32 s24, s23, s24
	s_add_u32 s9, s9, s24
	s_mul_hi_u32 s25, s23, s0
	s_addc_u32 s3, s3, s30
	s_addc_u32 s9, s25, 0
	s_mul_i32 s0, s23, s0
	s_add_u32 s0, s3, s0
	s_addc_u32 s3, 0, s9
	s_mul_hi_u32 s9, s33, s0
	s_mul_i32 s0, s33, s0
	s_mul_i32 s3, s33, s3
	v_mov_b32_e32 v2, s0
	s_add_i32 s9, s9, s3
	v_sub_co_u32_e32 v2, vcc, s22, v2
	s_cmp_lg_u64 vcc, 0
	s_subb_u32 s0, s23, s9
	v_subrev_co_u32_e32 v3, vcc, s33, v2
	s_cmp_lg_u64 vcc, 0
	s_subb_u32 s3, s0, 0
	v_subrev_co_u32_e32 v4, vcc, s33, v3
	s_cmp_lg_u64 vcc, 0
	s_subb_u32 s9, s3, 0
	v_cmp_le_u32_e32 vcc, s33, v3
	s_cmp_eq_u32 s3, 0
	v_cndmask_b32_e64 v5, 0, -1, vcc
	s_cselect_b64 vcc, -1, 0
	v_cndmask_b32_e32 v5, -1, v5, vcc
	v_mov_b32_e32 v6, s3
	v_mov_b32_e32 v7, s9
	v_cmp_ne_u32_e32 vcc, 0, v5
	v_cndmask_b32_e32 v5, v6, v7, vcc
	v_cndmask_b32_e32 v3, v3, v4, vcc
	v_cmp_le_u32_e32 vcc, s33, v2
	s_cmp_eq_u32 s0, 0
	v_cndmask_b32_e64 v4, 0, -1, vcc
	s_cselect_b64 vcc, -1, 0
	v_cndmask_b32_e32 v4, -1, v4, vcc
	v_cmp_ne_u32_e32 vcc, 0, v4
	v_mov_b32_e32 v6, s0
	v_cndmask_b32_e32 v2, v2, v3, vcc
	v_cndmask_b32_e32 v4, v6, v5, vcc
	v_xor_b32_e32 v2, s2, v2
	v_xor_b32_e32 v3, s2, v4
	v_mov_b32_e32 v4, s2
	v_subrev_co_u32_e32 v2, vcc, s2, v2
	v_subb_co_u32_e32 v3, vcc, v3, v4, vcc
	s_cbranch_execnz .LBB22_131
.LBB22_130:                             ;   in Loop: Header=BB22_34 Depth=1
	v_cvt_f32_u32_e32 v2, s33
	s_sub_i32 s0, 0, s33
	v_rcp_iflag_f32_e32 v2, v2
	v_mul_f32_e32 v2, 0x4f7ffffe, v2
	v_cvt_u32_f32_e32 v2, v2
	v_mul_lo_u32 v3, s0, v2
	v_mul_hi_u32 v3, v2, v3
	v_add_u32_e32 v2, v2, v3
	v_mul_hi_u32 v2, s8, v2
	v_mul_lo_u32 v2, v2, s33
	v_sub_u32_e32 v2, s8, v2
	v_subrev_u32_e32 v3, s33, v2
	v_cmp_le_u32_e32 vcc, s33, v2
	v_cndmask_b32_e32 v2, v2, v3, vcc
	v_subrev_u32_e32 v3, s33, v2
	v_cmp_le_u32_e32 vcc, s33, v2
	v_cndmask_b32_e32 v12, v2, v3, vcc
	v_pk_mov_b32 v[2:3], v[12:13], v[12:13] op_sel:[0,1]
.LBB22_131:                             ;   in Loop: Header=BB22_34 Depth=1
	v_mov_b32_e32 v4, s1
	v_sub_co_u32_e32 v2, vcc, s8, v2
	v_subb_co_u32_e32 v3, vcc, v4, v3, vcc
	v_cmp_gt_i64_e32 vcc, v[2:3], v[0:1]
	s_mov_b64 s[0:1], 0
                                        ; implicit-def: $vgpr31
	s_and_saveexec_b64 s[2:3], vcc
	s_cbranch_execz .LBB22_140
; %bb.132:                              ;   in Loop: Header=BB22_34 Depth=1
	v_mov_b32_e32 v6, v14
	v_pk_mov_b32 v[4:5], v[0:1], v[0:1] op_sel:[0,1]
                                        ; implicit-def: $sgpr8_sgpr9
	s_branch .LBB22_134
.LBB22_133:                             ;   in Loop: Header=BB22_134 Depth=2
	s_or_b64 exec, exec, s[22:23]
	s_waitcnt lgkmcnt(0)
	s_barrier
	ds_read_b64 v[30:31], v13 offset:3072
	v_mov_b32_e32 v7, s28
	v_add_co_u32_e32 v4, vcc, s33, v4
	v_addc_co_u32_e32 v5, vcc, v5, v7, vcc
	s_waitcnt lgkmcnt(0)
	v_readfirstlane_b32 s22, v30
	s_cmp_lg_u32 s22, 0
	s_cselect_b64 s[22:23], -1, 0
	v_cmp_ge_i64_e32 vcc, v[4:5], v[2:3]
	s_or_b64 s[24:25], s[22:23], vcc
	s_and_b64 s[24:25], exec, s[24:25]
	s_or_b64 s[0:1], s[24:25], s[0:1]
	s_andn2_b64 s[8:9], s[8:9], exec
	s_and_b64 s[22:23], s[22:23], exec
	v_add_u32_e32 v6, s65, v6
	s_or_b64 s[8:9], s[8:9], s[22:23]
	s_barrier
	s_andn2_b64 exec, exec, s[0:1]
	s_cbranch_execz .LBB22_139
.LBB22_134:                             ;   Parent Loop BB22_34 Depth=1
                                        ; =>  This Inner Loop Header: Depth=2
	v_cmp_gt_i64_e32 vcc, s[12:13], v[4:5]
	s_waitcnt vmcnt(0)
	v_mov_b32_e32 v29, 0
	s_and_saveexec_b64 s[22:23], vcc
	s_cbranch_execz .LBB22_136
; %bb.135:                              ;   in Loop: Header=BB22_134 Depth=2
	ds_read_b32 v29, v6
.LBB22_136:                             ;   in Loop: Header=BB22_134 Depth=2
	s_or_b64 exec, exec, s[22:23]
	s_and_saveexec_b64 s[22:23], vcc
	s_cbranch_execz .LBB22_133
; %bb.137:                              ;   in Loop: Header=BB22_134 Depth=2
	s_waitcnt lgkmcnt(0)
	v_xor_b32_e32 v7, 0x80000000, v29
	v_and_b32_e32 v7, s91, v7
	v_cmp_eq_u32_e32 vcc, s86, v7
	s_and_b64 exec, exec, vcc
	s_cbranch_execz .LBB22_133
; %bb.138:                              ;   in Loop: Header=BB22_134 Depth=2
	ds_write_b64 v13, v[28:29] offset:3072
	s_branch .LBB22_133
.LBB22_139:                             ;   in Loop: Header=BB22_34 Depth=1
	s_or_b64 exec, exec, s[0:1]
	s_and_b64 s[0:1], s[8:9], exec
.LBB22_140:                             ;   in Loop: Header=BB22_34 Depth=1
	s_or_b64 exec, exec, s[2:3]
	s_mov_b64 s[22:23], -1
	s_mov_b64 s[2:3], 0
	s_mov_b64 s[8:9], 0
.LBB22_141:                             ;   in Loop: Header=BB22_34 Depth=1
	s_andn2_b64 s[12:13], s[76:77], exec
	s_and_b64 s[2:3], s[2:3], exec
	s_or_b64 s[76:77], s[12:13], s[2:3]
	s_andn2_b64 s[2:3], s[10:11], exec
	s_and_b64 s[10:11], s[22:23], exec
	s_or_b64 s[10:11], s[2:3], s[10:11]
	;; [unrolled: 3-line block ×3, first 2 shown]
	s_and_saveexec_b64 s[12:13], s[0:1]
	s_cbranch_execz .LBB22_33
; %bb.142:                              ;   in Loop: Header=BB22_34 Depth=1
	s_xor_b64 s[0:1], s[20:21], -1
	s_andn2_b64 vcc, exec, s[0:1]
	s_mov_b32 s47, 1
	s_cbranch_vccnz .LBB22_153
; %bb.143:                              ;   in Loop: Header=BB22_34 Depth=1
	v_pk_mov_b32 v[2:3], s[14:15], s[14:15] op_sel:[0,1]
	v_cmp_gt_i64_e32 vcc, s[58:59], v[2:3]
	s_mov_b64 s[0:1], -1
                                        ; implicit-def: $sgpr47
                                        ; implicit-def: $sgpr2
                                        ; implicit-def: $sgpr3
	s_cbranch_vccnz .LBB22_149
; %bb.144:                              ;   in Loop: Header=BB22_34 Depth=1
	ds_read_b64 v[2:3], v13 offset:5120
	s_waitcnt lgkmcnt(0)
	v_cmp_ne_u64_e32 vcc, 0, v[2:3]
	s_cbranch_vccnz .LBB22_148
; %bb.145:                              ;   in Loop: Header=BB22_34 Depth=1
	s_mov_b64 s[0:1], exec
	v_readlane_b32 s2, v54, 32
	v_readlane_b32 s3, v54, 33
	s_and_b64 s[2:3], s[0:1], s[2:3]
	s_mov_b64 exec, s[2:3]
	s_cbranch_execz .LBB22_147
; %bb.146:                              ;   in Loop: Header=BB22_34 Depth=1
	v_pk_mov_b32 v[2:3], s[14:15], s[14:15] op_sel:[0,1]
	ds_write_b64 v13, v[2:3] offset:5128
.LBB22_147:                             ;   in Loop: Header=BB22_34 Depth=1
	s_or_b64 exec, exec, s[0:1]
	s_waitcnt lgkmcnt(0)
	s_barrier
.LBB22_148:                             ;   in Loop: Header=BB22_34 Depth=1
	s_and_b32 s2, s86, s41
	s_or_b32 s3, s91, s46
	s_mov_b64 s[0:1], 0
	s_mov_b32 s47, 8
.LBB22_149:                             ;   in Loop: Header=BB22_34 Depth=1
	s_andn2_b64 vcc, exec, s[0:1]
	s_cbranch_vccnz .LBB22_151
; %bb.150:                              ;   in Loop: Header=BB22_34 Depth=1
	s_sub_u32 s58, s58, s14
	s_subb_u32 s59, s59, s15
	s_mov_b64 s[0:1], -1
	s_mov_b32 s47, 0
	s_mov_b32 s2, s86
	;; [unrolled: 1-line block ×3, first 2 shown]
.LBB22_151:                             ;   in Loop: Header=BB22_34 Depth=1
	s_mov_b32 s91, s3
	s_mov_b32 s86, s2
	s_mov_b64 s[14:15], -1
	s_and_b64 vcc, exec, s[0:1]
	s_cbranch_vccnz .LBB22_154
.LBB22_152:                             ;   in Loop: Header=BB22_34 Depth=1
	s_mov_b64 s[2:3], -1
                                        ; implicit-def: $sgpr18_sgpr19
                                        ; implicit-def: $sgpr22_sgpr23
                                        ; implicit-def: $sgpr20_sgpr21
	s_and_saveexec_b64 s[0:1], s[2:3]
	s_xor_b64 s[0:1], exec, s[0:1]
	s_cbranch_execz .LBB22_32
	s_branch .LBB22_300
.LBB22_153:                             ;   in Loop: Header=BB22_34 Depth=1
	s_mov_b64 s[58:59], 1
	s_mov_b64 s[14:15], -1
	s_branch .LBB22_152
.LBB22_154:                             ;   in Loop: Header=BB22_34 Depth=1
	s_cmp_eq_u64 s[26:27], 1
	s_cselect_b64 s[0:1], -1, 0
	s_cmp_eq_u64 s[58:59], 1
	s_cselect_b64 s[2:3], -1, 0
	s_and_b64 s[30:31], s[0:1], s[2:3]
	s_mov_b64 s[0:1], -1
	s_and_b64 vcc, exec, s[30:31]
	s_cbranch_vccz .LBB22_169
; %bb.155:                              ;   in Loop: Header=BB22_34 Depth=1
	ds_read_b64 v[2:3], v13 offset:5120
	s_waitcnt lgkmcnt(0)
	s_barrier
	v_readfirstlane_b32 s24, v2
	v_readfirstlane_b32 s25, v3
	s_mov_b64 s[0:1], exec
	v_readlane_b32 s2, v54, 36
	v_readlane_b32 s3, v54, 37
	s_and_b64 s[2:3], s[0:1], s[2:3]
	s_mov_b64 exec, s[2:3]
	s_cbranch_execz .LBB22_157
; %bb.156:                              ;   in Loop: Header=BB22_34 Depth=1
	ds_write_b32 v41, v13
.LBB22_157:                             ;   in Loop: Header=BB22_34 Depth=1
	s_or_b64 exec, exec, s[0:1]
	s_lshl_b32 s0, 1, s40
	s_and_b32 s1, s86, s41
	s_or_b32 s86, s1, s0
	v_cmp_gt_i64_e64 s[0:1], s[24:25], 0
	s_or_b32 s91, s91, s46
	s_and_b64 vcc, exec, s[0:1]
	s_waitcnt lgkmcnt(0)
	s_barrier
	s_cbranch_vccnz .LBB22_172
; %bb.158:                              ;   in Loop: Header=BB22_34 Depth=1
	s_mov_b32 s72, s95
	s_cmp_lg_u64 s[72:73], 0
	s_cbranch_scc0 .LBB22_217
; %bb.159:                              ;   in Loop: Header=BB22_34 Depth=1
	v_cvt_f32_u32_e32 v2, s33
	s_sub_u32 s0, 0, s33
	s_subb_u32 s1, 0, 0
	v_mac_f32_e32 v2, 0x4f800000, v48
	v_rcp_f32_e32 v2, v2
	v_mul_f32_e32 v2, 0x5f7ffffc, v2
	v_mul_f32_e32 v3, 0x2f800000, v2
	v_trunc_f32_e32 v3, v3
	v_mac_f32_e32 v2, 0xcf800000, v3
	v_cvt_u32_f32_e32 v3, v3
	v_cvt_u32_f32_e32 v2, v2
	v_readfirstlane_b32 s2, v3
	v_readfirstlane_b32 s3, v2
	s_mul_i32 s8, s0, s2
	s_mul_hi_u32 s18, s0, s3
	s_mul_i32 s9, s1, s3
	s_add_i32 s8, s18, s8
	s_mul_i32 s19, s0, s3
	s_add_i32 s8, s8, s9
	s_mul_hi_u32 s18, s3, s19
	s_mul_hi_u32 s9, s3, s8
	s_mul_i32 s3, s3, s8
	s_add_u32 s3, s18, s3
	s_addc_u32 s9, 0, s9
	s_mul_hi_u32 s20, s2, s19
	s_mul_i32 s19, s2, s19
	s_add_u32 s3, s3, s19
	s_mul_hi_u32 s18, s2, s8
	s_addc_u32 s3, s9, s20
	s_addc_u32 s9, s18, 0
	s_mul_i32 s8, s2, s8
	s_add_u32 s3, s3, s8
	s_addc_u32 s8, 0, s9
	v_add_co_u32_e32 v2, vcc, s3, v2
	s_cmp_lg_u64 vcc, 0
	s_addc_u32 s2, s2, s8
	v_readfirstlane_b32 s8, v2
	s_mul_i32 s3, s0, s2
	s_mul_hi_u32 s9, s0, s8
	s_add_i32 s3, s9, s3
	s_mul_i32 s1, s1, s8
	s_add_i32 s3, s3, s1
	s_mul_i32 s0, s0, s8
	s_mul_hi_u32 s9, s2, s0
	s_mul_i32 s18, s2, s0
	s_mul_i32 s20, s8, s3
	s_mul_hi_u32 s0, s8, s0
	s_mul_hi_u32 s19, s8, s3
	s_add_u32 s0, s0, s20
	s_addc_u32 s8, 0, s19
	s_add_u32 s0, s0, s18
	s_mul_hi_u32 s1, s2, s3
	s_addc_u32 s0, s8, s9
	s_addc_u32 s1, s1, 0
	s_mul_i32 s3, s2, s3
	s_add_u32 s0, s0, s3
	s_addc_u32 s1, 0, s1
	v_add_co_u32_e32 v2, vcc, s0, v2
	s_cmp_lg_u64 vcc, 0
	s_addc_u32 s8, s2, s1
	s_ashr_i32 s0, s73, 31
	s_add_u32 s2, s87, s0
	s_mov_b32 s1, s0
	s_addc_u32 s3, s73, s0
	s_xor_b64 s[2:3], s[2:3], s[0:1]
	v_readfirstlane_b32 s18, v2
	s_mul_i32 s9, s2, s8
	s_mul_hi_u32 s19, s2, s18
	s_mul_hi_u32 s1, s2, s8
	s_add_u32 s9, s19, s9
	s_addc_u32 s1, 0, s1
	s_mul_hi_u32 s20, s3, s18
	s_mul_i32 s18, s3, s18
	s_add_u32 s9, s9, s18
	s_mul_hi_u32 s19, s3, s8
	s_addc_u32 s1, s1, s20
	s_addc_u32 s9, s19, 0
	s_mul_i32 s8, s3, s8
	s_add_u32 s1, s1, s8
	s_addc_u32 s8, 0, s9
	s_mul_hi_u32 s9, s33, s1
	s_mul_i32 s1, s33, s1
	s_mul_i32 s8, s33, s8
	v_mov_b32_e32 v2, s1
	s_add_i32 s9, s9, s8
	v_sub_co_u32_e32 v2, vcc, s2, v2
	s_cmp_lg_u64 vcc, 0
	s_subb_u32 s1, s3, s9
	v_subrev_co_u32_e32 v3, vcc, s33, v2
	s_cmp_lg_u64 vcc, 0
	s_subb_u32 s2, s1, 0
	v_subrev_co_u32_e32 v4, vcc, s33, v3
	s_cmp_lg_u64 vcc, 0
	s_subb_u32 s3, s2, 0
	v_cmp_le_u32_e32 vcc, s33, v3
	s_cmp_eq_u32 s2, 0
	v_cndmask_b32_e64 v5, 0, -1, vcc
	s_cselect_b64 vcc, -1, 0
	v_cndmask_b32_e32 v5, -1, v5, vcc
	v_mov_b32_e32 v6, s2
	v_mov_b32_e32 v7, s3
	v_cmp_ne_u32_e32 vcc, 0, v5
	v_cndmask_b32_e32 v5, v6, v7, vcc
	v_cndmask_b32_e32 v3, v3, v4, vcc
	v_cmp_le_u32_e32 vcc, s33, v2
	s_cmp_eq_u32 s1, 0
	v_cndmask_b32_e64 v4, 0, -1, vcc
	s_cselect_b64 vcc, -1, 0
	v_cndmask_b32_e32 v4, -1, v4, vcc
	v_cmp_ne_u32_e32 vcc, 0, v4
	v_mov_b32_e32 v6, s1
	v_cndmask_b32_e32 v2, v2, v3, vcc
	v_cndmask_b32_e32 v4, v6, v5, vcc
	v_xor_b32_e32 v2, s0, v2
	v_xor_b32_e32 v3, s0, v4
	v_mov_b32_e32 v4, s0
	v_subrev_co_u32_e32 v2, vcc, s0, v2
	v_subb_co_u32_e32 v3, vcc, v3, v4, vcc
	s_cbranch_execnz .LBB22_161
.LBB22_160:                             ;   in Loop: Header=BB22_34 Depth=1
	v_cvt_f32_u32_e32 v2, s33
	s_sub_i32 s0, 0, s33
	v_rcp_iflag_f32_e32 v2, v2
	v_mul_f32_e32 v2, 0x4f7ffffe, v2
	v_cvt_u32_f32_e32 v2, v2
	v_mul_lo_u32 v3, s0, v2
	v_mul_hi_u32 v3, v2, v3
	v_add_u32_e32 v2, v2, v3
	s_mov_b32 s0, s87
	v_mul_hi_u32 v2, s0, v2
	v_mul_lo_u32 v2, v2, s33
	v_sub_u32_e32 v2, s0, v2
	v_subrev_u32_e32 v3, s33, v2
	v_cmp_le_u32_e32 vcc, s33, v2
	v_cndmask_b32_e32 v2, v2, v3, vcc
	v_subrev_u32_e32 v3, s33, v2
	v_cmp_le_u32_e32 vcc, s33, v2
	v_cndmask_b32_e32 v12, v2, v3, vcc
	v_pk_mov_b32 v[2:3], v[12:13], v[12:13] op_sel:[0,1]
.LBB22_161:                             ;   in Loop: Header=BB22_34 Depth=1
	v_mov_b32_e32 v4, s73
	v_sub_co_u32_e32 v2, vcc, s87, v2
	v_subb_co_u32_e32 v3, vcc, v4, v3, vcc
	v_cmp_gt_i64_e32 vcc, v[2:3], v[0:1]
	s_mov_b64 s[0:1], 0
                                        ; implicit-def: $vgpr31
	s_and_saveexec_b64 s[2:3], vcc
	s_cbranch_execz .LBB22_174
; %bb.162:                              ;   in Loop: Header=BB22_34 Depth=1
	v_pk_mov_b32 v[4:5], v[10:11], v[10:11] op_sel:[0,1]
	v_pk_mov_b32 v[6:7], v[0:1], v[0:1] op_sel:[0,1]
                                        ; implicit-def: $sgpr8_sgpr9
	s_branch .LBB22_164
.LBB22_163:                             ;   in Loop: Header=BB22_164 Depth=2
	s_or_b64 exec, exec, s[18:19]
	s_waitcnt lgkmcnt(0)
	s_barrier
	ds_read_b64 v[30:31], v13 offset:3072
	v_mov_b32_e32 v8, s28
	v_add_co_u32_e32 v6, vcc, s33, v6
	v_addc_co_u32_e32 v7, vcc, v7, v8, vcc
	s_waitcnt lgkmcnt(0)
	v_readfirstlane_b32 s18, v30
	s_cmp_lg_u32 s18, 0
	s_cselect_b64 s[18:19], -1, 0
	v_cmp_ge_i64_e32 vcc, v[6:7], v[2:3]
	s_or_b64 s[20:21], s[18:19], vcc
	s_and_b64 s[20:21], exec, s[20:21]
	s_or_b64 s[0:1], s[20:21], s[0:1]
	v_mov_b32_e32 v8, s89
	v_add_co_u32_e32 v4, vcc, s88, v4
	s_andn2_b64 s[8:9], s[8:9], exec
	s_and_b64 s[18:19], s[18:19], exec
	v_addc_co_u32_e32 v5, vcc, v5, v8, vcc
	s_or_b64 s[8:9], s[8:9], s[18:19]
	s_barrier
	s_andn2_b64 exec, exec, s[0:1]
	s_cbranch_execz .LBB22_173
.LBB22_164:                             ;   Parent Loop BB22_34 Depth=1
                                        ; =>  This Inner Loop Header: Depth=2
	v_cmp_gt_i64_e32 vcc, s[56:57], v[6:7]
	s_waitcnt vmcnt(0)
	v_mov_b32_e32 v29, 0
	s_and_saveexec_b64 s[18:19], vcc
	s_cbranch_execz .LBB22_166
; %bb.165:                              ;   in Loop: Header=BB22_164 Depth=2
	global_load_dword v29, v[4:5], off
.LBB22_166:                             ;   in Loop: Header=BB22_164 Depth=2
	s_or_b64 exec, exec, s[18:19]
	s_and_saveexec_b64 s[18:19], vcc
	s_cbranch_execz .LBB22_163
; %bb.167:                              ;   in Loop: Header=BB22_164 Depth=2
	s_waitcnt vmcnt(0)
	v_xor_b32_e32 v8, 0x80000000, v29
	v_and_b32_e32 v8, s91, v8
	v_cmp_eq_u32_e32 vcc, s86, v8
	s_and_b64 exec, exec, vcc
	s_cbranch_execz .LBB22_163
; %bb.168:                              ;   in Loop: Header=BB22_164 Depth=2
	ds_write_b64 v13, v[28:29] offset:3072
	s_branch .LBB22_163
.LBB22_169:                             ;   in Loop: Header=BB22_34 Depth=1
                                        ; implicit-def: $sgpr20_sgpr21
                                        ; implicit-def: $sgpr22_sgpr23
                                        ; implicit-def: $sgpr18_sgpr19
	s_branch .LBB22_188
.LBB22_170:                             ;   in Loop: Header=BB22_34 Depth=1
                                        ; implicit-def: $vgpr2_vgpr3
	s_branch .LBB22_115
.LBB22_171:                             ;   in Loop: Header=BB22_34 Depth=1
                                        ; implicit-def: $vgpr2_vgpr3
	s_branch .LBB22_130
.LBB22_172:                             ;   in Loop: Header=BB22_34 Depth=1
	s_mov_b64 s[20:21], -1
	s_mov_b64 s[0:1], 0
                                        ; implicit-def: $sgpr18_sgpr19
                                        ; implicit-def: $vgpr31
	s_mov_b64 s[22:23], s[20:21]
	s_cbranch_execnz .LBB22_175
	s_branch .LBB22_188
.LBB22_173:                             ;   in Loop: Header=BB22_34 Depth=1
	s_or_b64 exec, exec, s[0:1]
	s_and_b64 s[0:1], s[8:9], exec
.LBB22_174:                             ;   in Loop: Header=BB22_34 Depth=1
	s_or_b64 exec, exec, s[2:3]
	s_mov_b64 s[18:19], -1
	s_mov_b64 s[20:21], 0
	s_mov_b64 s[22:23], s[20:21]
	s_branch .LBB22_188
.LBB22_175:                             ;   in Loop: Header=BB22_34 Depth=1
	v_readlane_b32 s0, v54, 48
	s_add_u32 s8, s0, s24
	v_readlane_b32 s0, v54, 49
	s_addc_u32 s1, s0, s25
	s_mov_b32 s0, s95
	s_cmp_lg_u64 s[0:1], 0
	s_cbranch_scc0 .LBB22_218
; %bb.176:                              ;   in Loop: Header=BB22_34 Depth=1
	v_cvt_f32_u32_e32 v2, s33
	s_sub_u32 s0, 0, s33
	s_subb_u32 s2, 0, 0
	v_mac_f32_e32 v2, 0x4f800000, v48
	v_rcp_f32_e32 v2, v2
	v_mul_f32_e32 v2, 0x5f7ffffc, v2
	v_mul_f32_e32 v3, 0x2f800000, v2
	v_trunc_f32_e32 v3, v3
	v_mac_f32_e32 v2, 0xcf800000, v3
	v_cvt_u32_f32_e32 v3, v3
	v_cvt_u32_f32_e32 v2, v2
	v_readfirstlane_b32 s3, v3
	v_readfirstlane_b32 s9, v2
	s_mul_i32 s18, s0, s3
	s_mul_hi_u32 s20, s0, s9
	s_mul_i32 s19, s2, s9
	s_add_i32 s18, s20, s18
	s_mul_i32 s21, s0, s9
	s_add_i32 s18, s18, s19
	s_mul_hi_u32 s20, s9, s21
	s_mul_hi_u32 s19, s9, s18
	s_mul_i32 s9, s9, s18
	s_add_u32 s9, s20, s9
	s_addc_u32 s19, 0, s19
	s_mul_hi_u32 s22, s3, s21
	s_mul_i32 s21, s3, s21
	s_add_u32 s9, s9, s21
	s_mul_hi_u32 s20, s3, s18
	s_addc_u32 s9, s19, s22
	s_addc_u32 s19, s20, 0
	s_mul_i32 s18, s3, s18
	s_add_u32 s9, s9, s18
	s_addc_u32 s18, 0, s19
	v_add_co_u32_e32 v2, vcc, s9, v2
	s_cmp_lg_u64 vcc, 0
	s_addc_u32 s3, s3, s18
	v_readfirstlane_b32 s18, v2
	s_mul_i32 s9, s0, s3
	s_mul_hi_u32 s19, s0, s18
	s_add_i32 s9, s19, s9
	s_mul_i32 s2, s2, s18
	s_add_i32 s9, s9, s2
	s_mul_i32 s0, s0, s18
	s_mul_hi_u32 s19, s3, s0
	s_mul_i32 s20, s3, s0
	s_mul_i32 s22, s18, s9
	s_mul_hi_u32 s0, s18, s0
	s_mul_hi_u32 s21, s18, s9
	s_add_u32 s0, s0, s22
	s_addc_u32 s18, 0, s21
	s_add_u32 s0, s0, s20
	s_mul_hi_u32 s2, s3, s9
	s_addc_u32 s0, s18, s19
	s_addc_u32 s2, s2, 0
	s_mul_i32 s9, s3, s9
	s_add_u32 s0, s0, s9
	s_addc_u32 s2, 0, s2
	v_add_co_u32_e32 v2, vcc, s0, v2
	s_cmp_lg_u64 vcc, 0
	s_addc_u32 s0, s3, s2
	s_ashr_i32 s2, s1, 31
	s_add_u32 s18, s8, s2
	s_mov_b32 s3, s2
	s_addc_u32 s19, s1, s2
	s_xor_b64 s[18:19], s[18:19], s[2:3]
	v_readfirstlane_b32 s20, v2
	s_mul_i32 s9, s18, s0
	s_mul_hi_u32 s21, s18, s20
	s_mul_hi_u32 s3, s18, s0
	s_add_u32 s9, s21, s9
	s_addc_u32 s3, 0, s3
	s_mul_hi_u32 s22, s19, s20
	s_mul_i32 s20, s19, s20
	s_add_u32 s9, s9, s20
	s_mul_hi_u32 s21, s19, s0
	s_addc_u32 s3, s3, s22
	s_addc_u32 s9, s21, 0
	s_mul_i32 s0, s19, s0
	s_add_u32 s0, s3, s0
	s_addc_u32 s3, 0, s9
	s_mul_hi_u32 s9, s33, s0
	s_mul_i32 s0, s33, s0
	s_mul_i32 s3, s33, s3
	v_mov_b32_e32 v2, s0
	s_add_i32 s9, s9, s3
	v_sub_co_u32_e32 v2, vcc, s18, v2
	s_cmp_lg_u64 vcc, 0
	s_subb_u32 s0, s19, s9
	v_subrev_co_u32_e32 v3, vcc, s33, v2
	s_cmp_lg_u64 vcc, 0
	s_subb_u32 s3, s0, 0
	v_subrev_co_u32_e32 v4, vcc, s33, v3
	s_cmp_lg_u64 vcc, 0
	s_subb_u32 s9, s3, 0
	v_cmp_le_u32_e32 vcc, s33, v3
	s_cmp_eq_u32 s3, 0
	v_cndmask_b32_e64 v5, 0, -1, vcc
	s_cselect_b64 vcc, -1, 0
	v_cndmask_b32_e32 v5, -1, v5, vcc
	v_mov_b32_e32 v6, s3
	v_mov_b32_e32 v7, s9
	v_cmp_ne_u32_e32 vcc, 0, v5
	v_cndmask_b32_e32 v5, v6, v7, vcc
	v_cndmask_b32_e32 v3, v3, v4, vcc
	v_cmp_le_u32_e32 vcc, s33, v2
	s_cmp_eq_u32 s0, 0
	v_cndmask_b32_e64 v4, 0, -1, vcc
	s_cselect_b64 vcc, -1, 0
	v_cndmask_b32_e32 v4, -1, v4, vcc
	v_cmp_ne_u32_e32 vcc, 0, v4
	v_mov_b32_e32 v6, s0
	v_cndmask_b32_e32 v2, v2, v3, vcc
	v_cndmask_b32_e32 v4, v6, v5, vcc
	v_xor_b32_e32 v2, s2, v2
	v_xor_b32_e32 v3, s2, v4
	v_mov_b32_e32 v4, s2
	v_subrev_co_u32_e32 v2, vcc, s2, v2
	v_subb_co_u32_e32 v3, vcc, v3, v4, vcc
	s_cbranch_execnz .LBB22_178
.LBB22_177:                             ;   in Loop: Header=BB22_34 Depth=1
	v_cvt_f32_u32_e32 v2, s33
	s_sub_i32 s0, 0, s33
	v_rcp_iflag_f32_e32 v2, v2
	v_mul_f32_e32 v2, 0x4f7ffffe, v2
	v_cvt_u32_f32_e32 v2, v2
	v_mul_lo_u32 v3, s0, v2
	v_mul_hi_u32 v3, v2, v3
	v_add_u32_e32 v2, v2, v3
	v_mul_hi_u32 v2, s8, v2
	v_mul_lo_u32 v2, v2, s33
	v_sub_u32_e32 v2, s8, v2
	v_subrev_u32_e32 v3, s33, v2
	v_cmp_le_u32_e32 vcc, s33, v2
	v_cndmask_b32_e32 v2, v2, v3, vcc
	v_subrev_u32_e32 v3, s33, v2
	v_cmp_le_u32_e32 vcc, s33, v2
	v_cndmask_b32_e32 v12, v2, v3, vcc
	v_pk_mov_b32 v[2:3], v[12:13], v[12:13] op_sel:[0,1]
.LBB22_178:                             ;   in Loop: Header=BB22_34 Depth=1
	v_mov_b32_e32 v4, s1
	v_sub_co_u32_e32 v2, vcc, s8, v2
	v_subb_co_u32_e32 v3, vcc, v4, v3, vcc
	v_cmp_gt_i64_e32 vcc, v[2:3], v[0:1]
	s_mov_b64 s[0:1], 0
                                        ; implicit-def: $vgpr31
	s_and_saveexec_b64 s[2:3], vcc
	s_cbranch_execz .LBB22_187
; %bb.179:                              ;   in Loop: Header=BB22_34 Depth=1
	v_mov_b32_e32 v6, v14
	v_pk_mov_b32 v[4:5], v[0:1], v[0:1] op_sel:[0,1]
                                        ; implicit-def: $sgpr8_sgpr9
	s_branch .LBB22_181
.LBB22_180:                             ;   in Loop: Header=BB22_181 Depth=2
	s_or_b64 exec, exec, s[18:19]
	s_waitcnt lgkmcnt(0)
	s_barrier
	ds_read_b64 v[30:31], v13 offset:3072
	v_mov_b32_e32 v7, s28
	v_add_co_u32_e32 v4, vcc, s33, v4
	v_addc_co_u32_e32 v5, vcc, v5, v7, vcc
	s_waitcnt lgkmcnt(0)
	v_readfirstlane_b32 s18, v30
	s_cmp_lg_u32 s18, 0
	s_cselect_b64 s[18:19], -1, 0
	v_cmp_ge_i64_e32 vcc, v[4:5], v[2:3]
	s_or_b64 s[20:21], s[18:19], vcc
	s_and_b64 s[20:21], exec, s[20:21]
	s_or_b64 s[0:1], s[20:21], s[0:1]
	s_andn2_b64 s[8:9], s[8:9], exec
	s_and_b64 s[18:19], s[18:19], exec
	v_add_u32_e32 v6, s65, v6
	s_or_b64 s[8:9], s[8:9], s[18:19]
	s_barrier
	s_andn2_b64 exec, exec, s[0:1]
	s_cbranch_execz .LBB22_186
.LBB22_181:                             ;   Parent Loop BB22_34 Depth=1
                                        ; =>  This Inner Loop Header: Depth=2
	v_cmp_gt_i64_e32 vcc, s[24:25], v[4:5]
	s_waitcnt vmcnt(0)
	v_mov_b32_e32 v29, 0
	s_and_saveexec_b64 s[18:19], vcc
	s_cbranch_execz .LBB22_183
; %bb.182:                              ;   in Loop: Header=BB22_181 Depth=2
	ds_read_b32 v29, v6
.LBB22_183:                             ;   in Loop: Header=BB22_181 Depth=2
	s_or_b64 exec, exec, s[18:19]
	s_and_saveexec_b64 s[18:19], vcc
	s_cbranch_execz .LBB22_180
; %bb.184:                              ;   in Loop: Header=BB22_181 Depth=2
	s_waitcnt lgkmcnt(0)
	v_xor_b32_e32 v7, 0x80000000, v29
	v_and_b32_e32 v7, s91, v7
	v_cmp_eq_u32_e32 vcc, s86, v7
	s_and_b64 exec, exec, vcc
	s_cbranch_execz .LBB22_180
; %bb.185:                              ;   in Loop: Header=BB22_181 Depth=2
	ds_write_b64 v13, v[28:29] offset:3072
	s_branch .LBB22_180
.LBB22_186:                             ;   in Loop: Header=BB22_34 Depth=1
	s_or_b64 exec, exec, s[0:1]
	s_and_b64 s[0:1], s[8:9], exec
.LBB22_187:                             ;   in Loop: Header=BB22_34 Depth=1
	s_or_b64 exec, exec, s[2:3]
	s_mov_b64 s[22:23], -1
	s_mov_b64 s[20:21], 0
	s_mov_b64 s[18:19], 0
.LBB22_188:                             ;   in Loop: Header=BB22_34 Depth=1
	s_mov_b64 s[2:3], 0
                                        ; implicit-def: $sgpr47
	s_and_saveexec_b64 s[24:25], s[0:1]
	s_cbranch_execz .LBB22_299
; %bb.189:                              ;   in Loop: Header=BB22_34 Depth=1
	s_xor_b64 s[0:1], s[30:31], -1
	s_andn2_b64 vcc, exec, s[0:1]
	s_mov_b32 s47, 1
	s_cbranch_vccnz .LBB22_200
; %bb.190:                              ;   in Loop: Header=BB22_34 Depth=1
	v_pk_mov_b32 v[2:3], s[26:27], s[26:27] op_sel:[0,1]
	v_cmp_gt_i64_e32 vcc, s[58:59], v[2:3]
	s_mov_b64 s[0:1], -1
                                        ; implicit-def: $sgpr47
                                        ; implicit-def: $sgpr2
                                        ; implicit-def: $sgpr3
	s_cbranch_vccnz .LBB22_196
; %bb.191:                              ;   in Loop: Header=BB22_34 Depth=1
	ds_read_b64 v[2:3], v13 offset:5120
	s_waitcnt lgkmcnt(0)
	v_cmp_ne_u64_e32 vcc, 0, v[2:3]
	s_cbranch_vccnz .LBB22_195
; %bb.192:                              ;   in Loop: Header=BB22_34 Depth=1
	s_mov_b64 s[0:1], exec
	v_readlane_b32 s2, v54, 32
	v_readlane_b32 s3, v54, 33
	s_and_b64 s[2:3], s[0:1], s[2:3]
	s_mov_b64 exec, s[2:3]
	s_cbranch_execz .LBB22_194
; %bb.193:                              ;   in Loop: Header=BB22_34 Depth=1
	v_pk_mov_b32 v[2:3], s[26:27], s[26:27] op_sel:[0,1]
	ds_write_b64 v13, v[2:3] offset:5128
.LBB22_194:                             ;   in Loop: Header=BB22_34 Depth=1
	s_or_b64 exec, exec, s[0:1]
	s_waitcnt lgkmcnt(0)
	s_barrier
.LBB22_195:                             ;   in Loop: Header=BB22_34 Depth=1
	s_lshl_b32 s0, 1, s40
	s_and_b32 s1, s86, s41
	s_or_b32 s2, s1, s0
	s_or_b32 s3, s91, s46
	s_mov_b64 s[0:1], 0
	s_mov_b32 s47, 8
.LBB22_196:                             ;   in Loop: Header=BB22_34 Depth=1
	s_andn2_b64 vcc, exec, s[0:1]
	s_cbranch_vccnz .LBB22_198
; %bb.197:                              ;   in Loop: Header=BB22_34 Depth=1
	s_sub_u32 s58, s58, s26
	s_subb_u32 s59, s59, s27
	s_mov_b64 s[0:1], -1
	s_mov_b32 s47, 0
	s_mov_b32 s2, s86
	;; [unrolled: 1-line block ×3, first 2 shown]
.LBB22_198:                             ;   in Loop: Header=BB22_34 Depth=1
	s_mov_b32 s91, s3
	s_mov_b32 s86, s2
	s_andn2_b64 vcc, exec, s[0:1]
	s_mov_b64 s[2:3], -1
	s_cbranch_vccz .LBB22_201
.LBB22_199:                             ;   in Loop: Header=BB22_34 Depth=1
                                        ; implicit-def: $sgpr30_sgpr31
                                        ; implicit-def: $sgpr34_sgpr35
                                        ; implicit-def: $sgpr26_sgpr27
	s_branch .LBB22_298
.LBB22_200:                             ;   in Loop: Header=BB22_34 Depth=1
	s_mov_b64 s[58:59], 1
	s_mov_b64 s[2:3], -1
	s_cbranch_execnz .LBB22_199
.LBB22_201:                             ;   in Loop: Header=BB22_34 Depth=1
	s_cmp_eq_u64 s[16:17], 1
	s_cselect_b64 s[0:1], -1, 0
	s_cmp_eq_u64 s[58:59], 1
	s_cselect_b64 s[2:3], -1, 0
	s_and_b64 s[38:39], s[0:1], s[2:3]
	s_mov_b64 s[0:1], -1
	s_and_b64 vcc, exec, s[38:39]
	s_cbranch_vccz .LBB22_216
; %bb.202:                              ;   in Loop: Header=BB22_34 Depth=1
	ds_read_b64 v[2:3], v13 offset:5120
	s_waitcnt lgkmcnt(0)
	s_barrier
	v_readfirstlane_b32 s36, v2
	v_readfirstlane_b32 s37, v3
	s_mov_b64 s[0:1], exec
	v_readlane_b32 s2, v54, 36
	v_readlane_b32 s3, v54, 37
	s_and_b64 s[2:3], s[0:1], s[2:3]
	s_mov_b64 exec, s[2:3]
	s_cbranch_execz .LBB22_204
; %bb.203:                              ;   in Loop: Header=BB22_34 Depth=1
	ds_write_b32 v41, v13
.LBB22_204:                             ;   in Loop: Header=BB22_34 Depth=1
	s_or_b64 exec, exec, s[0:1]
	s_lshl_b32 s0, 2, s40
	s_and_b32 s1, s86, s41
	s_or_b32 s86, s1, s0
	v_cmp_gt_i64_e64 s[0:1], s[36:37], 0
	s_or_b32 s91, s91, s46
	s_and_b64 vcc, exec, s[0:1]
	s_waitcnt lgkmcnt(0)
	s_barrier
	s_cbranch_vccnz .LBB22_219
; %bb.205:                              ;   in Loop: Header=BB22_34 Depth=1
	s_mov_b32 s72, s95
	s_cmp_lg_u64 s[72:73], 0
	s_cbranch_scc0 .LBB22_264
; %bb.206:                              ;   in Loop: Header=BB22_34 Depth=1
	v_cvt_f32_u32_e32 v2, s33
	s_sub_u32 s0, 0, s33
	s_subb_u32 s1, 0, 0
	v_mac_f32_e32 v2, 0x4f800000, v48
	v_rcp_f32_e32 v2, v2
	v_mul_f32_e32 v2, 0x5f7ffffc, v2
	v_mul_f32_e32 v3, 0x2f800000, v2
	v_trunc_f32_e32 v3, v3
	v_mac_f32_e32 v2, 0xcf800000, v3
	v_cvt_u32_f32_e32 v3, v3
	v_cvt_u32_f32_e32 v2, v2
	v_readfirstlane_b32 s2, v3
	v_readfirstlane_b32 s3, v2
	s_mul_i32 s8, s0, s2
	s_mul_hi_u32 s26, s0, s3
	s_mul_i32 s9, s1, s3
	s_add_i32 s8, s26, s8
	s_mul_i32 s27, s0, s3
	s_add_i32 s8, s8, s9
	s_mul_hi_u32 s26, s3, s27
	s_mul_hi_u32 s9, s3, s8
	s_mul_i32 s3, s3, s8
	s_add_u32 s3, s26, s3
	s_addc_u32 s9, 0, s9
	s_mul_hi_u32 s30, s2, s27
	s_mul_i32 s27, s2, s27
	s_add_u32 s3, s3, s27
	s_mul_hi_u32 s26, s2, s8
	s_addc_u32 s3, s9, s30
	s_addc_u32 s9, s26, 0
	s_mul_i32 s8, s2, s8
	s_add_u32 s3, s3, s8
	s_addc_u32 s8, 0, s9
	v_add_co_u32_e32 v2, vcc, s3, v2
	s_cmp_lg_u64 vcc, 0
	s_addc_u32 s2, s2, s8
	v_readfirstlane_b32 s8, v2
	s_mul_i32 s3, s0, s2
	s_mul_hi_u32 s9, s0, s8
	s_add_i32 s3, s9, s3
	s_mul_i32 s1, s1, s8
	s_add_i32 s3, s3, s1
	s_mul_i32 s0, s0, s8
	s_mul_hi_u32 s9, s2, s0
	s_mul_i32 s26, s2, s0
	s_mul_i32 s30, s8, s3
	s_mul_hi_u32 s0, s8, s0
	s_mul_hi_u32 s27, s8, s3
	s_add_u32 s0, s0, s30
	s_addc_u32 s8, 0, s27
	s_add_u32 s0, s0, s26
	s_mul_hi_u32 s1, s2, s3
	s_addc_u32 s0, s8, s9
	s_addc_u32 s1, s1, 0
	s_mul_i32 s3, s2, s3
	s_add_u32 s0, s0, s3
	s_addc_u32 s1, 0, s1
	v_add_co_u32_e32 v2, vcc, s0, v2
	s_cmp_lg_u64 vcc, 0
	s_addc_u32 s8, s2, s1
	s_ashr_i32 s0, s73, 31
	s_add_u32 s2, s87, s0
	s_mov_b32 s1, s0
	s_addc_u32 s3, s73, s0
	s_xor_b64 s[2:3], s[2:3], s[0:1]
	v_readfirstlane_b32 s26, v2
	s_mul_i32 s9, s2, s8
	s_mul_hi_u32 s27, s2, s26
	s_mul_hi_u32 s1, s2, s8
	s_add_u32 s9, s27, s9
	s_addc_u32 s1, 0, s1
	s_mul_hi_u32 s30, s3, s26
	s_mul_i32 s26, s3, s26
	s_add_u32 s9, s9, s26
	s_mul_hi_u32 s27, s3, s8
	s_addc_u32 s1, s1, s30
	s_addc_u32 s9, s27, 0
	s_mul_i32 s8, s3, s8
	s_add_u32 s1, s1, s8
	s_addc_u32 s8, 0, s9
	s_mul_hi_u32 s9, s33, s1
	s_mul_i32 s1, s33, s1
	s_mul_i32 s8, s33, s8
	v_mov_b32_e32 v2, s1
	s_add_i32 s9, s9, s8
	v_sub_co_u32_e32 v2, vcc, s2, v2
	s_cmp_lg_u64 vcc, 0
	s_subb_u32 s1, s3, s9
	v_subrev_co_u32_e32 v3, vcc, s33, v2
	s_cmp_lg_u64 vcc, 0
	s_subb_u32 s2, s1, 0
	v_subrev_co_u32_e32 v4, vcc, s33, v3
	s_cmp_lg_u64 vcc, 0
	s_subb_u32 s3, s2, 0
	v_cmp_le_u32_e32 vcc, s33, v3
	s_cmp_eq_u32 s2, 0
	v_cndmask_b32_e64 v5, 0, -1, vcc
	s_cselect_b64 vcc, -1, 0
	v_cndmask_b32_e32 v5, -1, v5, vcc
	v_mov_b32_e32 v6, s2
	v_mov_b32_e32 v7, s3
	v_cmp_ne_u32_e32 vcc, 0, v5
	v_cndmask_b32_e32 v5, v6, v7, vcc
	v_cndmask_b32_e32 v3, v3, v4, vcc
	v_cmp_le_u32_e32 vcc, s33, v2
	s_cmp_eq_u32 s1, 0
	v_cndmask_b32_e64 v4, 0, -1, vcc
	s_cselect_b64 vcc, -1, 0
	v_cndmask_b32_e32 v4, -1, v4, vcc
	v_cmp_ne_u32_e32 vcc, 0, v4
	v_mov_b32_e32 v6, s1
	v_cndmask_b32_e32 v2, v2, v3, vcc
	v_cndmask_b32_e32 v4, v6, v5, vcc
	v_xor_b32_e32 v2, s0, v2
	v_xor_b32_e32 v3, s0, v4
	v_mov_b32_e32 v4, s0
	v_subrev_co_u32_e32 v2, vcc, s0, v2
	v_subb_co_u32_e32 v3, vcc, v3, v4, vcc
	s_cbranch_execnz .LBB22_208
.LBB22_207:                             ;   in Loop: Header=BB22_34 Depth=1
	v_cvt_f32_u32_e32 v2, s33
	s_sub_i32 s0, 0, s33
	v_rcp_iflag_f32_e32 v2, v2
	v_mul_f32_e32 v2, 0x4f7ffffe, v2
	v_cvt_u32_f32_e32 v2, v2
	v_mul_lo_u32 v3, s0, v2
	v_mul_hi_u32 v3, v2, v3
	v_add_u32_e32 v2, v2, v3
	s_mov_b32 s0, s87
	v_mul_hi_u32 v2, s0, v2
	v_mul_lo_u32 v2, v2, s33
	v_sub_u32_e32 v2, s0, v2
	v_subrev_u32_e32 v3, s33, v2
	v_cmp_le_u32_e32 vcc, s33, v2
	v_cndmask_b32_e32 v2, v2, v3, vcc
	v_subrev_u32_e32 v3, s33, v2
	v_cmp_le_u32_e32 vcc, s33, v2
	v_cndmask_b32_e32 v12, v2, v3, vcc
	v_pk_mov_b32 v[2:3], v[12:13], v[12:13] op_sel:[0,1]
.LBB22_208:                             ;   in Loop: Header=BB22_34 Depth=1
	v_mov_b32_e32 v4, s73
	v_sub_co_u32_e32 v2, vcc, s87, v2
	v_subb_co_u32_e32 v3, vcc, v4, v3, vcc
	v_cmp_gt_i64_e32 vcc, v[2:3], v[0:1]
	s_mov_b64 s[0:1], 0
                                        ; implicit-def: $vgpr31
	s_and_saveexec_b64 s[2:3], vcc
	s_cbranch_execz .LBB22_221
; %bb.209:                              ;   in Loop: Header=BB22_34 Depth=1
	v_pk_mov_b32 v[4:5], v[10:11], v[10:11] op_sel:[0,1]
	v_pk_mov_b32 v[6:7], v[0:1], v[0:1] op_sel:[0,1]
                                        ; implicit-def: $sgpr8_sgpr9
	s_branch .LBB22_211
.LBB22_210:                             ;   in Loop: Header=BB22_211 Depth=2
	s_or_b64 exec, exec, s[26:27]
	s_waitcnt lgkmcnt(0)
	s_barrier
	ds_read_b64 v[30:31], v13 offset:3072
	v_mov_b32_e32 v8, s28
	v_add_co_u32_e32 v6, vcc, s33, v6
	v_addc_co_u32_e32 v7, vcc, v7, v8, vcc
	s_waitcnt lgkmcnt(0)
	v_readfirstlane_b32 s26, v30
	s_cmp_lg_u32 s26, 0
	s_cselect_b64 s[26:27], -1, 0
	v_cmp_ge_i64_e32 vcc, v[6:7], v[2:3]
	s_or_b64 s[30:31], s[26:27], vcc
	s_and_b64 s[30:31], exec, s[30:31]
	s_or_b64 s[0:1], s[30:31], s[0:1]
	v_mov_b32_e32 v8, s89
	v_add_co_u32_e32 v4, vcc, s88, v4
	s_andn2_b64 s[8:9], s[8:9], exec
	s_and_b64 s[26:27], s[26:27], exec
	v_addc_co_u32_e32 v5, vcc, v5, v8, vcc
	s_or_b64 s[8:9], s[8:9], s[26:27]
	s_barrier
	s_andn2_b64 exec, exec, s[0:1]
	s_cbranch_execz .LBB22_220
.LBB22_211:                             ;   Parent Loop BB22_34 Depth=1
                                        ; =>  This Inner Loop Header: Depth=2
	v_cmp_gt_i64_e32 vcc, s[56:57], v[6:7]
	s_waitcnt vmcnt(0)
	v_mov_b32_e32 v29, 0
	s_and_saveexec_b64 s[26:27], vcc
	s_cbranch_execz .LBB22_213
; %bb.212:                              ;   in Loop: Header=BB22_211 Depth=2
	global_load_dword v29, v[4:5], off
.LBB22_213:                             ;   in Loop: Header=BB22_211 Depth=2
	s_or_b64 exec, exec, s[26:27]
	s_and_saveexec_b64 s[26:27], vcc
	s_cbranch_execz .LBB22_210
; %bb.214:                              ;   in Loop: Header=BB22_211 Depth=2
	s_waitcnt vmcnt(0)
	v_xor_b32_e32 v8, 0x80000000, v29
	v_and_b32_e32 v8, s91, v8
	v_cmp_eq_u32_e32 vcc, s86, v8
	s_and_b64 exec, exec, vcc
	s_cbranch_execz .LBB22_210
; %bb.215:                              ;   in Loop: Header=BB22_211 Depth=2
	ds_write_b64 v13, v[28:29] offset:3072
	s_branch .LBB22_210
.LBB22_216:                             ;   in Loop: Header=BB22_34 Depth=1
                                        ; implicit-def: $sgpr26_sgpr27
                                        ; implicit-def: $sgpr34_sgpr35
                                        ; implicit-def: $sgpr30_sgpr31
	s_branch .LBB22_235
.LBB22_217:                             ;   in Loop: Header=BB22_34 Depth=1
                                        ; implicit-def: $vgpr2_vgpr3
	s_branch .LBB22_160
.LBB22_218:                             ;   in Loop: Header=BB22_34 Depth=1
                                        ; implicit-def: $vgpr2_vgpr3
	s_branch .LBB22_177
.LBB22_219:                             ;   in Loop: Header=BB22_34 Depth=1
	s_mov_b64 s[26:27], -1
	s_mov_b64 s[0:1], 0
                                        ; implicit-def: $sgpr30_sgpr31
                                        ; implicit-def: $vgpr31
	s_mov_b64 s[34:35], s[26:27]
	s_cbranch_execnz .LBB22_222
	s_branch .LBB22_235
.LBB22_220:                             ;   in Loop: Header=BB22_34 Depth=1
	s_or_b64 exec, exec, s[0:1]
	s_and_b64 s[0:1], s[8:9], exec
.LBB22_221:                             ;   in Loop: Header=BB22_34 Depth=1
	s_or_b64 exec, exec, s[2:3]
	s_mov_b64 s[30:31], -1
	s_mov_b64 s[26:27], 0
	s_mov_b64 s[34:35], s[26:27]
	s_branch .LBB22_235
.LBB22_222:                             ;   in Loop: Header=BB22_34 Depth=1
	v_readlane_b32 s0, v54, 48
	s_add_u32 s8, s0, s36
	v_readlane_b32 s0, v54, 49
	s_addc_u32 s1, s0, s37
	s_mov_b32 s0, s95
	s_cmp_lg_u64 s[0:1], 0
	s_cbranch_scc0 .LBB22_265
; %bb.223:                              ;   in Loop: Header=BB22_34 Depth=1
	v_cvt_f32_u32_e32 v2, s33
	s_sub_u32 s0, 0, s33
	s_subb_u32 s2, 0, 0
	v_mac_f32_e32 v2, 0x4f800000, v48
	v_rcp_f32_e32 v2, v2
	v_mul_f32_e32 v2, 0x5f7ffffc, v2
	v_mul_f32_e32 v3, 0x2f800000, v2
	v_trunc_f32_e32 v3, v3
	v_mac_f32_e32 v2, 0xcf800000, v3
	v_cvt_u32_f32_e32 v3, v3
	v_cvt_u32_f32_e32 v2, v2
	v_readfirstlane_b32 s3, v3
	v_readfirstlane_b32 s9, v2
	s_mul_i32 s26, s0, s3
	s_mul_hi_u32 s30, s0, s9
	s_mul_i32 s27, s2, s9
	s_add_i32 s26, s30, s26
	s_mul_i32 s31, s0, s9
	s_add_i32 s26, s26, s27
	s_mul_hi_u32 s30, s9, s31
	s_mul_hi_u32 s27, s9, s26
	s_mul_i32 s9, s9, s26
	s_add_u32 s9, s30, s9
	s_addc_u32 s27, 0, s27
	s_mul_hi_u32 s34, s3, s31
	s_mul_i32 s31, s3, s31
	s_add_u32 s9, s9, s31
	s_mul_hi_u32 s30, s3, s26
	s_addc_u32 s9, s27, s34
	s_addc_u32 s27, s30, 0
	s_mul_i32 s26, s3, s26
	s_add_u32 s9, s9, s26
	s_addc_u32 s26, 0, s27
	v_add_co_u32_e32 v2, vcc, s9, v2
	s_cmp_lg_u64 vcc, 0
	s_addc_u32 s3, s3, s26
	v_readfirstlane_b32 s26, v2
	s_mul_i32 s9, s0, s3
	s_mul_hi_u32 s27, s0, s26
	s_add_i32 s9, s27, s9
	s_mul_i32 s2, s2, s26
	s_add_i32 s9, s9, s2
	s_mul_i32 s0, s0, s26
	s_mul_hi_u32 s27, s3, s0
	s_mul_i32 s30, s3, s0
	s_mul_i32 s34, s26, s9
	s_mul_hi_u32 s0, s26, s0
	s_mul_hi_u32 s31, s26, s9
	s_add_u32 s0, s0, s34
	s_addc_u32 s26, 0, s31
	s_add_u32 s0, s0, s30
	s_mul_hi_u32 s2, s3, s9
	s_addc_u32 s0, s26, s27
	s_addc_u32 s2, s2, 0
	s_mul_i32 s9, s3, s9
	s_add_u32 s0, s0, s9
	s_addc_u32 s2, 0, s2
	v_add_co_u32_e32 v2, vcc, s0, v2
	s_cmp_lg_u64 vcc, 0
	s_addc_u32 s0, s3, s2
	s_ashr_i32 s2, s1, 31
	s_add_u32 s26, s8, s2
	s_mov_b32 s3, s2
	s_addc_u32 s27, s1, s2
	s_xor_b64 s[26:27], s[26:27], s[2:3]
	v_readfirstlane_b32 s30, v2
	s_mul_i32 s9, s26, s0
	s_mul_hi_u32 s31, s26, s30
	s_mul_hi_u32 s3, s26, s0
	s_add_u32 s9, s31, s9
	s_addc_u32 s3, 0, s3
	s_mul_hi_u32 s34, s27, s30
	s_mul_i32 s30, s27, s30
	s_add_u32 s9, s9, s30
	s_mul_hi_u32 s31, s27, s0
	s_addc_u32 s3, s3, s34
	s_addc_u32 s9, s31, 0
	s_mul_i32 s0, s27, s0
	s_add_u32 s0, s3, s0
	s_addc_u32 s3, 0, s9
	s_mul_hi_u32 s9, s33, s0
	s_mul_i32 s0, s33, s0
	s_mul_i32 s3, s33, s3
	v_mov_b32_e32 v2, s0
	s_add_i32 s9, s9, s3
	v_sub_co_u32_e32 v2, vcc, s26, v2
	s_cmp_lg_u64 vcc, 0
	s_subb_u32 s0, s27, s9
	v_subrev_co_u32_e32 v3, vcc, s33, v2
	s_cmp_lg_u64 vcc, 0
	s_subb_u32 s3, s0, 0
	v_subrev_co_u32_e32 v4, vcc, s33, v3
	s_cmp_lg_u64 vcc, 0
	s_subb_u32 s9, s3, 0
	v_cmp_le_u32_e32 vcc, s33, v3
	s_cmp_eq_u32 s3, 0
	v_cndmask_b32_e64 v5, 0, -1, vcc
	s_cselect_b64 vcc, -1, 0
	v_cndmask_b32_e32 v5, -1, v5, vcc
	v_mov_b32_e32 v6, s3
	v_mov_b32_e32 v7, s9
	v_cmp_ne_u32_e32 vcc, 0, v5
	v_cndmask_b32_e32 v5, v6, v7, vcc
	v_cndmask_b32_e32 v3, v3, v4, vcc
	v_cmp_le_u32_e32 vcc, s33, v2
	s_cmp_eq_u32 s0, 0
	v_cndmask_b32_e64 v4, 0, -1, vcc
	s_cselect_b64 vcc, -1, 0
	v_cndmask_b32_e32 v4, -1, v4, vcc
	v_cmp_ne_u32_e32 vcc, 0, v4
	v_mov_b32_e32 v6, s0
	v_cndmask_b32_e32 v2, v2, v3, vcc
	v_cndmask_b32_e32 v4, v6, v5, vcc
	v_xor_b32_e32 v2, s2, v2
	v_xor_b32_e32 v3, s2, v4
	v_mov_b32_e32 v4, s2
	v_subrev_co_u32_e32 v2, vcc, s2, v2
	v_subb_co_u32_e32 v3, vcc, v3, v4, vcc
	s_cbranch_execnz .LBB22_225
.LBB22_224:                             ;   in Loop: Header=BB22_34 Depth=1
	v_cvt_f32_u32_e32 v2, s33
	s_sub_i32 s0, 0, s33
	v_rcp_iflag_f32_e32 v2, v2
	v_mul_f32_e32 v2, 0x4f7ffffe, v2
	v_cvt_u32_f32_e32 v2, v2
	v_mul_lo_u32 v3, s0, v2
	v_mul_hi_u32 v3, v2, v3
	v_add_u32_e32 v2, v2, v3
	v_mul_hi_u32 v2, s8, v2
	v_mul_lo_u32 v2, v2, s33
	v_sub_u32_e32 v2, s8, v2
	v_subrev_u32_e32 v3, s33, v2
	v_cmp_le_u32_e32 vcc, s33, v2
	v_cndmask_b32_e32 v2, v2, v3, vcc
	v_subrev_u32_e32 v3, s33, v2
	v_cmp_le_u32_e32 vcc, s33, v2
	v_cndmask_b32_e32 v12, v2, v3, vcc
	v_pk_mov_b32 v[2:3], v[12:13], v[12:13] op_sel:[0,1]
.LBB22_225:                             ;   in Loop: Header=BB22_34 Depth=1
	v_mov_b32_e32 v4, s1
	v_sub_co_u32_e32 v2, vcc, s8, v2
	v_subb_co_u32_e32 v3, vcc, v4, v3, vcc
	v_cmp_gt_i64_e32 vcc, v[2:3], v[0:1]
	s_mov_b64 s[0:1], 0
                                        ; implicit-def: $vgpr31
	s_and_saveexec_b64 s[2:3], vcc
	s_cbranch_execz .LBB22_234
; %bb.226:                              ;   in Loop: Header=BB22_34 Depth=1
	v_mov_b32_e32 v6, v14
	v_pk_mov_b32 v[4:5], v[0:1], v[0:1] op_sel:[0,1]
                                        ; implicit-def: $sgpr8_sgpr9
	s_branch .LBB22_228
.LBB22_227:                             ;   in Loop: Header=BB22_228 Depth=2
	s_or_b64 exec, exec, s[26:27]
	s_waitcnt lgkmcnt(0)
	s_barrier
	ds_read_b64 v[30:31], v13 offset:3072
	v_mov_b32_e32 v7, s28
	v_add_co_u32_e32 v4, vcc, s33, v4
	v_addc_co_u32_e32 v5, vcc, v5, v7, vcc
	s_waitcnt lgkmcnt(0)
	v_readfirstlane_b32 s26, v30
	s_cmp_lg_u32 s26, 0
	s_cselect_b64 s[26:27], -1, 0
	v_cmp_ge_i64_e32 vcc, v[4:5], v[2:3]
	s_or_b64 s[30:31], s[26:27], vcc
	s_and_b64 s[30:31], exec, s[30:31]
	s_or_b64 s[0:1], s[30:31], s[0:1]
	s_andn2_b64 s[8:9], s[8:9], exec
	s_and_b64 s[26:27], s[26:27], exec
	v_add_u32_e32 v6, s65, v6
	s_or_b64 s[8:9], s[8:9], s[26:27]
	s_barrier
	s_andn2_b64 exec, exec, s[0:1]
	s_cbranch_execz .LBB22_233
.LBB22_228:                             ;   Parent Loop BB22_34 Depth=1
                                        ; =>  This Inner Loop Header: Depth=2
	v_cmp_gt_i64_e32 vcc, s[36:37], v[4:5]
	s_waitcnt vmcnt(0)
	v_mov_b32_e32 v29, 0
	s_and_saveexec_b64 s[26:27], vcc
	s_cbranch_execz .LBB22_230
; %bb.229:                              ;   in Loop: Header=BB22_228 Depth=2
	ds_read_b32 v29, v6
.LBB22_230:                             ;   in Loop: Header=BB22_228 Depth=2
	s_or_b64 exec, exec, s[26:27]
	s_and_saveexec_b64 s[26:27], vcc
	s_cbranch_execz .LBB22_227
; %bb.231:                              ;   in Loop: Header=BB22_228 Depth=2
	s_waitcnt lgkmcnt(0)
	v_xor_b32_e32 v7, 0x80000000, v29
	v_and_b32_e32 v7, s91, v7
	v_cmp_eq_u32_e32 vcc, s86, v7
	s_and_b64 exec, exec, vcc
	s_cbranch_execz .LBB22_227
; %bb.232:                              ;   in Loop: Header=BB22_228 Depth=2
	ds_write_b64 v13, v[28:29] offset:3072
	s_branch .LBB22_227
.LBB22_233:                             ;   in Loop: Header=BB22_34 Depth=1
	s_or_b64 exec, exec, s[0:1]
	s_and_b64 s[0:1], s[8:9], exec
.LBB22_234:                             ;   in Loop: Header=BB22_34 Depth=1
	s_or_b64 exec, exec, s[2:3]
	s_mov_b64 s[34:35], -1
	s_mov_b64 s[26:27], 0
	s_mov_b64 s[30:31], 0
.LBB22_235:                             ;   in Loop: Header=BB22_34 Depth=1
	s_mov_b64 s[2:3], 0
                                        ; implicit-def: $sgpr47
	s_and_saveexec_b64 s[36:37], s[0:1]
	s_cbranch_execz .LBB22_297
; %bb.236:                              ;   in Loop: Header=BB22_34 Depth=1
	s_xor_b64 s[0:1], s[38:39], -1
	s_andn2_b64 vcc, exec, s[0:1]
	s_mov_b32 s47, 1
	s_cbranch_vccnz .LBB22_247
; %bb.237:                              ;   in Loop: Header=BB22_34 Depth=1
	v_pk_mov_b32 v[2:3], s[16:17], s[16:17] op_sel:[0,1]
	v_cmp_gt_i64_e32 vcc, s[58:59], v[2:3]
	s_mov_b64 s[0:1], -1
                                        ; implicit-def: $sgpr47
                                        ; implicit-def: $sgpr2
                                        ; implicit-def: $sgpr3
	s_cbranch_vccnz .LBB22_243
; %bb.238:                              ;   in Loop: Header=BB22_34 Depth=1
	ds_read_b64 v[2:3], v13 offset:5120
	s_waitcnt lgkmcnt(0)
	v_cmp_ne_u64_e32 vcc, 0, v[2:3]
	s_cbranch_vccnz .LBB22_242
; %bb.239:                              ;   in Loop: Header=BB22_34 Depth=1
	s_mov_b64 s[0:1], exec
	v_readlane_b32 s2, v54, 32
	v_readlane_b32 s3, v54, 33
	s_and_b64 s[2:3], s[0:1], s[2:3]
	s_mov_b64 exec, s[2:3]
	s_cbranch_execz .LBB22_241
; %bb.240:                              ;   in Loop: Header=BB22_34 Depth=1
	v_pk_mov_b32 v[2:3], s[16:17], s[16:17] op_sel:[0,1]
	ds_write_b64 v13, v[2:3] offset:5128
.LBB22_241:                             ;   in Loop: Header=BB22_34 Depth=1
	s_or_b64 exec, exec, s[0:1]
	s_waitcnt lgkmcnt(0)
	s_barrier
.LBB22_242:                             ;   in Loop: Header=BB22_34 Depth=1
	s_lshl_b32 s0, 2, s40
	s_and_b32 s1, s86, s41
	s_or_b32 s2, s1, s0
	s_or_b32 s3, s91, s46
	s_mov_b64 s[0:1], 0
	s_mov_b32 s47, 8
.LBB22_243:                             ;   in Loop: Header=BB22_34 Depth=1
	s_andn2_b64 vcc, exec, s[0:1]
	s_cbranch_vccnz .LBB22_245
; %bb.244:                              ;   in Loop: Header=BB22_34 Depth=1
	s_sub_u32 s58, s58, s16
	s_subb_u32 s59, s59, s17
	s_mov_b64 s[0:1], -1
	s_mov_b32 s47, 0
	s_mov_b32 s2, s86
	s_mov_b32 s3, s91
.LBB22_245:                             ;   in Loop: Header=BB22_34 Depth=1
	s_mov_b32 s91, s3
	s_mov_b32 s86, s2
	s_andn2_b64 vcc, exec, s[0:1]
	s_mov_b64 s[42:43], -1
	s_cbranch_vccz .LBB22_248
.LBB22_246:                             ;   in Loop: Header=BB22_34 Depth=1
                                        ; implicit-def: $sgpr0_sgpr1
                                        ; implicit-def: $sgpr8_sgpr9
                                        ; implicit-def: $sgpr2_sgpr3
	s_branch .LBB22_296
.LBB22_247:                             ;   in Loop: Header=BB22_34 Depth=1
	s_mov_b64 s[58:59], 1
	s_mov_b64 s[42:43], -1
	s_cbranch_execnz .LBB22_246
.LBB22_248:                             ;   in Loop: Header=BB22_34 Depth=1
	s_cmp_eq_u64 s[6:7], 1
	s_cselect_b64 s[0:1], -1, 0
	s_cmp_eq_u64 s[58:59], 1
	s_cselect_b64 s[2:3], -1, 0
	s_and_b64 s[16:17], s[0:1], s[2:3]
	s_mov_b64 s[40:41], -1
	s_and_b64 vcc, exec, s[16:17]
	s_cbranch_vccz .LBB22_263
; %bb.249:                              ;   in Loop: Header=BB22_34 Depth=1
	ds_read_b64 v[2:3], v13 offset:5120
	s_waitcnt lgkmcnt(0)
	s_barrier
	v_readfirstlane_b32 s38, v2
	v_readfirstlane_b32 s39, v3
	s_mov_b64 s[0:1], exec
	v_readlane_b32 s2, v54, 36
	v_readlane_b32 s3, v54, 37
	s_and_b64 s[2:3], s[0:1], s[2:3]
	s_mov_b64 exec, s[2:3]
	s_cbranch_execz .LBB22_251
; %bb.250:                              ;   in Loop: Header=BB22_34 Depth=1
	ds_write_b32 v41, v13
.LBB22_251:                             ;   in Loop: Header=BB22_34 Depth=1
	s_or_b64 exec, exec, s[0:1]
	v_cmp_gt_i64_e64 s[0:1], s[38:39], 0
	s_or_b32 s86, s86, s46
	s_or_b32 s91, s91, s46
	s_and_b64 vcc, exec, s[0:1]
	s_waitcnt lgkmcnt(0)
	s_barrier
	s_cbranch_vccnz .LBB22_266
; %bb.252:                              ;   in Loop: Header=BB22_34 Depth=1
	s_mov_b32 s72, s95
	s_cmp_lg_u64 s[72:73], 0
	s_cbranch_scc0 .LBB22_302
; %bb.253:                              ;   in Loop: Header=BB22_34 Depth=1
	v_cvt_f32_u32_e32 v2, s33
	s_sub_u32 s0, 0, s33
	s_subb_u32 s1, 0, 0
	v_mac_f32_e32 v2, 0x4f800000, v48
	v_rcp_f32_e32 v2, v2
	v_mul_f32_e32 v2, 0x5f7ffffc, v2
	v_mul_f32_e32 v3, 0x2f800000, v2
	v_trunc_f32_e32 v3, v3
	v_mac_f32_e32 v2, 0xcf800000, v3
	v_cvt_u32_f32_e32 v3, v3
	v_cvt_u32_f32_e32 v2, v2
	v_readfirstlane_b32 s2, v3
	v_readfirstlane_b32 s3, v2
	s_mul_i32 s8, s0, s2
	s_mul_hi_u32 s40, s0, s3
	s_mul_i32 s9, s1, s3
	s_add_i32 s8, s40, s8
	s_mul_i32 s41, s0, s3
	s_add_i32 s8, s8, s9
	s_mul_hi_u32 s40, s3, s41
	s_mul_hi_u32 s9, s3, s8
	s_mul_i32 s3, s3, s8
	s_add_u32 s3, s40, s3
	s_addc_u32 s9, 0, s9
	s_mul_hi_u32 s42, s2, s41
	s_mul_i32 s41, s2, s41
	s_add_u32 s3, s3, s41
	s_mul_hi_u32 s40, s2, s8
	s_addc_u32 s3, s9, s42
	s_addc_u32 s9, s40, 0
	s_mul_i32 s8, s2, s8
	s_add_u32 s3, s3, s8
	s_addc_u32 s8, 0, s9
	v_add_co_u32_e32 v2, vcc, s3, v2
	s_cmp_lg_u64 vcc, 0
	s_addc_u32 s2, s2, s8
	v_readfirstlane_b32 s8, v2
	s_mul_i32 s3, s0, s2
	s_mul_hi_u32 s9, s0, s8
	s_add_i32 s3, s9, s3
	s_mul_i32 s1, s1, s8
	s_add_i32 s3, s3, s1
	s_mul_i32 s0, s0, s8
	s_mul_hi_u32 s9, s2, s0
	s_mul_i32 s40, s2, s0
	s_mul_i32 s42, s8, s3
	s_mul_hi_u32 s0, s8, s0
	s_mul_hi_u32 s41, s8, s3
	s_add_u32 s0, s0, s42
	s_addc_u32 s8, 0, s41
	s_add_u32 s0, s0, s40
	s_mul_hi_u32 s1, s2, s3
	s_addc_u32 s0, s8, s9
	s_addc_u32 s1, s1, 0
	s_mul_i32 s3, s2, s3
	s_add_u32 s0, s0, s3
	s_addc_u32 s1, 0, s1
	v_add_co_u32_e32 v2, vcc, s0, v2
	s_cmp_lg_u64 vcc, 0
	s_addc_u32 s8, s2, s1
	s_ashr_i32 s0, s73, 31
	s_add_u32 s2, s87, s0
	s_mov_b32 s1, s0
	s_addc_u32 s3, s73, s0
	s_xor_b64 s[2:3], s[2:3], s[0:1]
	v_readfirstlane_b32 s40, v2
	s_mul_i32 s9, s2, s8
	s_mul_hi_u32 s41, s2, s40
	s_mul_hi_u32 s1, s2, s8
	s_add_u32 s9, s41, s9
	s_addc_u32 s1, 0, s1
	s_mul_hi_u32 s42, s3, s40
	s_mul_i32 s40, s3, s40
	s_add_u32 s9, s9, s40
	s_mul_hi_u32 s41, s3, s8
	s_addc_u32 s1, s1, s42
	s_addc_u32 s9, s41, 0
	s_mul_i32 s8, s3, s8
	s_add_u32 s1, s1, s8
	s_addc_u32 s8, 0, s9
	s_mul_hi_u32 s9, s33, s1
	s_mul_i32 s1, s33, s1
	s_mul_i32 s8, s33, s8
	v_mov_b32_e32 v2, s1
	s_add_i32 s9, s9, s8
	v_sub_co_u32_e32 v2, vcc, s2, v2
	s_cmp_lg_u64 vcc, 0
	s_subb_u32 s1, s3, s9
	v_subrev_co_u32_e32 v3, vcc, s33, v2
	s_cmp_lg_u64 vcc, 0
	s_subb_u32 s2, s1, 0
	v_subrev_co_u32_e32 v4, vcc, s33, v3
	s_cmp_lg_u64 vcc, 0
	s_subb_u32 s3, s2, 0
	v_cmp_le_u32_e32 vcc, s33, v3
	s_cmp_eq_u32 s2, 0
	v_cndmask_b32_e64 v5, 0, -1, vcc
	s_cselect_b64 vcc, -1, 0
	v_cndmask_b32_e32 v5, -1, v5, vcc
	v_mov_b32_e32 v6, s2
	v_mov_b32_e32 v7, s3
	v_cmp_ne_u32_e32 vcc, 0, v5
	v_cndmask_b32_e32 v5, v6, v7, vcc
	v_cndmask_b32_e32 v3, v3, v4, vcc
	v_cmp_le_u32_e32 vcc, s33, v2
	s_cmp_eq_u32 s1, 0
	v_cndmask_b32_e64 v4, 0, -1, vcc
	s_cselect_b64 vcc, -1, 0
	v_cndmask_b32_e32 v4, -1, v4, vcc
	v_cmp_ne_u32_e32 vcc, 0, v4
	v_mov_b32_e32 v6, s1
	v_cndmask_b32_e32 v2, v2, v3, vcc
	v_cndmask_b32_e32 v4, v6, v5, vcc
	v_xor_b32_e32 v2, s0, v2
	v_xor_b32_e32 v3, s0, v4
	v_mov_b32_e32 v4, s0
	v_subrev_co_u32_e32 v2, vcc, s0, v2
	v_subb_co_u32_e32 v3, vcc, v3, v4, vcc
	s_cbranch_execnz .LBB22_255
.LBB22_254:                             ;   in Loop: Header=BB22_34 Depth=1
	v_cvt_f32_u32_e32 v2, s33
	s_sub_i32 s0, 0, s33
	v_rcp_iflag_f32_e32 v2, v2
	v_mul_f32_e32 v2, 0x4f7ffffe, v2
	v_cvt_u32_f32_e32 v2, v2
	v_mul_lo_u32 v3, s0, v2
	v_mul_hi_u32 v3, v2, v3
	v_add_u32_e32 v2, v2, v3
	s_mov_b32 s0, s87
	v_mul_hi_u32 v2, s0, v2
	v_mul_lo_u32 v2, v2, s33
	v_sub_u32_e32 v2, s0, v2
	v_subrev_u32_e32 v3, s33, v2
	v_cmp_le_u32_e32 vcc, s33, v2
	v_cndmask_b32_e32 v2, v2, v3, vcc
	v_subrev_u32_e32 v3, s33, v2
	v_cmp_le_u32_e32 vcc, s33, v2
	v_cndmask_b32_e32 v12, v2, v3, vcc
	v_pk_mov_b32 v[2:3], v[12:13], v[12:13] op_sel:[0,1]
.LBB22_255:                             ;   in Loop: Header=BB22_34 Depth=1
	v_mov_b32_e32 v4, s73
	v_sub_co_u32_e32 v2, vcc, s87, v2
	v_subb_co_u32_e32 v3, vcc, v4, v3, vcc
	v_cmp_gt_i64_e32 vcc, v[2:3], v[0:1]
	s_mov_b64 s[40:41], 0
                                        ; implicit-def: $vgpr31
	s_and_saveexec_b64 s[0:1], vcc
	s_cbranch_execz .LBB22_268
; %bb.256:                              ;   in Loop: Header=BB22_34 Depth=1
	s_mov_b64 s[2:3], 0
	v_pk_mov_b32 v[4:5], v[10:11], v[10:11] op_sel:[0,1]
	v_pk_mov_b32 v[6:7], v[0:1], v[0:1] op_sel:[0,1]
                                        ; implicit-def: $sgpr8_sgpr9
	s_branch .LBB22_258
.LBB22_257:                             ;   in Loop: Header=BB22_258 Depth=2
	s_or_b64 exec, exec, s[40:41]
	s_waitcnt lgkmcnt(0)
	s_barrier
	ds_read_b64 v[30:31], v13 offset:3072
	v_mov_b32_e32 v8, s28
	v_add_co_u32_e32 v6, vcc, s33, v6
	v_addc_co_u32_e32 v7, vcc, v7, v8, vcc
	s_waitcnt lgkmcnt(0)
	v_readfirstlane_b32 s40, v30
	s_cmp_lg_u32 s40, 0
	s_cselect_b64 s[40:41], -1, 0
	v_cmp_ge_i64_e32 vcc, v[6:7], v[2:3]
	s_or_b64 s[42:43], s[40:41], vcc
	s_and_b64 s[42:43], exec, s[42:43]
	s_or_b64 s[2:3], s[42:43], s[2:3]
	v_mov_b32_e32 v8, s89
	v_add_co_u32_e32 v4, vcc, s88, v4
	s_andn2_b64 s[8:9], s[8:9], exec
	s_and_b64 s[40:41], s[40:41], exec
	v_addc_co_u32_e32 v5, vcc, v5, v8, vcc
	s_or_b64 s[8:9], s[8:9], s[40:41]
	s_barrier
	s_andn2_b64 exec, exec, s[2:3]
	s_cbranch_execz .LBB22_267
.LBB22_258:                             ;   Parent Loop BB22_34 Depth=1
                                        ; =>  This Inner Loop Header: Depth=2
	v_cmp_gt_i64_e32 vcc, s[56:57], v[6:7]
	s_waitcnt vmcnt(0)
	v_mov_b32_e32 v29, 0
	s_and_saveexec_b64 s[40:41], vcc
	s_cbranch_execz .LBB22_260
; %bb.259:                              ;   in Loop: Header=BB22_258 Depth=2
	global_load_dword v29, v[4:5], off
.LBB22_260:                             ;   in Loop: Header=BB22_258 Depth=2
	s_or_b64 exec, exec, s[40:41]
	s_and_saveexec_b64 s[40:41], vcc
	s_cbranch_execz .LBB22_257
; %bb.261:                              ;   in Loop: Header=BB22_258 Depth=2
	s_waitcnt vmcnt(0)
	v_xor_b32_e32 v8, 0x80000000, v29
	v_and_b32_e32 v8, s91, v8
	v_cmp_eq_u32_e32 vcc, s86, v8
	s_and_b64 exec, exec, vcc
	s_cbranch_execz .LBB22_257
; %bb.262:                              ;   in Loop: Header=BB22_258 Depth=2
	ds_write_b64 v13, v[28:29] offset:3072
	s_branch .LBB22_257
.LBB22_263:                             ;   in Loop: Header=BB22_34 Depth=1
                                        ; implicit-def: $sgpr0_sgpr1
                                        ; implicit-def: $sgpr8_sgpr9
                                        ; implicit-def: $sgpr2_sgpr3
	s_branch .LBB22_282
.LBB22_264:                             ;   in Loop: Header=BB22_34 Depth=1
                                        ; implicit-def: $vgpr2_vgpr3
	s_branch .LBB22_207
.LBB22_265:                             ;   in Loop: Header=BB22_34 Depth=1
                                        ; implicit-def: $vgpr2_vgpr3
	s_branch .LBB22_224
.LBB22_266:                             ;   in Loop: Header=BB22_34 Depth=1
	s_mov_b64 s[0:1], -1
	s_mov_b64 s[40:41], 0
                                        ; implicit-def: $sgpr2_sgpr3
                                        ; implicit-def: $vgpr31
	s_mov_b64 s[8:9], s[0:1]
	s_cbranch_execnz .LBB22_269
	s_branch .LBB22_282
.LBB22_267:                             ;   in Loop: Header=BB22_34 Depth=1
	s_or_b64 exec, exec, s[2:3]
	s_and_b64 s[40:41], s[8:9], exec
.LBB22_268:                             ;   in Loop: Header=BB22_34 Depth=1
	s_or_b64 exec, exec, s[0:1]
	s_mov_b64 s[2:3], -1
	s_mov_b64 s[0:1], 0
	s_mov_b64 s[8:9], s[0:1]
	s_branch .LBB22_282
.LBB22_269:                             ;   in Loop: Header=BB22_34 Depth=1
	v_readlane_b32 s0, v54, 48
	s_add_u32 s8, s0, s38
	v_readlane_b32 s0, v54, 49
	s_addc_u32 s1, s0, s39
	s_mov_b32 s0, s95
	s_cmp_lg_u64 s[0:1], 0
	s_cbranch_scc0 .LBB22_303
; %bb.270:                              ;   in Loop: Header=BB22_34 Depth=1
	v_cvt_f32_u32_e32 v2, s33
	s_sub_u32 s0, 0, s33
	s_subb_u32 s2, 0, 0
	v_mac_f32_e32 v2, 0x4f800000, v48
	v_rcp_f32_e32 v2, v2
	v_mul_f32_e32 v2, 0x5f7ffffc, v2
	v_mul_f32_e32 v3, 0x2f800000, v2
	v_trunc_f32_e32 v3, v3
	v_mac_f32_e32 v2, 0xcf800000, v3
	v_cvt_u32_f32_e32 v3, v3
	v_cvt_u32_f32_e32 v2, v2
	v_readfirstlane_b32 s3, v3
	v_readfirstlane_b32 s9, v2
	s_mul_i32 s40, s0, s3
	s_mul_hi_u32 s42, s0, s9
	s_mul_i32 s41, s2, s9
	s_add_i32 s40, s42, s40
	s_mul_i32 s43, s0, s9
	s_add_i32 s40, s40, s41
	s_mul_hi_u32 s42, s9, s43
	s_mul_hi_u32 s41, s9, s40
	s_mul_i32 s9, s9, s40
	s_add_u32 s9, s42, s9
	s_addc_u32 s41, 0, s41
	s_mul_hi_u32 s44, s3, s43
	s_mul_i32 s43, s3, s43
	s_add_u32 s9, s9, s43
	s_mul_hi_u32 s42, s3, s40
	s_addc_u32 s9, s41, s44
	s_addc_u32 s41, s42, 0
	s_mul_i32 s40, s3, s40
	s_add_u32 s9, s9, s40
	s_addc_u32 s40, 0, s41
	v_add_co_u32_e32 v2, vcc, s9, v2
	s_cmp_lg_u64 vcc, 0
	s_addc_u32 s3, s3, s40
	v_readfirstlane_b32 s40, v2
	s_mul_i32 s9, s0, s3
	s_mul_hi_u32 s41, s0, s40
	s_add_i32 s9, s41, s9
	s_mul_i32 s2, s2, s40
	s_add_i32 s9, s9, s2
	s_mul_i32 s0, s0, s40
	s_mul_hi_u32 s41, s3, s0
	s_mul_i32 s42, s3, s0
	s_mul_i32 s44, s40, s9
	s_mul_hi_u32 s0, s40, s0
	s_mul_hi_u32 s43, s40, s9
	s_add_u32 s0, s0, s44
	s_addc_u32 s40, 0, s43
	s_add_u32 s0, s0, s42
	s_mul_hi_u32 s2, s3, s9
	s_addc_u32 s0, s40, s41
	s_addc_u32 s2, s2, 0
	s_mul_i32 s9, s3, s9
	s_add_u32 s0, s0, s9
	s_addc_u32 s2, 0, s2
	v_add_co_u32_e32 v2, vcc, s0, v2
	s_cmp_lg_u64 vcc, 0
	s_addc_u32 s0, s3, s2
	s_ashr_i32 s2, s1, 31
	s_add_u32 s40, s8, s2
	s_mov_b32 s3, s2
	s_addc_u32 s41, s1, s2
	s_xor_b64 s[40:41], s[40:41], s[2:3]
	v_readfirstlane_b32 s42, v2
	s_mul_i32 s9, s40, s0
	s_mul_hi_u32 s43, s40, s42
	s_mul_hi_u32 s3, s40, s0
	s_add_u32 s9, s43, s9
	s_addc_u32 s3, 0, s3
	s_mul_hi_u32 s44, s41, s42
	s_mul_i32 s42, s41, s42
	s_add_u32 s9, s9, s42
	s_mul_hi_u32 s43, s41, s0
	s_addc_u32 s3, s3, s44
	s_addc_u32 s9, s43, 0
	s_mul_i32 s0, s41, s0
	s_add_u32 s0, s3, s0
	s_addc_u32 s3, 0, s9
	s_mul_hi_u32 s9, s33, s0
	s_mul_i32 s0, s33, s0
	s_mul_i32 s3, s33, s3
	v_mov_b32_e32 v2, s0
	s_add_i32 s9, s9, s3
	v_sub_co_u32_e32 v2, vcc, s40, v2
	s_cmp_lg_u64 vcc, 0
	s_subb_u32 s0, s41, s9
	v_subrev_co_u32_e32 v3, vcc, s33, v2
	s_cmp_lg_u64 vcc, 0
	s_subb_u32 s3, s0, 0
	v_subrev_co_u32_e32 v4, vcc, s33, v3
	s_cmp_lg_u64 vcc, 0
	s_subb_u32 s9, s3, 0
	v_cmp_le_u32_e32 vcc, s33, v3
	s_cmp_eq_u32 s3, 0
	v_cndmask_b32_e64 v5, 0, -1, vcc
	s_cselect_b64 vcc, -1, 0
	v_cndmask_b32_e32 v5, -1, v5, vcc
	v_mov_b32_e32 v6, s3
	v_mov_b32_e32 v7, s9
	v_cmp_ne_u32_e32 vcc, 0, v5
	v_cndmask_b32_e32 v5, v6, v7, vcc
	v_cndmask_b32_e32 v3, v3, v4, vcc
	v_cmp_le_u32_e32 vcc, s33, v2
	s_cmp_eq_u32 s0, 0
	v_cndmask_b32_e64 v4, 0, -1, vcc
	s_cselect_b64 vcc, -1, 0
	v_cndmask_b32_e32 v4, -1, v4, vcc
	v_cmp_ne_u32_e32 vcc, 0, v4
	v_mov_b32_e32 v6, s0
	v_cndmask_b32_e32 v2, v2, v3, vcc
	v_cndmask_b32_e32 v4, v6, v5, vcc
	v_xor_b32_e32 v2, s2, v2
	v_xor_b32_e32 v3, s2, v4
	v_mov_b32_e32 v4, s2
	v_subrev_co_u32_e32 v2, vcc, s2, v2
	v_subb_co_u32_e32 v3, vcc, v3, v4, vcc
	s_cbranch_execnz .LBB22_272
.LBB22_271:                             ;   in Loop: Header=BB22_34 Depth=1
	v_cvt_f32_u32_e32 v2, s33
	s_sub_i32 s0, 0, s33
	v_rcp_iflag_f32_e32 v2, v2
	v_mul_f32_e32 v2, 0x4f7ffffe, v2
	v_cvt_u32_f32_e32 v2, v2
	v_mul_lo_u32 v3, s0, v2
	v_mul_hi_u32 v3, v2, v3
	v_add_u32_e32 v2, v2, v3
	v_mul_hi_u32 v2, s8, v2
	v_mul_lo_u32 v2, v2, s33
	v_sub_u32_e32 v2, s8, v2
	v_subrev_u32_e32 v3, s33, v2
	v_cmp_le_u32_e32 vcc, s33, v2
	v_cndmask_b32_e32 v2, v2, v3, vcc
	v_subrev_u32_e32 v3, s33, v2
	v_cmp_le_u32_e32 vcc, s33, v2
	v_cndmask_b32_e32 v12, v2, v3, vcc
	v_pk_mov_b32 v[2:3], v[12:13], v[12:13] op_sel:[0,1]
.LBB22_272:                             ;   in Loop: Header=BB22_34 Depth=1
	v_mov_b32_e32 v4, s1
	v_sub_co_u32_e32 v2, vcc, s8, v2
	v_subb_co_u32_e32 v3, vcc, v4, v3, vcc
	v_cmp_gt_i64_e32 vcc, v[2:3], v[0:1]
	s_mov_b64 s[40:41], 0
                                        ; implicit-def: $vgpr31
	s_and_saveexec_b64 s[0:1], vcc
	s_cbranch_execz .LBB22_281
; %bb.273:                              ;   in Loop: Header=BB22_34 Depth=1
	s_mov_b64 s[2:3], 0
	v_mov_b32_e32 v6, v14
	v_pk_mov_b32 v[4:5], v[0:1], v[0:1] op_sel:[0,1]
                                        ; implicit-def: $sgpr8_sgpr9
	s_branch .LBB22_275
.LBB22_274:                             ;   in Loop: Header=BB22_275 Depth=2
	s_or_b64 exec, exec, s[40:41]
	s_waitcnt lgkmcnt(0)
	s_barrier
	ds_read_b64 v[30:31], v13 offset:3072
	v_mov_b32_e32 v7, s28
	v_add_co_u32_e32 v4, vcc, s33, v4
	v_addc_co_u32_e32 v5, vcc, v5, v7, vcc
	s_waitcnt lgkmcnt(0)
	v_readfirstlane_b32 s40, v30
	s_cmp_lg_u32 s40, 0
	s_cselect_b64 s[40:41], -1, 0
	v_cmp_ge_i64_e32 vcc, v[4:5], v[2:3]
	s_or_b64 s[42:43], s[40:41], vcc
	s_and_b64 s[42:43], exec, s[42:43]
	s_or_b64 s[2:3], s[42:43], s[2:3]
	s_andn2_b64 s[8:9], s[8:9], exec
	s_and_b64 s[40:41], s[40:41], exec
	v_add_u32_e32 v6, s65, v6
	s_or_b64 s[8:9], s[8:9], s[40:41]
	s_barrier
	s_andn2_b64 exec, exec, s[2:3]
	s_cbranch_execz .LBB22_280
.LBB22_275:                             ;   Parent Loop BB22_34 Depth=1
                                        ; =>  This Inner Loop Header: Depth=2
	v_cmp_gt_i64_e32 vcc, s[38:39], v[4:5]
	s_waitcnt vmcnt(0)
	v_mov_b32_e32 v29, 0
	s_and_saveexec_b64 s[40:41], vcc
	s_cbranch_execz .LBB22_277
; %bb.276:                              ;   in Loop: Header=BB22_275 Depth=2
	ds_read_b32 v29, v6
.LBB22_277:                             ;   in Loop: Header=BB22_275 Depth=2
	s_or_b64 exec, exec, s[40:41]
	s_and_saveexec_b64 s[40:41], vcc
	s_cbranch_execz .LBB22_274
; %bb.278:                              ;   in Loop: Header=BB22_275 Depth=2
	s_waitcnt lgkmcnt(0)
	v_xor_b32_e32 v7, 0x80000000, v29
	v_and_b32_e32 v7, s91, v7
	v_cmp_eq_u32_e32 vcc, s86, v7
	s_and_b64 exec, exec, vcc
	s_cbranch_execz .LBB22_274
; %bb.279:                              ;   in Loop: Header=BB22_275 Depth=2
	ds_write_b64 v13, v[28:29] offset:3072
	s_branch .LBB22_274
.LBB22_280:                             ;   in Loop: Header=BB22_34 Depth=1
	s_or_b64 exec, exec, s[2:3]
	s_and_b64 s[40:41], s[8:9], exec
.LBB22_281:                             ;   in Loop: Header=BB22_34 Depth=1
	s_or_b64 exec, exec, s[0:1]
	s_mov_b64 s[8:9], -1
	s_mov_b64 s[0:1], 0
	s_mov_b64 s[2:3], 0
.LBB22_282:                             ;   in Loop: Header=BB22_34 Depth=1
	s_mov_b64 s[42:43], 0
                                        ; implicit-def: $sgpr47
                                        ; implicit-def: $sgpr44_sgpr45
	s_and_saveexec_b64 s[38:39], s[40:41]
	s_cbranch_execz .LBB22_295
; %bb.283:                              ;   in Loop: Header=BB22_34 Depth=1
	s_xor_b64 s[16:17], s[16:17], -1
	s_mov_b64 s[44:45], 1
	s_andn2_b64 vcc, exec, s[16:17]
	s_mov_b32 s47, 1
	s_cbranch_vccnz .LBB22_294
; %bb.284:                              ;   in Loop: Header=BB22_34 Depth=1
	v_pk_mov_b32 v[2:3], s[6:7], s[6:7] op_sel:[0,1]
	v_cmp_gt_i64_e32 vcc, s[58:59], v[2:3]
	s_cbranch_vccnz .LBB22_290
; %bb.285:                              ;   in Loop: Header=BB22_34 Depth=1
	ds_read_b64 v[2:3], v13 offset:5120
	s_waitcnt lgkmcnt(0)
	v_cmp_ne_u64_e32 vcc, 0, v[2:3]
	s_cbranch_vccnz .LBB22_289
; %bb.286:                              ;   in Loop: Header=BB22_34 Depth=1
	s_mov_b64 s[16:17], exec
	v_readlane_b32 s40, v54, 32
	v_readlane_b32 s41, v54, 33
	s_and_b64 s[40:41], s[16:17], s[40:41]
	s_mov_b64 exec, s[40:41]
	s_cbranch_execz .LBB22_288
; %bb.287:                              ;   in Loop: Header=BB22_34 Depth=1
	v_pk_mov_b32 v[2:3], s[6:7], s[6:7] op_sel:[0,1]
	ds_write_b64 v13, v[2:3] offset:5128
.LBB22_288:                             ;   in Loop: Header=BB22_34 Depth=1
	s_or_b64 exec, exec, s[16:17]
	s_waitcnt lgkmcnt(0)
	s_barrier
.LBB22_289:                             ;   in Loop: Header=BB22_34 Depth=1
	s_or_b32 s40, s86, s46
	s_or_b32 s41, s91, s46
	s_mov_b64 s[16:17], 0
	s_mov_b32 s47, 8
	s_branch .LBB22_291
.LBB22_290:                             ;   in Loop: Header=BB22_34 Depth=1
	s_mov_b64 s[16:17], -1
                                        ; implicit-def: $sgpr47
                                        ; implicit-def: $sgpr40
                                        ; implicit-def: $sgpr41
.LBB22_291:                             ;   in Loop: Header=BB22_34 Depth=1
	s_andn2_b64 vcc, exec, s[16:17]
	s_cbranch_vccnz .LBB22_293
; %bb.292:                              ;   in Loop: Header=BB22_34 Depth=1
	s_sub_u32 s58, s58, s6
	s_subb_u32 s59, s59, s7
	s_mov_b32 s47, 8
	s_mov_b32 s40, s86
	;; [unrolled: 1-line block ×3, first 2 shown]
.LBB22_293:                             ;   in Loop: Header=BB22_34 Depth=1
	s_mov_b64 s[44:45], s[58:59]
	s_mov_b32 s86, s40
	s_mov_b32 s91, s41
.LBB22_294:                             ;   in Loop: Header=BB22_34 Depth=1
	s_mov_b64 s[42:43], exec
.LBB22_295:                             ;   in Loop: Header=BB22_34 Depth=1
	s_or_b64 exec, exec, s[38:39]
	s_mov_b64 s[58:59], s[44:45]
.LBB22_296:                             ;   in Loop: Header=BB22_34 Depth=1
	s_andn2_b64 s[6:7], s[26:27], exec
	s_and_b64 s[0:1], s[0:1], exec
	s_or_b64 s[26:27], s[6:7], s[0:1]
	s_andn2_b64 s[0:1], s[34:35], exec
	s_and_b64 s[6:7], s[8:9], exec
	s_or_b64 s[34:35], s[0:1], s[6:7]
	;; [unrolled: 3-line block ×3, first 2 shown]
	s_and_b64 s[2:3], s[42:43], exec
.LBB22_297:                             ;   in Loop: Header=BB22_34 Depth=1
	s_or_b64 exec, exec, s[36:37]
.LBB22_298:                             ;   in Loop: Header=BB22_34 Depth=1
	s_andn2_b64 s[0:1], s[20:21], exec
	s_and_b64 s[6:7], s[26:27], exec
	s_or_b64 s[20:21], s[0:1], s[6:7]
	s_andn2_b64 s[0:1], s[22:23], exec
	s_and_b64 s[6:7], s[34:35], exec
	s_or_b64 s[22:23], s[0:1], s[6:7]
	;; [unrolled: 3-line block ×3, first 2 shown]
	s_and_b64 s[2:3], s[2:3], exec
.LBB22_299:                             ;   in Loop: Header=BB22_34 Depth=1
	s_or_b64 exec, exec, s[24:25]
	s_and_saveexec_b64 s[0:1], s[2:3]
	s_xor_b64 s[0:1], exec, s[0:1]
	s_cbranch_execz .LBB22_32
.LBB22_300:                             ;   in Loop: Header=BB22_34 Depth=1
	s_and_b32 s2, s47, -9
	s_cmp_eq_u32 s2, 0
	s_cbranch_scc1 .LBB22_30
; %bb.301:                              ;   in Loop: Header=BB22_34 Depth=1
	s_mov_b64 s[2:3], -1
                                        ; implicit-def: $sgpr91
                                        ; implicit-def: $sgpr29
                                        ; implicit-def: $sgpr90
	s_mov_b64 s[6:7], -1
	s_branch .LBB22_31
.LBB22_302:                             ;   in Loop: Header=BB22_34 Depth=1
                                        ; implicit-def: $vgpr2_vgpr3
	s_branch .LBB22_254
.LBB22_303:                             ;   in Loop: Header=BB22_34 Depth=1
                                        ; implicit-def: $vgpr2_vgpr3
	s_branch .LBB22_271
.LBB22_304:
	s_or_b64 exec, exec, s[66:67]
	s_xor_b64 s[6:7], s[60:61], -1
	s_xor_b64 s[0:1], s[68:69], -1
	;; [unrolled: 1-line block ×3, first 2 shown]
	s_mov_b64 s[2:3], 0
	s_and_saveexec_b64 s[8:9], s[0:1]
	s_xor_b64 s[0:1], exec, s[8:9]
	s_cbranch_execnz .LBB22_309
; %bb.305:
	s_andn2_saveexec_b64 s[0:1], s[0:1]
	s_cbranch_execnz .LBB22_331
.LBB22_306:
	s_or_b64 exec, exec, s[0:1]
	s_and_saveexec_b64 s[0:1], s[2:3]
.LBB22_307:
	; divergent unreachable
.LBB22_308:
	s_endpgm
.LBB22_309:
	s_and_saveexec_b64 s[2:3], s[6:7]
	s_xor_b64 s[2:3], exec, s[2:3]
	s_cbranch_execz .LBB22_329
; %bb.310:
	s_and_saveexec_b64 s[6:7], s[4:5]
	s_xor_b64 s[4:5], exec, s[6:7]
; %bb.311:
	v_xor_b32_e32 v31, 0x80000000, v2
; %bb.312:
	s_or_b64 exec, exec, s[4:5]
	s_mov_b64 s[4:5], exec
	v_readlane_b32 s6, v54, 32
	v_readlane_b32 s7, v54, 33
	;; [unrolled: 1-line block ×3, first 2 shown]
	s_and_b64 s[6:7], s[4:5], s[6:7]
	v_readlane_b32 s24, v54, 34
	v_readlane_b32 s27, v54, 27
	v_readlane_b32 s25, v54, 35
	s_mov_b64 exec, s[6:7]
	s_cbranch_execz .LBB22_314
; %bb.313:
	v_mov_b32_e32 v2, 0
	v_mov_b32_e32 v3, s56
	ds_write_b32 v2, v3 offset:5140
.LBB22_314:
	s_or_b64 exec, exec, s[4:5]
	s_waitcnt lgkmcnt(0)
	s_barrier
	s_mov_b64 s[4:5], exec
	v_readlane_b32 s6, v54, 44
	v_readlane_b32 s7, v54, 45
	s_and_b64 s[6:7], s[4:5], s[6:7]
	s_mov_b64 exec, s[6:7]
	s_cbranch_execz .LBB22_326
; %bb.315:
	v_mov_b32_e32 v2, 0
	ds_read_b32 v4, v2 offset:5140
	s_mov_b64 s[6:7], 0
                                        ; implicit-def: $sgpr8_sgpr9
                                        ; implicit-def: $sgpr10_sgpr11
                                        ; implicit-def: $sgpr12_sgpr13
	s_waitcnt lgkmcnt(0)
	v_ashrrev_i32_e32 v5, 31, v4
	s_branch .LBB22_318
.LBB22_316:                             ;   in Loop: Header=BB22_318 Depth=1
	s_or_b64 exec, exec, s[18:19]
	s_andn2_b64 s[12:13], s[12:13], exec
	s_and_b64 s[16:17], s[16:17], exec
	s_or_b64 s[12:13], s[12:13], s[16:17]
	s_andn2_b64 s[10:11], s[10:11], exec
	s_and_b64 s[16:17], s[20:21], exec
	s_or_b64 s[10:11], s[10:11], s[16:17]
.LBB22_317:                             ;   in Loop: Header=BB22_318 Depth=1
	s_or_b64 exec, exec, s[14:15]
	s_and_b64 s[14:15], exec, s[10:11]
	s_or_b64 s[6:7], s[14:15], s[6:7]
	s_andn2_b64 s[8:9], s[8:9], exec
	s_and_b64 s[14:15], s[12:13], exec
	s_or_b64 s[8:9], s[8:9], s[14:15]
	s_andn2_b64 exec, exec, s[6:7]
	s_cbranch_execz .LBB22_321
.LBB22_318:                             ; =>This Inner Loop Header: Depth=1
	v_pk_mov_b32 v[2:3], v[0:1], v[0:1] op_sel:[0,1]
	v_cmp_lt_i64_e32 vcc, v[2:3], v[4:5]
	s_or_b64 s[12:13], s[12:13], exec
	s_or_b64 s[10:11], s[10:11], exec
                                        ; implicit-def: $vgpr0_vgpr1
	s_and_saveexec_b64 s[14:15], vcc
	s_cbranch_execz .LBB22_317
; %bb.319:                              ;   in Loop: Header=BB22_318 Depth=1
	global_load_dword v0, v[10:11], off
	s_mov_b64 s[20:21], -1
	s_mov_b64 s[16:17], 0
	s_waitcnt vmcnt(0)
	v_cmp_ne_u32_e32 vcc, v0, v31
                                        ; implicit-def: $vgpr0_vgpr1
	s_and_saveexec_b64 s[18:19], vcc
	s_cbranch_execz .LBB22_316
; %bb.320:                              ;   in Loop: Header=BB22_318 Depth=1
	v_mov_b32_e32 v1, s28
	v_add_co_u32_e32 v0, vcc, s33, v2
	v_addc_co_u32_e32 v1, vcc, v3, v1, vcc
	v_mov_b32_e32 v3, s89
	v_add_co_u32_e32 v10, vcc, s88, v10
	v_addc_co_u32_e32 v11, vcc, v11, v3, vcc
	v_cmp_le_i64_e32 vcc, s[56:57], v[0:1]
	s_mov_b64 s[16:17], exec
	s_orn2_b64 s[20:21], vcc, exec
	s_branch .LBB22_316
.LBB22_321:
	s_or_b64 exec, exec, s[6:7]
	s_xor_b64 s[6:7], s[8:9], -1
	s_and_saveexec_b64 s[8:9], s[6:7]
	s_xor_b64 s[8:9], exec, s[8:9]
	s_cbranch_execz .LBB22_326
; %bb.322:
	s_mov_b64 s[6:7], exec
	s_brev_b32 s8, -2
.LBB22_323:                             ; =>This Inner Loop Header: Depth=1
	s_ff1_i32_b64 s9, s[6:7]
	v_readlane_b32 s12, v2, s9
	s_lshl_b64 s[10:11], 1, s9
	s_min_i32 s8, s8, s12
	s_andn2_b64 s[6:7], s[6:7], s[10:11]
	s_cmp_lg_u64 s[6:7], 0
	s_cbranch_scc1 .LBB22_323
; %bb.324:
	v_mbcnt_lo_u32_b32 v0, exec_lo, 0
	v_mbcnt_hi_u32_b32 v0, exec_hi, v0
	v_cmp_eq_u32_e32 vcc, 0, v0
	s_and_saveexec_b64 s[6:7], vcc
	s_xor_b64 s[6:7], exec, s[6:7]
	s_cbranch_execz .LBB22_326
; %bb.325:
	v_mov_b32_e32 v0, 0
	v_mov_b32_e32 v1, s8
	ds_min_i32 v0, v1 offset:5140
.LBB22_326:
	s_or_b64 exec, exec, s[4:5]
	s_waitcnt lgkmcnt(0)
	s_barrier
	s_mov_b64 s[4:5], exec
	v_readlane_b32 s6, v54, 32
	v_readlane_b32 s7, v54, 33
	s_and_b64 s[6:7], s[4:5], s[6:7]
	s_mov_b64 exec, s[6:7]
	s_cbranch_execz .LBB22_328
; %bb.327:
	v_readlane_b32 s20, v54, 6
	v_readlane_b32 s22, v54, 8
	;; [unrolled: 1-line block ×3, first 2 shown]
	s_mul_i32 s6, s26, s23
	s_mul_hi_u32 s7, s26, s22
	s_add_i32 s6, s7, s6
	s_mul_i32 s7, s27, s22
	s_add_i32 s6, s6, s7
	s_mul_i32 s7, s26, s22
	v_readlane_b32 s10, v54, 12
	s_sub_u32 s8, s24, s7
	v_readlane_b32 s11, v54, 13
	s_subb_u32 s6, 0, s6
	s_mul_i32 s7, s8, s11
	s_mul_hi_u32 s9, s8, s10
	v_readlane_b32 s12, v54, 0
	s_add_i32 s7, s9, s7
	s_mul_i32 s6, s6, s10
	v_readlane_b32 s13, v54, 1
	v_readlane_b32 s18, v54, 10
	s_add_i32 s7, s7, s6
	s_mul_i32 s6, s8, s10
	v_readlane_b32 s19, v54, 11
	s_mul_i32 s8, s18, s13
	s_mul_hi_u32 s9, s18, s12
	s_add_i32 s8, s9, s8
	s_mul_i32 s9, s19, s12
	s_add_i32 s8, s8, s9
	s_mul_i32 s9, s18, s12
	v_readlane_b32 s16, v54, 4
	v_readlane_b32 s28, v54, 20
	;; [unrolled: 1-line block ×3, first 2 shown]
	s_sub_u32 s10, s16, s9
	v_readlane_b32 s30, v54, 22
	v_readlane_b32 s31, v54, 23
	s_subb_u32 s8, s17, s8
	s_mul_i32 s9, s10, s31
	s_mul_hi_u32 s11, s10, s30
	v_readlane_b32 s14, v54, 2
	v_readlane_b32 s15, v54, 3
	;; [unrolled: 1-line block ×3, first 2 shown]
	s_add_i32 s9, s11, s9
	s_mul_i32 s8, s8, s30
	s_add_i32 s9, s9, s8
	s_mul_i32 s8, s10, s30
	s_mul_i32 s10, s18, s29
	s_mul_hi_u32 s11, s18, s28
	s_mul_i32 s12, s16, s15
	s_mul_hi_u32 s13, s16, s14
	s_add_i32 s10, s11, s10
	s_mul_i32 s11, s19, s28
	s_add_i32 s12, s13, s12
	s_mul_i32 s13, s17, s14
	s_add_i32 s11, s10, s11
	s_add_i32 s12, s12, s13
	s_mul_i32 s13, s16, s14
	v_readlane_b32 s16, v54, 18
	s_sub_u32 s14, s24, s13
	v_readlane_b32 s17, v54, 19
	s_subb_u32 s12, 0, s12
	s_mul_i32 s13, s14, s17
	s_mul_hi_u32 s15, s14, s16
	v_readlane_b32 s21, v54, 7
	s_mul_i32 s10, s18, s28
	s_add_i32 s13, s15, s13
	s_mul_i32 s12, s12, s16
	v_readlane_b32 s18, v54, 24
	s_add_i32 s13, s13, s12
	s_mul_i32 s12, s14, s16
	v_readlane_b32 s19, v54, 25
	s_mul_i32 s14, s18, s21
	s_mul_hi_u32 s15, s18, s20
	s_add_i32 s14, s15, s14
	s_mul_i32 s15, s19, s20
	s_add_i32 s14, s14, s15
	s_mul_i32 s15, s18, s20
	v_readlane_b32 s20, v54, 14
	s_sub_u32 s16, s26, s15
	v_readlane_b32 s22, v54, 16
	v_readlane_b32 s23, v54, 17
	s_subb_u32 s14, s27, s14
	s_mul_i32 s15, s16, s23
	s_mul_hi_u32 s17, s16, s22
	v_readlane_b32 s21, v54, 15
	s_add_i32 s15, s17, s15
	s_mul_i32 s14, s14, s22
	s_add_i32 s15, s15, s14
	s_mul_i32 s14, s16, s22
	s_mul_i32 s16, s18, s21
	s_mul_hi_u32 s17, s18, s20
	s_add_i32 s16, s17, s16
	s_mul_i32 s17, s19, s20
	s_add_i32 s17, s16, s17
	s_mul_i32 s16, s18, s20
	s_lshl_b64 s[10:11], s[10:11], 2
	v_readlane_b32 s18, v54, 30
	v_readlane_b32 s19, v54, 31
	s_add_u32 s10, s18, s10
	s_addc_u32 s11, s19, s11
	s_lshl_b64 s[8:9], s[8:9], 2
	s_add_u32 s10, s10, s8
	s_addc_u32 s11, s11, s9
	s_lshl_b64 s[8:9], s[12:13], 2
	;; [unrolled: 3-line block ×3, first 2 shown]
	v_readlane_b32 s12, v54, 28
	v_mov_b32_e32 v2, 0
	v_readlane_b32 s13, v54, 29
	s_add_u32 s12, s12, s10
	ds_read_b32 v0, v2 offset:5140
	s_addc_u32 s13, s13, s11
	s_lshl_b64 s[10:11], s[14:15], 3
	s_add_u32 s10, s12, s10
	s_addc_u32 s11, s13, s11
	s_lshl_b64 s[6:7], s[6:7], 3
	s_add_u32 s6, s10, s6
	s_addc_u32 s7, s11, s7
	s_waitcnt lgkmcnt(0)
	v_ashrrev_i32_e32 v1, 31, v0
	global_store_dwordx2 v2, v[0:1], s[6:7]
	global_store_dword v2, v31, s[8:9]
.LBB22_328:
	s_or_b64 exec, exec, s[4:5]
.LBB22_329:
	s_or_saveexec_b64 s[2:3], s[2:3]
	s_mov_b64 s[4:5], 0
	s_xor_b64 exec, exec, s[2:3]
	s_cbranch_execnz .LBB22_332
.LBB22_330:
	s_or_b64 exec, exec, s[2:3]
	s_and_b64 s[2:3], s[4:5], exec
	s_andn2_saveexec_b64 s[0:1], s[0:1]
	s_cbranch_execz .LBB22_306
.LBB22_331:
	s_or_b64 s[2:3], s[2:3], exec
	s_trap 2
	s_or_b64 exec, exec, s[0:1]
	s_and_saveexec_b64 s[0:1], s[2:3]
	s_cbranch_execnz .LBB22_307
	s_branch .LBB22_308
.LBB22_332:
	s_mov_b64 s[4:5], exec
	s_trap 2
	s_branch .LBB22_330
	.section	.rodata,"a",@progbits
	.p2align	6, 0x0
	.amdhsa_kernel _ZN2at6native12_GLOBAL__N_114gatherKthValueIilLi3EEEvNS_4cuda6detail10TensorInfoIKT_T0_EES8_S8_S8_S8_NS5_IS6_S8_EENS5_IlS8_EE
		.amdhsa_group_segment_fixed_size 5144
		.amdhsa_private_segment_fixed_size 0
		.amdhsa_kernarg_size 1536
		.amdhsa_user_sgpr_count 6
		.amdhsa_user_sgpr_private_segment_buffer 1
		.amdhsa_user_sgpr_dispatch_ptr 0
		.amdhsa_user_sgpr_queue_ptr 0
		.amdhsa_user_sgpr_kernarg_segment_ptr 1
		.amdhsa_user_sgpr_dispatch_id 0
		.amdhsa_user_sgpr_flat_scratch_init 0
		.amdhsa_user_sgpr_kernarg_preload_length 0
		.amdhsa_user_sgpr_kernarg_preload_offset 0
		.amdhsa_user_sgpr_private_segment_size 0
		.amdhsa_uses_dynamic_stack 0
		.amdhsa_system_sgpr_private_segment_wavefront_offset 0
		.amdhsa_system_sgpr_workgroup_id_x 1
		.amdhsa_system_sgpr_workgroup_id_y 1
		.amdhsa_system_sgpr_workgroup_id_z 1
		.amdhsa_system_sgpr_workgroup_info 0
		.amdhsa_system_vgpr_workitem_id 0
		.amdhsa_next_free_vgpr 55
		.amdhsa_next_free_sgpr 96
		.amdhsa_accum_offset 56
		.amdhsa_reserve_vcc 1
		.amdhsa_reserve_flat_scratch 0
		.amdhsa_float_round_mode_32 0
		.amdhsa_float_round_mode_16_64 0
		.amdhsa_float_denorm_mode_32 3
		.amdhsa_float_denorm_mode_16_64 3
		.amdhsa_dx10_clamp 1
		.amdhsa_ieee_mode 1
		.amdhsa_fp16_overflow 0
		.amdhsa_tg_split 0
		.amdhsa_exception_fp_ieee_invalid_op 0
		.amdhsa_exception_fp_denorm_src 0
		.amdhsa_exception_fp_ieee_div_zero 0
		.amdhsa_exception_fp_ieee_overflow 0
		.amdhsa_exception_fp_ieee_underflow 0
		.amdhsa_exception_fp_ieee_inexact 0
		.amdhsa_exception_int_div_zero 0
	.end_amdhsa_kernel
	.section	.text._ZN2at6native12_GLOBAL__N_114gatherKthValueIilLi3EEEvNS_4cuda6detail10TensorInfoIKT_T0_EES8_S8_S8_S8_NS5_IS6_S8_EENS5_IlS8_EE,"axG",@progbits,_ZN2at6native12_GLOBAL__N_114gatherKthValueIilLi3EEEvNS_4cuda6detail10TensorInfoIKT_T0_EES8_S8_S8_S8_NS5_IS6_S8_EENS5_IlS8_EE,comdat
.Lfunc_end22:
	.size	_ZN2at6native12_GLOBAL__N_114gatherKthValueIilLi3EEEvNS_4cuda6detail10TensorInfoIKT_T0_EES8_S8_S8_S8_NS5_IS6_S8_EENS5_IlS8_EE, .Lfunc_end22-_ZN2at6native12_GLOBAL__N_114gatherKthValueIilLi3EEEvNS_4cuda6detail10TensorInfoIKT_T0_EES8_S8_S8_S8_NS5_IS6_S8_EENS5_IlS8_EE
                                        ; -- End function
	.section	.AMDGPU.csdata,"",@progbits
; Kernel info:
; codeLenInByte = 20784
; NumSgprs: 100
; NumVgprs: 55
; NumAgprs: 0
; TotalNumVgprs: 55
; ScratchSize: 0
; MemoryBound: 0
; FloatMode: 240
; IeeeMode: 1
; LDSByteSize: 5144 bytes/workgroup (compile time only)
; SGPRBlocks: 12
; VGPRBlocks: 6
; NumSGPRsForWavesPerEU: 100
; NumVGPRsForWavesPerEU: 55
; AccumOffset: 56
; Occupancy: 8
; WaveLimiterHint : 1
; COMPUTE_PGM_RSRC2:SCRATCH_EN: 0
; COMPUTE_PGM_RSRC2:USER_SGPR: 6
; COMPUTE_PGM_RSRC2:TRAP_HANDLER: 0
; COMPUTE_PGM_RSRC2:TGID_X_EN: 1
; COMPUTE_PGM_RSRC2:TGID_Y_EN: 1
; COMPUTE_PGM_RSRC2:TGID_Z_EN: 1
; COMPUTE_PGM_RSRC2:TIDIG_COMP_CNT: 0
; COMPUTE_PGM_RSRC3_GFX90A:ACCUM_OFFSET: 13
; COMPUTE_PGM_RSRC3_GFX90A:TG_SPLIT: 0
	.section	.text._ZN2at6native12_GLOBAL__N_114gatherKthValueIilLin1EEEvNS_4cuda6detail10TensorInfoIKT_T0_EES8_S8_S8_S8_NS5_IS6_S8_EENS5_IlS8_EE,"axG",@progbits,_ZN2at6native12_GLOBAL__N_114gatherKthValueIilLin1EEEvNS_4cuda6detail10TensorInfoIKT_T0_EES8_S8_S8_S8_NS5_IS6_S8_EENS5_IlS8_EE,comdat
	.globl	_ZN2at6native12_GLOBAL__N_114gatherKthValueIilLin1EEEvNS_4cuda6detail10TensorInfoIKT_T0_EES8_S8_S8_S8_NS5_IS6_S8_EENS5_IlS8_EE ; -- Begin function _ZN2at6native12_GLOBAL__N_114gatherKthValueIilLin1EEEvNS_4cuda6detail10TensorInfoIKT_T0_EES8_S8_S8_S8_NS5_IS6_S8_EENS5_IlS8_EE
	.p2align	8
	.type	_ZN2at6native12_GLOBAL__N_114gatherKthValueIilLin1EEEvNS_4cuda6detail10TensorInfoIKT_T0_EES8_S8_S8_S8_NS5_IS6_S8_EENS5_IlS8_EE,@function
_ZN2at6native12_GLOBAL__N_114gatherKthValueIilLin1EEEvNS_4cuda6detail10TensorInfoIKT_T0_EES8_S8_S8_S8_NS5_IS6_S8_EENS5_IlS8_EE: ; @_ZN2at6native12_GLOBAL__N_114gatherKthValueIilLin1EEEvNS_4cuda6detail10TensorInfoIKT_T0_EES8_S8_S8_S8_NS5_IS6_S8_EENS5_IlS8_EE
; %bb.0:
	s_load_dwordx8 s[56:63], s[4:5], 0x1a0
	s_load_dwordx2 s[12:13], s[4:5], 0x500
	s_add_u32 s10, s4, 0x500
	s_addc_u32 s11, s5, 0
	s_mov_b32 s9, 0
	s_waitcnt lgkmcnt(0)
	v_mov_b32_e32 v2, s60
	s_mul_i32 s0, s13, s8
	s_add_i32 s0, s0, s7
	s_mul_i32 s0, s0, s12
	v_mov_b32_e32 v3, s61
	s_add_i32 s8, s0, s6
	v_cmp_ge_i64_e32 vcc, s[8:9], v[2:3]
	s_cbranch_vccnz .LBB23_307
; %bb.1:
	s_load_dword s0, s[4:5], 0x198
	s_mov_b64 s[2:3], 0
	s_mov_b64 s[14:15], s[8:9]
	s_waitcnt lgkmcnt(0)
	s_cmp_lt_i32 s0, 2
	s_cbranch_scc1 .LBB23_9
; %bb.2:
	s_mov_b32 s16, 0
	s_add_i32 s7, s0, 1
	s_add_i32 s0, s0, -1
	s_mov_b32 s1, s16
	s_lshl_b64 s[0:1], s[0:1], 3
	s_add_u32 s0, s0, s4
	s_addc_u32 s1, s1, s5
	s_add_u32 s18, s0, 8
	s_addc_u32 s19, s1, 0
	s_mov_b64 s[20:21], s[8:9]
.LBB23_3:                               ; =>This Inner Loop Header: Depth=1
	s_load_dwordx2 s[22:23], s[18:19], 0x0
	s_waitcnt lgkmcnt(0)
	s_or_b64 s[0:1], s[20:21], s[22:23]
	s_mov_b32 s17, s1
	s_cmp_lg_u64 s[16:17], 0
	s_cbranch_scc0 .LBB23_8
; %bb.4:                                ;   in Loop: Header=BB23_3 Depth=1
	s_ashr_i32 s14, s23, 31
	s_add_u32 s0, s22, s14
	s_mov_b32 s15, s14
	s_addc_u32 s1, s23, s14
	s_xor_b64 s[24:25], s[0:1], s[14:15]
	v_cvt_f32_u32_e32 v1, s24
	v_cvt_f32_u32_e32 v2, s25
	s_sub_u32 s0, 0, s24
	s_subb_u32 s1, 0, s25
	v_mac_f32_e32 v1, 0x4f800000, v2
	v_rcp_f32_e32 v1, v1
	v_mul_f32_e32 v1, 0x5f7ffffc, v1
	v_mul_f32_e32 v2, 0x2f800000, v1
	v_trunc_f32_e32 v2, v2
	v_mac_f32_e32 v1, 0xcf800000, v2
	v_cvt_u32_f32_e32 v2, v2
	v_cvt_u32_f32_e32 v1, v1
	v_readfirstlane_b32 s13, v2
	v_readfirstlane_b32 s17, v1
	s_mul_i32 s26, s0, s13
	s_mul_hi_u32 s28, s0, s17
	s_mul_i32 s27, s1, s17
	s_add_i32 s26, s28, s26
	s_add_i32 s26, s26, s27
	s_mul_i32 s29, s0, s17
	s_mul_hi_u32 s27, s17, s26
	s_mul_i32 s28, s17, s26
	s_mul_hi_u32 s17, s17, s29
	s_add_u32 s17, s17, s28
	s_addc_u32 s27, 0, s27
	s_mul_hi_u32 s30, s13, s29
	s_mul_i32 s29, s13, s29
	s_add_u32 s17, s17, s29
	s_mul_hi_u32 s28, s13, s26
	s_addc_u32 s17, s27, s30
	s_addc_u32 s27, s28, 0
	s_mul_i32 s26, s13, s26
	s_add_u32 s17, s17, s26
	s_addc_u32 s26, 0, s27
	v_add_co_u32_e32 v1, vcc, s17, v1
	s_cmp_lg_u64 vcc, 0
	s_addc_u32 s13, s13, s26
	v_readfirstlane_b32 s26, v1
	s_mul_i32 s17, s0, s13
	s_mul_hi_u32 s27, s0, s26
	s_add_i32 s17, s27, s17
	s_mul_i32 s1, s1, s26
	s_add_i32 s17, s17, s1
	s_mul_i32 s0, s0, s26
	s_mul_hi_u32 s27, s13, s0
	s_mul_i32 s28, s13, s0
	s_mul_i32 s30, s26, s17
	s_mul_hi_u32 s0, s26, s0
	s_mul_hi_u32 s29, s26, s17
	s_add_u32 s0, s0, s30
	s_addc_u32 s26, 0, s29
	s_add_u32 s0, s0, s28
	s_mul_hi_u32 s1, s13, s17
	s_addc_u32 s0, s26, s27
	s_addc_u32 s1, s1, 0
	s_mul_i32 s17, s13, s17
	s_add_u32 s0, s0, s17
	s_addc_u32 s1, 0, s1
	v_add_co_u32_e32 v1, vcc, s0, v1
	s_cmp_lg_u64 vcc, 0
	s_addc_u32 s13, s13, s1
	s_ashr_i32 s26, s21, 31
	s_add_u32 s0, s20, s26
	s_mov_b32 s27, s26
	s_addc_u32 s1, s21, s26
	s_xor_b64 s[28:29], s[0:1], s[26:27]
	v_readfirstlane_b32 s17, v1
	s_mul_i32 s1, s28, s13
	s_mul_hi_u32 s30, s28, s17
	s_mul_hi_u32 s0, s28, s13
	s_add_u32 s1, s30, s1
	s_addc_u32 s0, 0, s0
	s_mul_hi_u32 s31, s29, s17
	s_mul_i32 s17, s29, s17
	s_add_u32 s1, s1, s17
	s_mul_hi_u32 s30, s29, s13
	s_addc_u32 s0, s0, s31
	s_addc_u32 s1, s30, 0
	s_mul_i32 s13, s29, s13
	s_add_u32 s13, s0, s13
	s_addc_u32 s17, 0, s1
	s_mul_i32 s0, s24, s17
	s_mul_hi_u32 s1, s24, s13
	s_add_i32 s0, s1, s0
	s_mul_i32 s1, s25, s13
	s_add_i32 s30, s0, s1
	s_mul_i32 s1, s24, s13
	v_mov_b32_e32 v1, s1
	s_sub_i32 s0, s29, s30
	v_sub_co_u32_e32 v1, vcc, s28, v1
	s_cmp_lg_u64 vcc, 0
	s_subb_u32 s28, s0, s25
	v_subrev_co_u32_e64 v2, s[0:1], s24, v1
	s_cmp_lg_u64 s[0:1], 0
	s_subb_u32 s0, s28, 0
	s_cmp_ge_u32 s0, s25
	v_readfirstlane_b32 s28, v2
	s_cselect_b32 s1, -1, 0
	s_cmp_ge_u32 s28, s24
	s_cselect_b32 s28, -1, 0
	s_cmp_eq_u32 s0, s25
	s_cselect_b32 s0, s28, s1
	s_add_u32 s1, s13, 1
	s_addc_u32 s28, s17, 0
	s_add_u32 s31, s13, 2
	s_addc_u32 s33, s17, 0
	s_cmp_lg_u32 s0, 0
	s_cselect_b32 s0, s31, s1
	s_cselect_b32 s1, s33, s28
	s_cmp_lg_u64 vcc, 0
	s_subb_u32 s28, s29, s30
	s_cmp_ge_u32 s28, s25
	v_readfirstlane_b32 s30, v1
	s_cselect_b32 s29, -1, 0
	s_cmp_ge_u32 s30, s24
	s_cselect_b32 s24, -1, 0
	s_cmp_eq_u32 s28, s25
	s_cselect_b32 s24, s24, s29
	s_cmp_lg_u32 s24, 0
	s_cselect_b32 s1, s1, s17
	s_cselect_b32 s0, s0, s13
	s_xor_b64 s[14:15], s[26:27], s[14:15]
	s_xor_b64 s[0:1], s[0:1], s[14:15]
	s_sub_u32 s14, s0, s14
	s_subb_u32 s15, s1, s15
	s_cbranch_execnz .LBB23_6
.LBB23_5:                               ;   in Loop: Header=BB23_3 Depth=1
	v_cvt_f32_u32_e32 v1, s22
	s_sub_i32 s0, 0, s22
	s_mov_b32 s15, s16
	v_rcp_iflag_f32_e32 v1, v1
	v_mul_f32_e32 v1, 0x4f7ffffe, v1
	v_cvt_u32_f32_e32 v1, v1
	v_readfirstlane_b32 s1, v1
	s_mul_i32 s0, s0, s1
	s_mul_hi_u32 s0, s1, s0
	s_add_i32 s1, s1, s0
	s_mul_hi_u32 s0, s20, s1
	s_mul_i32 s13, s0, s22
	s_sub_i32 s13, s20, s13
	s_add_i32 s1, s0, 1
	s_sub_i32 s14, s13, s22
	s_cmp_ge_u32 s13, s22
	s_cselect_b32 s0, s1, s0
	s_cselect_b32 s13, s14, s13
	s_add_i32 s1, s0, 1
	s_cmp_ge_u32 s13, s22
	s_cselect_b32 s14, s1, s0
.LBB23_6:                               ;   in Loop: Header=BB23_3 Depth=1
	s_mul_i32 s0, s14, s23
	s_mul_hi_u32 s1, s14, s22
	s_add_i32 s13, s1, s0
	s_load_dwordx2 s[0:1], s[18:19], 0xc8
	s_mul_i32 s17, s15, s22
	s_add_i32 s13, s13, s17
	s_mul_i32 s17, s14, s22
	s_sub_u32 s17, s20, s17
	s_subb_u32 s13, s21, s13
	s_waitcnt lgkmcnt(0)
	s_mul_i32 s13, s0, s13
	s_mul_hi_u32 s20, s0, s17
	s_add_i32 s13, s20, s13
	s_mul_i32 s1, s1, s17
	s_add_i32 s13, s13, s1
	s_mul_i32 s0, s0, s17
	s_add_u32 s2, s0, s2
	s_addc_u32 s3, s13, s3
	s_add_i32 s7, s7, -1
	s_add_u32 s18, s18, -8
	s_addc_u32 s19, s19, -1
	s_cmp_gt_u32 s7, 2
	s_cbranch_scc0 .LBB23_9
; %bb.7:                                ;   in Loop: Header=BB23_3 Depth=1
	s_mov_b64 s[20:21], s[14:15]
	s_branch .LBB23_3
.LBB23_8:                               ;   in Loop: Header=BB23_3 Depth=1
                                        ; implicit-def: $sgpr14_sgpr15
	s_branch .LBB23_5
.LBB23_9:
	s_load_dword s0, s[4:5], 0x358
	s_load_dwordx2 s[16:17], s[4:5], 0xd0
	s_add_u32 s18, s4, 0x1c0
	s_addc_u32 s19, s5, 0
	s_mov_b64 s[40:41], 0
	s_waitcnt lgkmcnt(0)
	s_cmp_lt_i32 s0, 2
	s_mov_b64 s[28:29], s[8:9]
	s_cbranch_scc1 .LBB23_17
; %bb.10:
	s_mov_b32 s20, 0
	s_add_i32 s7, s0, 1
	s_add_i32 s0, s0, -1
	s_mov_b32 s1, s20
	s_lshl_b64 s[0:1], s[0:1], 3
	s_add_u32 s0, s0, s18
	s_addc_u32 s1, s1, s19
	s_add_u32 s22, s0, 8
	s_addc_u32 s23, s1, 0
	s_mov_b64 s[24:25], s[8:9]
.LBB23_11:                              ; =>This Inner Loop Header: Depth=1
	s_load_dwordx2 s[26:27], s[22:23], 0x0
	s_waitcnt lgkmcnt(0)
	s_or_b64 s[0:1], s[24:25], s[26:27]
	s_mov_b32 s21, s1
	s_cmp_lg_u64 s[20:21], 0
	s_cbranch_scc0 .LBB23_16
; %bb.12:                               ;   in Loop: Header=BB23_11 Depth=1
	s_ashr_i32 s28, s27, 31
	s_add_u32 s0, s26, s28
	s_mov_b32 s29, s28
	s_addc_u32 s1, s27, s28
	s_xor_b64 s[30:31], s[0:1], s[28:29]
	v_cvt_f32_u32_e32 v1, s30
	v_cvt_f32_u32_e32 v2, s31
	s_sub_u32 s0, 0, s30
	s_subb_u32 s1, 0, s31
	v_mac_f32_e32 v1, 0x4f800000, v2
	v_rcp_f32_e32 v1, v1
	v_mul_f32_e32 v1, 0x5f7ffffc, v1
	v_mul_f32_e32 v2, 0x2f800000, v1
	v_trunc_f32_e32 v2, v2
	v_mac_f32_e32 v1, 0xcf800000, v2
	v_cvt_u32_f32_e32 v2, v2
	v_cvt_u32_f32_e32 v1, v1
	v_readfirstlane_b32 s13, v2
	v_readfirstlane_b32 s21, v1
	s_mul_i32 s33, s0, s13
	s_mul_hi_u32 s35, s0, s21
	s_mul_i32 s34, s1, s21
	s_add_i32 s33, s35, s33
	s_add_i32 s33, s33, s34
	s_mul_i32 s36, s0, s21
	s_mul_hi_u32 s34, s21, s33
	s_mul_i32 s35, s21, s33
	s_mul_hi_u32 s21, s21, s36
	s_add_u32 s21, s21, s35
	s_addc_u32 s34, 0, s34
	s_mul_hi_u32 s37, s13, s36
	s_mul_i32 s36, s13, s36
	s_add_u32 s21, s21, s36
	s_mul_hi_u32 s35, s13, s33
	s_addc_u32 s21, s34, s37
	s_addc_u32 s34, s35, 0
	s_mul_i32 s33, s13, s33
	s_add_u32 s21, s21, s33
	s_addc_u32 s33, 0, s34
	v_add_co_u32_e32 v1, vcc, s21, v1
	s_cmp_lg_u64 vcc, 0
	s_addc_u32 s13, s13, s33
	v_readfirstlane_b32 s33, v1
	s_mul_i32 s21, s0, s13
	s_mul_hi_u32 s34, s0, s33
	s_add_i32 s21, s34, s21
	s_mul_i32 s1, s1, s33
	s_add_i32 s21, s21, s1
	s_mul_i32 s0, s0, s33
	s_mul_hi_u32 s34, s13, s0
	s_mul_i32 s35, s13, s0
	s_mul_i32 s37, s33, s21
	s_mul_hi_u32 s0, s33, s0
	s_mul_hi_u32 s36, s33, s21
	s_add_u32 s0, s0, s37
	s_addc_u32 s33, 0, s36
	s_add_u32 s0, s0, s35
	s_mul_hi_u32 s1, s13, s21
	s_addc_u32 s0, s33, s34
	s_addc_u32 s1, s1, 0
	s_mul_i32 s21, s13, s21
	s_add_u32 s0, s0, s21
	s_addc_u32 s1, 0, s1
	v_add_co_u32_e32 v1, vcc, s0, v1
	s_cmp_lg_u64 vcc, 0
	s_addc_u32 s13, s13, s1
	s_ashr_i32 s34, s25, 31
	s_add_u32 s0, s24, s34
	s_mov_b32 s35, s34
	s_addc_u32 s1, s25, s34
	s_xor_b64 s[36:37], s[0:1], s[34:35]
	v_readfirstlane_b32 s21, v1
	s_mul_i32 s1, s36, s13
	s_mul_hi_u32 s33, s36, s21
	s_mul_hi_u32 s0, s36, s13
	s_add_u32 s1, s33, s1
	s_addc_u32 s0, 0, s0
	s_mul_hi_u32 s38, s37, s21
	s_mul_i32 s21, s37, s21
	s_add_u32 s1, s1, s21
	s_mul_hi_u32 s33, s37, s13
	s_addc_u32 s0, s0, s38
	s_addc_u32 s1, s33, 0
	s_mul_i32 s13, s37, s13
	s_add_u32 s13, s0, s13
	s_addc_u32 s21, 0, s1
	s_mul_i32 s0, s30, s21
	s_mul_hi_u32 s1, s30, s13
	s_add_i32 s0, s1, s0
	s_mul_i32 s1, s31, s13
	s_add_i32 s33, s0, s1
	s_mul_i32 s1, s30, s13
	v_mov_b32_e32 v1, s1
	s_sub_i32 s0, s37, s33
	v_sub_co_u32_e32 v1, vcc, s36, v1
	s_cmp_lg_u64 vcc, 0
	s_subb_u32 s36, s0, s31
	v_subrev_co_u32_e64 v2, s[0:1], s30, v1
	s_cmp_lg_u64 s[0:1], 0
	s_subb_u32 s0, s36, 0
	s_cmp_ge_u32 s0, s31
	v_readfirstlane_b32 s36, v2
	s_cselect_b32 s1, -1, 0
	s_cmp_ge_u32 s36, s30
	s_cselect_b32 s36, -1, 0
	s_cmp_eq_u32 s0, s31
	s_cselect_b32 s0, s36, s1
	s_add_u32 s1, s13, 1
	s_addc_u32 s36, s21, 0
	s_add_u32 s38, s13, 2
	s_addc_u32 s39, s21, 0
	s_cmp_lg_u32 s0, 0
	s_cselect_b32 s0, s38, s1
	s_cselect_b32 s1, s39, s36
	s_cmp_lg_u64 vcc, 0
	s_subb_u32 s33, s37, s33
	s_cmp_ge_u32 s33, s31
	v_readfirstlane_b32 s37, v1
	s_cselect_b32 s36, -1, 0
	s_cmp_ge_u32 s37, s30
	s_cselect_b32 s30, -1, 0
	s_cmp_eq_u32 s33, s31
	s_cselect_b32 s30, s30, s36
	s_cmp_lg_u32 s30, 0
	s_cselect_b32 s1, s1, s21
	s_cselect_b32 s0, s0, s13
	s_xor_b64 s[28:29], s[34:35], s[28:29]
	s_xor_b64 s[0:1], s[0:1], s[28:29]
	s_sub_u32 s28, s0, s28
	s_subb_u32 s29, s1, s29
	s_cbranch_execnz .LBB23_14
.LBB23_13:                              ;   in Loop: Header=BB23_11 Depth=1
	v_cvt_f32_u32_e32 v1, s26
	s_sub_i32 s0, 0, s26
	s_mov_b32 s29, s20
	v_rcp_iflag_f32_e32 v1, v1
	v_mul_f32_e32 v1, 0x4f7ffffe, v1
	v_cvt_u32_f32_e32 v1, v1
	v_readfirstlane_b32 s1, v1
	s_mul_i32 s0, s0, s1
	s_mul_hi_u32 s0, s1, s0
	s_add_i32 s1, s1, s0
	s_mul_hi_u32 s0, s24, s1
	s_mul_i32 s13, s0, s26
	s_sub_i32 s13, s24, s13
	s_add_i32 s1, s0, 1
	s_sub_i32 s21, s13, s26
	s_cmp_ge_u32 s13, s26
	s_cselect_b32 s0, s1, s0
	s_cselect_b32 s13, s21, s13
	s_add_i32 s1, s0, 1
	s_cmp_ge_u32 s13, s26
	s_cselect_b32 s28, s1, s0
.LBB23_14:                              ;   in Loop: Header=BB23_11 Depth=1
	s_mul_i32 s0, s28, s27
	s_mul_hi_u32 s1, s28, s26
	s_add_i32 s13, s1, s0
	s_load_dwordx2 s[0:1], s[22:23], 0xc8
	s_mul_i32 s21, s29, s26
	s_add_i32 s13, s13, s21
	s_mul_i32 s21, s28, s26
	s_sub_u32 s21, s24, s21
	s_subb_u32 s13, s25, s13
	s_waitcnt lgkmcnt(0)
	s_mul_i32 s13, s0, s13
	s_mul_hi_u32 s24, s0, s21
	s_add_i32 s13, s24, s13
	s_mul_i32 s1, s1, s21
	s_add_i32 s13, s13, s1
	s_mul_i32 s0, s0, s21
	s_add_u32 s40, s0, s40
	s_addc_u32 s41, s13, s41
	s_add_i32 s7, s7, -1
	s_add_u32 s22, s22, -8
	s_addc_u32 s23, s23, -1
	s_cmp_gt_u32 s7, 2
	s_cbranch_scc0 .LBB23_17
; %bb.15:                               ;   in Loop: Header=BB23_11 Depth=1
	s_mov_b64 s[24:25], s[28:29]
	s_branch .LBB23_11
.LBB23_16:                              ;   in Loop: Header=BB23_11 Depth=1
                                        ; implicit-def: $sgpr28_sgpr29
	s_branch .LBB23_13
.LBB23_17:
                                        ; implicit-def: $vgpr55 : SGPR spill to VGPR lane
	s_load_dword s13, s[4:5], 0x4f8
	s_load_dwordx2 s[0:1], s[18:19], 0xd0
	v_writelane_b32 v55, s40, 0
	v_writelane_b32 v55, s41, 1
	;; [unrolled: 1-line block ×4, first 2 shown]
	s_waitcnt lgkmcnt(0)
	v_writelane_b32 v55, s0, 4
	v_writelane_b32 v55, s1, 5
	s_add_u32 s0, s4, 0x360
	s_addc_u32 s1, s5, 0
	s_cmp_lt_i32 s13, 2
	s_mov_b64 s[64:65], 0
                                        ; kill: killed $sgpr18 killed $sgpr19
	s_cbranch_scc1 .LBB23_25
; %bb.18:
	s_mov_b32 s18, 0
	s_add_i32 s20, s13, -1
	s_mov_b32 s21, s18
	s_add_i32 s7, s13, 1
	s_lshl_b64 s[20:21], s[20:21], 3
	s_add_u32 s0, s20, s0
	s_addc_u32 s1, s21, s1
	s_add_u32 s20, s0, 8
	s_addc_u32 s21, s1, 0
.LBB23_19:                              ; =>This Inner Loop Header: Depth=1
	s_load_dwordx2 s[22:23], s[20:21], 0x0
	s_waitcnt lgkmcnt(0)
	s_or_b64 s[0:1], s[8:9], s[22:23]
	s_mov_b32 s19, s1
	s_cmp_lg_u64 s[18:19], 0
	s_cbranch_scc0 .LBB23_24
; %bb.20:                               ;   in Loop: Header=BB23_19 Depth=1
	s_ashr_i32 s24, s23, 31
	s_add_u32 s0, s22, s24
	s_mov_b32 s25, s24
	s_addc_u32 s1, s23, s24
	s_xor_b64 s[26:27], s[0:1], s[24:25]
	v_cvt_f32_u32_e32 v1, s26
	v_cvt_f32_u32_e32 v2, s27
	s_sub_u32 s0, 0, s26
	s_subb_u32 s1, 0, s27
	v_mac_f32_e32 v1, 0x4f800000, v2
	v_rcp_f32_e32 v1, v1
	v_mul_f32_e32 v1, 0x5f7ffffc, v1
	v_mul_f32_e32 v2, 0x2f800000, v1
	v_trunc_f32_e32 v2, v2
	v_mac_f32_e32 v1, 0xcf800000, v2
	v_cvt_u32_f32_e32 v2, v2
	v_cvt_u32_f32_e32 v1, v1
	v_readfirstlane_b32 s13, v2
	v_readfirstlane_b32 s19, v1
	s_mul_i32 s28, s0, s13
	s_mul_hi_u32 s30, s0, s19
	s_mul_i32 s29, s1, s19
	s_add_i32 s28, s30, s28
	s_add_i32 s28, s28, s29
	s_mul_i32 s31, s0, s19
	s_mul_hi_u32 s29, s19, s28
	s_mul_i32 s30, s19, s28
	s_mul_hi_u32 s19, s19, s31
	s_add_u32 s19, s19, s30
	s_addc_u32 s29, 0, s29
	s_mul_hi_u32 s33, s13, s31
	s_mul_i32 s31, s13, s31
	s_add_u32 s19, s19, s31
	s_mul_hi_u32 s30, s13, s28
	s_addc_u32 s19, s29, s33
	s_addc_u32 s29, s30, 0
	s_mul_i32 s28, s13, s28
	s_add_u32 s19, s19, s28
	s_addc_u32 s28, 0, s29
	v_add_co_u32_e32 v1, vcc, s19, v1
	s_cmp_lg_u64 vcc, 0
	s_addc_u32 s13, s13, s28
	v_readfirstlane_b32 s28, v1
	s_mul_i32 s19, s0, s13
	s_mul_hi_u32 s29, s0, s28
	s_add_i32 s19, s29, s19
	s_mul_i32 s1, s1, s28
	s_add_i32 s19, s19, s1
	s_mul_i32 s0, s0, s28
	s_mul_hi_u32 s29, s13, s0
	s_mul_i32 s30, s13, s0
	s_mul_i32 s33, s28, s19
	s_mul_hi_u32 s0, s28, s0
	s_mul_hi_u32 s31, s28, s19
	s_add_u32 s0, s0, s33
	s_addc_u32 s28, 0, s31
	s_add_u32 s0, s0, s30
	s_mul_hi_u32 s1, s13, s19
	s_addc_u32 s0, s28, s29
	s_addc_u32 s1, s1, 0
	s_mul_i32 s19, s13, s19
	s_add_u32 s0, s0, s19
	s_addc_u32 s1, 0, s1
	v_add_co_u32_e32 v1, vcc, s0, v1
	s_cmp_lg_u64 vcc, 0
	s_addc_u32 s13, s13, s1
	s_ashr_i32 s28, s9, 31
	s_add_u32 s0, s8, s28
	s_mov_b32 s29, s28
	s_addc_u32 s1, s9, s28
	s_xor_b64 s[30:31], s[0:1], s[28:29]
	v_readfirstlane_b32 s19, v1
	s_mul_i32 s1, s30, s13
	s_mul_hi_u32 s33, s30, s19
	s_mul_hi_u32 s0, s30, s13
	s_add_u32 s1, s33, s1
	s_addc_u32 s0, 0, s0
	s_mul_hi_u32 s34, s31, s19
	s_mul_i32 s19, s31, s19
	s_add_u32 s1, s1, s19
	s_mul_hi_u32 s33, s31, s13
	s_addc_u32 s0, s0, s34
	s_addc_u32 s1, s33, 0
	s_mul_i32 s13, s31, s13
	s_add_u32 s13, s0, s13
	s_addc_u32 s19, 0, s1
	s_mul_i32 s0, s26, s19
	s_mul_hi_u32 s1, s26, s13
	s_add_i32 s0, s1, s0
	s_mul_i32 s1, s27, s13
	s_add_i32 s33, s0, s1
	s_mul_i32 s1, s26, s13
	v_mov_b32_e32 v1, s1
	s_sub_i32 s0, s31, s33
	v_sub_co_u32_e32 v1, vcc, s30, v1
	s_cmp_lg_u64 vcc, 0
	s_subb_u32 s30, s0, s27
	v_subrev_co_u32_e64 v2, s[0:1], s26, v1
	s_cmp_lg_u64 s[0:1], 0
	s_subb_u32 s0, s30, 0
	s_cmp_ge_u32 s0, s27
	v_readfirstlane_b32 s30, v2
	s_cselect_b32 s1, -1, 0
	s_cmp_ge_u32 s30, s26
	s_cselect_b32 s30, -1, 0
	s_cmp_eq_u32 s0, s27
	s_cselect_b32 s0, s30, s1
	s_add_u32 s1, s13, 1
	s_addc_u32 s30, s19, 0
	s_add_u32 s34, s13, 2
	s_addc_u32 s35, s19, 0
	s_cmp_lg_u32 s0, 0
	s_cselect_b32 s0, s34, s1
	s_cselect_b32 s1, s35, s30
	s_cmp_lg_u64 vcc, 0
	s_subb_u32 s30, s31, s33
	s_cmp_ge_u32 s30, s27
	v_readfirstlane_b32 s33, v1
	s_cselect_b32 s31, -1, 0
	s_cmp_ge_u32 s33, s26
	s_cselect_b32 s26, -1, 0
	s_cmp_eq_u32 s30, s27
	s_cselect_b32 s26, s26, s31
	s_cmp_lg_u32 s26, 0
	s_cselect_b32 s1, s1, s19
	s_cselect_b32 s0, s0, s13
	s_xor_b64 s[24:25], s[28:29], s[24:25]
	s_xor_b64 s[0:1], s[0:1], s[24:25]
	s_sub_u32 s68, s0, s24
	s_subb_u32 s69, s1, s25
	s_cbranch_execnz .LBB23_22
.LBB23_21:                              ;   in Loop: Header=BB23_19 Depth=1
	v_cvt_f32_u32_e32 v1, s22
	s_sub_i32 s0, 0, s22
	s_mov_b32 s69, s18
	v_rcp_iflag_f32_e32 v1, v1
	v_mul_f32_e32 v1, 0x4f7ffffe, v1
	v_cvt_u32_f32_e32 v1, v1
	v_readfirstlane_b32 s1, v1
	s_mul_i32 s0, s0, s1
	s_mul_hi_u32 s0, s1, s0
	s_add_i32 s1, s1, s0
	s_mul_hi_u32 s0, s8, s1
	s_mul_i32 s13, s0, s22
	s_sub_i32 s13, s8, s13
	s_add_i32 s1, s0, 1
	s_sub_i32 s19, s13, s22
	s_cmp_ge_u32 s13, s22
	s_cselect_b32 s0, s1, s0
	s_cselect_b32 s13, s19, s13
	s_add_i32 s1, s0, 1
	s_cmp_ge_u32 s13, s22
	s_cselect_b32 s68, s1, s0
.LBB23_22:                              ;   in Loop: Header=BB23_19 Depth=1
	s_mul_i32 s0, s68, s23
	s_mul_hi_u32 s1, s68, s22
	s_add_i32 s13, s1, s0
	s_load_dwordx2 s[0:1], s[20:21], 0xc8
	s_mul_i32 s19, s69, s22
	s_add_i32 s13, s13, s19
	s_mul_i32 s19, s68, s22
	s_sub_u32 s8, s8, s19
	s_subb_u32 s9, s9, s13
	s_waitcnt lgkmcnt(0)
	s_mul_i32 s9, s0, s9
	s_mul_hi_u32 s13, s0, s8
	s_add_i32 s9, s13, s9
	s_mul_i32 s1, s1, s8
	s_add_i32 s9, s9, s1
	s_mul_i32 s0, s0, s8
	s_add_u32 s64, s0, s64
	s_addc_u32 s65, s9, s65
	s_add_i32 s7, s7, -1
	s_add_u32 s20, s20, -8
	s_addc_u32 s21, s21, -1
	s_cmp_gt_u32 s7, 2
	s_cbranch_scc0 .LBB23_26
; %bb.23:                               ;   in Loop: Header=BB23_19 Depth=1
	s_mov_b64 s[8:9], s[68:69]
	s_branch .LBB23_19
.LBB23_24:                              ;   in Loop: Header=BB23_19 Depth=1
                                        ; implicit-def: $sgpr68_sgpr69
	s_branch .LBB23_21
.LBB23_25:
	s_mov_b64 s[68:69], s[8:9]
.LBB23_26:
	s_load_dwordx2 s[0:1], s[4:5], 0x0
	s_load_dwordx2 s[8:9], s[4:5], 0x1c0
	s_mov_b32 s77, 0
                                        ; kill: killed $sgpr4 killed $sgpr5
	s_waitcnt lgkmcnt(0)
	v_writelane_b32 v55, s8, 6
	v_writelane_b32 v55, s9, 7
	s_load_dwordx2 s[8:9], s[4:5], 0x430
	s_waitcnt lgkmcnt(0)
	v_writelane_b32 v55, s8, 8
	v_writelane_b32 v55, s9, 9
	s_load_dwordx2 s[8:9], s[4:5], 0x360
	s_waitcnt lgkmcnt(0)
	v_writelane_b32 v55, s8, 10
	v_writelane_b32 v55, s9, 11
	v_cmp_eq_u32_e64 s[8:9], 0, v0
	s_mov_b64 s[4:5], exec
	v_writelane_b32 v55, s8, 12
	v_writelane_b32 v55, s9, 13
	s_and_b64 s[8:9], s[4:5], s[8:9]
	s_mov_b64 exec, s[8:9]
	s_cbranch_execz .LBB23_28
; %bb.27:
	v_mov_b32_e32 v2, 0
	v_mov_b32_e32 v4, s56
	;; [unrolled: 1-line block ×4, first 2 shown]
	ds_write_b32 v2, v2 offset:5136
	ds_write_b128 v2, v[2:5] offset:5120
.LBB23_28:
	s_or_b64 exec, exec, s[4:5]
	s_mul_i32 s4, s16, s15
	s_mul_hi_u32 s5, s16, s14
	s_add_i32 s4, s5, s4
	s_mul_i32 s5, s17, s14
	s_add_i32 s5, s4, s5
	s_mul_i32 s4, s16, s14
	s_lshl_b64 s[8:9], s[4:5], 2
	s_lshl_b64 s[80:81], s[2:3], 2
	s_add_u32 s14, s0, s8
	v_mbcnt_lo_u32_b32 v1, -1, 0
	s_addc_u32 s15, s1, s9
	v_mbcnt_hi_u32_b32 v46, -1, v1
	s_add_u32 s4, s14, s80
	v_cmp_gt_u32_e32 vcc, 64, v0
	v_cmp_gt_i32_e64 s[2:3], 4, v46
	s_addc_u32 s5, s15, s81
	s_and_b64 s[52:53], vcc, s[2:3]
	v_cmp_gt_u32_e64 s[2:3], 2, v0
	v_mov_b32_e32 v2, 0x300
	v_writelane_b32 v55, s2, 14
	v_mov_b32_e32 v3, 0
	v_mov_b32_e32 v13, 0
	v_writelane_b32 v55, s3, 15
	v_cmp_gt_i64_e64 s[2:3], s[56:57], v[2:3]
	v_mov_b32_e32 v1, v13
	v_writelane_b32 v55, s2, 16
	v_writelane_b32 v55, s3, 17
	v_cmp_gt_u64_e64 s[2:3], s[56:57], v[0:1]
	v_writelane_b32 v55, s2, 18
	v_writelane_b32 v55, s3, 19
	v_mad_u64_u32 v[2:3], s[2:3], v0, s62, 0
	v_mov_b32_e32 v4, v3
	v_mad_u64_u32 v[4:5], s[2:3], v0, s63, v[4:5]
	v_writelane_b32 v55, s5, 20
	v_writelane_b32 v55, s4, 21
	v_cmp_gt_i64_e64 s[2:3], s[56:57], v[0:1]
	v_writelane_b32 v55, s2, 22
	s_waitcnt lgkmcnt(0)
	s_barrier
	v_writelane_b32 v55, s3, 23
	s_load_dword s2, s[10:11], 0xc
	v_mov_b32_e32 v3, v4
	v_lshlrev_b64 v[4:5], 2, v[2:3]
	v_mov_b32_e32 v6, s5
	v_add_co_u32_e32 v16, vcc, s4, v4
	s_waitcnt lgkmcnt(0)
	s_and_b32 s33, s2, 0xffff
	s_bfe_u32 s3, s2, 0xa0006
	v_cmp_gt_u16_e64 s[4:5], s2, 63
	v_writelane_b32 v55, s4, 24
	s_add_u32 s2, s33, -1
	v_writelane_b32 v55, s5, 25
	s_addc_u32 s4, 0, -1
	s_add_u32 s61, s2, s56
	s_addc_u32 s49, s4, s57
	s_cmp_lt_u32 s6, s12
	v_writelane_b32 v55, s2, 26
	s_cselect_b32 s2, 12, 18
	s_add_u32 s72, s10, s2
	s_addc_u32 s73, s11, 0
	s_add_i32 s2, s3, -1
	s_bfe_u32 s6, s33, 0x30006
	s_cmp_gt_u32 s2, 6
	v_writelane_b32 v55, s4, 27
	s_cselect_b64 s[4:5], -1, 0
	v_writelane_b32 v55, s4, 28
	s_and_b32 s42, s3, 0x3f8
	v_writelane_b32 v55, s5, 29
	s_cmp_lg_u32 s6, 0
	v_writelane_b32 v55, s6, 30
	s_cselect_b64 s[2:3], -1, 0
	v_writelane_b32 v55, s2, 31
	v_writelane_b32 v55, s3, 32
	s_add_u32 s2, s8, s80
	s_addc_u32 s3, s9, s81
	s_add_u32 s2, s0, s2
	v_addc_co_u32_e32 v17, vcc, v6, v5, vcc
	v_lshrrev_b32_e32 v6, 4, v0
	s_addc_u32 s3, s1, s3
	v_and_b32_e32 v48, 60, v6
	v_lshlrev_b32_e32 v6, 2, v46
	v_writelane_b32 v55, s2, 33
	v_and_b32_e32 v49, 0x100, v6
	v_lshlrev_b64 v[6:7], v46, -1
	v_writelane_b32 v55, s3, 34
	s_lshl_b64 s[2:3], s[62:63], 2
	v_lshlrev_b32_e32 v50, 4, v0
	v_not_b32_e32 v19, v7
	v_not_b32_e32 v18, v6
	v_writelane_b32 v55, s2, 35
	v_or_b32_e32 v9, 12, v50
	v_pk_mov_b32 v[6:7], s[14:15], s[14:15] op_sel:[0,1]
	v_writelane_b32 v55, s3, 36
	v_mad_u64_u32 v[20:21], s[2:3], s62, v9, v[6:7]
	v_mov_b32_e32 v8, v21
	v_mad_u64_u32 v[8:9], s[2:3], s63, v9, v[8:9]
	s_lshl_b64 s[2:3], s[62:63], 4
	v_writelane_b32 v55, s2, 37
	v_or_b32_e32 v9, 8, v50
	v_writelane_b32 v55, s3, 38
	v_mad_u64_u32 v[22:23], s[2:3], s62, v9, v[6:7]
	v_mov_b32_e32 v21, v8
	v_mov_b32_e32 v8, v23
	v_mad_u64_u32 v[8:9], s[2:3], s63, v9, v[8:9]
	v_mov_b32_e32 v23, v8
	v_or_b32_e32 v8, 4, v50
	v_mad_u64_u32 v[24:25], s[2:3], s62, v8, v[6:7]
	v_cmp_eq_u32_e64 s[50:51], 0, v46
	v_mov_b32_e32 v6, v25
	v_mad_u64_u32 v[6:7], s[2:3], s63, v8, v[6:7]
	v_lshlrev_b64 v[2:3], 4, v[2:3]
	v_writelane_b32 v55, s50, 39
	v_mov_b32_e32 v25, v6
	v_mov_b32_e32 v6, s15
	v_add_co_u32_e32 v26, vcc, s14, v2
	s_add_u32 s0, s0, s80
	v_writelane_b32 v55, s51, 40
	v_addc_co_u32_e32 v27, vcc, v6, v3, vcc
	s_addc_u32 s1, s1, s81
	v_writelane_b32 v55, s52, 41
	v_mov_b32_e32 v2, s57
	v_add_co_u32_e32 v51, vcc, s56, v0
	s_add_u32 s0, s0, s8
	v_writelane_b32 v55, s53, 42
	v_addc_co_u32_e32 v52, vcc, 0, v2, vcc
	v_mov_b32_e32 v2, 0xc00
	s_addc_u32 s1, s1, s9
	v_writelane_b32 v55, s68, 43
	v_lshl_or_b32 v53, v46, 3, v2
	v_mov_b32_e32 v2, s1
	v_add_co_u32_e32 v10, vcc, s0, v4
	s_mul_i32 s0, s63, s33
	s_mul_hi_u32 s1, s62, s33
	v_writelane_b32 v55, s69, 44
	v_lshlrev_b32_e32 v14, 2, v0
	s_add_i32 s1, s1, s0
	s_mul_i32 s0, s62, s33
	v_writelane_b32 v55, s72, 45
	v_add_u32_e32 v47, 0xc00, v14
	v_mov_b32_e32 v15, v13
	s_mov_b32 s86, s77
	v_addc_co_u32_e32 v11, vcc, v2, v5, vcc
	s_lshl_b64 s[78:79], s[0:1], 2
	s_lshl_b32 s70, s33, 2
	s_mov_b32 s60, 30
	s_mov_b64 s[66:67], 0
	v_mov_b32_e32 v28, 1
	v_cvt_f32_ubyte0_e32 v54, 0
	v_mov_b32_e32 v31, 0
	s_mov_b32 s87, 0
	s_mov_b32 s4, 0
	;; [unrolled: 1-line block ×3, first 2 shown]
	v_writelane_b32 v55, s73, 46
                                        ; implicit-def: $sgpr74_sgpr75
                                        ; implicit-def: $sgpr88_sgpr89
                                        ; implicit-def: $sgpr90_sgpr91
                                        ; implicit-def: $sgpr82_sgpr83
                                        ; implicit-def: $sgpr0_sgpr1
                                        ; implicit-def: $sgpr8_sgpr9
	v_writelane_b32 v55, s42, 47
	s_branch .LBB23_33
.LBB23_29:                              ;   in Loop: Header=BB23_33 Depth=1
	s_xor_b32 s87, s87, 1
	s_add_i32 s5, s60, -2
	s_cmp_eq_u32 s60, 0
	s_mov_b64 s[6:7], 0
	s_cselect_b64 s[14:15], -1, 0
	s_mov_b32 s60, s5
.LBB23_30:                              ;   in Loop: Header=BB23_33 Depth=1
	s_andn2_b64 s[16:17], s[20:21], exec
	s_and_b64 s[6:7], s[6:7], exec
	s_or_b64 s[20:21], s[16:17], s[6:7]
	s_andn2_b64 s[22:23], s[22:23], exec
	s_andn2_b64 s[18:19], s[18:19], exec
	s_orn2_b64 s[14:15], s[14:15], exec
.LBB23_31:                              ;   in Loop: Header=BB23_33 Depth=1
	s_or_b64 exec, exec, s[2:3]
	s_andn2_b64 s[2:3], s[8:9], exec
	s_and_b64 s[6:7], s[20:21], exec
	s_or_b64 s[8:9], s[2:3], s[6:7]
	s_andn2_b64 s[0:1], s[0:1], exec
	s_and_b64 s[2:3], s[22:23], exec
	s_or_b64 s[0:1], s[0:1], s[2:3]
	;; [unrolled: 3-line block ×3, first 2 shown]
	s_orn2_b64 s[18:19], s[14:15], exec
.LBB23_32:                              ;   in Loop: Header=BB23_33 Depth=1
	s_or_b64 exec, exec, s[12:13]
	s_and_b64 s[2:3], exec, s[18:19]
	s_or_b64 s[66:67], s[2:3], s[66:67]
	s_andn2_b64 s[2:3], s[90:91], exec
	s_and_b64 s[6:7], s[8:9], exec
	s_or_b64 s[90:91], s[2:3], s[6:7]
	s_andn2_b64 s[2:3], s[88:89], exec
	s_and_b64 s[6:7], s[0:1], exec
	;; [unrolled: 3-line block ×3, first 2 shown]
	v_mov_b32_e32 v2, s4
	s_or_b64 s[74:75], s[2:3], s[6:7]
	s_andn2_b64 exec, exec, s[66:67]
	s_cbranch_execz .LBB23_303
.LBB23_33:                              ; =>This Loop Header: Depth=1
                                        ;     Child Loop BB23_41 Depth 2
                                        ;     Child Loop BB23_60 Depth 2
	;; [unrolled: 1-line block ×16, first 2 shown]
	ds_read_b128 v[2:5], v13 offset:5120
	s_waitcnt lgkmcnt(0)
	v_readfirstlane_b32 s85, v3
	v_readfirstlane_b32 s84, v2
	v_cmp_gt_i64_e64 s[2:3], s[84:85], 0
	s_and_b64 vcc, exec, s[2:3]
	s_cbranch_vccnz .LBB23_67
; %bb.34:                               ;   in Loop: Header=BB23_33 Depth=1
	v_readlane_b32 s2, v55, 16
	v_readlane_b32 s3, v55, 17
	s_and_b64 vcc, exec, s[2:3]
	s_cbranch_vccz .LBB23_49
; %bb.35:                               ;   in Loop: Header=BB23_33 Depth=1
	s_mov_b64 s[2:3], 0x301
	v_cmp_gt_i64_e32 vcc, s[2:3], v[4:5]
	s_mov_b64 s[2:3], 0
	s_mov_b64 s[6:7], 0
	s_cbranch_vccz .LBB23_54
; %bb.36:                               ;   in Loop: Header=BB23_33 Depth=1
	v_mov_b32_e32 v6, 0
	s_mov_b64 s[6:7], exec
	v_readlane_b32 s12, v55, 18
	v_readlane_b32 s13, v55, 19
	s_and_b64 s[12:13], s[6:7], s[12:13]
	s_mov_b64 exec, s[12:13]
	s_cbranch_execz .LBB23_38
; %bb.37:                               ;   in Loop: Header=BB23_33 Depth=1
	global_load_dword v6, v[16:17], off
.LBB23_38:                              ;   in Loop: Header=BB23_33 Depth=1
	s_or_b64 exec, exec, s[6:7]
	s_mov_b64 s[14:15], exec
	v_readlane_b32 s6, v55, 18
	v_readlane_b32 s7, v55, 19
	s_and_b64 s[6:7], s[14:15], s[6:7]
	s_mov_b64 exec, s[6:7]
	s_cbranch_execz .LBB23_50
; %bb.39:                               ;   in Loop: Header=BB23_33 Depth=1
	global_load_ushort v7, v13, s[72:73]
	v_readlane_b32 s6, v55, 33
	v_readlane_b32 s7, v55, 34
	v_pk_mov_b32 v[2:3], s[6:7], s[6:7] op_sel:[0,1]
	v_readlane_b32 s18, v55, 35
	v_readlane_b32 s19, v55, 36
	s_mov_b64 s[16:17], 0
	s_waitcnt vmcnt(0)
	v_readfirstlane_b32 s5, v7
	s_and_b32 s5, 0xffff, s5
	v_add_u32_e32 v5, s5, v0
	v_mad_u64_u32 v[2:3], s[6:7], s18, v5, v[2:3]
	v_mov_b32_e32 v4, v3
	s_mul_i32 s12, s19, s5
	s_mul_hi_u32 s13, s18, s5
	v_mad_u64_u32 v[4:5], s[6:7], s19, v5, v[4:5]
	s_mul_i32 s5, s18, s5
	s_add_i32 s24, s13, s12
	v_mov_b32_e32 v3, v4
	v_pk_mov_b32 v[4:5], v[0:1], v[0:1] op_sel:[0,1]
	s_branch .LBB23_41
.LBB23_40:                              ;   in Loop: Header=BB23_41 Depth=2
	s_or_b64 exec, exec, s[6:7]
	v_mov_b32_e32 v6, s24
	v_add_co_u32_e32 v2, vcc, s5, v2
	v_addc_co_u32_e32 v3, vcc, v3, v6, vcc
	s_waitcnt vmcnt(0)
	v_mov_b32_e32 v6, v8
	s_andn2_b64 exec, exec, s[16:17]
	s_cbranch_execz .LBB23_50
.LBB23_41:                              ;   Parent Loop BB23_33 Depth=1
                                        ; =>  This Inner Loop Header: Depth=2
	v_add_co_u32_sdwa v4, vcc, v4, v7 dst_sel:DWORD dst_unused:UNUSED_PAD src0_sel:DWORD src1_sel:WORD_0
	v_addc_co_u32_e32 v5, vcc, 0, v5, vcc
	v_cmp_gt_i64_e64 s[6:7], s[56:57], v[4:5]
	v_cmp_le_i64_e32 vcc, s[56:57], v[4:5]
	s_waitcnt lgkmcnt(0)
	v_mov_b32_e32 v9, 0
	v_mov_b32_e32 v8, 0
	s_and_saveexec_b64 s[12:13], s[6:7]
	s_cbranch_execz .LBB23_43
; %bb.42:                               ;   in Loop: Header=BB23_41 Depth=2
	global_load_dword v8, v[2:3], off
.LBB23_43:                              ;   in Loop: Header=BB23_41 Depth=2
	s_or_b64 exec, exec, s[12:13]
	v_xor_b32_e32 v12, 0x80000000, v6
	v_and_b32_e32 v12, s71, v12
	v_cmp_eq_u32_e64 s[12:13], s4, v12
	s_cmp_lg_u64 s[12:13], 0
	s_cselect_b64 s[6:7], -1, 0
	s_and_b64 s[6:7], s[50:51], s[6:7]
	s_and_saveexec_b64 s[18:19], s[6:7]
	s_cbranch_execz .LBB23_47
; %bb.44:                               ;   in Loop: Header=BB23_41 Depth=2
	s_mov_b64 s[22:23], exec
	v_mbcnt_lo_u32_b32 v9, s22, 0
	v_mbcnt_hi_u32_b32 v9, s23, v9
	s_bcnt1_i32_b64 s25, s[12:13]
	v_cmp_eq_u32_e64 s[6:7], 0, v9
                                        ; implicit-def: $vgpr12
	s_and_saveexec_b64 s[20:21], s[6:7]
	s_cbranch_execz .LBB23_46
; %bb.45:                               ;   in Loop: Header=BB23_41 Depth=2
	s_bcnt1_i32_b64 s6, s[22:23]
	s_mul_i32 s6, s25, s6
	v_mov_b32_e32 v12, s6
	ds_add_rtn_u32 v12, v13, v12 offset:5136
.LBB23_46:                              ;   in Loop: Header=BB23_41 Depth=2
	s_or_b64 exec, exec, s[20:21]
	s_waitcnt lgkmcnt(0)
	v_readfirstlane_b32 s6, v12
	v_mov_b32_e32 v12, s6
	v_mad_u32_u24 v9, s25, v9, v12
.LBB23_47:                              ;   in Loop: Header=BB23_41 Depth=2
	s_or_b64 exec, exec, s[18:19]
	ds_bpermute_b32 v9, v49, v9
	s_and_b64 s[6:7], exec, vcc
	s_or_b64 s[16:17], s[6:7], s[16:17]
	s_and_saveexec_b64 s[6:7], s[12:13]
	s_cbranch_execz .LBB23_40
; %bb.48:                               ;   in Loop: Header=BB23_41 Depth=2
	v_and_b32_e32 v29, s12, v18
	v_and_b32_e32 v12, s13, v19
	v_bcnt_u32_b32 v29, v29, 0
	v_bcnt_u32_b32 v12, v12, v29
	v_lshlrev_b32_e32 v12, 2, v12
	s_waitcnt lgkmcnt(0)
	v_lshl_add_u32 v9, v9, 2, v12
	ds_write_b32 v9, v6
	s_branch .LBB23_40
.LBB23_49:                              ;   in Loop: Header=BB23_33 Depth=1
	s_mov_b64 s[2:3], -1
	s_mov_b64 s[6:7], 0
	s_branch .LBB23_53
.LBB23_50:                              ;   in Loop: Header=BB23_33 Depth=1
	s_or_b64 exec, exec, s[14:15]
	s_waitcnt lgkmcnt(0)
	s_barrier
	s_mov_b64 s[6:7], exec
	v_readlane_b32 s12, v55, 12
	v_readlane_b32 s13, v55, 13
	s_and_b64 s[12:13], s[6:7], s[12:13]
	s_mov_b64 exec, s[12:13]
	s_cbranch_execz .LBB23_52
; %bb.51:                               ;   in Loop: Header=BB23_33 Depth=1
	ds_read_b32 v2, v13 offset:5136
	s_waitcnt lgkmcnt(0)
	v_ashrrev_i32_e32 v3, 31, v2
	ds_write_b64 v13, v[2:3] offset:5120
.LBB23_52:                              ;   in Loop: Header=BB23_33 Depth=1
	s_or_b64 exec, exec, s[6:7]
	s_waitcnt lgkmcnt(0)
	s_barrier
	s_mov_b64 s[6:7], -1
.LBB23_53:                              ;   in Loop: Header=BB23_33 Depth=1
                                        ; implicit-def: $sgpr84_sgpr85
.LBB23_54:                              ;   in Loop: Header=BB23_33 Depth=1
	s_and_b64 vcc, exec, s[2:3]
	s_cbranch_vccz .LBB23_65
; %bb.55:                               ;   in Loop: Header=BB23_33 Depth=1
	s_waitcnt vmcnt(0)
	v_mov_b32_e32 v6, 0
	s_mov_b64 s[2:3], exec
	v_readlane_b32 s6, v55, 22
	v_readlane_b32 s7, v55, 23
	s_and_b64 s[6:7], s[2:3], s[6:7]
	s_mov_b64 exec, s[6:7]
	s_cbranch_execz .LBB23_57
; %bb.56:                               ;   in Loop: Header=BB23_33 Depth=1
	global_load_dword v6, v[16:17], off
.LBB23_57:                              ;   in Loop: Header=BB23_33 Depth=1
	s_or_b64 exec, exec, s[2:3]
	s_mov_b64 s[2:3], exec
	v_readlane_b32 s6, v55, 22
	v_readlane_b32 s7, v55, 23
	s_and_b64 s[6:7], s[2:3], s[6:7]
	s_mov_b64 exec, s[6:7]
	s_cbranch_execz .LBB23_62
; %bb.58:                               ;   in Loop: Header=BB23_33 Depth=1
	global_load_ushort v7, v13, s[72:73]
	v_readlane_b32 s6, v55, 33
	v_readlane_b32 s7, v55, 34
	v_pk_mov_b32 v[2:3], s[6:7], s[6:7] op_sel:[0,1]
	v_readlane_b32 s18, v55, 35
	v_readlane_b32 s19, v55, 36
	s_mov_b64 s[12:13], 0
	v_mov_b32_e32 v8, v14
	s_waitcnt vmcnt(0)
	v_readfirstlane_b32 s5, v7
	s_and_b32 s6, 0xffff, s5
	v_add_u32_e32 v5, s6, v0
	s_lshl_b32 s5, s6, 2
	s_mul_i32 s14, s19, s6
	s_mul_hi_u32 s15, s18, s6
	s_mul_i32 s16, s18, s6
	v_mad_u64_u32 v[2:3], s[6:7], s18, v5, v[2:3]
	v_mov_b32_e32 v4, v3
	v_mad_u64_u32 v[4:5], s[6:7], s19, v5, v[4:5]
	s_add_i32 s17, s15, s14
	v_mov_b32_e32 v3, v4
	v_pk_mov_b32 v[4:5], v[0:1], v[0:1] op_sel:[0,1]
	s_branch .LBB23_60
.LBB23_59:                              ;   in Loop: Header=BB23_60 Depth=2
	s_or_b64 exec, exec, s[14:15]
	s_and_b64 s[6:7], exec, vcc
	ds_write_b32 v8, v6
	v_mov_b32_e32 v6, s17
	v_add_co_u32_e32 v2, vcc, s16, v2
	s_or_b64 s[12:13], s[6:7], s[12:13]
	v_add_u32_e32 v8, s5, v8
	v_addc_co_u32_e32 v3, vcc, v3, v6, vcc
	s_waitcnt vmcnt(0)
	v_mov_b32_e32 v6, v9
	s_andn2_b64 exec, exec, s[12:13]
	s_cbranch_execz .LBB23_62
.LBB23_60:                              ;   Parent Loop BB23_33 Depth=1
                                        ; =>  This Inner Loop Header: Depth=2
	v_add_co_u32_sdwa v4, vcc, v4, v7 dst_sel:DWORD dst_unused:UNUSED_PAD src0_sel:DWORD src1_sel:WORD_0
	v_addc_co_u32_e32 v5, vcc, 0, v5, vcc
	v_cmp_gt_i64_e64 s[6:7], s[56:57], v[4:5]
	v_cmp_le_i64_e32 vcc, s[56:57], v[4:5]
	v_mov_b32_e32 v9, 0
	s_and_saveexec_b64 s[14:15], s[6:7]
	s_cbranch_execz .LBB23_59
; %bb.61:                               ;   in Loop: Header=BB23_60 Depth=2
	global_load_dword v9, v[2:3], off
	s_branch .LBB23_59
.LBB23_62:                              ;   in Loop: Header=BB23_33 Depth=1
	s_or_b64 exec, exec, s[2:3]
	s_waitcnt lgkmcnt(0)
	s_barrier
	s_mov_b64 s[2:3], exec
	v_readlane_b32 s6, v55, 12
	v_readlane_b32 s7, v55, 13
	s_and_b64 s[6:7], s[2:3], s[6:7]
	s_mov_b64 exec, s[6:7]
	s_cbranch_execz .LBB23_64
; %bb.63:                               ;   in Loop: Header=BB23_33 Depth=1
	v_pk_mov_b32 v[2:3], s[56:57], s[56:57] op_sel:[0,1]
	ds_write_b64 v13, v[2:3] offset:5120
.LBB23_64:                              ;   in Loop: Header=BB23_33 Depth=1
	s_or_b64 exec, exec, s[2:3]
	s_mov_b64 s[6:7], -1
	s_waitcnt lgkmcnt(0)
	s_barrier
                                        ; implicit-def: $sgpr84_sgpr85
.LBB23_65:                              ;   in Loop: Header=BB23_33 Depth=1
	s_and_b64 vcc, exec, s[6:7]
	s_cbranch_vccz .LBB23_67
; %bb.66:                               ;   in Loop: Header=BB23_33 Depth=1
	ds_read_b64 v[2:3], v13 offset:5120
	s_waitcnt lgkmcnt(0)
	v_readfirstlane_b32 s84, v2
.LBB23_67:                              ;   in Loop: Header=BB23_33 Depth=1
	s_cmp_lt_i32 s84, 1
	s_cbranch_scc0 .LBB23_82
; %bb.68:                               ;   in Loop: Header=BB23_33 Depth=1
	global_load_ushort v2, v13, s[72:73]
	s_mov_b32 s2, s77
	s_waitcnt vmcnt(0)
	v_readfirstlane_b32 s3, v2
	s_and_b32 s5, s3, 0xffff
	s_lshl_b32 s76, s5, 2
	s_mov_b32 s3, s57
	s_cmp_lg_u64 s[2:3], 0
	s_cbranch_scc0 .LBB23_102
; %bb.69:                               ;   in Loop: Header=BB23_33 Depth=1
	v_cvt_f32_u32_e32 v2, s76
	s_sub_u32 s2, 0, s76
	s_subb_u32 s3, 0, 0
	v_mac_f32_e32 v2, 0x4f800000, v54
	v_rcp_f32_e32 v2, v2
	v_mul_f32_e32 v2, 0x5f7ffffc, v2
	v_mul_f32_e32 v3, 0x2f800000, v2
	v_trunc_f32_e32 v3, v3
	v_mac_f32_e32 v2, 0xcf800000, v3
	v_cvt_u32_f32_e32 v3, v3
	v_cvt_u32_f32_e32 v2, v2
	v_readfirstlane_b32 s6, v3
	v_readfirstlane_b32 s7, v2
	s_mul_i32 s12, s2, s6
	s_mul_hi_u32 s14, s2, s7
	s_mul_i32 s13, s3, s7
	s_add_i32 s12, s14, s12
	s_mul_i32 s15, s2, s7
	s_add_i32 s12, s12, s13
	s_mul_hi_u32 s14, s7, s15
	s_mul_hi_u32 s13, s7, s12
	s_mul_i32 s7, s7, s12
	s_add_u32 s7, s14, s7
	s_addc_u32 s13, 0, s13
	s_mul_hi_u32 s16, s6, s15
	s_mul_i32 s15, s6, s15
	s_add_u32 s7, s7, s15
	s_mul_hi_u32 s14, s6, s12
	s_addc_u32 s7, s13, s16
	s_addc_u32 s13, s14, 0
	s_mul_i32 s12, s6, s12
	s_add_u32 s7, s7, s12
	s_addc_u32 s12, 0, s13
	v_add_co_u32_e32 v2, vcc, s7, v2
	s_cmp_lg_u64 vcc, 0
	s_addc_u32 s6, s6, s12
	v_readfirstlane_b32 s12, v2
	s_mul_i32 s7, s2, s6
	s_mul_hi_u32 s13, s2, s12
	s_add_i32 s7, s13, s7
	s_mul_i32 s3, s3, s12
	s_add_i32 s7, s7, s3
	s_mul_i32 s2, s2, s12
	s_mul_hi_u32 s13, s6, s2
	s_mul_i32 s14, s6, s2
	s_mul_i32 s16, s12, s7
	s_mul_hi_u32 s2, s12, s2
	s_mul_hi_u32 s15, s12, s7
	s_add_u32 s2, s2, s16
	s_addc_u32 s12, 0, s15
	s_add_u32 s2, s2, s14
	s_mul_hi_u32 s3, s6, s7
	s_addc_u32 s2, s12, s13
	s_addc_u32 s3, s3, 0
	s_mul_i32 s7, s6, s7
	s_add_u32 s2, s2, s7
	s_addc_u32 s3, 0, s3
	v_add_co_u32_e32 v2, vcc, s2, v2
	s_cmp_lg_u64 vcc, 0
	s_addc_u32 s12, s6, s3
	s_ashr_i32 s2, s57, 31
	s_add_u32 s6, s56, s2
	s_mov_b32 s3, s2
	s_addc_u32 s7, s57, s2
	s_xor_b64 s[6:7], s[6:7], s[2:3]
	v_readfirstlane_b32 s14, v2
	s_mul_i32 s13, s6, s12
	s_mul_hi_u32 s15, s6, s14
	s_mul_hi_u32 s3, s6, s12
	s_add_u32 s13, s15, s13
	s_addc_u32 s3, 0, s3
	s_mul_hi_u32 s16, s7, s14
	s_mul_i32 s14, s7, s14
	s_add_u32 s13, s13, s14
	s_mul_hi_u32 s15, s7, s12
	s_addc_u32 s3, s3, s16
	s_addc_u32 s13, s15, 0
	s_mul_i32 s12, s7, s12
	s_add_u32 s3, s3, s12
	s_addc_u32 s12, 0, s13
	s_mul_hi_u32 s13, s76, s3
	s_mul_i32 s3, s76, s3
	s_mul_i32 s12, s76, s12
	v_mov_b32_e32 v2, s3
	s_add_i32 s13, s13, s12
	v_sub_co_u32_e32 v2, vcc, s6, v2
	s_cmp_lg_u64 vcc, 0
	s_subb_u32 s3, s7, s13
	v_subrev_co_u32_e32 v3, vcc, s76, v2
	s_cmp_lg_u64 vcc, 0
	s_subb_u32 s6, s3, 0
	v_subrev_co_u32_e32 v4, vcc, s76, v3
	s_cmp_lg_u64 vcc, 0
	s_subb_u32 s7, s6, 0
	v_cmp_le_u32_e32 vcc, s76, v3
	s_cmp_eq_u32 s6, 0
	v_cndmask_b32_e64 v5, 0, -1, vcc
	s_cselect_b64 vcc, -1, 0
	v_cndmask_b32_e32 v5, -1, v5, vcc
	v_mov_b32_e32 v6, s6
	v_mov_b32_e32 v7, s7
	v_cmp_ne_u32_e32 vcc, 0, v5
	v_cndmask_b32_e32 v5, v6, v7, vcc
	v_cndmask_b32_e32 v3, v3, v4, vcc
	v_cmp_le_u32_e32 vcc, s76, v2
	s_cmp_eq_u32 s3, 0
	v_cndmask_b32_e64 v4, 0, -1, vcc
	s_cselect_b64 vcc, -1, 0
	v_cndmask_b32_e32 v4, -1, v4, vcc
	v_cmp_ne_u32_e32 vcc, 0, v4
	v_mov_b32_e32 v6, s3
	v_cndmask_b32_e32 v2, v2, v3, vcc
	v_cndmask_b32_e32 v4, v6, v5, vcc
	v_xor_b32_e32 v2, s2, v2
	v_xor_b32_e32 v3, s2, v4
	v_mov_b32_e32 v4, s2
	v_subrev_co_u32_e32 v32, vcc, s2, v2
	v_subb_co_u32_e32 v33, vcc, v3, v4, vcc
	s_cbranch_execnz .LBB23_71
.LBB23_70:                              ;   in Loop: Header=BB23_33 Depth=1
	v_cvt_f32_u32_e32 v2, s76
	s_sub_i32 s2, 0, s76
	v_rcp_iflag_f32_e32 v2, v2
	v_mul_f32_e32 v2, 0x4f7ffffe, v2
	v_cvt_u32_f32_e32 v2, v2
	v_mul_lo_u32 v3, s2, v2
	v_mul_hi_u32 v3, v2, v3
	v_add_u32_e32 v2, v2, v3
	v_mul_hi_u32 v2, s56, v2
	v_mul_lo_u32 v2, v2, s76
	v_sub_u32_e32 v2, s56, v2
	v_subrev_u32_e32 v3, s76, v2
	v_cmp_le_u32_e32 vcc, s76, v2
	v_cndmask_b32_e32 v2, v2, v3, vcc
	v_subrev_u32_e32 v3, s76, v2
	v_cmp_le_u32_e32 vcc, s76, v2
	v_cndmask_b32_e32 v12, v2, v3, vcc
	v_pk_mov_b32 v[32:33], v[12:13], v[12:13] op_sel:[0,1]
.LBB23_71:                              ;   in Loop: Header=BB23_33 Depth=1
	v_mov_b32_e32 v2, s57
	v_sub_co_u32_e32 v34, vcc, s56, v32
	v_subb_co_u32_e32 v35, vcc, v2, v33, vcc
	v_pk_mov_b32 v[2:3], 0, 0
	v_cmp_gt_i64_e32 vcc, v[34:35], v[14:15]
	s_mov_b64 s[94:95], 0
	v_pk_mov_b32 v[4:5], v[2:3], v[2:3] op_sel:[0,1]
	v_pk_mov_b32 v[6:7], v[2:3], v[2:3] op_sel:[0,1]
	;; [unrolled: 1-line block ×3, first 2 shown]
	s_and_saveexec_b64 s[2:3], vcc
	s_cbranch_execz .LBB23_75
; %bb.72:                               ;   in Loop: Header=BB23_33 Depth=1
	v_readlane_b32 s12, v55, 37
	v_readlane_b32 s13, v55, 38
	s_mul_i32 s6, s13, s5
	s_mul_hi_u32 s7, s12, s5
	s_mov_b64 s[54:55], s[88:89]
	s_mov_b64 s[10:11], s[74:75]
	;; [unrolled: 1-line block ×5, first 2 shown]
	s_mov_b32 s93, s49
	s_mov_b32 s68, s61
	s_mov_b32 s92, s60
	s_and_b32 s85, s60, 0xfe
	s_add_i32 s60, s7, s6
	s_mul_i32 s61, s12, s5
	v_pk_mov_b32 v[36:37], v[26:27], v[26:27] op_sel:[0,1]
	v_pk_mov_b32 v[38:39], v[24:25], v[24:25] op_sel:[0,1]
	;; [unrolled: 1-line block ×4, first 2 shown]
	s_mov_b64 s[28:29], 0
	s_mov_b64 s[72:73], 0
	;; [unrolled: 1-line block ×4, first 2 shown]
	v_pk_mov_b32 v[44:45], v[14:15], v[14:15] op_sel:[0,1]
.LBB23_73:                              ;   Parent Loop BB23_33 Depth=1
                                        ; =>  This Inner Loop Header: Depth=2
	v_mov_b32_e32 v7, s81
	v_add_co_u32_e32 v2, vcc, s80, v38
	v_add_co_u32_e64 v8, s[20:21], s80, v36
	v_add_co_u32_e64 v4, s[12:13], s80, v40
	;; [unrolled: 1-line block ×3, first 2 shown]
	v_addc_co_u32_e64 v9, s[20:21], v37, v7, s[20:21]
	v_addc_co_u32_e32 v3, vcc, v39, v7, vcc
	v_addc_co_u32_e64 v5, vcc, v41, v7, s[12:13]
	v_addc_co_u32_e64 v7, vcc, v43, v7, s[14:15]
	global_load_dword v8, v[8:9], off
	s_nop 0
	global_load_dword v2, v[2:3], off
	s_nop 0
	;; [unrolled: 2-line block ×3, first 2 shown]
	global_load_dword v4, v[6:7], off
	v_mov_b32_e32 v12, s60
	v_add_co_u32_e64 v42, s[6:7], s61, v42
	v_add_co_u32_e64 v38, s[18:19], s61, v38
	;; [unrolled: 1-line block ×4, first 2 shown]
	v_addc_co_u32_e64 v43, vcc, v43, v12, s[6:7]
	v_addc_co_u32_e64 v39, vcc, v39, v12, s[18:19]
	v_addc_co_u32_e64 v45, s[24:25], 0, v45, s[24:25]
	v_addc_co_u32_e64 v41, vcc, v41, v12, s[16:17]
	v_add_co_u32_e64 v36, s[22:23], s61, v36
	v_addc_co_u32_e64 v37, vcc, v37, v12, s[22:23]
	v_cmp_ge_i64_e32 vcc, v[44:45], v[34:35]
	s_waitcnt vmcnt(3)
	v_xor_b32_e32 v5, 0x80000000, v8
	s_waitcnt vmcnt(2)
	v_xor_b32_e32 v2, 0x80000000, v2
	v_and_b32_e32 v6, s71, v5
	v_bfe_u32 v5, v5, s85, 2
	s_waitcnt vmcnt(1)
	v_xor_b32_e32 v3, 0x80000000, v3
	v_and_b32_e32 v7, s71, v2
	v_bfe_u32 v2, v2, s85, 2
	v_cmp_eq_u32_e64 s[18:19], s4, v6
	v_cmp_eq_u32_e64 s[6:7], 0, v5
	s_waitcnt vmcnt(0)
	v_xor_b32_e32 v4, 0x80000000, v4
	v_and_b32_e32 v8, s71, v3
	v_bfe_u32 v3, v3, s85, 2
	v_cmp_eq_u32_e64 s[16:17], s4, v7
	v_cmp_eq_u32_e64 s[30:31], 0, v2
	s_and_b64 s[6:7], s[18:19], s[6:7]
	v_and_b32_e32 v9, s71, v4
	v_bfe_u32 v4, v4, s85, 2
	v_cmp_eq_u32_e64 s[14:15], s4, v8
	v_cmp_eq_u32_e64 s[34:35], 0, v3
	;; [unrolled: 1-line block ×5, first 2 shown]
	v_cndmask_b32_e64 v2, 0, 1, s[6:7]
	s_and_b64 s[6:7], s[16:17], s[30:31]
	v_cmp_eq_u32_e64 s[12:13], s4, v9
	v_cmp_eq_u32_e64 s[36:37], 0, v4
	;; [unrolled: 1-line block ×5, first 2 shown]
	v_cndmask_b32_e64 v3, 0, 1, s[6:7]
	s_and_b64 s[6:7], s[14:15], s[34:35]
	v_cmp_eq_u32_e64 s[44:45], 1, v4
	v_cmp_eq_u32_e64 s[52:53], 2, v4
	;; [unrolled: 1-line block ×3, first 2 shown]
	v_cndmask_b32_e64 v4, 0, 1, s[6:7]
	s_and_b64 s[6:7], s[12:13], s[36:37]
	v_cmp_eq_u32_e64 s[38:39], 1, v5
	v_cmp_eq_u32_e64 s[46:47], 2, v5
	;; [unrolled: 1-line block ×3, first 2 shown]
	v_cndmask_b32_e64 v5, 0, 1, s[6:7]
	v_cmp_ne_u32_e64 s[6:7], 0, v2
	v_cmp_ne_u32_e64 s[30:31], 0, v3
	v_cmp_ne_u32_e64 s[34:35], 0, v4
	v_cmp_ne_u32_e64 s[36:37], 0, v5
	s_bcnt1_i32_b64 s6, s[6:7]
	s_bcnt1_i32_b64 s7, s[30:31]
	s_bcnt1_i32_b64 s30, s[34:35]
	s_bcnt1_i32_b64 s31, s[36:37]
	s_add_u32 s6, s6, s88
	s_addc_u32 s34, 0, s89
	s_add_u32 s6, s6, s7
	s_addc_u32 s7, s34, 0
	s_add_u32 s6, s6, s30
	s_addc_u32 s7, s7, 0
	s_add_u32 s88, s6, s31
	s_addc_u32 s89, s7, 0
	s_and_b64 s[6:7], s[18:19], s[38:39]
	v_cndmask_b32_e64 v4, 0, 1, s[6:7]
	s_and_b64 s[6:7], s[16:17], s[40:41]
	v_cndmask_b32_e64 v5, 0, 1, s[6:7]
	s_and_b64 s[6:7], s[14:15], s[42:43]
	v_cndmask_b32_e64 v6, 0, 1, s[6:7]
	s_and_b64 s[6:7], s[12:13], s[44:45]
	v_cndmask_b32_e64 v7, 0, 1, s[6:7]
	v_cmp_ne_u32_e64 s[6:7], 0, v4
	v_cmp_ne_u32_e64 s[30:31], 0, v5
	v_cmp_ne_u32_e64 s[34:35], 0, v6
	v_cmp_ne_u32_e64 s[36:37], 0, v7
	s_bcnt1_i32_b64 s6, s[6:7]
	s_bcnt1_i32_b64 s7, s[30:31]
	s_bcnt1_i32_b64 s30, s[34:35]
	s_bcnt1_i32_b64 s31, s[36:37]
	s_add_u32 s6, s6, s82
	s_addc_u32 s34, 0, s83
	s_add_u32 s6, s6, s7
	s_addc_u32 s7, s34, 0
	s_add_u32 s6, s6, s30
	s_addc_u32 s7, s7, 0
	s_add_u32 s82, s6, s31
	s_addc_u32 s83, s7, 0
	s_and_b64 s[6:7], s[18:19], s[46:47]
	v_cndmask_b32_e64 v6, 0, 1, s[6:7]
	s_and_b64 s[6:7], s[16:17], s[48:49]
	v_cndmask_b32_e64 v7, 0, 1, s[6:7]
	s_and_b64 s[6:7], s[14:15], s[50:51]
	v_cndmask_b32_e64 v8, 0, 1, s[6:7]
	s_and_b64 s[6:7], s[12:13], s[52:53]
	;; [unrolled: 24-line block ×3, first 2 shown]
	v_cndmask_b32_e64 v29, 0, 1, s[6:7]
	v_cmp_ne_u32_e64 s[6:7], 0, v8
	v_cmp_ne_u32_e64 s[12:13], 0, v9
	;; [unrolled: 1-line block ×4, first 2 shown]
	s_bcnt1_i32_b64 s6, s[6:7]
	s_bcnt1_i32_b64 s7, s[12:13]
	;; [unrolled: 1-line block ×4, first 2 shown]
	s_add_u32 s6, s6, s28
	s_addc_u32 s14, 0, s29
	s_add_u32 s6, s6, s7
	s_addc_u32 s7, s14, 0
	;; [unrolled: 2-line block ×4, first 2 shown]
	v_pk_mov_b32 v[2:3], s[88:89], s[88:89] op_sel:[0,1]
	v_pk_mov_b32 v[4:5], s[82:83], s[82:83] op_sel:[0,1]
	;; [unrolled: 1-line block ×3, first 2 shown]
	s_or_b64 s[94:95], vcc, s[94:95]
	v_pk_mov_b32 v[8:9], s[28:29], s[28:29] op_sel:[0,1]
	s_andn2_b64 exec, exec, s[94:95]
	s_cbranch_execnz .LBB23_73
; %bb.74:                               ;   in Loop: Header=BB23_33 Depth=1
	s_or_b64 exec, exec, s[94:95]
	v_readlane_b32 s50, v55, 39
	v_readlane_b32 s52, v55, 41
	s_mov_b32 s61, s68
	v_readlane_b32 s68, v55, 43
	v_readlane_b32 s72, v55, 45
	;; [unrolled: 1-line block ×5, first 2 shown]
	s_mov_b32 s49, s93
	v_readlane_b32 s73, v55, 46
	s_mov_b32 s60, s92
	s_mov_b64 s[82:83], s[0:1]
	s_mov_b64 s[0:1], s[8:9]
	;; [unrolled: 1-line block ×5, first 2 shown]
	v_readlane_b32 s42, v55, 47
.LBB23_75:                              ;   in Loop: Header=BB23_33 Depth=1
	s_or_b64 exec, exec, s[2:3]
	v_add_co_u32_e32 v34, vcc, v34, v0
	v_addc_co_u32_e32 v35, vcc, 0, v35, vcc
	v_cmp_gt_i64_e32 vcc, s[56:57], v[34:35]
	v_mov_b32_e32 v12, 0
	s_and_saveexec_b64 s[2:3], vcc
	s_cbranch_execz .LBB23_77
; %bb.76:                               ;   in Loop: Header=BB23_33 Depth=1
	v_mul_lo_u32 v12, v35, s62
	v_mul_lo_u32 v29, v34, s63
	v_mad_u64_u32 v[36:37], s[6:7], v34, s62, 0
	v_add3_u32 v37, v37, v29, v12
	v_readlane_b32 s6, v55, 20
	v_lshlrev_b64 v[36:37], 2, v[36:37]
	v_mov_b32_e32 v12, s6
	v_readlane_b32 s6, v55, 21
	v_add_co_u32_e64 v36, s[6:7], s6, v36
	v_addc_co_u32_e64 v37, s[6:7], v12, v37, s[6:7]
	global_load_dword v12, v[36:37], off
.LBB23_77:                              ;   in Loop: Header=BB23_33 Depth=1
	s_or_b64 exec, exec, s[2:3]
	s_and_saveexec_b64 s[2:3], vcc
	s_cbranch_execz .LBB23_84
; %bb.78:                               ;   in Loop: Header=BB23_33 Depth=1
	v_mov_b32_e32 v29, s77
	v_add_co_u32_e32 v30, vcc, s5, v51
	v_addc_co_u32_e32 v29, vcc, v52, v29, vcc
	v_readlane_b32 s6, v55, 33
	v_sub_co_u32_e32 v30, vcc, v30, v32
	v_readlane_b32 s7, v55, 34
	v_subb_co_u32_e32 v29, vcc, v29, v33, vcc
	v_readlane_b32 s12, v55, 35
	v_pk_mov_b32 v[32:33], s[6:7], s[6:7] op_sel:[0,1]
	v_readlane_b32 s13, v55, 36
	v_mad_u64_u32 v[32:33], s[6:7], s12, v30, v[32:33]
	v_mul_lo_u32 v29, s12, v29
	v_mul_lo_u32 v36, s13, v30
	s_mul_i32 s6, s13, s5
	s_mul_hi_u32 s7, s12, s5
	s_and_b32 s16, s60, 0xfe
	v_add3_u32 v33, v36, v33, v29
	s_add_i32 s17, s7, s6
	s_mul_i32 s18, s12, s5
	s_mov_b64 s[12:13], 0
	s_branch .LBB23_80
.LBB23_79:                              ;   in Loop: Header=BB23_80 Depth=2
	s_or_b64 exec, exec, s[14:15]
	s_waitcnt vmcnt(0)
	v_xor_b32_e32 v12, 0x80000000, v12
	s_and_b64 s[6:7], exec, vcc
	v_and_b32_e32 v30, s71, v12
	v_bfe_u32 v12, v12, s16, 2
	s_or_b64 s[12:13], s[6:7], s[12:13]
	v_cmp_eq_u32_e32 vcc, s4, v30
	v_cmp_eq_u32_e64 s[6:7], 0, v12
	s_and_b64 s[6:7], vcc, s[6:7]
	v_cndmask_b32_e64 v30, 0, 1, s[6:7]
	v_cmp_ne_u32_e64 s[6:7], 0, v30
	s_bcnt1_i32_b64 s6, s[6:7]
	v_add_co_u32_e64 v2, s[6:7], s6, v2
	v_addc_co_u32_e64 v3, s[6:7], 0, v3, s[6:7]
	v_cmp_eq_u32_e64 s[6:7], 1, v12
	s_and_b64 s[6:7], vcc, s[6:7]
	v_cndmask_b32_e64 v30, 0, 1, s[6:7]
	v_cmp_ne_u32_e64 s[6:7], 0, v30
	s_bcnt1_i32_b64 s6, s[6:7]
	v_add_co_u32_e64 v4, s[6:7], s6, v4
	v_addc_co_u32_e64 v5, s[6:7], 0, v5, s[6:7]
	;; [unrolled: 7-line block ×3, first 2 shown]
	v_cmp_eq_u32_e64 s[6:7], 3, v12
	s_and_b64 s[6:7], vcc, s[6:7]
	v_cndmask_b32_e64 v12, 0, 1, s[6:7]
	v_cmp_ne_u32_e32 vcc, 0, v12
	s_bcnt1_i32_b64 s6, vcc
	v_add_co_u32_e32 v8, vcc, s6, v8
	v_addc_co_u32_e32 v9, vcc, 0, v9, vcc
	v_mov_b32_e32 v12, s17
	v_add_co_u32_e32 v32, vcc, s18, v32
	v_addc_co_u32_e32 v33, vcc, v33, v12, vcc
	v_mov_b32_e32 v12, v29
	s_andn2_b64 exec, exec, s[12:13]
	s_cbranch_execz .LBB23_83
.LBB23_80:                              ;   Parent Loop BB23_33 Depth=1
                                        ; =>  This Inner Loop Header: Depth=2
	v_mov_b32_e32 v29, s77
	v_add_co_u32_e32 v34, vcc, s5, v34
	v_addc_co_u32_e32 v35, vcc, v35, v29, vcc
	v_cmp_gt_i64_e64 s[6:7], s[56:57], v[34:35]
	v_cmp_le_i64_e32 vcc, s[56:57], v[34:35]
	v_mov_b32_e32 v29, 0
	s_and_saveexec_b64 s[14:15], s[6:7]
	s_cbranch_execz .LBB23_79
; %bb.81:                               ;   in Loop: Header=BB23_80 Depth=2
	global_load_dword v29, v[32:33], off
	s_branch .LBB23_79
.LBB23_82:                              ;   in Loop: Header=BB23_33 Depth=1
                                        ; implicit-def: $vgpr8_vgpr9
                                        ; implicit-def: $vgpr4_vgpr5
	s_cbranch_execnz .LBB23_85
	s_branch .LBB23_94
.LBB23_83:                              ;   in Loop: Header=BB23_33 Depth=1
	s_or_b64 exec, exec, s[12:13]
.LBB23_84:                              ;   in Loop: Header=BB23_33 Depth=1
	s_or_b64 exec, exec, s[2:3]
	s_branch .LBB23_94
.LBB23_85:                              ;   in Loop: Header=BB23_33 Depth=1
	global_load_ushort v8, v13, s[72:73]
	s_waitcnt vmcnt(0)
	v_readfirstlane_b32 s2, v8
	s_and_b32 s2, 0xffff, s2
	s_lshl_b32 s5, s2, 2
	v_cvt_f32_u32_e32 v2, s5
	s_sub_i32 s6, 0, s5
	s_mov_b64 s[2:3], 0
	v_and_b32_e32 v29, 0xffff, v8
	v_rcp_iflag_f32_e32 v6, v2
	v_pk_mov_b32 v[2:3], 0, 0
	v_pk_mov_b32 v[4:5], v[2:3], v[2:3] op_sel:[0,1]
	v_mul_f32_e32 v6, 0x4f7ffffe, v6
	v_cvt_u32_f32_e32 v9, v6
	v_pk_mov_b32 v[6:7], v[2:3], v[2:3] op_sel:[0,1]
	v_readfirstlane_b32 s7, v9
	s_mul_i32 s6, s6, s7
	s_mul_hi_u32 s6, s7, s6
	s_add_i32 s7, s7, s6
	s_mul_hi_u32 s6, s84, s7
	s_mul_i32 s6, s6, s5
	s_sub_i32 s6, s84, s6
	s_sub_i32 s7, s6, s5
	s_cmp_ge_u32 s6, s5
	s_cselect_b32 s6, s7, s6
	s_sub_i32 s7, s6, s5
	s_cmp_ge_u32 s6, s5
	s_cselect_b32 s6, s7, s6
	s_sub_i32 s76, s84, s6
	v_cmp_gt_u32_e32 vcc, s76, v14
	v_pk_mov_b32 v[8:9], v[2:3], v[2:3] op_sel:[0,1]
	s_and_saveexec_b64 s[28:29], vcc
	s_cbranch_execz .LBB23_89
; %bb.86:                               ;   in Loop: Header=BB23_33 Depth=1
	s_mov_b64 s[54:55], s[88:89]
	s_mov_b64 s[10:11], s[74:75]
	;; [unrolled: 1-line block ×5, first 2 shown]
	s_mov_b32 s85, s49
	s_mov_b32 s92, s60
	s_and_b32 s60, s60, 0xfe
	v_lshlrev_b32_e32 v12, 4, v29
	v_mov_b32_e32 v30, v50
	s_mov_b64 s[72:73], 0
	s_mov_b64 s[82:83], 0
	;; [unrolled: 1-line block ×4, first 2 shown]
	v_pk_mov_b32 v[32:33], v[14:15], v[14:15] op_sel:[0,1]
.LBB23_87:                              ;   Parent Loop BB23_33 Depth=1
                                        ; =>  This Inner Loop Header: Depth=2
	ds_read_b128 v[2:5], v30
	v_add_co_u32_e32 v32, vcc, s5, v32
	v_addc_co_u32_e32 v33, vcc, 0, v33, vcc
	s_waitcnt lgkmcnt(0)
	v_xor_b32_e32 v2, 0x80000000, v2
	v_xor_b32_e32 v3, 0x80000000, v3
	v_and_b32_e32 v6, s71, v2
	v_bfe_u32 v2, v2, s60, 2
	v_xor_b32_e32 v4, 0x80000000, v4
	v_and_b32_e32 v7, s71, v3
	v_bfe_u32 v3, v3, s60, 2
	v_cmp_eq_u32_e64 s[18:19], s4, v6
	v_cmp_eq_u32_e64 s[6:7], 0, v2
	v_xor_b32_e32 v5, 0x80000000, v5
	v_and_b32_e32 v8, s71, v4
	v_bfe_u32 v4, v4, s60, 2
	v_cmp_eq_u32_e64 s[16:17], s4, v7
	v_cmp_eq_u32_e64 s[30:31], 0, v3
	s_and_b64 s[6:7], s[18:19], s[6:7]
	v_and_b32_e32 v9, s71, v5
	v_bfe_u32 v5, v5, s60, 2
	v_cmp_eq_u32_e64 s[14:15], s4, v8
	v_cmp_eq_u32_e64 s[34:35], 0, v4
	;; [unrolled: 1-line block ×5, first 2 shown]
	v_cndmask_b32_e64 v2, 0, 1, s[6:7]
	s_and_b64 s[6:7], s[16:17], s[30:31]
	v_cmp_eq_u32_e64 s[12:13], s4, v9
	v_cmp_eq_u32_e64 s[36:37], 0, v5
	;; [unrolled: 1-line block ×5, first 2 shown]
	v_cndmask_b32_e64 v3, 0, 1, s[6:7]
	s_and_b64 s[6:7], s[14:15], s[34:35]
	v_cmp_eq_u32_e64 s[42:43], 1, v4
	v_cmp_eq_u32_e64 s[50:51], 2, v4
	;; [unrolled: 1-line block ×3, first 2 shown]
	v_cndmask_b32_e64 v4, 0, 1, s[6:7]
	s_and_b64 s[6:7], s[12:13], s[36:37]
	v_cmp_eq_u32_e64 s[44:45], 1, v5
	v_cmp_eq_u32_e64 s[52:53], 2, v5
	;; [unrolled: 1-line block ×3, first 2 shown]
	v_cndmask_b32_e64 v5, 0, 1, s[6:7]
	v_cmp_ne_u32_e64 s[6:7], 0, v2
	v_cmp_ne_u32_e64 s[30:31], 0, v3
	v_cmp_ne_u32_e64 s[34:35], 0, v4
	v_cmp_ne_u32_e64 s[36:37], 0, v5
	s_bcnt1_i32_b64 s6, s[6:7]
	s_bcnt1_i32_b64 s7, s[30:31]
	s_bcnt1_i32_b64 s30, s[34:35]
	s_bcnt1_i32_b64 s31, s[36:37]
	s_add_u32 s6, s6, s94
	s_addc_u32 s34, 0, s95
	s_add_u32 s6, s6, s7
	s_addc_u32 s7, s34, 0
	s_add_u32 s6, s6, s30
	s_addc_u32 s7, s7, 0
	s_add_u32 s94, s6, s31
	s_addc_u32 s95, s7, 0
	s_and_b64 s[6:7], s[18:19], s[38:39]
	v_cndmask_b32_e64 v4, 0, 1, s[6:7]
	s_and_b64 s[6:7], s[16:17], s[40:41]
	v_cndmask_b32_e64 v5, 0, 1, s[6:7]
	s_and_b64 s[6:7], s[14:15], s[42:43]
	v_cndmask_b32_e64 v6, 0, 1, s[6:7]
	s_and_b64 s[6:7], s[12:13], s[44:45]
	v_cndmask_b32_e64 v7, 0, 1, s[6:7]
	v_cmp_ne_u32_e64 s[6:7], 0, v4
	v_cmp_ne_u32_e64 s[30:31], 0, v5
	v_cmp_ne_u32_e64 s[34:35], 0, v6
	v_cmp_ne_u32_e64 s[36:37], 0, v7
	s_bcnt1_i32_b64 s6, s[6:7]
	s_bcnt1_i32_b64 s7, s[30:31]
	s_bcnt1_i32_b64 s30, s[34:35]
	s_bcnt1_i32_b64 s31, s[36:37]
	s_add_u32 s6, s6, s88
	s_addc_u32 s34, 0, s89
	s_add_u32 s6, s6, s7
	s_addc_u32 s7, s34, 0
	s_add_u32 s6, s6, s30
	s_addc_u32 s7, s7, 0
	s_add_u32 s88, s6, s31
	s_addc_u32 s89, s7, 0
	s_and_b64 s[6:7], s[18:19], s[46:47]
	v_cndmask_b32_e64 v6, 0, 1, s[6:7]
	s_and_b64 s[6:7], s[16:17], s[48:49]
	v_cndmask_b32_e64 v7, 0, 1, s[6:7]
	s_and_b64 s[6:7], s[14:15], s[50:51]
	v_cndmask_b32_e64 v8, 0, 1, s[6:7]
	s_and_b64 s[6:7], s[12:13], s[52:53]
	;; [unrolled: 24-line block ×3, first 2 shown]
	v_cndmask_b32_e64 v35, 0, 1, s[6:7]
	v_cmp_ne_u32_e64 s[6:7], 0, v8
	v_cmp_ne_u32_e64 s[12:13], 0, v9
	;; [unrolled: 1-line block ×4, first 2 shown]
	s_bcnt1_i32_b64 s6, s[6:7]
	s_bcnt1_i32_b64 s7, s[12:13]
	;; [unrolled: 1-line block ×4, first 2 shown]
	s_add_u32 s6, s6, s72
	s_addc_u32 s14, 0, s73
	s_add_u32 s6, s6, s7
	s_addc_u32 s7, s14, 0
	s_add_u32 s6, s6, s12
	s_addc_u32 s7, s7, 0
	s_add_u32 s72, s6, s13
	v_cmp_le_u64_e32 vcc, s[76:77], v[32:33]
	s_addc_u32 s73, s7, 0
	v_add_u32_e32 v30, v30, v12
	v_pk_mov_b32 v[2:3], s[94:95], s[94:95] op_sel:[0,1]
	v_pk_mov_b32 v[4:5], s[88:89], s[88:89] op_sel:[0,1]
	v_pk_mov_b32 v[6:7], s[82:83], s[82:83] op_sel:[0,1]
	s_or_b64 s[2:3], vcc, s[2:3]
	v_pk_mov_b32 v[8:9], s[72:73], s[72:73] op_sel:[0,1]
	s_andn2_b64 exec, exec, s[2:3]
	s_cbranch_execnz .LBB23_87
; %bb.88:                               ;   in Loop: Header=BB23_33 Depth=1
	s_or_b64 exec, exec, s[2:3]
	v_readlane_b32 s50, v55, 39
	v_readlane_b32 s52, v55, 41
	;; [unrolled: 1-line block ×7, first 2 shown]
	s_mov_b32 s49, s85
	v_readlane_b32 s73, v55, 46
	s_mov_b32 s60, s92
	s_mov_b64 s[82:83], s[0:1]
	s_mov_b64 s[0:1], s[8:9]
	;; [unrolled: 1-line block ×5, first 2 shown]
	v_readlane_b32 s42, v55, 47
.LBB23_89:                              ;   in Loop: Header=BB23_33 Depth=1
	s_or_b64 exec, exec, s[28:29]
	v_add_u32_e32 v12, s76, v0
	v_cmp_gt_u32_e32 vcc, s84, v12
	s_and_saveexec_b64 s[2:3], vcc
	s_cbranch_execz .LBB23_93
; %bb.90:                               ;   in Loop: Header=BB23_33 Depth=1
	s_and_b32 s76, s84, 0x7fffffff
	s_and_b32 s22, s60, 0xfe
	v_lshlrev_b32_e32 v30, 2, v12
	s_mov_b64 s[20:21], 0
	v_pk_mov_b32 v[32:33], v[12:13], v[12:13] op_sel:[0,1]
.LBB23_91:                              ;   Parent Loop BB23_33 Depth=1
                                        ; =>  This Inner Loop Header: Depth=2
	ds_read_b32 v12, v30
	v_add_co_u32_e32 v32, vcc, v32, v29
	v_addc_co_u32_e32 v33, vcc, 0, v33, vcc
	s_waitcnt lgkmcnt(0)
	v_xor_b32_e32 v12, 0x80000000, v12
	v_and_b32_e32 v34, s71, v12
	v_bfe_u32 v12, v12, s22, 2
	v_cmp_eq_u32_e64 s[6:7], s4, v34
	v_cmp_eq_u32_e64 s[12:13], 0, v12
	;; [unrolled: 1-line block ×3, first 2 shown]
	s_and_b64 s[12:13], s[6:7], s[12:13]
	v_cmp_eq_u32_e64 s[16:17], 2, v12
	v_cmp_eq_u32_e64 s[18:19], 3, v12
	v_cndmask_b32_e64 v12, 0, 1, s[12:13]
	s_and_b64 s[12:13], s[6:7], s[14:15]
	v_cndmask_b32_e64 v34, 0, 1, s[12:13]
	s_and_b64 s[12:13], s[6:7], s[16:17]
	s_and_b64 s[6:7], s[6:7], s[18:19]
	v_cndmask_b32_e64 v35, 0, 1, s[12:13]
	v_cndmask_b32_e64 v36, 0, 1, s[6:7]
	v_cmp_ne_u32_e64 s[6:7], 0, v12
	v_cmp_ne_u32_e64 s[12:13], 0, v34
	;; [unrolled: 1-line block ×4, first 2 shown]
	v_cmp_le_u64_e32 vcc, s[76:77], v[32:33]
	s_bcnt1_i32_b64 s6, s[6:7]
	s_bcnt1_i32_b64 s7, s[12:13]
	;; [unrolled: 1-line block ×4, first 2 shown]
	s_or_b64 s[20:21], vcc, s[20:21]
	v_add_co_u32_e32 v2, vcc, s6, v2
	v_addc_co_u32_e32 v3, vcc, 0, v3, vcc
	v_add_co_u32_e32 v4, vcc, s7, v4
	v_addc_co_u32_e32 v5, vcc, 0, v5, vcc
	;; [unrolled: 2-line block ×3, first 2 shown]
	v_add_co_u32_e32 v8, vcc, s13, v8
	v_add_u32_e32 v30, s5, v30
	v_addc_co_u32_e32 v9, vcc, 0, v9, vcc
	s_andn2_b64 exec, exec, s[20:21]
	s_cbranch_execnz .LBB23_91
; %bb.92:                               ;   in Loop: Header=BB23_33 Depth=1
	s_or_b64 exec, exec, s[20:21]
.LBB23_93:                              ;   in Loop: Header=BB23_33 Depth=1
	s_or_b64 exec, exec, s[2:3]
.LBB23_94:                              ;   in Loop: Header=BB23_33 Depth=1
	s_lshl_b32 s5, s87, 6
	s_and_saveexec_b64 s[2:3], s[50:51]
	s_cbranch_execz .LBB23_96
; %bb.95:                               ;   in Loop: Header=BB23_33 Depth=1
	s_waitcnt vmcnt(0)
	v_or_b32_e32 v12, s5, v48
	v_lshlrev_b32_e32 v12, 3, v12
	ds_write_b128 v12, v[2:5] offset:3072
	ds_write_b128 v12, v[6:9] offset:3088
.LBB23_96:                              ;   in Loop: Header=BB23_33 Depth=1
	s_or_b64 exec, exec, s[2:3]
	s_waitcnt lgkmcnt(0)
	s_barrier
	s_and_saveexec_b64 s[2:3], s[52:53]
	s_cbranch_execz .LBB23_108
; %bb.97:                               ;   in Loop: Header=BB23_33 Depth=1
	v_readlane_b32 s6, v55, 24
	v_readlane_b32 s7, v55, 25
	s_andn2_b64 vcc, exec, s[6:7]
	v_pk_mov_b32 v[2:3], 0, 0
	s_cbranch_vccnz .LBB23_107
; %bb.98:                               ;   in Loop: Header=BB23_33 Depth=1
	v_readlane_b32 s6, v55, 28
	v_readlane_b32 s7, v55, 29
	s_andn2_b64 vcc, exec, s[6:7]
	s_cbranch_vccnz .LBB23_103
; %bb.99:                               ;   in Loop: Header=BB23_33 Depth=1
	v_lshl_add_u32 v4, s87, 9, v53
	s_mov_b32 s6, 0
	v_pk_mov_b32 v[2:3], 0, 0
.LBB23_100:                             ;   Parent Loop BB23_33 Depth=1
                                        ; =>  This Inner Loop Header: Depth=2
	s_waitcnt vmcnt(0)
	ds_read2_b64 v[6:9], v4 offset1:4
	ds_read2_b64 v[32:35], v4 offset0:8 offset1:12
	ds_read2_b64 v[36:39], v4 offset0:16 offset1:20
	;; [unrolled: 1-line block ×3, first 2 shown]
	s_add_i32 s6, s6, 8
	s_waitcnt lgkmcnt(3)
	v_add_co_u32_e32 v2, vcc, v6, v2
	v_addc_co_u32_e32 v3, vcc, v7, v3, vcc
	v_add_co_u32_e32 v2, vcc, v8, v2
	v_addc_co_u32_e32 v3, vcc, v9, v3, vcc
	s_waitcnt lgkmcnt(2)
	v_add_co_u32_e32 v2, vcc, v32, v2
	v_addc_co_u32_e32 v3, vcc, v33, v3, vcc
	v_add_co_u32_e32 v2, vcc, v34, v2
	v_addc_co_u32_e32 v3, vcc, v35, v3, vcc
	;; [unrolled: 5-line block ×3, first 2 shown]
	s_waitcnt lgkmcnt(0)
	v_add_co_u32_e32 v2, vcc, v40, v2
	v_addc_co_u32_e32 v3, vcc, v41, v3, vcc
	v_add_co_u32_e32 v2, vcc, v42, v2
	v_add_u32_e32 v4, 0x100, v4
	s_cmp_eq_u32 s42, s6
	v_addc_co_u32_e32 v3, vcc, v43, v3, vcc
	s_cbranch_scc0 .LBB23_100
; %bb.101:                              ;   in Loop: Header=BB23_33 Depth=1
	s_mov_b32 s6, s42
	s_branch .LBB23_104
.LBB23_102:                             ;   in Loop: Header=BB23_33 Depth=1
                                        ; implicit-def: $vgpr32_vgpr33
	s_branch .LBB23_70
.LBB23_103:                             ;   in Loop: Header=BB23_33 Depth=1
	s_mov_b32 s6, 0
	v_pk_mov_b32 v[2:3], 0, 0
.LBB23_104:                             ;   in Loop: Header=BB23_33 Depth=1
	v_readlane_b32 s12, v55, 31
	v_readlane_b32 s13, v55, 32
	s_andn2_b64 vcc, exec, s[12:13]
	s_cbranch_vccnz .LBB23_107
; %bb.105:                              ;   in Loop: Header=BB23_33 Depth=1
	s_lshl_b32 s7, s87, 9
	s_lshl_b32 s6, s6, 5
	s_add_i32 s7, s7, s6
	v_add_u32_e32 v4, s7, v53
	v_readlane_b32 s6, v55, 30
.LBB23_106:                             ;   Parent Loop BB23_33 Depth=1
                                        ; =>  This Inner Loop Header: Depth=2
	s_waitcnt vmcnt(0)
	ds_read_b64 v[6:7], v4
	s_add_i32 s6, s6, -1
	v_add_u32_e32 v4, 32, v4
	s_cmp_lg_u32 s6, 0
	s_waitcnt lgkmcnt(0)
	v_add_co_u32_e32 v2, vcc, v6, v2
	v_addc_co_u32_e32 v3, vcc, v7, v3, vcc
	s_cbranch_scc1 .LBB23_106
.LBB23_107:                             ;   in Loop: Header=BB23_33 Depth=1
	v_add_lshl_u32 v4, s5, v46, 3
	ds_write_b64 v4, v[2:3] offset:3072
.LBB23_108:                             ;   in Loop: Header=BB23_33 Depth=1
	s_or_b64 exec, exec, s[2:3]
	s_lshl_b32 s2, s5, 3
	s_waitcnt vmcnt(0)
	v_mov_b32_e32 v6, s2
	s_waitcnt lgkmcnt(0)
	s_barrier
	ds_read_b128 v[2:5], v6 offset:3072
	ds_read_b128 v[6:9], v6 offset:3088
	s_and_b32 s40, s60, 0xfe
	s_lshl_b32 s5, 3, s40
	s_not_b32 s41, s5
	s_waitcnt lgkmcnt(1)
	v_readfirstlane_b32 s15, v3
	v_readfirstlane_b32 s14, v2
	s_cmp_eq_u64 s[14:15], 1
	s_cselect_b64 s[2:3], -1, 0
	s_cmp_eq_u64 s[58:59], 1
	s_cselect_b64 s[12:13], -1, 0
	s_and_b64 s[20:21], s[2:3], s[12:13]
	v_readfirstlane_b32 s26, v4
	v_readfirstlane_b32 s27, v5
	s_waitcnt lgkmcnt(0)
	v_readfirstlane_b32 s16, v6
	v_readfirstlane_b32 s17, v7
	;; [unrolled: 1-line block ×4, first 2 shown]
	s_mov_b64 s[18:19], -1
	s_and_b64 vcc, exec, s[20:21]
	s_cbranch_vccz .LBB23_123
; %bb.109:                              ;   in Loop: Header=BB23_33 Depth=1
	ds_read_b64 v[2:3], v13 offset:5120
	s_waitcnt lgkmcnt(0)
	s_barrier
	v_readfirstlane_b32 s12, v2
	v_readfirstlane_b32 s13, v3
	s_mov_b64 s[2:3], exec
	v_readlane_b32 s22, v55, 14
	v_readlane_b32 s23, v55, 15
	s_and_b64 s[22:23], s[2:3], s[22:23]
	s_mov_b64 exec, s[22:23]
	s_cbranch_execz .LBB23_111
; %bb.110:                              ;   in Loop: Header=BB23_33 Depth=1
	ds_write_b32 v47, v13
.LBB23_111:                             ;   in Loop: Header=BB23_33 Depth=1
	s_or_b64 exec, exec, s[2:3]
	v_cmp_lt_i64_e64 s[2:3], s[12:13], 1
	s_and_b32 s4, s4, s41
	s_or_b32 s71, s71, s5
	s_and_b64 vcc, exec, s[2:3]
	s_waitcnt lgkmcnt(0)
	s_barrier
	s_cbranch_vccz .LBB23_124
; %bb.112:                              ;   in Loop: Header=BB23_33 Depth=1
	s_mov_b32 s48, s77
	s_cmp_lg_u64 s[48:49], 0
	s_cbranch_scc0 .LBB23_169
; %bb.113:                              ;   in Loop: Header=BB23_33 Depth=1
	v_cvt_f32_u32_e32 v2, s33
	s_sub_u32 s2, 0, s33
	s_subb_u32 s3, 0, 0
	v_mac_f32_e32 v2, 0x4f800000, v54
	v_rcp_f32_e32 v2, v2
	v_mul_f32_e32 v2, 0x5f7ffffc, v2
	v_mul_f32_e32 v3, 0x2f800000, v2
	v_trunc_f32_e32 v3, v3
	v_mac_f32_e32 v2, 0xcf800000, v3
	v_cvt_u32_f32_e32 v3, v3
	v_cvt_u32_f32_e32 v2, v2
	v_readfirstlane_b32 s22, v3
	v_readfirstlane_b32 s23, v2
	s_mul_i32 s24, s2, s22
	s_mul_hi_u32 s28, s2, s23
	s_mul_i32 s25, s3, s23
	s_add_i32 s24, s28, s24
	s_mul_i32 s29, s2, s23
	s_add_i32 s24, s24, s25
	s_mul_hi_u32 s28, s23, s29
	s_mul_hi_u32 s25, s23, s24
	s_mul_i32 s23, s23, s24
	s_add_u32 s23, s28, s23
	s_addc_u32 s25, 0, s25
	s_mul_hi_u32 s30, s22, s29
	s_mul_i32 s29, s22, s29
	s_add_u32 s23, s23, s29
	s_mul_hi_u32 s28, s22, s24
	s_addc_u32 s23, s25, s30
	s_addc_u32 s25, s28, 0
	s_mul_i32 s24, s22, s24
	s_add_u32 s23, s23, s24
	s_addc_u32 s24, 0, s25
	v_add_co_u32_e32 v2, vcc, s23, v2
	s_cmp_lg_u64 vcc, 0
	s_addc_u32 s22, s22, s24
	v_readfirstlane_b32 s24, v2
	s_mul_i32 s23, s2, s22
	s_mul_hi_u32 s25, s2, s24
	s_add_i32 s23, s25, s23
	s_mul_i32 s3, s3, s24
	s_add_i32 s23, s23, s3
	s_mul_i32 s2, s2, s24
	s_mul_hi_u32 s25, s22, s2
	s_mul_i32 s28, s22, s2
	s_mul_i32 s30, s24, s23
	s_mul_hi_u32 s2, s24, s2
	s_mul_hi_u32 s29, s24, s23
	s_add_u32 s2, s2, s30
	s_addc_u32 s24, 0, s29
	s_add_u32 s2, s2, s28
	s_mul_hi_u32 s3, s22, s23
	s_addc_u32 s2, s24, s25
	s_addc_u32 s3, s3, 0
	s_mul_i32 s23, s22, s23
	s_add_u32 s2, s2, s23
	s_addc_u32 s3, 0, s3
	v_add_co_u32_e32 v2, vcc, s2, v2
	s_cmp_lg_u64 vcc, 0
	s_addc_u32 s24, s22, s3
	s_ashr_i32 s2, s49, 31
	s_add_u32 s22, s61, s2
	s_mov_b32 s3, s2
	s_addc_u32 s23, s49, s2
	s_xor_b64 s[22:23], s[22:23], s[2:3]
	v_readfirstlane_b32 s28, v2
	s_mul_i32 s25, s22, s24
	s_mul_hi_u32 s29, s22, s28
	s_mul_hi_u32 s3, s22, s24
	s_add_u32 s25, s29, s25
	s_addc_u32 s3, 0, s3
	s_mul_hi_u32 s30, s23, s28
	s_mul_i32 s28, s23, s28
	s_add_u32 s25, s25, s28
	s_mul_hi_u32 s29, s23, s24
	s_addc_u32 s3, s3, s30
	s_addc_u32 s25, s29, 0
	s_mul_i32 s24, s23, s24
	s_add_u32 s3, s3, s24
	s_addc_u32 s24, 0, s25
	s_mul_hi_u32 s25, s33, s3
	s_mul_i32 s3, s33, s3
	s_mul_i32 s24, s33, s24
	v_mov_b32_e32 v2, s3
	s_add_i32 s25, s25, s24
	v_sub_co_u32_e32 v2, vcc, s22, v2
	s_cmp_lg_u64 vcc, 0
	s_subb_u32 s3, s23, s25
	v_subrev_co_u32_e32 v3, vcc, s33, v2
	s_cmp_lg_u64 vcc, 0
	s_subb_u32 s22, s3, 0
	v_subrev_co_u32_e32 v4, vcc, s33, v3
	s_cmp_lg_u64 vcc, 0
	s_subb_u32 s23, s22, 0
	v_cmp_le_u32_e32 vcc, s33, v3
	s_cmp_eq_u32 s22, 0
	v_cndmask_b32_e64 v5, 0, -1, vcc
	s_cselect_b64 vcc, -1, 0
	v_cndmask_b32_e32 v5, -1, v5, vcc
	v_mov_b32_e32 v6, s22
	v_mov_b32_e32 v7, s23
	v_cmp_ne_u32_e32 vcc, 0, v5
	v_cndmask_b32_e32 v5, v6, v7, vcc
	v_cndmask_b32_e32 v3, v3, v4, vcc
	v_cmp_le_u32_e32 vcc, s33, v2
	s_cmp_eq_u32 s3, 0
	v_cndmask_b32_e64 v4, 0, -1, vcc
	s_cselect_b64 vcc, -1, 0
	v_cndmask_b32_e32 v4, -1, v4, vcc
	v_cmp_ne_u32_e32 vcc, 0, v4
	v_mov_b32_e32 v6, s3
	v_cndmask_b32_e32 v2, v2, v3, vcc
	v_cndmask_b32_e32 v4, v6, v5, vcc
	v_xor_b32_e32 v2, s2, v2
	v_xor_b32_e32 v3, s2, v4
	v_mov_b32_e32 v4, s2
	v_subrev_co_u32_e32 v2, vcc, s2, v2
	v_subb_co_u32_e32 v3, vcc, v3, v4, vcc
	s_cbranch_execnz .LBB23_115
.LBB23_114:                             ;   in Loop: Header=BB23_33 Depth=1
	v_cvt_f32_u32_e32 v2, s33
	s_sub_i32 s2, 0, s33
	v_rcp_iflag_f32_e32 v2, v2
	v_mul_f32_e32 v2, 0x4f7ffffe, v2
	v_cvt_u32_f32_e32 v2, v2
	v_mul_lo_u32 v3, s2, v2
	v_mul_hi_u32 v3, v2, v3
	v_add_u32_e32 v2, v2, v3
	v_mul_hi_u32 v2, s61, v2
	v_mul_lo_u32 v2, v2, s33
	v_sub_u32_e32 v2, s61, v2
	v_subrev_u32_e32 v3, s33, v2
	v_cmp_le_u32_e32 vcc, s33, v2
	v_cndmask_b32_e32 v2, v2, v3, vcc
	v_subrev_u32_e32 v3, s33, v2
	v_cmp_le_u32_e32 vcc, s33, v2
	v_cndmask_b32_e32 v12, v2, v3, vcc
	v_pk_mov_b32 v[2:3], v[12:13], v[12:13] op_sel:[0,1]
.LBB23_115:                             ;   in Loop: Header=BB23_33 Depth=1
	v_mov_b32_e32 v4, s49
	v_sub_co_u32_e32 v2, vcc, s61, v2
	v_subb_co_u32_e32 v3, vcc, v4, v3, vcc
	v_cmp_gt_i64_e32 vcc, v[2:3], v[0:1]
	s_mov_b64 s[2:3], 0
                                        ; implicit-def: $vgpr31
	s_and_saveexec_b64 s[22:23], vcc
	s_cbranch_execz .LBB23_126
; %bb.116:                              ;   in Loop: Header=BB23_33 Depth=1
	v_pk_mov_b32 v[4:5], v[10:11], v[10:11] op_sel:[0,1]
	v_pk_mov_b32 v[6:7], v[0:1], v[0:1] op_sel:[0,1]
                                        ; implicit-def: $sgpr24_sgpr25
	s_branch .LBB23_118
.LBB23_117:                             ;   in Loop: Header=BB23_118 Depth=2
	s_or_b64 exec, exec, s[28:29]
	s_waitcnt lgkmcnt(0)
	s_barrier
	ds_read_b64 v[30:31], v13 offset:3072
	v_mov_b32_e32 v8, s86
	v_add_co_u32_e32 v6, vcc, s33, v6
	v_addc_co_u32_e32 v7, vcc, v7, v8, vcc
	s_waitcnt lgkmcnt(0)
	v_readfirstlane_b32 s28, v30
	s_cmp_lg_u32 s28, 0
	s_cselect_b64 s[28:29], -1, 0
	v_cmp_ge_i64_e32 vcc, v[6:7], v[2:3]
	s_or_b64 s[30:31], s[28:29], vcc
	s_and_b64 s[30:31], exec, s[30:31]
	s_or_b64 s[2:3], s[30:31], s[2:3]
	v_mov_b32_e32 v8, s79
	v_add_co_u32_e32 v4, vcc, s78, v4
	s_andn2_b64 s[24:25], s[24:25], exec
	s_and_b64 s[28:29], s[28:29], exec
	v_addc_co_u32_e32 v5, vcc, v5, v8, vcc
	s_or_b64 s[24:25], s[24:25], s[28:29]
	s_barrier
	s_andn2_b64 exec, exec, s[2:3]
	s_cbranch_execz .LBB23_125
.LBB23_118:                             ;   Parent Loop BB23_33 Depth=1
                                        ; =>  This Inner Loop Header: Depth=2
	v_cmp_gt_i64_e32 vcc, s[56:57], v[6:7]
	s_waitcnt vmcnt(0)
	v_mov_b32_e32 v29, 0
	s_and_saveexec_b64 s[28:29], vcc
	s_cbranch_execz .LBB23_120
; %bb.119:                              ;   in Loop: Header=BB23_118 Depth=2
	global_load_dword v29, v[4:5], off
.LBB23_120:                             ;   in Loop: Header=BB23_118 Depth=2
	s_or_b64 exec, exec, s[28:29]
	s_and_saveexec_b64 s[28:29], vcc
	s_cbranch_execz .LBB23_117
; %bb.121:                              ;   in Loop: Header=BB23_118 Depth=2
	s_waitcnt vmcnt(0)
	v_xor_b32_e32 v8, 0x80000000, v29
	v_and_b32_e32 v8, s71, v8
	v_cmp_eq_u32_e32 vcc, s4, v8
	s_and_b64 exec, exec, vcc
	s_cbranch_execz .LBB23_117
; %bb.122:                              ;   in Loop: Header=BB23_118 Depth=2
	ds_write_b64 v13, v[28:29] offset:3072
	s_branch .LBB23_117
.LBB23_123:                             ;   in Loop: Header=BB23_33 Depth=1
	s_mov_b64 s[2:3], -1
                                        ; implicit-def: $sgpr22_sgpr23
                                        ; implicit-def: $sgpr28_sgpr29
                                        ; implicit-def: $sgpr24_sgpr25
	s_branch .LBB23_140
.LBB23_124:                             ;   in Loop: Header=BB23_33 Depth=1
	s_mov_b64 s[22:23], -1
	s_mov_b64 s[2:3], 0
                                        ; implicit-def: $sgpr24_sgpr25
                                        ; implicit-def: $vgpr31
	s_mov_b64 s[28:29], s[22:23]
	s_cbranch_execnz .LBB23_127
	s_branch .LBB23_140
.LBB23_125:                             ;   in Loop: Header=BB23_33 Depth=1
	s_or_b64 exec, exec, s[2:3]
	s_and_b64 s[2:3], s[24:25], exec
.LBB23_126:                             ;   in Loop: Header=BB23_33 Depth=1
	s_or_b64 exec, exec, s[22:23]
	s_mov_b64 s[24:25], -1
	s_mov_b64 s[22:23], 0
	s_mov_b64 s[28:29], s[22:23]
	s_branch .LBB23_140
.LBB23_127:                             ;   in Loop: Header=BB23_33 Depth=1
	v_readlane_b32 s2, v55, 26
	s_add_u32 s24, s2, s12
	v_readlane_b32 s2, v55, 27
	s_addc_u32 s3, s2, s13
	s_mov_b32 s2, s77
	s_cmp_lg_u64 s[2:3], 0
	s_cbranch_scc0 .LBB23_170
; %bb.128:                              ;   in Loop: Header=BB23_33 Depth=1
	v_cvt_f32_u32_e32 v2, s33
	s_sub_u32 s2, 0, s33
	s_subb_u32 s22, 0, 0
	v_mac_f32_e32 v2, 0x4f800000, v54
	v_rcp_f32_e32 v2, v2
	v_mul_f32_e32 v2, 0x5f7ffffc, v2
	v_mul_f32_e32 v3, 0x2f800000, v2
	v_trunc_f32_e32 v3, v3
	v_mac_f32_e32 v2, 0xcf800000, v3
	v_cvt_u32_f32_e32 v3, v3
	v_cvt_u32_f32_e32 v2, v2
	v_readfirstlane_b32 s23, v3
	v_readfirstlane_b32 s25, v2
	s_mul_i32 s28, s2, s23
	s_mul_hi_u32 s30, s2, s25
	s_mul_i32 s29, s22, s25
	s_add_i32 s28, s30, s28
	s_mul_i32 s31, s2, s25
	s_add_i32 s28, s28, s29
	s_mul_hi_u32 s30, s25, s31
	s_mul_hi_u32 s29, s25, s28
	s_mul_i32 s25, s25, s28
	s_add_u32 s25, s30, s25
	s_addc_u32 s29, 0, s29
	s_mul_hi_u32 s34, s23, s31
	s_mul_i32 s31, s23, s31
	s_add_u32 s25, s25, s31
	s_mul_hi_u32 s30, s23, s28
	s_addc_u32 s25, s29, s34
	s_addc_u32 s29, s30, 0
	s_mul_i32 s28, s23, s28
	s_add_u32 s25, s25, s28
	s_addc_u32 s28, 0, s29
	v_add_co_u32_e32 v2, vcc, s25, v2
	s_cmp_lg_u64 vcc, 0
	s_addc_u32 s23, s23, s28
	v_readfirstlane_b32 s28, v2
	s_mul_i32 s25, s2, s23
	s_mul_hi_u32 s29, s2, s28
	s_add_i32 s25, s29, s25
	s_mul_i32 s22, s22, s28
	s_add_i32 s25, s25, s22
	s_mul_i32 s2, s2, s28
	s_mul_hi_u32 s29, s23, s2
	s_mul_i32 s30, s23, s2
	s_mul_i32 s34, s28, s25
	s_mul_hi_u32 s2, s28, s2
	s_mul_hi_u32 s31, s28, s25
	s_add_u32 s2, s2, s34
	s_addc_u32 s28, 0, s31
	s_add_u32 s2, s2, s30
	s_mul_hi_u32 s22, s23, s25
	s_addc_u32 s2, s28, s29
	s_addc_u32 s22, s22, 0
	s_mul_i32 s25, s23, s25
	s_add_u32 s2, s2, s25
	s_addc_u32 s22, 0, s22
	v_add_co_u32_e32 v2, vcc, s2, v2
	s_cmp_lg_u64 vcc, 0
	s_addc_u32 s2, s23, s22
	s_ashr_i32 s22, s3, 31
	s_add_u32 s28, s24, s22
	s_mov_b32 s23, s22
	s_addc_u32 s29, s3, s22
	s_xor_b64 s[28:29], s[28:29], s[22:23]
	v_readfirstlane_b32 s30, v2
	s_mul_i32 s25, s28, s2
	s_mul_hi_u32 s31, s28, s30
	s_mul_hi_u32 s23, s28, s2
	s_add_u32 s25, s31, s25
	s_addc_u32 s23, 0, s23
	s_mul_hi_u32 s34, s29, s30
	s_mul_i32 s30, s29, s30
	s_add_u32 s25, s25, s30
	s_mul_hi_u32 s31, s29, s2
	s_addc_u32 s23, s23, s34
	s_addc_u32 s25, s31, 0
	s_mul_i32 s2, s29, s2
	s_add_u32 s2, s23, s2
	s_addc_u32 s23, 0, s25
	s_mul_hi_u32 s25, s33, s2
	s_mul_i32 s2, s33, s2
	s_mul_i32 s23, s33, s23
	v_mov_b32_e32 v2, s2
	s_add_i32 s25, s25, s23
	v_sub_co_u32_e32 v2, vcc, s28, v2
	s_cmp_lg_u64 vcc, 0
	s_subb_u32 s2, s29, s25
	v_subrev_co_u32_e32 v3, vcc, s33, v2
	s_cmp_lg_u64 vcc, 0
	s_subb_u32 s23, s2, 0
	v_subrev_co_u32_e32 v4, vcc, s33, v3
	s_cmp_lg_u64 vcc, 0
	s_subb_u32 s25, s23, 0
	v_cmp_le_u32_e32 vcc, s33, v3
	s_cmp_eq_u32 s23, 0
	v_cndmask_b32_e64 v5, 0, -1, vcc
	s_cselect_b64 vcc, -1, 0
	v_cndmask_b32_e32 v5, -1, v5, vcc
	v_mov_b32_e32 v6, s23
	v_mov_b32_e32 v7, s25
	v_cmp_ne_u32_e32 vcc, 0, v5
	v_cndmask_b32_e32 v5, v6, v7, vcc
	v_cndmask_b32_e32 v3, v3, v4, vcc
	v_cmp_le_u32_e32 vcc, s33, v2
	s_cmp_eq_u32 s2, 0
	v_cndmask_b32_e64 v4, 0, -1, vcc
	s_cselect_b64 vcc, -1, 0
	v_cndmask_b32_e32 v4, -1, v4, vcc
	v_cmp_ne_u32_e32 vcc, 0, v4
	v_mov_b32_e32 v6, s2
	v_cndmask_b32_e32 v2, v2, v3, vcc
	v_cndmask_b32_e32 v4, v6, v5, vcc
	v_xor_b32_e32 v2, s22, v2
	v_xor_b32_e32 v3, s22, v4
	v_mov_b32_e32 v4, s22
	v_subrev_co_u32_e32 v2, vcc, s22, v2
	v_subb_co_u32_e32 v3, vcc, v3, v4, vcc
	s_cbranch_execnz .LBB23_130
.LBB23_129:                             ;   in Loop: Header=BB23_33 Depth=1
	v_cvt_f32_u32_e32 v2, s33
	s_sub_i32 s2, 0, s33
	v_rcp_iflag_f32_e32 v2, v2
	v_mul_f32_e32 v2, 0x4f7ffffe, v2
	v_cvt_u32_f32_e32 v2, v2
	v_mul_lo_u32 v3, s2, v2
	v_mul_hi_u32 v3, v2, v3
	v_add_u32_e32 v2, v2, v3
	v_mul_hi_u32 v2, s24, v2
	v_mul_lo_u32 v2, v2, s33
	v_sub_u32_e32 v2, s24, v2
	v_subrev_u32_e32 v3, s33, v2
	v_cmp_le_u32_e32 vcc, s33, v2
	v_cndmask_b32_e32 v2, v2, v3, vcc
	v_subrev_u32_e32 v3, s33, v2
	v_cmp_le_u32_e32 vcc, s33, v2
	v_cndmask_b32_e32 v12, v2, v3, vcc
	v_pk_mov_b32 v[2:3], v[12:13], v[12:13] op_sel:[0,1]
.LBB23_130:                             ;   in Loop: Header=BB23_33 Depth=1
	v_mov_b32_e32 v4, s3
	v_sub_co_u32_e32 v2, vcc, s24, v2
	v_subb_co_u32_e32 v3, vcc, v4, v3, vcc
	v_cmp_gt_i64_e32 vcc, v[2:3], v[0:1]
	s_mov_b64 s[2:3], 0
                                        ; implicit-def: $vgpr31
	s_and_saveexec_b64 s[22:23], vcc
	s_cbranch_execz .LBB23_139
; %bb.131:                              ;   in Loop: Header=BB23_33 Depth=1
	v_mov_b32_e32 v6, v14
	v_pk_mov_b32 v[4:5], v[0:1], v[0:1] op_sel:[0,1]
                                        ; implicit-def: $sgpr24_sgpr25
	s_branch .LBB23_133
.LBB23_132:                             ;   in Loop: Header=BB23_133 Depth=2
	s_or_b64 exec, exec, s[28:29]
	s_waitcnt lgkmcnt(0)
	s_barrier
	ds_read_b64 v[30:31], v13 offset:3072
	v_mov_b32_e32 v7, s86
	v_add_co_u32_e32 v4, vcc, s33, v4
	v_addc_co_u32_e32 v5, vcc, v5, v7, vcc
	s_waitcnt lgkmcnt(0)
	v_readfirstlane_b32 s28, v30
	s_cmp_lg_u32 s28, 0
	s_cselect_b64 s[28:29], -1, 0
	v_cmp_ge_i64_e32 vcc, v[4:5], v[2:3]
	s_or_b64 s[30:31], s[28:29], vcc
	s_and_b64 s[30:31], exec, s[30:31]
	s_or_b64 s[2:3], s[30:31], s[2:3]
	s_andn2_b64 s[24:25], s[24:25], exec
	s_and_b64 s[28:29], s[28:29], exec
	v_add_u32_e32 v6, s70, v6
	s_or_b64 s[24:25], s[24:25], s[28:29]
	s_barrier
	s_andn2_b64 exec, exec, s[2:3]
	s_cbranch_execz .LBB23_138
.LBB23_133:                             ;   Parent Loop BB23_33 Depth=1
                                        ; =>  This Inner Loop Header: Depth=2
	v_cmp_gt_i64_e32 vcc, s[12:13], v[4:5]
	s_waitcnt vmcnt(0)
	v_mov_b32_e32 v29, 0
	s_and_saveexec_b64 s[28:29], vcc
	s_cbranch_execz .LBB23_135
; %bb.134:                              ;   in Loop: Header=BB23_133 Depth=2
	ds_read_b32 v29, v6
.LBB23_135:                             ;   in Loop: Header=BB23_133 Depth=2
	s_or_b64 exec, exec, s[28:29]
	s_and_saveexec_b64 s[28:29], vcc
	s_cbranch_execz .LBB23_132
; %bb.136:                              ;   in Loop: Header=BB23_133 Depth=2
	s_waitcnt lgkmcnt(0)
	v_xor_b32_e32 v7, 0x80000000, v29
	v_and_b32_e32 v7, s71, v7
	v_cmp_eq_u32_e32 vcc, s4, v7
	s_and_b64 exec, exec, vcc
	s_cbranch_execz .LBB23_132
; %bb.137:                              ;   in Loop: Header=BB23_133 Depth=2
	ds_write_b64 v13, v[28:29] offset:3072
	s_branch .LBB23_132
.LBB23_138:                             ;   in Loop: Header=BB23_33 Depth=1
	s_or_b64 exec, exec, s[2:3]
	s_and_b64 s[2:3], s[24:25], exec
.LBB23_139:                             ;   in Loop: Header=BB23_33 Depth=1
	s_or_b64 exec, exec, s[22:23]
	s_mov_b64 s[28:29], -1
	s_mov_b64 s[22:23], 0
	s_mov_b64 s[24:25], 0
.LBB23_140:                             ;   in Loop: Header=BB23_33 Depth=1
	s_andn2_b64 s[8:9], s[8:9], exec
	s_and_b64 s[12:13], s[22:23], exec
	s_or_b64 s[8:9], s[8:9], s[12:13]
	s_andn2_b64 s[0:1], s[0:1], exec
	s_and_b64 s[12:13], s[28:29], exec
	s_or_b64 s[0:1], s[0:1], s[12:13]
	;; [unrolled: 3-line block ×3, first 2 shown]
	s_and_saveexec_b64 s[12:13], s[2:3]
	s_cbranch_execz .LBB23_32
; %bb.141:                              ;   in Loop: Header=BB23_33 Depth=1
	s_xor_b64 s[2:3], s[20:21], -1
	s_andn2_b64 vcc, exec, s[2:3]
	s_mov_b32 s48, 1
	s_cbranch_vccnz .LBB23_152
; %bb.142:                              ;   in Loop: Header=BB23_33 Depth=1
	v_pk_mov_b32 v[2:3], s[14:15], s[14:15] op_sel:[0,1]
	v_cmp_gt_i64_e32 vcc, s[58:59], v[2:3]
	s_mov_b64 s[2:3], -1
                                        ; implicit-def: $sgpr48
                                        ; implicit-def: $sgpr18
                                        ; implicit-def: $sgpr19
	s_cbranch_vccnz .LBB23_148
; %bb.143:                              ;   in Loop: Header=BB23_33 Depth=1
	ds_read_b64 v[2:3], v13 offset:5120
	s_waitcnt lgkmcnt(0)
	v_cmp_ne_u64_e32 vcc, 0, v[2:3]
	s_cbranch_vccnz .LBB23_147
; %bb.144:                              ;   in Loop: Header=BB23_33 Depth=1
	s_mov_b64 s[2:3], exec
	v_readlane_b32 s18, v55, 12
	v_readlane_b32 s19, v55, 13
	s_and_b64 s[18:19], s[2:3], s[18:19]
	s_mov_b64 exec, s[18:19]
	s_cbranch_execz .LBB23_146
; %bb.145:                              ;   in Loop: Header=BB23_33 Depth=1
	v_pk_mov_b32 v[2:3], s[14:15], s[14:15] op_sel:[0,1]
	ds_write_b64 v13, v[2:3] offset:5128
.LBB23_146:                             ;   in Loop: Header=BB23_33 Depth=1
	s_or_b64 exec, exec, s[2:3]
	s_waitcnt lgkmcnt(0)
	s_barrier
.LBB23_147:                             ;   in Loop: Header=BB23_33 Depth=1
	s_and_b32 s18, s4, s41
	s_or_b32 s19, s71, s5
	s_mov_b64 s[2:3], 0
	s_mov_b32 s48, 8
.LBB23_148:                             ;   in Loop: Header=BB23_33 Depth=1
	s_andn2_b64 vcc, exec, s[2:3]
	s_cbranch_vccnz .LBB23_150
; %bb.149:                              ;   in Loop: Header=BB23_33 Depth=1
	s_sub_u32 s58, s58, s14
	s_subb_u32 s59, s59, s15
	s_mov_b64 s[2:3], -1
	s_mov_b32 s48, 0
	s_mov_b32 s18, s4
	;; [unrolled: 1-line block ×3, first 2 shown]
.LBB23_150:                             ;   in Loop: Header=BB23_33 Depth=1
	s_mov_b32 s71, s19
	s_mov_b32 s4, s18
	s_mov_b64 s[14:15], -1
	s_and_b64 vcc, exec, s[2:3]
	s_cbranch_vccnz .LBB23_153
.LBB23_151:                             ;   in Loop: Header=BB23_33 Depth=1
	s_mov_b64 s[28:29], -1
                                        ; implicit-def: $sgpr18_sgpr19
                                        ; implicit-def: $sgpr22_sgpr23
                                        ; implicit-def: $sgpr20_sgpr21
	s_and_saveexec_b64 s[2:3], s[28:29]
	s_xor_b64 s[2:3], exec, s[2:3]
	s_cbranch_execz .LBB23_31
	s_branch .LBB23_299
.LBB23_152:                             ;   in Loop: Header=BB23_33 Depth=1
	s_mov_b64 s[58:59], 1
	s_mov_b64 s[14:15], -1
	s_branch .LBB23_151
.LBB23_153:                             ;   in Loop: Header=BB23_33 Depth=1
	s_cmp_eq_u64 s[26:27], 1
	s_cselect_b64 s[2:3], -1, 0
	s_cmp_eq_u64 s[58:59], 1
	s_cselect_b64 s[18:19], -1, 0
	s_and_b64 s[30:31], s[2:3], s[18:19]
	s_mov_b64 s[2:3], -1
	s_and_b64 vcc, exec, s[30:31]
	s_cbranch_vccz .LBB23_168
; %bb.154:                              ;   in Loop: Header=BB23_33 Depth=1
	ds_read_b64 v[2:3], v13 offset:5120
	s_waitcnt lgkmcnt(0)
	s_barrier
	v_readfirstlane_b32 s24, v2
	v_readfirstlane_b32 s25, v3
	s_mov_b64 s[2:3], exec
	v_readlane_b32 s18, v55, 14
	v_readlane_b32 s19, v55, 15
	s_and_b64 s[18:19], s[2:3], s[18:19]
	s_mov_b64 exec, s[18:19]
	s_cbranch_execz .LBB23_156
; %bb.155:                              ;   in Loop: Header=BB23_33 Depth=1
	ds_write_b32 v47, v13
.LBB23_156:                             ;   in Loop: Header=BB23_33 Depth=1
	s_or_b64 exec, exec, s[2:3]
	s_lshl_b32 s2, 1, s40
	s_and_b32 s3, s4, s41
	s_or_b32 s4, s3, s2
	v_cmp_gt_i64_e64 s[2:3], s[24:25], 0
	s_or_b32 s71, s71, s5
	s_and_b64 vcc, exec, s[2:3]
	s_waitcnt lgkmcnt(0)
	s_barrier
	s_cbranch_vccnz .LBB23_171
; %bb.157:                              ;   in Loop: Header=BB23_33 Depth=1
	s_mov_b32 s48, s77
	s_cmp_lg_u64 s[48:49], 0
	s_cbranch_scc0 .LBB23_216
; %bb.158:                              ;   in Loop: Header=BB23_33 Depth=1
	v_cvt_f32_u32_e32 v2, s33
	s_sub_u32 s2, 0, s33
	s_subb_u32 s3, 0, 0
	v_mac_f32_e32 v2, 0x4f800000, v54
	v_rcp_f32_e32 v2, v2
	v_mul_f32_e32 v2, 0x5f7ffffc, v2
	v_mul_f32_e32 v3, 0x2f800000, v2
	v_trunc_f32_e32 v3, v3
	v_mac_f32_e32 v2, 0xcf800000, v3
	v_cvt_u32_f32_e32 v3, v3
	v_cvt_u32_f32_e32 v2, v2
	v_readfirstlane_b32 s18, v3
	v_readfirstlane_b32 s19, v2
	s_mul_i32 s20, s2, s18
	s_mul_hi_u32 s22, s2, s19
	s_mul_i32 s21, s3, s19
	s_add_i32 s20, s22, s20
	s_mul_i32 s23, s2, s19
	s_add_i32 s20, s20, s21
	s_mul_hi_u32 s22, s19, s23
	s_mul_hi_u32 s21, s19, s20
	s_mul_i32 s19, s19, s20
	s_add_u32 s19, s22, s19
	s_addc_u32 s21, 0, s21
	s_mul_hi_u32 s28, s18, s23
	s_mul_i32 s23, s18, s23
	s_add_u32 s19, s19, s23
	s_mul_hi_u32 s22, s18, s20
	s_addc_u32 s19, s21, s28
	s_addc_u32 s21, s22, 0
	s_mul_i32 s20, s18, s20
	s_add_u32 s19, s19, s20
	s_addc_u32 s20, 0, s21
	v_add_co_u32_e32 v2, vcc, s19, v2
	s_cmp_lg_u64 vcc, 0
	s_addc_u32 s18, s18, s20
	v_readfirstlane_b32 s20, v2
	s_mul_i32 s19, s2, s18
	s_mul_hi_u32 s21, s2, s20
	s_add_i32 s19, s21, s19
	s_mul_i32 s3, s3, s20
	s_add_i32 s19, s19, s3
	s_mul_i32 s2, s2, s20
	s_mul_hi_u32 s21, s18, s2
	s_mul_i32 s22, s18, s2
	s_mul_i32 s28, s20, s19
	s_mul_hi_u32 s2, s20, s2
	s_mul_hi_u32 s23, s20, s19
	s_add_u32 s2, s2, s28
	s_addc_u32 s20, 0, s23
	s_add_u32 s2, s2, s22
	s_mul_hi_u32 s3, s18, s19
	s_addc_u32 s2, s20, s21
	s_addc_u32 s3, s3, 0
	s_mul_i32 s19, s18, s19
	s_add_u32 s2, s2, s19
	s_addc_u32 s3, 0, s3
	v_add_co_u32_e32 v2, vcc, s2, v2
	s_cmp_lg_u64 vcc, 0
	s_addc_u32 s20, s18, s3
	s_ashr_i32 s2, s49, 31
	s_add_u32 s18, s61, s2
	s_mov_b32 s3, s2
	s_addc_u32 s19, s49, s2
	s_xor_b64 s[18:19], s[18:19], s[2:3]
	v_readfirstlane_b32 s22, v2
	s_mul_i32 s21, s18, s20
	s_mul_hi_u32 s23, s18, s22
	s_mul_hi_u32 s3, s18, s20
	s_add_u32 s21, s23, s21
	s_addc_u32 s3, 0, s3
	s_mul_hi_u32 s28, s19, s22
	s_mul_i32 s22, s19, s22
	s_add_u32 s21, s21, s22
	s_mul_hi_u32 s23, s19, s20
	s_addc_u32 s3, s3, s28
	s_addc_u32 s21, s23, 0
	s_mul_i32 s20, s19, s20
	s_add_u32 s3, s3, s20
	s_addc_u32 s20, 0, s21
	s_mul_hi_u32 s21, s33, s3
	s_mul_i32 s3, s33, s3
	s_mul_i32 s20, s33, s20
	v_mov_b32_e32 v2, s3
	s_add_i32 s21, s21, s20
	v_sub_co_u32_e32 v2, vcc, s18, v2
	s_cmp_lg_u64 vcc, 0
	s_subb_u32 s3, s19, s21
	v_subrev_co_u32_e32 v3, vcc, s33, v2
	s_cmp_lg_u64 vcc, 0
	s_subb_u32 s18, s3, 0
	v_subrev_co_u32_e32 v4, vcc, s33, v3
	s_cmp_lg_u64 vcc, 0
	s_subb_u32 s19, s18, 0
	v_cmp_le_u32_e32 vcc, s33, v3
	s_cmp_eq_u32 s18, 0
	v_cndmask_b32_e64 v5, 0, -1, vcc
	s_cselect_b64 vcc, -1, 0
	v_cndmask_b32_e32 v5, -1, v5, vcc
	v_mov_b32_e32 v6, s18
	v_mov_b32_e32 v7, s19
	v_cmp_ne_u32_e32 vcc, 0, v5
	v_cndmask_b32_e32 v5, v6, v7, vcc
	v_cndmask_b32_e32 v3, v3, v4, vcc
	v_cmp_le_u32_e32 vcc, s33, v2
	s_cmp_eq_u32 s3, 0
	v_cndmask_b32_e64 v4, 0, -1, vcc
	s_cselect_b64 vcc, -1, 0
	v_cndmask_b32_e32 v4, -1, v4, vcc
	v_cmp_ne_u32_e32 vcc, 0, v4
	v_mov_b32_e32 v6, s3
	v_cndmask_b32_e32 v2, v2, v3, vcc
	v_cndmask_b32_e32 v4, v6, v5, vcc
	v_xor_b32_e32 v2, s2, v2
	v_xor_b32_e32 v3, s2, v4
	v_mov_b32_e32 v4, s2
	v_subrev_co_u32_e32 v2, vcc, s2, v2
	v_subb_co_u32_e32 v3, vcc, v3, v4, vcc
	s_cbranch_execnz .LBB23_160
.LBB23_159:                             ;   in Loop: Header=BB23_33 Depth=1
	v_cvt_f32_u32_e32 v2, s33
	s_sub_i32 s2, 0, s33
	v_rcp_iflag_f32_e32 v2, v2
	v_mul_f32_e32 v2, 0x4f7ffffe, v2
	v_cvt_u32_f32_e32 v2, v2
	v_mul_lo_u32 v3, s2, v2
	v_mul_hi_u32 v3, v2, v3
	v_add_u32_e32 v2, v2, v3
	v_mul_hi_u32 v2, s61, v2
	v_mul_lo_u32 v2, v2, s33
	v_sub_u32_e32 v2, s61, v2
	v_subrev_u32_e32 v3, s33, v2
	v_cmp_le_u32_e32 vcc, s33, v2
	v_cndmask_b32_e32 v2, v2, v3, vcc
	v_subrev_u32_e32 v3, s33, v2
	v_cmp_le_u32_e32 vcc, s33, v2
	v_cndmask_b32_e32 v12, v2, v3, vcc
	v_pk_mov_b32 v[2:3], v[12:13], v[12:13] op_sel:[0,1]
.LBB23_160:                             ;   in Loop: Header=BB23_33 Depth=1
	v_mov_b32_e32 v4, s49
	v_sub_co_u32_e32 v2, vcc, s61, v2
	v_subb_co_u32_e32 v3, vcc, v4, v3, vcc
	v_cmp_gt_i64_e32 vcc, v[2:3], v[0:1]
	s_mov_b64 s[2:3], 0
                                        ; implicit-def: $vgpr31
	s_and_saveexec_b64 s[18:19], vcc
	s_cbranch_execz .LBB23_173
; %bb.161:                              ;   in Loop: Header=BB23_33 Depth=1
	v_pk_mov_b32 v[4:5], v[10:11], v[10:11] op_sel:[0,1]
	v_pk_mov_b32 v[6:7], v[0:1], v[0:1] op_sel:[0,1]
                                        ; implicit-def: $sgpr20_sgpr21
	s_branch .LBB23_163
.LBB23_162:                             ;   in Loop: Header=BB23_163 Depth=2
	s_or_b64 exec, exec, s[22:23]
	s_waitcnt lgkmcnt(0)
	s_barrier
	ds_read_b64 v[30:31], v13 offset:3072
	v_mov_b32_e32 v8, s86
	v_add_co_u32_e32 v6, vcc, s33, v6
	v_addc_co_u32_e32 v7, vcc, v7, v8, vcc
	s_waitcnt lgkmcnt(0)
	v_readfirstlane_b32 s22, v30
	s_cmp_lg_u32 s22, 0
	s_cselect_b64 s[22:23], -1, 0
	v_cmp_ge_i64_e32 vcc, v[6:7], v[2:3]
	s_or_b64 s[28:29], s[22:23], vcc
	s_and_b64 s[28:29], exec, s[28:29]
	s_or_b64 s[2:3], s[28:29], s[2:3]
	v_mov_b32_e32 v8, s79
	v_add_co_u32_e32 v4, vcc, s78, v4
	s_andn2_b64 s[20:21], s[20:21], exec
	s_and_b64 s[22:23], s[22:23], exec
	v_addc_co_u32_e32 v5, vcc, v5, v8, vcc
	s_or_b64 s[20:21], s[20:21], s[22:23]
	s_barrier
	s_andn2_b64 exec, exec, s[2:3]
	s_cbranch_execz .LBB23_172
.LBB23_163:                             ;   Parent Loop BB23_33 Depth=1
                                        ; =>  This Inner Loop Header: Depth=2
	v_cmp_gt_i64_e32 vcc, s[56:57], v[6:7]
	s_waitcnt vmcnt(0)
	v_mov_b32_e32 v29, 0
	s_and_saveexec_b64 s[22:23], vcc
	s_cbranch_execz .LBB23_165
; %bb.164:                              ;   in Loop: Header=BB23_163 Depth=2
	global_load_dword v29, v[4:5], off
.LBB23_165:                             ;   in Loop: Header=BB23_163 Depth=2
	s_or_b64 exec, exec, s[22:23]
	s_and_saveexec_b64 s[22:23], vcc
	s_cbranch_execz .LBB23_162
; %bb.166:                              ;   in Loop: Header=BB23_163 Depth=2
	s_waitcnt vmcnt(0)
	v_xor_b32_e32 v8, 0x80000000, v29
	v_and_b32_e32 v8, s71, v8
	v_cmp_eq_u32_e32 vcc, s4, v8
	s_and_b64 exec, exec, vcc
	s_cbranch_execz .LBB23_162
; %bb.167:                              ;   in Loop: Header=BB23_163 Depth=2
	ds_write_b64 v13, v[28:29] offset:3072
	s_branch .LBB23_162
.LBB23_168:                             ;   in Loop: Header=BB23_33 Depth=1
                                        ; implicit-def: $sgpr20_sgpr21
                                        ; implicit-def: $sgpr22_sgpr23
                                        ; implicit-def: $sgpr18_sgpr19
	s_branch .LBB23_187
.LBB23_169:                             ;   in Loop: Header=BB23_33 Depth=1
                                        ; implicit-def: $vgpr2_vgpr3
	s_branch .LBB23_114
.LBB23_170:                             ;   in Loop: Header=BB23_33 Depth=1
                                        ; implicit-def: $vgpr2_vgpr3
	s_branch .LBB23_129
.LBB23_171:                             ;   in Loop: Header=BB23_33 Depth=1
	s_mov_b64 s[20:21], -1
	s_mov_b64 s[2:3], 0
                                        ; implicit-def: $sgpr18_sgpr19
                                        ; implicit-def: $vgpr31
	s_mov_b64 s[22:23], s[20:21]
	s_cbranch_execnz .LBB23_174
	s_branch .LBB23_187
.LBB23_172:                             ;   in Loop: Header=BB23_33 Depth=1
	s_or_b64 exec, exec, s[2:3]
	s_and_b64 s[2:3], s[20:21], exec
.LBB23_173:                             ;   in Loop: Header=BB23_33 Depth=1
	s_or_b64 exec, exec, s[18:19]
	s_mov_b64 s[18:19], -1
	s_mov_b64 s[20:21], 0
	s_mov_b64 s[22:23], s[20:21]
	s_branch .LBB23_187
.LBB23_174:                             ;   in Loop: Header=BB23_33 Depth=1
	v_readlane_b32 s2, v55, 26
	s_add_u32 s20, s2, s24
	v_readlane_b32 s2, v55, 27
	s_addc_u32 s3, s2, s25
	s_mov_b32 s2, s77
	s_cmp_lg_u64 s[2:3], 0
	s_cbranch_scc0 .LBB23_217
; %bb.175:                              ;   in Loop: Header=BB23_33 Depth=1
	v_cvt_f32_u32_e32 v2, s33
	s_sub_u32 s2, 0, s33
	s_subb_u32 s18, 0, 0
	v_mac_f32_e32 v2, 0x4f800000, v54
	v_rcp_f32_e32 v2, v2
	v_mul_f32_e32 v2, 0x5f7ffffc, v2
	v_mul_f32_e32 v3, 0x2f800000, v2
	v_trunc_f32_e32 v3, v3
	v_mac_f32_e32 v2, 0xcf800000, v3
	v_cvt_u32_f32_e32 v3, v3
	v_cvt_u32_f32_e32 v2, v2
	v_readfirstlane_b32 s19, v3
	v_readfirstlane_b32 s21, v2
	s_mul_i32 s22, s2, s19
	s_mul_hi_u32 s28, s2, s21
	s_mul_i32 s23, s18, s21
	s_add_i32 s22, s28, s22
	s_mul_i32 s29, s2, s21
	s_add_i32 s22, s22, s23
	s_mul_hi_u32 s28, s21, s29
	s_mul_hi_u32 s23, s21, s22
	s_mul_i32 s21, s21, s22
	s_add_u32 s21, s28, s21
	s_addc_u32 s23, 0, s23
	s_mul_hi_u32 s34, s19, s29
	s_mul_i32 s29, s19, s29
	s_add_u32 s21, s21, s29
	s_mul_hi_u32 s28, s19, s22
	s_addc_u32 s21, s23, s34
	s_addc_u32 s23, s28, 0
	s_mul_i32 s22, s19, s22
	s_add_u32 s21, s21, s22
	s_addc_u32 s22, 0, s23
	v_add_co_u32_e32 v2, vcc, s21, v2
	s_cmp_lg_u64 vcc, 0
	s_addc_u32 s19, s19, s22
	v_readfirstlane_b32 s22, v2
	s_mul_i32 s21, s2, s19
	s_mul_hi_u32 s23, s2, s22
	s_add_i32 s21, s23, s21
	s_mul_i32 s18, s18, s22
	s_add_i32 s21, s21, s18
	s_mul_i32 s2, s2, s22
	s_mul_hi_u32 s23, s19, s2
	s_mul_i32 s28, s19, s2
	s_mul_i32 s34, s22, s21
	s_mul_hi_u32 s2, s22, s2
	s_mul_hi_u32 s29, s22, s21
	s_add_u32 s2, s2, s34
	s_addc_u32 s22, 0, s29
	s_add_u32 s2, s2, s28
	s_mul_hi_u32 s18, s19, s21
	s_addc_u32 s2, s22, s23
	s_addc_u32 s18, s18, 0
	s_mul_i32 s21, s19, s21
	s_add_u32 s2, s2, s21
	s_addc_u32 s18, 0, s18
	v_add_co_u32_e32 v2, vcc, s2, v2
	s_cmp_lg_u64 vcc, 0
	s_addc_u32 s2, s19, s18
	s_ashr_i32 s18, s3, 31
	s_add_u32 s22, s20, s18
	s_mov_b32 s19, s18
	s_addc_u32 s23, s3, s18
	s_xor_b64 s[22:23], s[22:23], s[18:19]
	v_readfirstlane_b32 s28, v2
	s_mul_i32 s21, s22, s2
	s_mul_hi_u32 s29, s22, s28
	s_mul_hi_u32 s19, s22, s2
	s_add_u32 s21, s29, s21
	s_addc_u32 s19, 0, s19
	s_mul_hi_u32 s34, s23, s28
	s_mul_i32 s28, s23, s28
	s_add_u32 s21, s21, s28
	s_mul_hi_u32 s29, s23, s2
	s_addc_u32 s19, s19, s34
	s_addc_u32 s21, s29, 0
	s_mul_i32 s2, s23, s2
	s_add_u32 s2, s19, s2
	s_addc_u32 s19, 0, s21
	s_mul_hi_u32 s21, s33, s2
	s_mul_i32 s2, s33, s2
	s_mul_i32 s19, s33, s19
	v_mov_b32_e32 v2, s2
	s_add_i32 s21, s21, s19
	v_sub_co_u32_e32 v2, vcc, s22, v2
	s_cmp_lg_u64 vcc, 0
	s_subb_u32 s2, s23, s21
	v_subrev_co_u32_e32 v3, vcc, s33, v2
	s_cmp_lg_u64 vcc, 0
	s_subb_u32 s19, s2, 0
	v_subrev_co_u32_e32 v4, vcc, s33, v3
	s_cmp_lg_u64 vcc, 0
	s_subb_u32 s21, s19, 0
	v_cmp_le_u32_e32 vcc, s33, v3
	s_cmp_eq_u32 s19, 0
	v_cndmask_b32_e64 v5, 0, -1, vcc
	s_cselect_b64 vcc, -1, 0
	v_cndmask_b32_e32 v5, -1, v5, vcc
	v_mov_b32_e32 v6, s19
	v_mov_b32_e32 v7, s21
	v_cmp_ne_u32_e32 vcc, 0, v5
	v_cndmask_b32_e32 v5, v6, v7, vcc
	v_cndmask_b32_e32 v3, v3, v4, vcc
	v_cmp_le_u32_e32 vcc, s33, v2
	s_cmp_eq_u32 s2, 0
	v_cndmask_b32_e64 v4, 0, -1, vcc
	s_cselect_b64 vcc, -1, 0
	v_cndmask_b32_e32 v4, -1, v4, vcc
	v_cmp_ne_u32_e32 vcc, 0, v4
	v_mov_b32_e32 v6, s2
	v_cndmask_b32_e32 v2, v2, v3, vcc
	v_cndmask_b32_e32 v4, v6, v5, vcc
	v_xor_b32_e32 v2, s18, v2
	v_xor_b32_e32 v3, s18, v4
	v_mov_b32_e32 v4, s18
	v_subrev_co_u32_e32 v2, vcc, s18, v2
	v_subb_co_u32_e32 v3, vcc, v3, v4, vcc
	s_cbranch_execnz .LBB23_177
.LBB23_176:                             ;   in Loop: Header=BB23_33 Depth=1
	v_cvt_f32_u32_e32 v2, s33
	s_sub_i32 s2, 0, s33
	v_rcp_iflag_f32_e32 v2, v2
	v_mul_f32_e32 v2, 0x4f7ffffe, v2
	v_cvt_u32_f32_e32 v2, v2
	v_mul_lo_u32 v3, s2, v2
	v_mul_hi_u32 v3, v2, v3
	v_add_u32_e32 v2, v2, v3
	v_mul_hi_u32 v2, s20, v2
	v_mul_lo_u32 v2, v2, s33
	v_sub_u32_e32 v2, s20, v2
	v_subrev_u32_e32 v3, s33, v2
	v_cmp_le_u32_e32 vcc, s33, v2
	v_cndmask_b32_e32 v2, v2, v3, vcc
	v_subrev_u32_e32 v3, s33, v2
	v_cmp_le_u32_e32 vcc, s33, v2
	v_cndmask_b32_e32 v12, v2, v3, vcc
	v_pk_mov_b32 v[2:3], v[12:13], v[12:13] op_sel:[0,1]
.LBB23_177:                             ;   in Loop: Header=BB23_33 Depth=1
	v_mov_b32_e32 v4, s3
	v_sub_co_u32_e32 v2, vcc, s20, v2
	v_subb_co_u32_e32 v3, vcc, v4, v3, vcc
	v_cmp_gt_i64_e32 vcc, v[2:3], v[0:1]
	s_mov_b64 s[2:3], 0
                                        ; implicit-def: $vgpr31
	s_and_saveexec_b64 s[18:19], vcc
	s_cbranch_execz .LBB23_186
; %bb.178:                              ;   in Loop: Header=BB23_33 Depth=1
	v_mov_b32_e32 v6, v14
	v_pk_mov_b32 v[4:5], v[0:1], v[0:1] op_sel:[0,1]
                                        ; implicit-def: $sgpr20_sgpr21
	s_branch .LBB23_180
.LBB23_179:                             ;   in Loop: Header=BB23_180 Depth=2
	s_or_b64 exec, exec, s[22:23]
	s_waitcnt lgkmcnt(0)
	s_barrier
	ds_read_b64 v[30:31], v13 offset:3072
	v_mov_b32_e32 v7, s86
	v_add_co_u32_e32 v4, vcc, s33, v4
	v_addc_co_u32_e32 v5, vcc, v5, v7, vcc
	s_waitcnt lgkmcnt(0)
	v_readfirstlane_b32 s22, v30
	s_cmp_lg_u32 s22, 0
	s_cselect_b64 s[22:23], -1, 0
	v_cmp_ge_i64_e32 vcc, v[4:5], v[2:3]
	s_or_b64 s[28:29], s[22:23], vcc
	s_and_b64 s[28:29], exec, s[28:29]
	s_or_b64 s[2:3], s[28:29], s[2:3]
	s_andn2_b64 s[20:21], s[20:21], exec
	s_and_b64 s[22:23], s[22:23], exec
	v_add_u32_e32 v6, s70, v6
	s_or_b64 s[20:21], s[20:21], s[22:23]
	s_barrier
	s_andn2_b64 exec, exec, s[2:3]
	s_cbranch_execz .LBB23_185
.LBB23_180:                             ;   Parent Loop BB23_33 Depth=1
                                        ; =>  This Inner Loop Header: Depth=2
	v_cmp_gt_i64_e32 vcc, s[24:25], v[4:5]
	s_waitcnt vmcnt(0)
	v_mov_b32_e32 v29, 0
	s_and_saveexec_b64 s[22:23], vcc
	s_cbranch_execz .LBB23_182
; %bb.181:                              ;   in Loop: Header=BB23_180 Depth=2
	ds_read_b32 v29, v6
.LBB23_182:                             ;   in Loop: Header=BB23_180 Depth=2
	s_or_b64 exec, exec, s[22:23]
	s_and_saveexec_b64 s[22:23], vcc
	s_cbranch_execz .LBB23_179
; %bb.183:                              ;   in Loop: Header=BB23_180 Depth=2
	s_waitcnt lgkmcnt(0)
	v_xor_b32_e32 v7, 0x80000000, v29
	v_and_b32_e32 v7, s71, v7
	v_cmp_eq_u32_e32 vcc, s4, v7
	s_and_b64 exec, exec, vcc
	s_cbranch_execz .LBB23_179
; %bb.184:                              ;   in Loop: Header=BB23_180 Depth=2
	ds_write_b64 v13, v[28:29] offset:3072
	s_branch .LBB23_179
.LBB23_185:                             ;   in Loop: Header=BB23_33 Depth=1
	s_or_b64 exec, exec, s[2:3]
	s_and_b64 s[2:3], s[20:21], exec
.LBB23_186:                             ;   in Loop: Header=BB23_33 Depth=1
	s_or_b64 exec, exec, s[18:19]
	s_mov_b64 s[22:23], -1
	s_mov_b64 s[20:21], 0
	s_mov_b64 s[18:19], 0
.LBB23_187:                             ;   in Loop: Header=BB23_33 Depth=1
	s_mov_b64 s[28:29], 0
                                        ; implicit-def: $sgpr48
	s_and_saveexec_b64 s[24:25], s[2:3]
	s_cbranch_execz .LBB23_298
; %bb.188:                              ;   in Loop: Header=BB23_33 Depth=1
	s_xor_b64 s[2:3], s[30:31], -1
	s_andn2_b64 vcc, exec, s[2:3]
	s_mov_b32 s48, 1
	s_cbranch_vccnz .LBB23_199
; %bb.189:                              ;   in Loop: Header=BB23_33 Depth=1
	v_pk_mov_b32 v[2:3], s[26:27], s[26:27] op_sel:[0,1]
	v_cmp_gt_i64_e32 vcc, s[58:59], v[2:3]
	s_mov_b64 s[2:3], -1
                                        ; implicit-def: $sgpr48
                                        ; implicit-def: $sgpr28
                                        ; implicit-def: $sgpr29
	s_cbranch_vccnz .LBB23_195
; %bb.190:                              ;   in Loop: Header=BB23_33 Depth=1
	ds_read_b64 v[2:3], v13 offset:5120
	s_waitcnt lgkmcnt(0)
	v_cmp_ne_u64_e32 vcc, 0, v[2:3]
	s_cbranch_vccnz .LBB23_194
; %bb.191:                              ;   in Loop: Header=BB23_33 Depth=1
	s_mov_b64 s[2:3], exec
	v_readlane_b32 s28, v55, 12
	v_readlane_b32 s29, v55, 13
	s_and_b64 s[28:29], s[2:3], s[28:29]
	s_mov_b64 exec, s[28:29]
	s_cbranch_execz .LBB23_193
; %bb.192:                              ;   in Loop: Header=BB23_33 Depth=1
	v_pk_mov_b32 v[2:3], s[26:27], s[26:27] op_sel:[0,1]
	ds_write_b64 v13, v[2:3] offset:5128
.LBB23_193:                             ;   in Loop: Header=BB23_33 Depth=1
	s_or_b64 exec, exec, s[2:3]
	s_waitcnt lgkmcnt(0)
	s_barrier
.LBB23_194:                             ;   in Loop: Header=BB23_33 Depth=1
	s_lshl_b32 s2, 1, s40
	s_and_b32 s3, s4, s41
	s_or_b32 s28, s3, s2
	s_or_b32 s29, s71, s5
	s_mov_b64 s[2:3], 0
	s_mov_b32 s48, 8
.LBB23_195:                             ;   in Loop: Header=BB23_33 Depth=1
	s_andn2_b64 vcc, exec, s[2:3]
	s_cbranch_vccnz .LBB23_197
; %bb.196:                              ;   in Loop: Header=BB23_33 Depth=1
	s_sub_u32 s58, s58, s26
	s_subb_u32 s59, s59, s27
	s_mov_b64 s[2:3], -1
	s_mov_b32 s48, 0
	s_mov_b32 s28, s4
	;; [unrolled: 1-line block ×3, first 2 shown]
.LBB23_197:                             ;   in Loop: Header=BB23_33 Depth=1
	s_mov_b32 s71, s29
	s_mov_b32 s4, s28
	s_andn2_b64 vcc, exec, s[2:3]
	s_mov_b64 s[28:29], -1
	s_cbranch_vccz .LBB23_200
.LBB23_198:                             ;   in Loop: Header=BB23_33 Depth=1
                                        ; implicit-def: $sgpr30_sgpr31
                                        ; implicit-def: $sgpr34_sgpr35
                                        ; implicit-def: $sgpr26_sgpr27
	s_branch .LBB23_297
.LBB23_199:                             ;   in Loop: Header=BB23_33 Depth=1
	s_mov_b64 s[58:59], 1
	s_mov_b64 s[28:29], -1
	s_cbranch_execnz .LBB23_198
.LBB23_200:                             ;   in Loop: Header=BB23_33 Depth=1
	s_cmp_eq_u64 s[16:17], 1
	s_cselect_b64 s[2:3], -1, 0
	s_cmp_eq_u64 s[58:59], 1
	s_cselect_b64 s[26:27], -1, 0
	s_and_b64 s[38:39], s[2:3], s[26:27]
	s_mov_b64 s[2:3], -1
	s_and_b64 vcc, exec, s[38:39]
	s_cbranch_vccz .LBB23_215
; %bb.201:                              ;   in Loop: Header=BB23_33 Depth=1
	ds_read_b64 v[2:3], v13 offset:5120
	s_waitcnt lgkmcnt(0)
	s_barrier
	v_readfirstlane_b32 s36, v2
	v_readfirstlane_b32 s37, v3
	s_mov_b64 s[2:3], exec
	v_readlane_b32 s26, v55, 14
	v_readlane_b32 s27, v55, 15
	s_and_b64 s[26:27], s[2:3], s[26:27]
	s_mov_b64 exec, s[26:27]
	s_cbranch_execz .LBB23_203
; %bb.202:                              ;   in Loop: Header=BB23_33 Depth=1
	ds_write_b32 v47, v13
.LBB23_203:                             ;   in Loop: Header=BB23_33 Depth=1
	s_or_b64 exec, exec, s[2:3]
	s_lshl_b32 s2, 2, s40
	s_and_b32 s3, s4, s41
	s_or_b32 s4, s3, s2
	v_cmp_gt_i64_e64 s[2:3], s[36:37], 0
	s_or_b32 s71, s71, s5
	s_and_b64 vcc, exec, s[2:3]
	s_waitcnt lgkmcnt(0)
	s_barrier
	s_cbranch_vccnz .LBB23_218
; %bb.204:                              ;   in Loop: Header=BB23_33 Depth=1
	s_mov_b32 s48, s77
	s_cmp_lg_u64 s[48:49], 0
	s_cbranch_scc0 .LBB23_263
; %bb.205:                              ;   in Loop: Header=BB23_33 Depth=1
	v_cvt_f32_u32_e32 v2, s33
	s_sub_u32 s2, 0, s33
	s_subb_u32 s3, 0, 0
	v_mac_f32_e32 v2, 0x4f800000, v54
	v_rcp_f32_e32 v2, v2
	v_mul_f32_e32 v2, 0x5f7ffffc, v2
	v_mul_f32_e32 v3, 0x2f800000, v2
	v_trunc_f32_e32 v3, v3
	v_mac_f32_e32 v2, 0xcf800000, v3
	v_cvt_u32_f32_e32 v3, v3
	v_cvt_u32_f32_e32 v2, v2
	v_readfirstlane_b32 s26, v3
	v_readfirstlane_b32 s27, v2
	s_mul_i32 s28, s2, s26
	s_mul_hi_u32 s30, s2, s27
	s_mul_i32 s29, s3, s27
	s_add_i32 s28, s30, s28
	s_mul_i32 s31, s2, s27
	s_add_i32 s28, s28, s29
	s_mul_hi_u32 s30, s27, s31
	s_mul_hi_u32 s29, s27, s28
	s_mul_i32 s27, s27, s28
	s_add_u32 s27, s30, s27
	s_addc_u32 s29, 0, s29
	s_mul_hi_u32 s34, s26, s31
	s_mul_i32 s31, s26, s31
	s_add_u32 s27, s27, s31
	s_mul_hi_u32 s30, s26, s28
	s_addc_u32 s27, s29, s34
	s_addc_u32 s29, s30, 0
	s_mul_i32 s28, s26, s28
	s_add_u32 s27, s27, s28
	s_addc_u32 s28, 0, s29
	v_add_co_u32_e32 v2, vcc, s27, v2
	s_cmp_lg_u64 vcc, 0
	s_addc_u32 s26, s26, s28
	v_readfirstlane_b32 s28, v2
	s_mul_i32 s27, s2, s26
	s_mul_hi_u32 s29, s2, s28
	s_add_i32 s27, s29, s27
	s_mul_i32 s3, s3, s28
	s_add_i32 s27, s27, s3
	s_mul_i32 s2, s2, s28
	s_mul_hi_u32 s29, s26, s2
	s_mul_i32 s30, s26, s2
	s_mul_i32 s34, s28, s27
	s_mul_hi_u32 s2, s28, s2
	s_mul_hi_u32 s31, s28, s27
	s_add_u32 s2, s2, s34
	s_addc_u32 s28, 0, s31
	s_add_u32 s2, s2, s30
	s_mul_hi_u32 s3, s26, s27
	s_addc_u32 s2, s28, s29
	s_addc_u32 s3, s3, 0
	s_mul_i32 s27, s26, s27
	s_add_u32 s2, s2, s27
	s_addc_u32 s3, 0, s3
	v_add_co_u32_e32 v2, vcc, s2, v2
	s_cmp_lg_u64 vcc, 0
	s_addc_u32 s28, s26, s3
	s_ashr_i32 s2, s49, 31
	s_add_u32 s26, s61, s2
	s_mov_b32 s3, s2
	s_addc_u32 s27, s49, s2
	s_xor_b64 s[26:27], s[26:27], s[2:3]
	v_readfirstlane_b32 s30, v2
	s_mul_i32 s29, s26, s28
	s_mul_hi_u32 s31, s26, s30
	s_mul_hi_u32 s3, s26, s28
	s_add_u32 s29, s31, s29
	s_addc_u32 s3, 0, s3
	s_mul_hi_u32 s34, s27, s30
	s_mul_i32 s30, s27, s30
	s_add_u32 s29, s29, s30
	s_mul_hi_u32 s31, s27, s28
	s_addc_u32 s3, s3, s34
	s_addc_u32 s29, s31, 0
	s_mul_i32 s28, s27, s28
	s_add_u32 s3, s3, s28
	s_addc_u32 s28, 0, s29
	s_mul_hi_u32 s29, s33, s3
	s_mul_i32 s3, s33, s3
	s_mul_i32 s28, s33, s28
	v_mov_b32_e32 v2, s3
	s_add_i32 s29, s29, s28
	v_sub_co_u32_e32 v2, vcc, s26, v2
	s_cmp_lg_u64 vcc, 0
	s_subb_u32 s3, s27, s29
	v_subrev_co_u32_e32 v3, vcc, s33, v2
	s_cmp_lg_u64 vcc, 0
	s_subb_u32 s26, s3, 0
	v_subrev_co_u32_e32 v4, vcc, s33, v3
	s_cmp_lg_u64 vcc, 0
	s_subb_u32 s27, s26, 0
	v_cmp_le_u32_e32 vcc, s33, v3
	s_cmp_eq_u32 s26, 0
	v_cndmask_b32_e64 v5, 0, -1, vcc
	s_cselect_b64 vcc, -1, 0
	v_cndmask_b32_e32 v5, -1, v5, vcc
	v_mov_b32_e32 v6, s26
	v_mov_b32_e32 v7, s27
	v_cmp_ne_u32_e32 vcc, 0, v5
	v_cndmask_b32_e32 v5, v6, v7, vcc
	v_cndmask_b32_e32 v3, v3, v4, vcc
	v_cmp_le_u32_e32 vcc, s33, v2
	s_cmp_eq_u32 s3, 0
	v_cndmask_b32_e64 v4, 0, -1, vcc
	s_cselect_b64 vcc, -1, 0
	v_cndmask_b32_e32 v4, -1, v4, vcc
	v_cmp_ne_u32_e32 vcc, 0, v4
	v_mov_b32_e32 v6, s3
	v_cndmask_b32_e32 v2, v2, v3, vcc
	v_cndmask_b32_e32 v4, v6, v5, vcc
	v_xor_b32_e32 v2, s2, v2
	v_xor_b32_e32 v3, s2, v4
	v_mov_b32_e32 v4, s2
	v_subrev_co_u32_e32 v2, vcc, s2, v2
	v_subb_co_u32_e32 v3, vcc, v3, v4, vcc
	s_cbranch_execnz .LBB23_207
.LBB23_206:                             ;   in Loop: Header=BB23_33 Depth=1
	v_cvt_f32_u32_e32 v2, s33
	s_sub_i32 s2, 0, s33
	v_rcp_iflag_f32_e32 v2, v2
	v_mul_f32_e32 v2, 0x4f7ffffe, v2
	v_cvt_u32_f32_e32 v2, v2
	v_mul_lo_u32 v3, s2, v2
	v_mul_hi_u32 v3, v2, v3
	v_add_u32_e32 v2, v2, v3
	v_mul_hi_u32 v2, s61, v2
	v_mul_lo_u32 v2, v2, s33
	v_sub_u32_e32 v2, s61, v2
	v_subrev_u32_e32 v3, s33, v2
	v_cmp_le_u32_e32 vcc, s33, v2
	v_cndmask_b32_e32 v2, v2, v3, vcc
	v_subrev_u32_e32 v3, s33, v2
	v_cmp_le_u32_e32 vcc, s33, v2
	v_cndmask_b32_e32 v12, v2, v3, vcc
	v_pk_mov_b32 v[2:3], v[12:13], v[12:13] op_sel:[0,1]
.LBB23_207:                             ;   in Loop: Header=BB23_33 Depth=1
	v_mov_b32_e32 v4, s49
	v_sub_co_u32_e32 v2, vcc, s61, v2
	v_subb_co_u32_e32 v3, vcc, v4, v3, vcc
	v_cmp_gt_i64_e32 vcc, v[2:3], v[0:1]
	s_mov_b64 s[2:3], 0
                                        ; implicit-def: $vgpr31
	s_and_saveexec_b64 s[26:27], vcc
	s_cbranch_execz .LBB23_220
; %bb.208:                              ;   in Loop: Header=BB23_33 Depth=1
	v_pk_mov_b32 v[4:5], v[10:11], v[10:11] op_sel:[0,1]
	v_pk_mov_b32 v[6:7], v[0:1], v[0:1] op_sel:[0,1]
                                        ; implicit-def: $sgpr28_sgpr29
	s_branch .LBB23_210
.LBB23_209:                             ;   in Loop: Header=BB23_210 Depth=2
	s_or_b64 exec, exec, s[30:31]
	s_waitcnt lgkmcnt(0)
	s_barrier
	ds_read_b64 v[30:31], v13 offset:3072
	v_mov_b32_e32 v8, s86
	v_add_co_u32_e32 v6, vcc, s33, v6
	v_addc_co_u32_e32 v7, vcc, v7, v8, vcc
	s_waitcnt lgkmcnt(0)
	v_readfirstlane_b32 s30, v30
	s_cmp_lg_u32 s30, 0
	s_cselect_b64 s[30:31], -1, 0
	v_cmp_ge_i64_e32 vcc, v[6:7], v[2:3]
	s_or_b64 s[34:35], s[30:31], vcc
	s_and_b64 s[34:35], exec, s[34:35]
	s_or_b64 s[2:3], s[34:35], s[2:3]
	v_mov_b32_e32 v8, s79
	v_add_co_u32_e32 v4, vcc, s78, v4
	s_andn2_b64 s[28:29], s[28:29], exec
	s_and_b64 s[30:31], s[30:31], exec
	v_addc_co_u32_e32 v5, vcc, v5, v8, vcc
	s_or_b64 s[28:29], s[28:29], s[30:31]
	s_barrier
	s_andn2_b64 exec, exec, s[2:3]
	s_cbranch_execz .LBB23_219
.LBB23_210:                             ;   Parent Loop BB23_33 Depth=1
                                        ; =>  This Inner Loop Header: Depth=2
	v_cmp_gt_i64_e32 vcc, s[56:57], v[6:7]
	s_waitcnt vmcnt(0)
	v_mov_b32_e32 v29, 0
	s_and_saveexec_b64 s[30:31], vcc
	s_cbranch_execz .LBB23_212
; %bb.211:                              ;   in Loop: Header=BB23_210 Depth=2
	global_load_dword v29, v[4:5], off
.LBB23_212:                             ;   in Loop: Header=BB23_210 Depth=2
	s_or_b64 exec, exec, s[30:31]
	s_and_saveexec_b64 s[30:31], vcc
	s_cbranch_execz .LBB23_209
; %bb.213:                              ;   in Loop: Header=BB23_210 Depth=2
	s_waitcnt vmcnt(0)
	v_xor_b32_e32 v8, 0x80000000, v29
	v_and_b32_e32 v8, s71, v8
	v_cmp_eq_u32_e32 vcc, s4, v8
	s_and_b64 exec, exec, vcc
	s_cbranch_execz .LBB23_209
; %bb.214:                              ;   in Loop: Header=BB23_210 Depth=2
	ds_write_b64 v13, v[28:29] offset:3072
	s_branch .LBB23_209
.LBB23_215:                             ;   in Loop: Header=BB23_33 Depth=1
                                        ; implicit-def: $sgpr26_sgpr27
                                        ; implicit-def: $sgpr34_sgpr35
                                        ; implicit-def: $sgpr30_sgpr31
	s_branch .LBB23_234
.LBB23_216:                             ;   in Loop: Header=BB23_33 Depth=1
                                        ; implicit-def: $vgpr2_vgpr3
	s_branch .LBB23_159
.LBB23_217:                             ;   in Loop: Header=BB23_33 Depth=1
                                        ; implicit-def: $vgpr2_vgpr3
	s_branch .LBB23_176
.LBB23_218:                             ;   in Loop: Header=BB23_33 Depth=1
	s_mov_b64 s[26:27], -1
	s_mov_b64 s[2:3], 0
                                        ; implicit-def: $sgpr30_sgpr31
                                        ; implicit-def: $vgpr31
	s_mov_b64 s[34:35], s[26:27]
	s_cbranch_execnz .LBB23_221
	s_branch .LBB23_234
.LBB23_219:                             ;   in Loop: Header=BB23_33 Depth=1
	s_or_b64 exec, exec, s[2:3]
	s_and_b64 s[2:3], s[28:29], exec
.LBB23_220:                             ;   in Loop: Header=BB23_33 Depth=1
	s_or_b64 exec, exec, s[26:27]
	s_mov_b64 s[30:31], -1
	s_mov_b64 s[26:27], 0
	s_mov_b64 s[34:35], s[26:27]
	s_branch .LBB23_234
.LBB23_221:                             ;   in Loop: Header=BB23_33 Depth=1
	v_readlane_b32 s2, v55, 26
	s_add_u32 s28, s2, s36
	v_readlane_b32 s2, v55, 27
	s_addc_u32 s3, s2, s37
	s_mov_b32 s2, s77
	s_cmp_lg_u64 s[2:3], 0
	s_cbranch_scc0 .LBB23_264
; %bb.222:                              ;   in Loop: Header=BB23_33 Depth=1
	v_cvt_f32_u32_e32 v2, s33
	s_sub_u32 s2, 0, s33
	s_subb_u32 s26, 0, 0
	v_mac_f32_e32 v2, 0x4f800000, v54
	v_rcp_f32_e32 v2, v2
	v_mul_f32_e32 v2, 0x5f7ffffc, v2
	v_mul_f32_e32 v3, 0x2f800000, v2
	v_trunc_f32_e32 v3, v3
	v_mac_f32_e32 v2, 0xcf800000, v3
	v_cvt_u32_f32_e32 v3, v3
	v_cvt_u32_f32_e32 v2, v2
	v_readfirstlane_b32 s27, v3
	v_readfirstlane_b32 s29, v2
	s_mul_i32 s30, s2, s27
	s_mul_hi_u32 s34, s2, s29
	s_mul_i32 s31, s26, s29
	s_add_i32 s30, s34, s30
	s_mul_i32 s35, s2, s29
	s_add_i32 s30, s30, s31
	s_mul_hi_u32 s34, s29, s35
	s_mul_hi_u32 s31, s29, s30
	s_mul_i32 s29, s29, s30
	s_add_u32 s29, s34, s29
	s_addc_u32 s31, 0, s31
	s_mul_hi_u32 s42, s27, s35
	s_mul_i32 s35, s27, s35
	s_add_u32 s29, s29, s35
	s_mul_hi_u32 s34, s27, s30
	s_addc_u32 s29, s31, s42
	s_addc_u32 s31, s34, 0
	s_mul_i32 s30, s27, s30
	s_add_u32 s29, s29, s30
	s_addc_u32 s30, 0, s31
	v_add_co_u32_e32 v2, vcc, s29, v2
	s_cmp_lg_u64 vcc, 0
	s_addc_u32 s27, s27, s30
	v_readfirstlane_b32 s30, v2
	s_mul_i32 s29, s2, s27
	s_mul_hi_u32 s31, s2, s30
	s_add_i32 s29, s31, s29
	s_mul_i32 s26, s26, s30
	s_add_i32 s29, s29, s26
	s_mul_i32 s2, s2, s30
	s_mul_hi_u32 s31, s27, s2
	s_mul_i32 s34, s27, s2
	s_mul_i32 s42, s30, s29
	s_mul_hi_u32 s2, s30, s2
	s_mul_hi_u32 s35, s30, s29
	s_add_u32 s2, s2, s42
	s_addc_u32 s30, 0, s35
	s_add_u32 s2, s2, s34
	s_mul_hi_u32 s26, s27, s29
	s_addc_u32 s2, s30, s31
	s_addc_u32 s26, s26, 0
	s_mul_i32 s29, s27, s29
	s_add_u32 s2, s2, s29
	s_addc_u32 s26, 0, s26
	v_add_co_u32_e32 v2, vcc, s2, v2
	s_cmp_lg_u64 vcc, 0
	s_addc_u32 s2, s27, s26
	s_ashr_i32 s26, s3, 31
	s_add_u32 s30, s28, s26
	s_mov_b32 s27, s26
	s_addc_u32 s31, s3, s26
	s_xor_b64 s[30:31], s[30:31], s[26:27]
	v_readfirstlane_b32 s34, v2
	s_mul_i32 s29, s30, s2
	s_mul_hi_u32 s35, s30, s34
	s_mul_hi_u32 s27, s30, s2
	s_add_u32 s29, s35, s29
	s_addc_u32 s27, 0, s27
	s_mul_hi_u32 s42, s31, s34
	s_mul_i32 s34, s31, s34
	s_add_u32 s29, s29, s34
	s_mul_hi_u32 s35, s31, s2
	s_addc_u32 s27, s27, s42
	s_addc_u32 s29, s35, 0
	s_mul_i32 s2, s31, s2
	s_add_u32 s2, s27, s2
	s_addc_u32 s27, 0, s29
	s_mul_hi_u32 s29, s33, s2
	s_mul_i32 s2, s33, s2
	s_mul_i32 s27, s33, s27
	v_mov_b32_e32 v2, s2
	s_add_i32 s29, s29, s27
	v_sub_co_u32_e32 v2, vcc, s30, v2
	s_cmp_lg_u64 vcc, 0
	s_subb_u32 s2, s31, s29
	v_subrev_co_u32_e32 v3, vcc, s33, v2
	s_cmp_lg_u64 vcc, 0
	s_subb_u32 s27, s2, 0
	v_subrev_co_u32_e32 v4, vcc, s33, v3
	s_cmp_lg_u64 vcc, 0
	s_subb_u32 s29, s27, 0
	v_cmp_le_u32_e32 vcc, s33, v3
	s_cmp_eq_u32 s27, 0
	v_cndmask_b32_e64 v5, 0, -1, vcc
	s_cselect_b64 vcc, -1, 0
	v_cndmask_b32_e32 v5, -1, v5, vcc
	v_mov_b32_e32 v6, s27
	v_mov_b32_e32 v7, s29
	v_cmp_ne_u32_e32 vcc, 0, v5
	v_cndmask_b32_e32 v5, v6, v7, vcc
	v_cndmask_b32_e32 v3, v3, v4, vcc
	v_cmp_le_u32_e32 vcc, s33, v2
	s_cmp_eq_u32 s2, 0
	v_cndmask_b32_e64 v4, 0, -1, vcc
	s_cselect_b64 vcc, -1, 0
	v_cndmask_b32_e32 v4, -1, v4, vcc
	v_cmp_ne_u32_e32 vcc, 0, v4
	v_mov_b32_e32 v6, s2
	v_cndmask_b32_e32 v2, v2, v3, vcc
	v_cndmask_b32_e32 v4, v6, v5, vcc
	v_xor_b32_e32 v2, s26, v2
	v_xor_b32_e32 v3, s26, v4
	v_mov_b32_e32 v4, s26
	v_subrev_co_u32_e32 v2, vcc, s26, v2
	v_subb_co_u32_e32 v3, vcc, v3, v4, vcc
	s_cbranch_execnz .LBB23_224
.LBB23_223:                             ;   in Loop: Header=BB23_33 Depth=1
	v_cvt_f32_u32_e32 v2, s33
	s_sub_i32 s2, 0, s33
	v_rcp_iflag_f32_e32 v2, v2
	v_mul_f32_e32 v2, 0x4f7ffffe, v2
	v_cvt_u32_f32_e32 v2, v2
	v_mul_lo_u32 v3, s2, v2
	v_mul_hi_u32 v3, v2, v3
	v_add_u32_e32 v2, v2, v3
	v_mul_hi_u32 v2, s28, v2
	v_mul_lo_u32 v2, v2, s33
	v_sub_u32_e32 v2, s28, v2
	v_subrev_u32_e32 v3, s33, v2
	v_cmp_le_u32_e32 vcc, s33, v2
	v_cndmask_b32_e32 v2, v2, v3, vcc
	v_subrev_u32_e32 v3, s33, v2
	v_cmp_le_u32_e32 vcc, s33, v2
	v_cndmask_b32_e32 v12, v2, v3, vcc
	v_pk_mov_b32 v[2:3], v[12:13], v[12:13] op_sel:[0,1]
.LBB23_224:                             ;   in Loop: Header=BB23_33 Depth=1
	v_mov_b32_e32 v4, s3
	v_sub_co_u32_e32 v2, vcc, s28, v2
	v_subb_co_u32_e32 v3, vcc, v4, v3, vcc
	v_cmp_gt_i64_e32 vcc, v[2:3], v[0:1]
	s_mov_b64 s[2:3], 0
                                        ; implicit-def: $vgpr31
	s_and_saveexec_b64 s[26:27], vcc
	v_readlane_b32 s42, v55, 47
	s_cbranch_execz .LBB23_233
; %bb.225:                              ;   in Loop: Header=BB23_33 Depth=1
	v_mov_b32_e32 v6, v14
	v_pk_mov_b32 v[4:5], v[0:1], v[0:1] op_sel:[0,1]
                                        ; implicit-def: $sgpr28_sgpr29
	s_branch .LBB23_227
.LBB23_226:                             ;   in Loop: Header=BB23_227 Depth=2
	s_or_b64 exec, exec, s[30:31]
	s_waitcnt lgkmcnt(0)
	s_barrier
	ds_read_b64 v[30:31], v13 offset:3072
	v_mov_b32_e32 v7, s86
	v_add_co_u32_e32 v4, vcc, s33, v4
	v_addc_co_u32_e32 v5, vcc, v5, v7, vcc
	s_waitcnt lgkmcnt(0)
	v_readfirstlane_b32 s30, v30
	s_cmp_lg_u32 s30, 0
	s_cselect_b64 s[30:31], -1, 0
	v_cmp_ge_i64_e32 vcc, v[4:5], v[2:3]
	s_or_b64 s[34:35], s[30:31], vcc
	s_and_b64 s[34:35], exec, s[34:35]
	s_or_b64 s[2:3], s[34:35], s[2:3]
	s_andn2_b64 s[28:29], s[28:29], exec
	s_and_b64 s[30:31], s[30:31], exec
	v_add_u32_e32 v6, s70, v6
	s_or_b64 s[28:29], s[28:29], s[30:31]
	s_barrier
	s_andn2_b64 exec, exec, s[2:3]
	s_cbranch_execz .LBB23_232
.LBB23_227:                             ;   Parent Loop BB23_33 Depth=1
                                        ; =>  This Inner Loop Header: Depth=2
	v_cmp_gt_i64_e32 vcc, s[36:37], v[4:5]
	s_waitcnt vmcnt(0)
	v_mov_b32_e32 v29, 0
	s_and_saveexec_b64 s[30:31], vcc
	s_cbranch_execz .LBB23_229
; %bb.228:                              ;   in Loop: Header=BB23_227 Depth=2
	ds_read_b32 v29, v6
.LBB23_229:                             ;   in Loop: Header=BB23_227 Depth=2
	s_or_b64 exec, exec, s[30:31]
	s_and_saveexec_b64 s[30:31], vcc
	s_cbranch_execz .LBB23_226
; %bb.230:                              ;   in Loop: Header=BB23_227 Depth=2
	s_waitcnt lgkmcnt(0)
	v_xor_b32_e32 v7, 0x80000000, v29
	v_and_b32_e32 v7, s71, v7
	v_cmp_eq_u32_e32 vcc, s4, v7
	s_and_b64 exec, exec, vcc
	s_cbranch_execz .LBB23_226
; %bb.231:                              ;   in Loop: Header=BB23_227 Depth=2
	ds_write_b64 v13, v[28:29] offset:3072
	s_branch .LBB23_226
.LBB23_232:                             ;   in Loop: Header=BB23_33 Depth=1
	s_or_b64 exec, exec, s[2:3]
	s_and_b64 s[2:3], s[28:29], exec
.LBB23_233:                             ;   in Loop: Header=BB23_33 Depth=1
	s_or_b64 exec, exec, s[26:27]
	s_mov_b64 s[34:35], -1
	s_mov_b64 s[26:27], 0
	s_mov_b64 s[30:31], 0
.LBB23_234:                             ;   in Loop: Header=BB23_33 Depth=1
	s_mov_b64 s[28:29], 0
                                        ; implicit-def: $sgpr48
	s_and_saveexec_b64 s[36:37], s[2:3]
	s_cbranch_execz .LBB23_296
; %bb.235:                              ;   in Loop: Header=BB23_33 Depth=1
	s_xor_b64 s[2:3], s[38:39], -1
	s_andn2_b64 vcc, exec, s[2:3]
	s_mov_b32 s48, 1
	s_cbranch_vccnz .LBB23_246
; %bb.236:                              ;   in Loop: Header=BB23_33 Depth=1
	v_pk_mov_b32 v[2:3], s[16:17], s[16:17] op_sel:[0,1]
	v_cmp_gt_i64_e32 vcc, s[58:59], v[2:3]
	s_mov_b64 s[2:3], -1
                                        ; implicit-def: $sgpr48
                                        ; implicit-def: $sgpr28
                                        ; implicit-def: $sgpr29
	s_cbranch_vccnz .LBB23_242
; %bb.237:                              ;   in Loop: Header=BB23_33 Depth=1
	ds_read_b64 v[2:3], v13 offset:5120
	s_waitcnt lgkmcnt(0)
	v_cmp_ne_u64_e32 vcc, 0, v[2:3]
	s_cbranch_vccnz .LBB23_241
; %bb.238:                              ;   in Loop: Header=BB23_33 Depth=1
	s_mov_b64 s[2:3], exec
	v_readlane_b32 s28, v55, 12
	v_readlane_b32 s29, v55, 13
	s_and_b64 s[28:29], s[2:3], s[28:29]
	s_mov_b64 exec, s[28:29]
	s_cbranch_execz .LBB23_240
; %bb.239:                              ;   in Loop: Header=BB23_33 Depth=1
	v_pk_mov_b32 v[2:3], s[16:17], s[16:17] op_sel:[0,1]
	ds_write_b64 v13, v[2:3] offset:5128
.LBB23_240:                             ;   in Loop: Header=BB23_33 Depth=1
	s_or_b64 exec, exec, s[2:3]
	s_waitcnt lgkmcnt(0)
	s_barrier
.LBB23_241:                             ;   in Loop: Header=BB23_33 Depth=1
	s_lshl_b32 s2, 2, s40
	s_and_b32 s3, s4, s41
	s_or_b32 s28, s3, s2
	s_or_b32 s29, s71, s5
	s_mov_b64 s[2:3], 0
	s_mov_b32 s48, 8
.LBB23_242:                             ;   in Loop: Header=BB23_33 Depth=1
	s_andn2_b64 vcc, exec, s[2:3]
	s_cbranch_vccnz .LBB23_244
; %bb.243:                              ;   in Loop: Header=BB23_33 Depth=1
	s_sub_u32 s58, s58, s16
	s_subb_u32 s59, s59, s17
	s_mov_b64 s[2:3], -1
	s_mov_b32 s48, 0
	s_mov_b32 s28, s4
	;; [unrolled: 1-line block ×3, first 2 shown]
.LBB23_244:                             ;   in Loop: Header=BB23_33 Depth=1
	s_mov_b32 s71, s29
	s_mov_b32 s4, s28
	s_andn2_b64 vcc, exec, s[2:3]
	s_mov_b64 s[44:45], -1
	s_cbranch_vccz .LBB23_247
.LBB23_245:                             ;   in Loop: Header=BB23_33 Depth=1
                                        ; implicit-def: $sgpr2_sgpr3
                                        ; implicit-def: $sgpr40_sgpr41
                                        ; implicit-def: $sgpr28_sgpr29
	s_branch .LBB23_295
.LBB23_246:                             ;   in Loop: Header=BB23_33 Depth=1
	s_mov_b64 s[58:59], 1
	s_mov_b64 s[44:45], -1
	s_cbranch_execnz .LBB23_245
.LBB23_247:                             ;   in Loop: Header=BB23_33 Depth=1
	s_cmp_eq_u64 s[6:7], 1
	s_cselect_b64 s[2:3], -1, 0
	s_cmp_eq_u64 s[58:59], 1
	s_cselect_b64 s[16:17], -1, 0
	s_and_b64 s[16:17], s[2:3], s[16:17]
	s_mov_b64 s[42:43], -1
	s_and_b64 vcc, exec, s[16:17]
	s_cbranch_vccz .LBB23_262
; %bb.248:                              ;   in Loop: Header=BB23_33 Depth=1
	ds_read_b64 v[2:3], v13 offset:5120
	s_waitcnt lgkmcnt(0)
	s_barrier
	v_readfirstlane_b32 s38, v2
	v_readfirstlane_b32 s39, v3
	s_mov_b64 s[2:3], exec
	v_readlane_b32 s28, v55, 14
	v_readlane_b32 s29, v55, 15
	s_and_b64 s[28:29], s[2:3], s[28:29]
	s_mov_b64 exec, s[28:29]
	s_cbranch_execz .LBB23_250
; %bb.249:                              ;   in Loop: Header=BB23_33 Depth=1
	ds_write_b32 v47, v13
.LBB23_250:                             ;   in Loop: Header=BB23_33 Depth=1
	s_or_b64 exec, exec, s[2:3]
	v_cmp_gt_i64_e64 s[2:3], s[38:39], 0
	s_or_b32 s4, s4, s5
	s_or_b32 s71, s71, s5
	s_and_b64 vcc, exec, s[2:3]
	s_waitcnt lgkmcnt(0)
	s_barrier
	s_cbranch_vccnz .LBB23_265
; %bb.251:                              ;   in Loop: Header=BB23_33 Depth=1
	s_mov_b32 s48, s77
	s_cmp_lg_u64 s[48:49], 0
	s_cbranch_scc0 .LBB23_301
; %bb.252:                              ;   in Loop: Header=BB23_33 Depth=1
	v_cvt_f32_u32_e32 v2, s33
	s_sub_u32 s2, 0, s33
	s_subb_u32 s3, 0, 0
	v_mac_f32_e32 v2, 0x4f800000, v54
	v_rcp_f32_e32 v2, v2
	v_mul_f32_e32 v2, 0x5f7ffffc, v2
	v_mul_f32_e32 v3, 0x2f800000, v2
	v_trunc_f32_e32 v3, v3
	v_mac_f32_e32 v2, 0xcf800000, v3
	v_cvt_u32_f32_e32 v3, v3
	v_cvt_u32_f32_e32 v2, v2
	v_readfirstlane_b32 s28, v3
	v_readfirstlane_b32 s29, v2
	s_mul_i32 s40, s2, s28
	s_mul_hi_u32 s42, s2, s29
	s_mul_i32 s41, s3, s29
	s_add_i32 s40, s42, s40
	s_mul_i32 s43, s2, s29
	s_add_i32 s40, s40, s41
	s_mul_hi_u32 s42, s29, s43
	s_mul_hi_u32 s41, s29, s40
	s_mul_i32 s29, s29, s40
	s_add_u32 s29, s42, s29
	s_addc_u32 s41, 0, s41
	s_mul_hi_u32 s44, s28, s43
	s_mul_i32 s43, s28, s43
	s_add_u32 s29, s29, s43
	s_mul_hi_u32 s42, s28, s40
	s_addc_u32 s29, s41, s44
	s_addc_u32 s41, s42, 0
	s_mul_i32 s40, s28, s40
	s_add_u32 s29, s29, s40
	s_addc_u32 s40, 0, s41
	v_add_co_u32_e32 v2, vcc, s29, v2
	s_cmp_lg_u64 vcc, 0
	s_addc_u32 s28, s28, s40
	v_readfirstlane_b32 s40, v2
	s_mul_i32 s29, s2, s28
	s_mul_hi_u32 s41, s2, s40
	s_add_i32 s29, s41, s29
	s_mul_i32 s3, s3, s40
	s_add_i32 s29, s29, s3
	s_mul_i32 s2, s2, s40
	s_mul_hi_u32 s41, s28, s2
	s_mul_i32 s42, s28, s2
	s_mul_i32 s44, s40, s29
	s_mul_hi_u32 s2, s40, s2
	s_mul_hi_u32 s43, s40, s29
	s_add_u32 s2, s2, s44
	s_addc_u32 s40, 0, s43
	s_add_u32 s2, s2, s42
	s_mul_hi_u32 s3, s28, s29
	s_addc_u32 s2, s40, s41
	s_addc_u32 s3, s3, 0
	s_mul_i32 s29, s28, s29
	s_add_u32 s2, s2, s29
	s_addc_u32 s3, 0, s3
	v_add_co_u32_e32 v2, vcc, s2, v2
	s_cmp_lg_u64 vcc, 0
	s_addc_u32 s40, s28, s3
	s_ashr_i32 s2, s49, 31
	s_add_u32 s28, s61, s2
	s_mov_b32 s3, s2
	s_addc_u32 s29, s49, s2
	s_xor_b64 s[28:29], s[28:29], s[2:3]
	v_readfirstlane_b32 s42, v2
	s_mul_i32 s41, s28, s40
	s_mul_hi_u32 s43, s28, s42
	s_mul_hi_u32 s3, s28, s40
	s_add_u32 s41, s43, s41
	s_addc_u32 s3, 0, s3
	s_mul_hi_u32 s44, s29, s42
	s_mul_i32 s42, s29, s42
	s_add_u32 s41, s41, s42
	s_mul_hi_u32 s43, s29, s40
	s_addc_u32 s3, s3, s44
	s_addc_u32 s41, s43, 0
	s_mul_i32 s40, s29, s40
	s_add_u32 s3, s3, s40
	s_addc_u32 s40, 0, s41
	s_mul_hi_u32 s41, s33, s3
	s_mul_i32 s3, s33, s3
	s_mul_i32 s40, s33, s40
	v_mov_b32_e32 v2, s3
	s_add_i32 s41, s41, s40
	v_sub_co_u32_e32 v2, vcc, s28, v2
	s_cmp_lg_u64 vcc, 0
	s_subb_u32 s3, s29, s41
	v_subrev_co_u32_e32 v3, vcc, s33, v2
	s_cmp_lg_u64 vcc, 0
	s_subb_u32 s28, s3, 0
	v_subrev_co_u32_e32 v4, vcc, s33, v3
	s_cmp_lg_u64 vcc, 0
	s_subb_u32 s29, s28, 0
	v_cmp_le_u32_e32 vcc, s33, v3
	s_cmp_eq_u32 s28, 0
	v_cndmask_b32_e64 v5, 0, -1, vcc
	s_cselect_b64 vcc, -1, 0
	v_cndmask_b32_e32 v5, -1, v5, vcc
	v_mov_b32_e32 v6, s28
	v_mov_b32_e32 v7, s29
	v_cmp_ne_u32_e32 vcc, 0, v5
	v_cndmask_b32_e32 v5, v6, v7, vcc
	v_cndmask_b32_e32 v3, v3, v4, vcc
	v_cmp_le_u32_e32 vcc, s33, v2
	s_cmp_eq_u32 s3, 0
	v_cndmask_b32_e64 v4, 0, -1, vcc
	s_cselect_b64 vcc, -1, 0
	v_cndmask_b32_e32 v4, -1, v4, vcc
	v_cmp_ne_u32_e32 vcc, 0, v4
	v_mov_b32_e32 v6, s3
	v_cndmask_b32_e32 v2, v2, v3, vcc
	v_cndmask_b32_e32 v4, v6, v5, vcc
	v_xor_b32_e32 v2, s2, v2
	v_xor_b32_e32 v3, s2, v4
	v_mov_b32_e32 v4, s2
	v_subrev_co_u32_e32 v2, vcc, s2, v2
	v_subb_co_u32_e32 v3, vcc, v3, v4, vcc
	s_cbranch_execnz .LBB23_254
.LBB23_253:                             ;   in Loop: Header=BB23_33 Depth=1
	v_cvt_f32_u32_e32 v2, s33
	s_sub_i32 s2, 0, s33
	v_rcp_iflag_f32_e32 v2, v2
	v_mul_f32_e32 v2, 0x4f7ffffe, v2
	v_cvt_u32_f32_e32 v2, v2
	v_mul_lo_u32 v3, s2, v2
	v_mul_hi_u32 v3, v2, v3
	v_add_u32_e32 v2, v2, v3
	v_mul_hi_u32 v2, s61, v2
	v_mul_lo_u32 v2, v2, s33
	v_sub_u32_e32 v2, s61, v2
	v_subrev_u32_e32 v3, s33, v2
	v_cmp_le_u32_e32 vcc, s33, v2
	v_cndmask_b32_e32 v2, v2, v3, vcc
	v_subrev_u32_e32 v3, s33, v2
	v_cmp_le_u32_e32 vcc, s33, v2
	v_cndmask_b32_e32 v12, v2, v3, vcc
	v_pk_mov_b32 v[2:3], v[12:13], v[12:13] op_sel:[0,1]
.LBB23_254:                             ;   in Loop: Header=BB23_33 Depth=1
	v_mov_b32_e32 v4, s49
	v_sub_co_u32_e32 v2, vcc, s61, v2
	v_subb_co_u32_e32 v3, vcc, v4, v3, vcc
	v_cmp_gt_i64_e32 vcc, v[2:3], v[0:1]
	s_mov_b64 s[42:43], 0
                                        ; implicit-def: $vgpr31
	s_and_saveexec_b64 s[2:3], vcc
	s_cbranch_execz .LBB23_267
; %bb.255:                              ;   in Loop: Header=BB23_33 Depth=1
	s_mov_b64 s[28:29], 0
	v_pk_mov_b32 v[4:5], v[10:11], v[10:11] op_sel:[0,1]
	v_pk_mov_b32 v[6:7], v[0:1], v[0:1] op_sel:[0,1]
                                        ; implicit-def: $sgpr40_sgpr41
	s_branch .LBB23_257
.LBB23_256:                             ;   in Loop: Header=BB23_257 Depth=2
	s_or_b64 exec, exec, s[42:43]
	s_waitcnt lgkmcnt(0)
	s_barrier
	ds_read_b64 v[30:31], v13 offset:3072
	v_mov_b32_e32 v8, s86
	v_add_co_u32_e32 v6, vcc, s33, v6
	v_addc_co_u32_e32 v7, vcc, v7, v8, vcc
	s_waitcnt lgkmcnt(0)
	v_readfirstlane_b32 s42, v30
	s_cmp_lg_u32 s42, 0
	s_cselect_b64 s[42:43], -1, 0
	v_cmp_ge_i64_e32 vcc, v[6:7], v[2:3]
	s_or_b64 s[44:45], s[42:43], vcc
	s_and_b64 s[44:45], exec, s[44:45]
	s_or_b64 s[28:29], s[44:45], s[28:29]
	v_mov_b32_e32 v8, s79
	v_add_co_u32_e32 v4, vcc, s78, v4
	s_andn2_b64 s[40:41], s[40:41], exec
	s_and_b64 s[42:43], s[42:43], exec
	v_addc_co_u32_e32 v5, vcc, v5, v8, vcc
	s_or_b64 s[40:41], s[40:41], s[42:43]
	s_barrier
	s_andn2_b64 exec, exec, s[28:29]
	s_cbranch_execz .LBB23_266
.LBB23_257:                             ;   Parent Loop BB23_33 Depth=1
                                        ; =>  This Inner Loop Header: Depth=2
	v_cmp_gt_i64_e32 vcc, s[56:57], v[6:7]
	s_waitcnt vmcnt(0)
	v_mov_b32_e32 v29, 0
	s_and_saveexec_b64 s[42:43], vcc
	s_cbranch_execz .LBB23_259
; %bb.258:                              ;   in Loop: Header=BB23_257 Depth=2
	global_load_dword v29, v[4:5], off
.LBB23_259:                             ;   in Loop: Header=BB23_257 Depth=2
	s_or_b64 exec, exec, s[42:43]
	s_and_saveexec_b64 s[42:43], vcc
	s_cbranch_execz .LBB23_256
; %bb.260:                              ;   in Loop: Header=BB23_257 Depth=2
	s_waitcnt vmcnt(0)
	v_xor_b32_e32 v8, 0x80000000, v29
	v_and_b32_e32 v8, s71, v8
	v_cmp_eq_u32_e32 vcc, s4, v8
	s_and_b64 exec, exec, vcc
	s_cbranch_execz .LBB23_256
; %bb.261:                              ;   in Loop: Header=BB23_257 Depth=2
	ds_write_b64 v13, v[28:29] offset:3072
	s_branch .LBB23_256
.LBB23_262:                             ;   in Loop: Header=BB23_33 Depth=1
                                        ; implicit-def: $sgpr2_sgpr3
                                        ; implicit-def: $sgpr40_sgpr41
                                        ; implicit-def: $sgpr28_sgpr29
	s_branch .LBB23_281
.LBB23_263:                             ;   in Loop: Header=BB23_33 Depth=1
                                        ; implicit-def: $vgpr2_vgpr3
	s_branch .LBB23_206
.LBB23_264:                             ;   in Loop: Header=BB23_33 Depth=1
                                        ; implicit-def: $vgpr2_vgpr3
	s_branch .LBB23_223
.LBB23_265:                             ;   in Loop: Header=BB23_33 Depth=1
	s_mov_b64 s[2:3], -1
	s_mov_b64 s[42:43], 0
                                        ; implicit-def: $sgpr28_sgpr29
                                        ; implicit-def: $vgpr31
	s_mov_b64 s[40:41], s[2:3]
	s_cbranch_execnz .LBB23_268
	s_branch .LBB23_281
.LBB23_266:                             ;   in Loop: Header=BB23_33 Depth=1
	s_or_b64 exec, exec, s[28:29]
	s_and_b64 s[42:43], s[40:41], exec
.LBB23_267:                             ;   in Loop: Header=BB23_33 Depth=1
	s_or_b64 exec, exec, s[2:3]
	s_mov_b64 s[28:29], -1
	s_mov_b64 s[2:3], 0
	s_mov_b64 s[40:41], s[2:3]
	s_branch .LBB23_281
.LBB23_268:                             ;   in Loop: Header=BB23_33 Depth=1
	v_readlane_b32 s2, v55, 26
	s_add_u32 s40, s2, s38
	v_readlane_b32 s2, v55, 27
	s_addc_u32 s3, s2, s39
	s_mov_b32 s2, s77
	s_cmp_lg_u64 s[2:3], 0
	s_cbranch_scc0 .LBB23_302
; %bb.269:                              ;   in Loop: Header=BB23_33 Depth=1
	v_cvt_f32_u32_e32 v2, s33
	s_sub_u32 s2, 0, s33
	s_subb_u32 s28, 0, 0
	v_mac_f32_e32 v2, 0x4f800000, v54
	v_rcp_f32_e32 v2, v2
	v_mul_f32_e32 v2, 0x5f7ffffc, v2
	v_mul_f32_e32 v3, 0x2f800000, v2
	v_trunc_f32_e32 v3, v3
	v_mac_f32_e32 v2, 0xcf800000, v3
	v_cvt_u32_f32_e32 v3, v3
	v_cvt_u32_f32_e32 v2, v2
	v_readfirstlane_b32 s29, v3
	v_readfirstlane_b32 s41, v2
	s_mul_i32 s42, s2, s29
	s_mul_hi_u32 s44, s2, s41
	s_mul_i32 s43, s28, s41
	s_add_i32 s42, s44, s42
	s_mul_i32 s45, s2, s41
	s_add_i32 s42, s42, s43
	s_mul_hi_u32 s44, s41, s45
	s_mul_hi_u32 s43, s41, s42
	s_mul_i32 s41, s41, s42
	s_add_u32 s41, s44, s41
	s_addc_u32 s43, 0, s43
	s_mul_hi_u32 s46, s29, s45
	s_mul_i32 s45, s29, s45
	s_add_u32 s41, s41, s45
	s_mul_hi_u32 s44, s29, s42
	s_addc_u32 s41, s43, s46
	s_addc_u32 s43, s44, 0
	s_mul_i32 s42, s29, s42
	s_add_u32 s41, s41, s42
	s_addc_u32 s42, 0, s43
	v_add_co_u32_e32 v2, vcc, s41, v2
	s_cmp_lg_u64 vcc, 0
	s_addc_u32 s29, s29, s42
	v_readfirstlane_b32 s42, v2
	s_mul_i32 s41, s2, s29
	s_mul_hi_u32 s43, s2, s42
	s_add_i32 s41, s43, s41
	s_mul_i32 s28, s28, s42
	s_add_i32 s41, s41, s28
	s_mul_i32 s2, s2, s42
	s_mul_hi_u32 s43, s29, s2
	s_mul_i32 s44, s29, s2
	s_mul_i32 s46, s42, s41
	s_mul_hi_u32 s2, s42, s2
	s_mul_hi_u32 s45, s42, s41
	s_add_u32 s2, s2, s46
	s_addc_u32 s42, 0, s45
	s_add_u32 s2, s2, s44
	s_mul_hi_u32 s28, s29, s41
	s_addc_u32 s2, s42, s43
	s_addc_u32 s28, s28, 0
	s_mul_i32 s41, s29, s41
	s_add_u32 s2, s2, s41
	s_addc_u32 s28, 0, s28
	v_add_co_u32_e32 v2, vcc, s2, v2
	s_cmp_lg_u64 vcc, 0
	s_addc_u32 s2, s29, s28
	s_ashr_i32 s28, s3, 31
	s_add_u32 s42, s40, s28
	s_mov_b32 s29, s28
	s_addc_u32 s43, s3, s28
	s_xor_b64 s[42:43], s[42:43], s[28:29]
	v_readfirstlane_b32 s44, v2
	s_mul_i32 s41, s42, s2
	s_mul_hi_u32 s45, s42, s44
	s_mul_hi_u32 s29, s42, s2
	s_add_u32 s41, s45, s41
	s_addc_u32 s29, 0, s29
	s_mul_hi_u32 s46, s43, s44
	s_mul_i32 s44, s43, s44
	s_add_u32 s41, s41, s44
	s_mul_hi_u32 s45, s43, s2
	s_addc_u32 s29, s29, s46
	s_addc_u32 s41, s45, 0
	s_mul_i32 s2, s43, s2
	s_add_u32 s2, s29, s2
	s_addc_u32 s29, 0, s41
	s_mul_hi_u32 s41, s33, s2
	s_mul_i32 s2, s33, s2
	s_mul_i32 s29, s33, s29
	v_mov_b32_e32 v2, s2
	s_add_i32 s41, s41, s29
	v_sub_co_u32_e32 v2, vcc, s42, v2
	s_cmp_lg_u64 vcc, 0
	s_subb_u32 s2, s43, s41
	v_subrev_co_u32_e32 v3, vcc, s33, v2
	s_cmp_lg_u64 vcc, 0
	s_subb_u32 s29, s2, 0
	v_subrev_co_u32_e32 v4, vcc, s33, v3
	s_cmp_lg_u64 vcc, 0
	s_subb_u32 s41, s29, 0
	v_cmp_le_u32_e32 vcc, s33, v3
	s_cmp_eq_u32 s29, 0
	v_cndmask_b32_e64 v5, 0, -1, vcc
	s_cselect_b64 vcc, -1, 0
	v_cndmask_b32_e32 v5, -1, v5, vcc
	v_mov_b32_e32 v6, s29
	v_mov_b32_e32 v7, s41
	v_cmp_ne_u32_e32 vcc, 0, v5
	v_cndmask_b32_e32 v5, v6, v7, vcc
	v_cndmask_b32_e32 v3, v3, v4, vcc
	v_cmp_le_u32_e32 vcc, s33, v2
	s_cmp_eq_u32 s2, 0
	v_cndmask_b32_e64 v4, 0, -1, vcc
	s_cselect_b64 vcc, -1, 0
	v_cndmask_b32_e32 v4, -1, v4, vcc
	v_cmp_ne_u32_e32 vcc, 0, v4
	v_mov_b32_e32 v6, s2
	v_cndmask_b32_e32 v2, v2, v3, vcc
	v_cndmask_b32_e32 v4, v6, v5, vcc
	v_xor_b32_e32 v2, s28, v2
	v_xor_b32_e32 v3, s28, v4
	v_mov_b32_e32 v4, s28
	v_subrev_co_u32_e32 v2, vcc, s28, v2
	v_subb_co_u32_e32 v3, vcc, v3, v4, vcc
	s_cbranch_execnz .LBB23_271
.LBB23_270:                             ;   in Loop: Header=BB23_33 Depth=1
	v_cvt_f32_u32_e32 v2, s33
	s_sub_i32 s2, 0, s33
	v_rcp_iflag_f32_e32 v2, v2
	v_mul_f32_e32 v2, 0x4f7ffffe, v2
	v_cvt_u32_f32_e32 v2, v2
	v_mul_lo_u32 v3, s2, v2
	v_mul_hi_u32 v3, v2, v3
	v_add_u32_e32 v2, v2, v3
	v_mul_hi_u32 v2, s40, v2
	v_mul_lo_u32 v2, v2, s33
	v_sub_u32_e32 v2, s40, v2
	v_subrev_u32_e32 v3, s33, v2
	v_cmp_le_u32_e32 vcc, s33, v2
	v_cndmask_b32_e32 v2, v2, v3, vcc
	v_subrev_u32_e32 v3, s33, v2
	v_cmp_le_u32_e32 vcc, s33, v2
	v_cndmask_b32_e32 v12, v2, v3, vcc
	v_pk_mov_b32 v[2:3], v[12:13], v[12:13] op_sel:[0,1]
.LBB23_271:                             ;   in Loop: Header=BB23_33 Depth=1
	v_mov_b32_e32 v4, s3
	v_sub_co_u32_e32 v2, vcc, s40, v2
	v_subb_co_u32_e32 v3, vcc, v4, v3, vcc
	v_cmp_gt_i64_e32 vcc, v[2:3], v[0:1]
	s_mov_b64 s[42:43], 0
                                        ; implicit-def: $vgpr31
	s_and_saveexec_b64 s[2:3], vcc
	s_cbranch_execz .LBB23_280
; %bb.272:                              ;   in Loop: Header=BB23_33 Depth=1
	s_mov_b64 s[28:29], 0
	v_mov_b32_e32 v6, v14
	v_pk_mov_b32 v[4:5], v[0:1], v[0:1] op_sel:[0,1]
                                        ; implicit-def: $sgpr40_sgpr41
	s_branch .LBB23_274
.LBB23_273:                             ;   in Loop: Header=BB23_274 Depth=2
	s_or_b64 exec, exec, s[42:43]
	s_waitcnt lgkmcnt(0)
	s_barrier
	ds_read_b64 v[30:31], v13 offset:3072
	v_mov_b32_e32 v7, s86
	v_add_co_u32_e32 v4, vcc, s33, v4
	v_addc_co_u32_e32 v5, vcc, v5, v7, vcc
	s_waitcnt lgkmcnt(0)
	v_readfirstlane_b32 s42, v30
	s_cmp_lg_u32 s42, 0
	s_cselect_b64 s[42:43], -1, 0
	v_cmp_ge_i64_e32 vcc, v[4:5], v[2:3]
	s_or_b64 s[44:45], s[42:43], vcc
	s_and_b64 s[44:45], exec, s[44:45]
	s_or_b64 s[28:29], s[44:45], s[28:29]
	s_andn2_b64 s[40:41], s[40:41], exec
	s_and_b64 s[42:43], s[42:43], exec
	v_add_u32_e32 v6, s70, v6
	s_or_b64 s[40:41], s[40:41], s[42:43]
	s_barrier
	s_andn2_b64 exec, exec, s[28:29]
	s_cbranch_execz .LBB23_279
.LBB23_274:                             ;   Parent Loop BB23_33 Depth=1
                                        ; =>  This Inner Loop Header: Depth=2
	v_cmp_gt_i64_e32 vcc, s[38:39], v[4:5]
	s_waitcnt vmcnt(0)
	v_mov_b32_e32 v29, 0
	s_and_saveexec_b64 s[42:43], vcc
	s_cbranch_execz .LBB23_276
; %bb.275:                              ;   in Loop: Header=BB23_274 Depth=2
	ds_read_b32 v29, v6
.LBB23_276:                             ;   in Loop: Header=BB23_274 Depth=2
	s_or_b64 exec, exec, s[42:43]
	s_and_saveexec_b64 s[42:43], vcc
	s_cbranch_execz .LBB23_273
; %bb.277:                              ;   in Loop: Header=BB23_274 Depth=2
	s_waitcnt lgkmcnt(0)
	v_xor_b32_e32 v7, 0x80000000, v29
	v_and_b32_e32 v7, s71, v7
	v_cmp_eq_u32_e32 vcc, s4, v7
	s_and_b64 exec, exec, vcc
	s_cbranch_execz .LBB23_273
; %bb.278:                              ;   in Loop: Header=BB23_274 Depth=2
	ds_write_b64 v13, v[28:29] offset:3072
	s_branch .LBB23_273
.LBB23_279:                             ;   in Loop: Header=BB23_33 Depth=1
	s_or_b64 exec, exec, s[28:29]
	s_and_b64 s[42:43], s[40:41], exec
.LBB23_280:                             ;   in Loop: Header=BB23_33 Depth=1
	s_or_b64 exec, exec, s[2:3]
	s_mov_b64 s[40:41], -1
	s_mov_b64 s[2:3], 0
	s_mov_b64 s[28:29], 0
.LBB23_281:                             ;   in Loop: Header=BB23_33 Depth=1
	s_mov_b64 s[44:45], 0
                                        ; implicit-def: $sgpr48
                                        ; implicit-def: $sgpr46_sgpr47
	s_and_saveexec_b64 s[38:39], s[42:43]
	s_cbranch_execz .LBB23_294
; %bb.282:                              ;   in Loop: Header=BB23_33 Depth=1
	s_xor_b64 s[16:17], s[16:17], -1
	s_mov_b64 s[46:47], 1
	s_andn2_b64 vcc, exec, s[16:17]
	s_mov_b32 s48, 1
	s_cbranch_vccnz .LBB23_293
; %bb.283:                              ;   in Loop: Header=BB23_33 Depth=1
	v_pk_mov_b32 v[2:3], s[6:7], s[6:7] op_sel:[0,1]
	v_cmp_gt_i64_e32 vcc, s[58:59], v[2:3]
	s_cbranch_vccnz .LBB23_289
; %bb.284:                              ;   in Loop: Header=BB23_33 Depth=1
	ds_read_b64 v[2:3], v13 offset:5120
	s_waitcnt lgkmcnt(0)
	v_cmp_ne_u64_e32 vcc, 0, v[2:3]
	s_cbranch_vccnz .LBB23_288
; %bb.285:                              ;   in Loop: Header=BB23_33 Depth=1
	s_mov_b64 s[16:17], exec
	v_readlane_b32 s42, v55, 12
	v_readlane_b32 s43, v55, 13
	s_and_b64 s[42:43], s[16:17], s[42:43]
	s_mov_b64 exec, s[42:43]
	s_cbranch_execz .LBB23_287
; %bb.286:                              ;   in Loop: Header=BB23_33 Depth=1
	v_pk_mov_b32 v[2:3], s[6:7], s[6:7] op_sel:[0,1]
	ds_write_b64 v13, v[2:3] offset:5128
.LBB23_287:                             ;   in Loop: Header=BB23_33 Depth=1
	s_or_b64 exec, exec, s[16:17]
	s_waitcnt lgkmcnt(0)
	s_barrier
.LBB23_288:                             ;   in Loop: Header=BB23_33 Depth=1
	s_or_b32 s42, s4, s5
	s_or_b32 s5, s71, s5
	s_mov_b64 s[16:17], 0
	s_mov_b32 s48, 8
	s_branch .LBB23_290
.LBB23_289:                             ;   in Loop: Header=BB23_33 Depth=1
	s_mov_b64 s[16:17], -1
                                        ; implicit-def: $sgpr48
                                        ; implicit-def: $sgpr42
                                        ; implicit-def: $sgpr5
.LBB23_290:                             ;   in Loop: Header=BB23_33 Depth=1
	s_andn2_b64 vcc, exec, s[16:17]
	s_cbranch_vccnz .LBB23_292
; %bb.291:                              ;   in Loop: Header=BB23_33 Depth=1
	s_sub_u32 s58, s58, s6
	s_subb_u32 s59, s59, s7
	s_mov_b32 s48, 8
	s_mov_b32 s42, s4
	;; [unrolled: 1-line block ×3, first 2 shown]
.LBB23_292:                             ;   in Loop: Header=BB23_33 Depth=1
	s_mov_b64 s[46:47], s[58:59]
	s_mov_b32 s4, s42
	s_mov_b32 s71, s5
.LBB23_293:                             ;   in Loop: Header=BB23_33 Depth=1
	s_mov_b64 s[44:45], exec
.LBB23_294:                             ;   in Loop: Header=BB23_33 Depth=1
	s_or_b64 exec, exec, s[38:39]
	s_mov_b64 s[58:59], s[46:47]
	v_readlane_b32 s42, v55, 47
.LBB23_295:                             ;   in Loop: Header=BB23_33 Depth=1
	s_andn2_b64 s[6:7], s[26:27], exec
	s_and_b64 s[2:3], s[2:3], exec
	s_or_b64 s[26:27], s[6:7], s[2:3]
	s_andn2_b64 s[2:3], s[34:35], exec
	s_and_b64 s[6:7], s[40:41], exec
	s_or_b64 s[34:35], s[2:3], s[6:7]
	;; [unrolled: 3-line block ×3, first 2 shown]
	s_and_b64 s[28:29], s[44:45], exec
.LBB23_296:                             ;   in Loop: Header=BB23_33 Depth=1
	s_or_b64 exec, exec, s[36:37]
.LBB23_297:                             ;   in Loop: Header=BB23_33 Depth=1
	s_andn2_b64 s[2:3], s[20:21], exec
	s_and_b64 s[6:7], s[26:27], exec
	s_or_b64 s[20:21], s[2:3], s[6:7]
	s_andn2_b64 s[2:3], s[22:23], exec
	s_and_b64 s[6:7], s[34:35], exec
	s_or_b64 s[22:23], s[2:3], s[6:7]
	;; [unrolled: 3-line block ×3, first 2 shown]
	s_and_b64 s[28:29], s[28:29], exec
.LBB23_298:                             ;   in Loop: Header=BB23_33 Depth=1
	s_or_b64 exec, exec, s[24:25]
	s_and_saveexec_b64 s[2:3], s[28:29]
	s_xor_b64 s[2:3], exec, s[2:3]
	s_cbranch_execz .LBB23_31
.LBB23_299:                             ;   in Loop: Header=BB23_33 Depth=1
	s_and_b32 s5, s48, -9
	s_cmp_eq_u32 s5, 0
	s_cbranch_scc1 .LBB23_29
; %bb.300:                              ;   in Loop: Header=BB23_33 Depth=1
	s_mov_b64 s[6:7], -1
                                        ; implicit-def: $sgpr71
                                        ; implicit-def: $sgpr60
                                        ; implicit-def: $sgpr87
	s_mov_b64 s[14:15], -1
	s_branch .LBB23_30
.LBB23_301:                             ;   in Loop: Header=BB23_33 Depth=1
                                        ; implicit-def: $vgpr2_vgpr3
	s_branch .LBB23_253
.LBB23_302:                             ;   in Loop: Header=BB23_33 Depth=1
                                        ; implicit-def: $vgpr2_vgpr3
	s_branch .LBB23_270
.LBB23_303:
	s_or_b64 exec, exec, s[66:67]
	s_xor_b64 s[6:7], s[88:89], -1
	s_xor_b64 s[0:1], s[74:75], -1
	;; [unrolled: 1-line block ×3, first 2 shown]
	s_mov_b64 s[2:3], 0
	s_and_saveexec_b64 s[8:9], s[0:1]
	s_xor_b64 s[0:1], exec, s[8:9]
	s_cbranch_execnz .LBB23_308
; %bb.304:
	s_andn2_saveexec_b64 s[0:1], s[0:1]
	s_cbranch_execnz .LBB23_330
.LBB23_305:
	s_or_b64 exec, exec, s[0:1]
	s_and_saveexec_b64 s[0:1], s[2:3]
.LBB23_306:
	; divergent unreachable
.LBB23_307:
	s_endpgm
.LBB23_308:
	s_and_saveexec_b64 s[2:3], s[6:7]
	s_xor_b64 s[2:3], exec, s[2:3]
	s_cbranch_execz .LBB23_328
; %bb.309:
	s_and_saveexec_b64 s[6:7], s[4:5]
	s_xor_b64 s[4:5], exec, s[6:7]
; %bb.310:
	v_xor_b32_e32 v31, 0x80000000, v2
; %bb.311:
	s_or_b64 exec, exec, s[4:5]
	s_mov_b64 s[4:5], exec
	v_readlane_b32 s6, v55, 12
	v_readlane_b32 s7, v55, 13
	s_and_b64 s[6:7], s[4:5], s[6:7]
	s_mov_b64 exec, s[6:7]
	s_cbranch_execz .LBB23_313
; %bb.312:
	v_mov_b32_e32 v2, 0
	v_mov_b32_e32 v3, s56
	ds_write_b32 v2, v3 offset:5140
.LBB23_313:
	s_or_b64 exec, exec, s[4:5]
	s_waitcnt lgkmcnt(0)
	s_barrier
	s_mov_b64 s[4:5], exec
	v_readlane_b32 s6, v55, 22
	v_readlane_b32 s7, v55, 23
	s_and_b64 s[6:7], s[4:5], s[6:7]
	s_mov_b64 exec, s[6:7]
	s_cbranch_execz .LBB23_325
; %bb.314:
	v_mov_b32_e32 v2, 0
	ds_read_b32 v4, v2 offset:5140
	s_mov_b64 s[6:7], 0
                                        ; implicit-def: $sgpr8_sgpr9
                                        ; implicit-def: $sgpr10_sgpr11
                                        ; implicit-def: $sgpr12_sgpr13
	s_waitcnt lgkmcnt(0)
	v_ashrrev_i32_e32 v5, 31, v4
	s_branch .LBB23_317
.LBB23_315:                             ;   in Loop: Header=BB23_317 Depth=1
	s_or_b64 exec, exec, s[18:19]
	s_andn2_b64 s[12:13], s[12:13], exec
	s_and_b64 s[16:17], s[16:17], exec
	s_or_b64 s[12:13], s[12:13], s[16:17]
	s_andn2_b64 s[10:11], s[10:11], exec
	s_and_b64 s[16:17], s[20:21], exec
	s_or_b64 s[10:11], s[10:11], s[16:17]
.LBB23_316:                             ;   in Loop: Header=BB23_317 Depth=1
	s_or_b64 exec, exec, s[14:15]
	s_and_b64 s[14:15], exec, s[10:11]
	s_or_b64 s[6:7], s[14:15], s[6:7]
	s_andn2_b64 s[8:9], s[8:9], exec
	s_and_b64 s[14:15], s[12:13], exec
	s_or_b64 s[8:9], s[8:9], s[14:15]
	s_andn2_b64 exec, exec, s[6:7]
	s_cbranch_execz .LBB23_320
.LBB23_317:                             ; =>This Inner Loop Header: Depth=1
	v_pk_mov_b32 v[2:3], v[0:1], v[0:1] op_sel:[0,1]
	v_cmp_lt_i64_e32 vcc, v[2:3], v[4:5]
	s_or_b64 s[12:13], s[12:13], exec
	s_or_b64 s[10:11], s[10:11], exec
                                        ; implicit-def: $vgpr0_vgpr1
	s_and_saveexec_b64 s[14:15], vcc
	s_cbranch_execz .LBB23_316
; %bb.318:                              ;   in Loop: Header=BB23_317 Depth=1
	global_load_dword v0, v[10:11], off
	s_mov_b64 s[20:21], -1
	s_mov_b64 s[16:17], 0
	s_waitcnt vmcnt(0)
	v_cmp_ne_u32_e32 vcc, v0, v31
                                        ; implicit-def: $vgpr0_vgpr1
	s_and_saveexec_b64 s[18:19], vcc
	s_cbranch_execz .LBB23_315
; %bb.319:                              ;   in Loop: Header=BB23_317 Depth=1
	v_mov_b32_e32 v1, s86
	v_add_co_u32_e32 v0, vcc, s33, v2
	v_addc_co_u32_e32 v1, vcc, v3, v1, vcc
	v_mov_b32_e32 v3, s79
	v_add_co_u32_e32 v10, vcc, s78, v10
	v_addc_co_u32_e32 v11, vcc, v11, v3, vcc
	v_cmp_le_i64_e32 vcc, s[56:57], v[0:1]
	s_mov_b64 s[16:17], exec
	s_orn2_b64 s[20:21], vcc, exec
	s_branch .LBB23_315
.LBB23_320:
	s_or_b64 exec, exec, s[6:7]
	s_xor_b64 s[6:7], s[8:9], -1
	s_and_saveexec_b64 s[8:9], s[6:7]
	s_xor_b64 s[8:9], exec, s[8:9]
	s_cbranch_execz .LBB23_325
; %bb.321:
	s_mov_b64 s[6:7], exec
	s_brev_b32 s8, -2
.LBB23_322:                             ; =>This Inner Loop Header: Depth=1
	s_ff1_i32_b64 s9, s[6:7]
	v_readlane_b32 s12, v2, s9
	s_lshl_b64 s[10:11], 1, s9
	s_min_i32 s8, s8, s12
	s_andn2_b64 s[6:7], s[6:7], s[10:11]
	s_cmp_lg_u64 s[6:7], 0
	s_cbranch_scc1 .LBB23_322
; %bb.323:
	v_mbcnt_lo_u32_b32 v0, exec_lo, 0
	v_mbcnt_hi_u32_b32 v0, exec_hi, v0
	v_cmp_eq_u32_e32 vcc, 0, v0
	s_and_saveexec_b64 s[6:7], vcc
	s_xor_b64 s[6:7], exec, s[6:7]
	s_cbranch_execz .LBB23_325
; %bb.324:
	v_mov_b32_e32 v0, 0
	v_mov_b32_e32 v1, s8
	ds_min_i32 v0, v1 offset:5140
.LBB23_325:
	s_or_b64 exec, exec, s[4:5]
	s_waitcnt lgkmcnt(0)
	s_barrier
	s_mov_b64 s[4:5], exec
	v_readlane_b32 s6, v55, 12
	v_readlane_b32 s7, v55, 13
	s_and_b64 s[6:7], s[4:5], s[6:7]
	s_mov_b64 exec, s[6:7]
	s_cbranch_execz .LBB23_327
; %bb.326:
	v_readlane_b32 s8, v55, 2
	v_readlane_b32 s9, v55, 3
	;; [unrolled: 1-line block ×4, first 2 shown]
	s_mul_i32 s6, s10, s9
	s_mul_hi_u32 s7, s10, s8
	s_add_i32 s6, s7, s6
	s_mul_i32 s7, s11, s8
	s_add_i32 s7, s6, s7
	s_mul_i32 s6, s10, s8
	v_readlane_b32 s10, v55, 8
	v_readlane_b32 s11, v55, 9
	s_mul_i32 s8, s10, s69
	s_mul_hi_u32 s9, s10, s68
	s_add_i32 s8, s9, s8
	s_mul_i32 s9, s11, s68
	s_add_i32 s9, s8, s9
	s_mul_i32 s8, s10, s68
	s_lshl_b64 s[6:7], s[6:7], 2
	v_readlane_b32 s10, v55, 6
	v_readlane_b32 s11, v55, 7
	s_add_u32 s10, s10, s6
	s_addc_u32 s11, s11, s7
	v_readlane_b32 s6, v55, 0
	v_readlane_b32 s7, v55, 1
	s_lshl_b64 s[6:7], s[6:7], 2
	v_mov_b32_e32 v2, 0
	s_add_u32 s6, s10, s6
	ds_read_b32 v0, v2 offset:5140
	s_addc_u32 s7, s11, s7
	s_lshl_b64 s[8:9], s[8:9], 3
	v_readlane_b32 s10, v55, 10
	v_readlane_b32 s11, v55, 11
	s_add_u32 s10, s10, s8
	s_addc_u32 s11, s11, s9
	s_lshl_b64 s[8:9], s[64:65], 3
	s_add_u32 s8, s10, s8
	s_addc_u32 s9, s11, s9
	s_waitcnt lgkmcnt(0)
	v_ashrrev_i32_e32 v1, 31, v0
	global_store_dwordx2 v2, v[0:1], s[8:9]
	global_store_dword v2, v31, s[6:7]
.LBB23_327:
	s_or_b64 exec, exec, s[4:5]
.LBB23_328:
	s_or_saveexec_b64 s[2:3], s[2:3]
	s_mov_b64 s[4:5], 0
	s_xor_b64 exec, exec, s[2:3]
	s_cbranch_execnz .LBB23_331
.LBB23_329:
	s_or_b64 exec, exec, s[2:3]
	s_and_b64 s[2:3], s[4:5], exec
	s_andn2_saveexec_b64 s[0:1], s[0:1]
	s_cbranch_execz .LBB23_305
.LBB23_330:
	s_or_b64 s[2:3], s[2:3], exec
	s_trap 2
	s_or_b64 exec, exec, s[0:1]
	s_and_saveexec_b64 s[0:1], s[2:3]
	s_cbranch_execnz .LBB23_306
	s_branch .LBB23_307
.LBB23_331:
	s_mov_b64 s[4:5], exec
	s_trap 2
	s_branch .LBB23_329
	.section	.rodata,"a",@progbits
	.p2align	6, 0x0
	.amdhsa_kernel _ZN2at6native12_GLOBAL__N_114gatherKthValueIilLin1EEEvNS_4cuda6detail10TensorInfoIKT_T0_EES8_S8_S8_S8_NS5_IS6_S8_EENS5_IlS8_EE
		.amdhsa_group_segment_fixed_size 5144
		.amdhsa_private_segment_fixed_size 0
		.amdhsa_kernarg_size 1536
		.amdhsa_user_sgpr_count 6
		.amdhsa_user_sgpr_private_segment_buffer 1
		.amdhsa_user_sgpr_dispatch_ptr 0
		.amdhsa_user_sgpr_queue_ptr 0
		.amdhsa_user_sgpr_kernarg_segment_ptr 1
		.amdhsa_user_sgpr_dispatch_id 0
		.amdhsa_user_sgpr_flat_scratch_init 0
		.amdhsa_user_sgpr_kernarg_preload_length 0
		.amdhsa_user_sgpr_kernarg_preload_offset 0
		.amdhsa_user_sgpr_private_segment_size 0
		.amdhsa_uses_dynamic_stack 0
		.amdhsa_system_sgpr_private_segment_wavefront_offset 0
		.amdhsa_system_sgpr_workgroup_id_x 1
		.amdhsa_system_sgpr_workgroup_id_y 1
		.amdhsa_system_sgpr_workgroup_id_z 1
		.amdhsa_system_sgpr_workgroup_info 0
		.amdhsa_system_vgpr_workitem_id 0
		.amdhsa_next_free_vgpr 56
		.amdhsa_next_free_sgpr 96
		.amdhsa_accum_offset 56
		.amdhsa_reserve_vcc 1
		.amdhsa_reserve_flat_scratch 0
		.amdhsa_float_round_mode_32 0
		.amdhsa_float_round_mode_16_64 0
		.amdhsa_float_denorm_mode_32 3
		.amdhsa_float_denorm_mode_16_64 3
		.amdhsa_dx10_clamp 1
		.amdhsa_ieee_mode 1
		.amdhsa_fp16_overflow 0
		.amdhsa_tg_split 0
		.amdhsa_exception_fp_ieee_invalid_op 0
		.amdhsa_exception_fp_denorm_src 0
		.amdhsa_exception_fp_ieee_div_zero 0
		.amdhsa_exception_fp_ieee_overflow 0
		.amdhsa_exception_fp_ieee_underflow 0
		.amdhsa_exception_fp_ieee_inexact 0
		.amdhsa_exception_int_div_zero 0
	.end_amdhsa_kernel
	.section	.text._ZN2at6native12_GLOBAL__N_114gatherKthValueIilLin1EEEvNS_4cuda6detail10TensorInfoIKT_T0_EES8_S8_S8_S8_NS5_IS6_S8_EENS5_IlS8_EE,"axG",@progbits,_ZN2at6native12_GLOBAL__N_114gatherKthValueIilLin1EEEvNS_4cuda6detail10TensorInfoIKT_T0_EES8_S8_S8_S8_NS5_IS6_S8_EENS5_IlS8_EE,comdat
.Lfunc_end23:
	.size	_ZN2at6native12_GLOBAL__N_114gatherKthValueIilLin1EEEvNS_4cuda6detail10TensorInfoIKT_T0_EES8_S8_S8_S8_NS5_IS6_S8_EENS5_IlS8_EE, .Lfunc_end23-_ZN2at6native12_GLOBAL__N_114gatherKthValueIilLin1EEEvNS_4cuda6detail10TensorInfoIKT_T0_EES8_S8_S8_S8_NS5_IS6_S8_EENS5_IlS8_EE
                                        ; -- End function
	.section	.AMDGPU.csdata,"",@progbits
; Kernel info:
; codeLenInByte = 18904
; NumSgprs: 100
; NumVgprs: 56
; NumAgprs: 0
; TotalNumVgprs: 56
; ScratchSize: 0
; MemoryBound: 0
; FloatMode: 240
; IeeeMode: 1
; LDSByteSize: 5144 bytes/workgroup (compile time only)
; SGPRBlocks: 12
; VGPRBlocks: 6
; NumSGPRsForWavesPerEU: 100
; NumVGPRsForWavesPerEU: 56
; AccumOffset: 56
; Occupancy: 8
; WaveLimiterHint : 1
; COMPUTE_PGM_RSRC2:SCRATCH_EN: 0
; COMPUTE_PGM_RSRC2:USER_SGPR: 6
; COMPUTE_PGM_RSRC2:TRAP_HANDLER: 0
; COMPUTE_PGM_RSRC2:TGID_X_EN: 1
; COMPUTE_PGM_RSRC2:TGID_Y_EN: 1
; COMPUTE_PGM_RSRC2:TGID_Z_EN: 1
; COMPUTE_PGM_RSRC2:TIDIG_COMP_CNT: 0
; COMPUTE_PGM_RSRC3_GFX90A:ACCUM_OFFSET: 13
; COMPUTE_PGM_RSRC3_GFX90A:TG_SPLIT: 0
	.section	.text._ZN2at6native12_GLOBAL__N_114gatherKthValueIliLi1EEEvNS_4cuda6detail10TensorInfoIKT_T0_EES8_S8_S8_S8_NS5_IS6_S8_EENS5_IlS8_EE,"axG",@progbits,_ZN2at6native12_GLOBAL__N_114gatherKthValueIliLi1EEEvNS_4cuda6detail10TensorInfoIKT_T0_EES8_S8_S8_S8_NS5_IS6_S8_EENS5_IlS8_EE,comdat
	.globl	_ZN2at6native12_GLOBAL__N_114gatherKthValueIliLi1EEEvNS_4cuda6detail10TensorInfoIKT_T0_EES8_S8_S8_S8_NS5_IS6_S8_EENS5_IlS8_EE ; -- Begin function _ZN2at6native12_GLOBAL__N_114gatherKthValueIliLi1EEEvNS_4cuda6detail10TensorInfoIKT_T0_EES8_S8_S8_S8_NS5_IS6_S8_EENS5_IlS8_EE
	.p2align	8
	.type	_ZN2at6native12_GLOBAL__N_114gatherKthValueIliLi1EEEvNS_4cuda6detail10TensorInfoIKT_T0_EES8_S8_S8_S8_NS5_IS6_S8_EENS5_IlS8_EE,@function
_ZN2at6native12_GLOBAL__N_114gatherKthValueIliLi1EEEvNS_4cuda6detail10TensorInfoIKT_T0_EES8_S8_S8_S8_NS5_IS6_S8_EENS5_IlS8_EE: ; @_ZN2at6native12_GLOBAL__N_114gatherKthValueIliLi1EEEvNS_4cuda6detail10TensorInfoIKT_T0_EES8_S8_S8_S8_NS5_IS6_S8_EENS5_IlS8_EE
; %bb.0:
	s_load_dwordx2 s[12:13], s[4:5], 0x298
	s_load_dwordx4 s[60:63], s[4:5], 0xd8
	s_add_u32 s10, s4, 0x298
	s_addc_u32 s11, s5, 0
	s_waitcnt lgkmcnt(0)
	s_mul_i32 s0, s13, s8
	s_add_i32 s0, s0, s7
	s_mul_i32 s0, s0, s12
	s_add_i32 s7, s0, s6
	s_cmp_ge_i32 s7, s62
	s_cbranch_scc1 .LBB24_250
; %bb.1:
	s_load_dwordx2 s[0:1], s[4:5], 0x1c0
                                        ; implicit-def: $vgpr54 : SGPR spill to VGPR lane
	s_mov_b32 s68, 0
	v_cmp_eq_u32_e64 s[14:15], 0, v0
	s_waitcnt lgkmcnt(0)
	v_writelane_b32 v54, s0, 0
	v_writelane_b32 v54, s1, 1
	s_load_dwordx2 s[0:1], s[4:5], 0xe8
	s_waitcnt lgkmcnt(0)
	v_writelane_b32 v54, s0, 2
	v_writelane_b32 v54, s1, 3
	s_load_dword s0, s[4:5], 0x6c
	s_load_dwordx2 s[2:3], s[4:5], 0x0
	s_mov_b64 s[8:9], exec
	v_writelane_b32 v54, s14, 4
	v_writelane_b32 v54, s15, 5
	s_and_b64 s[14:15], s[8:9], s[14:15]
	s_mov_b64 exec, s[14:15]
	s_cbranch_execz .LBB24_3
; %bb.2:
	v_mov_b32_e32 v2, 0
	v_mov_b32_e32 v3, s60
	;; [unrolled: 1-line block ×3, first 2 shown]
	ds_write_b96 v2, v[2:4] offset:4096
.LBB24_3:
	s_or_b64 exec, exec, s[8:9]
	s_load_dword s1, s[4:5], 0x22c
                                        ; kill: killed $sgpr4 killed $sgpr5
	s_waitcnt lgkmcnt(0)
	s_barrier
	s_mul_i32 s0, s0, s7
	v_writelane_b32 v54, s1, 6
	s_load_dword s1, s[4:5], 0x154
	v_mbcnt_lo_u32_b32 v1, -1, 0
	s_load_dword s4, s[10:11], 0xc
	v_mbcnt_hi_u32_b32 v23, -1, v1
	v_cmp_gt_u32_e32 vcc, 64, v0
	s_waitcnt lgkmcnt(0)
	v_writelane_b32 v54, s1, 7
	s_ashr_i32 s1, s0, 31
	s_lshl_b64 s[0:1], s[0:1], 3
	s_add_u32 s62, s2, s0
	s_addc_u32 s16, s3, s1
	s_and_b32 s33, s4, 0xffff
	v_cmp_gt_i32_e64 s[2:3], 4, v23
	s_add_i32 s0, s33, -1
	v_writelane_b32 v54, s7, 8
	s_lshl_b32 s17, s33, 2
	s_bfe_u32 s7, s4, 0xa0006
	s_and_b64 s[70:71], vcc, s[2:3]
	s_add_i32 s1, s0, s60
	s_cmpk_gt_i32 s60, 0x180
	v_writelane_b32 v54, s0, 9
	s_cselect_b64 s[2:3], -1, 0
	v_writelane_b32 v54, s2, 10
	s_cmp_gt_u32 s33, 63
	v_writelane_b32 v54, s3, 11
	s_cselect_b64 s[2:3], -1, 0
	s_cmp_lt_u32 s6, s12
	v_writelane_b32 v54, s2, 12
	s_cselect_b32 s0, 12, 18
	v_writelane_b32 v54, s3, 13
	s_add_u32 s2, s10, s0
	s_addc_u32 s3, s11, 0
	v_writelane_b32 v54, s2, 14
	s_add_i32 s0, s7, -2
	v_writelane_b32 v54, s3, 15
	s_lshr_b32 s2, s0, 1
	s_add_i32 s6, s2, 1
	s_cmpk_gt_u32 s33, 0x7f
	v_mov_b32_e32 v19, 0
	s_cselect_b64 s[2:3], -1, 0
	v_writelane_b32 v54, s2, 16
	v_mul_lo_u32 v16, v0, s63
	v_mov_b32_e32 v17, v19
	v_writelane_b32 v54, s3, 17
	v_cmp_gt_u32_e64 s[8:9], s60, v0
	v_lshlrev_b64 v[2:3], 3, v[16:17]
	v_writelane_b32 v54, s8, 18
	v_mov_b32_e32 v17, s16
	v_add_co_u32_e32 v20, vcc, s62, v2
	v_writelane_b32 v54, s9, 19
	v_addc_co_u32_e32 v21, vcc, v17, v3, vcc
	v_cmp_gt_i32_e64 s[8:9], s60, v0
	v_lshlrev_b64 v[2:3], v23, -1
	v_writelane_b32 v54, s8, 20
	v_not_b32_e32 v22, v2
	v_cvt_f32_u32_e32 v2, s17
	v_writelane_b32 v54, s9, 21
	s_and_b32 s8, s7, 0x3fe
	s_and_b32 s9, s6, 7
	s_cmp_gt_u32 s0, 13
	s_cselect_b64 s[10:11], -1, 0
	v_writelane_b32 v54, s10, 22
	v_rcp_iflag_f32_e32 v2, v2
	v_writelane_b32 v54, s11, 23
	s_and_b32 s0, s6, -8
	v_writelane_b32 v54, s0, 24
	s_cmp_lg_u32 s9, 0
	v_writelane_b32 v54, s9, 25
	s_cselect_b64 s[10:11], -1, 0
	v_writelane_b32 v54, s10, 26
	v_mul_f32_e32 v2, 0x4f7ffffe, v2
	v_writelane_b32 v54, s11, 27
	v_cvt_u32_f32_e32 v2, v2
	v_writelane_b32 v54, s7, 28
	s_cmp_lg_u32 s8, s7
	v_writelane_b32 v54, s8, 29
	s_cselect_b64 s[6:7], -1, 0
	v_writelane_b32 v54, s6, 30
	v_writelane_b32 v54, s7, 31
	s_sub_i32 s0, 0, s17
	v_readfirstlane_b32 s6, v2
	s_mul_i32 s0, s0, s6
	s_mul_hi_u32 s0, s6, s0
	s_add_i32 s8, s6, s0
	s_mul_hi_u32 s0, s60, s8
	s_mul_i32 s0, s0, s17
	s_sub_i32 s0, s60, s0
	s_sub_i32 s6, s0, s17
	s_cmp_ge_u32 s0, s17
	s_cselect_b32 s0, s6, s0
	s_sub_i32 s6, s0, s17
	v_cvt_f32_u32_e32 v5, s33
	s_cmp_ge_u32 s0, s17
	s_cselect_b32 s6, s6, s0
	s_sub_i32 s9, s60, s6
	v_add_u32_e32 v35, s9, v0
	v_rcp_iflag_f32_e32 v5, v5
	v_lshrrev_b32_e32 v1, 4, v0
	v_mul_lo_u32 v2, v35, s63
	v_lshlrev_b32_e32 v30, 2, v0
	v_and_b32_e32 v33, 60, v1
	v_not_b32_e32 v1, v3
	v_ashrrev_i32_e32 v3, 31, v2
	v_cmp_gt_i32_e64 s[10:11], s9, v30
	v_lshlrev_b64 v[2:3], 3, v[2:3]
	v_writelane_b32 v54, s10, 32
	v_add_co_u32_e32 v24, vcc, s62, v2
	v_mul_f32_e32 v2, 0x4f7ffffe, v5
	v_writelane_b32 v54, s11, 33
	v_cmp_gt_u32_e64 s[10:11], s60, v35
	v_cvt_u32_f32_e32 v2, v2
	v_writelane_b32 v54, s10, 34
	v_writelane_b32 v54, s11, 35
	v_cmp_gt_i32_e64 s[10:11], s60, v35
	v_writelane_b32 v54, s10, 36
	v_writelane_b32 v54, s11, 37
	s_sub_i32 s10, 0, s33
	v_readfirstlane_b32 s11, v2
	s_mul_i32 s10, s10, s11
	s_mul_hi_u32 s10, s11, s10
	s_abs_i32 s7, s1
	s_add_i32 s10, s11, s10
	v_writelane_b32 v54, s10, 38
	s_mul_hi_u32 s10, s7, s10
	s_mul_i32 s10, s10, s33
	s_sub_i32 s7, s7, s10
	s_ashr_i32 s0, s1, 31
	s_sub_i32 s10, s7, s33
	s_cmp_ge_u32 s7, s33
	s_cselect_b32 s7, s10, s7
	s_sub_i32 s10, s7, s33
	s_cmp_ge_u32 s7, s33
	s_cselect_b32 s7, s10, s7
	v_mul_lo_u32 v2, s63, v30
	s_xor_b32 s7, s7, s0
	v_add_u32_e32 v36, s63, v2
	v_or_b32_e32 v2, 2, v30
	s_sub_i32 s0, s0, s7
	v_mul_lo_u32 v37, s63, v2
	v_or_b32_e32 v2, 3, v30
	s_add_i32 s7, s33, s60
	s_add_i32 s1, s1, s0
	v_mul_lo_u32 v38, s63, v2
	v_add_u32_e32 v2, s7, v0
	v_lshlrev_b32_e32 v31, 3, v0
	v_lshlrev_b32_e32 v4, 2, v23
	v_mov_b32_e32 v6, s16
	v_cmp_gt_i32_e64 s[10:11], s1, v0
	s_mul_i32 s0, s63, s33
	v_subrev_u32_e32 v2, s6, v2
	v_cmp_eq_u32_e64 s[2:3], 0, v23
	v_cmp_gt_u32_e64 s[4:5], 2, v0
	v_add_u32_e32 v32, 0xc00, v31
	v_and_b32_e32 v34, 0x100, v4
	v_addc_co_u32_e32 v25, vcc, v6, v3, vcc
	v_writelane_b32 v54, s10, 39
	s_lshl_b32 s72, s0, 2
	v_lshlrev_b32_e32 v39, 2, v16
	v_mul_lo_u32 v40, s63, v2
	v_lshlrev_b32_e32 v41, 5, v0
	s_lshl_b32 s73, s33, 5
	s_lshl_b32 s74, s33, 3
	v_or_b32_e32 v42, 0xc00, v4
	s_mov_b32 s75, 62
	s_mov_b64 s[86:87], 0
	v_pk_mov_b32 v[6:7], 0, 0
	v_mov_b32_e32 v2, 1
	v_mov_b32_e32 v43, 0xc00
	s_mov_b32 s6, 0
	s_mov_b64 s[82:83], 0
	s_mov_b64 s[80:81], 0
	v_writelane_b32 v54, s11, 40
                                        ; implicit-def: $sgpr88_sgpr89
                                        ; implicit-def: $sgpr92_sgpr93
                                        ; implicit-def: $sgpr90_sgpr91
                                        ; implicit-def: $sgpr94_sgpr95
                                        ; implicit-def: $sgpr64_sgpr65
                                        ; implicit-def: $sgpr66_sgpr67
	s_branch .LBB24_8
.LBB24_4:                               ;   in Loop: Header=BB24_8 Depth=1
	s_xor_b32 s6, s6, 1
	s_add_i32 s7, s75, -2
	s_cmp_eq_u32 s75, 0
	s_mov_b64 s[20:21], 0
	s_cselect_b64 s[24:25], -1, 0
	s_mov_b32 s75, s7
.LBB24_5:                               ;   in Loop: Header=BB24_8 Depth=1
	s_andn2_b64 s[10:11], s[28:29], exec
	s_and_b64 s[12:13], s[20:21], exec
	s_or_b64 s[28:29], s[10:11], s[12:13]
	s_andn2_b64 s[34:35], s[34:35], exec
	s_andn2_b64 s[26:27], s[26:27], exec
	s_orn2_b64 s[24:25], s[24:25], exec
	s_mov_b32 s61, s43
.LBB24_6:                               ;   in Loop: Header=BB24_8 Depth=1
	s_or_b64 exec, exec, s[18:19]
	s_andn2_b64 s[10:11], s[66:67], exec
	s_and_b64 s[12:13], s[28:29], exec
	s_or_b64 s[66:67], s[10:11], s[12:13]
	s_andn2_b64 s[10:11], s[64:65], exec
	s_and_b64 s[12:13], s[34:35], exec
	s_or_b64 s[64:65], s[10:11], s[12:13]
	;; [unrolled: 3-line block ×3, first 2 shown]
	s_orn2_b64 s[24:25], s[24:25], exec
.LBB24_7:                               ;   in Loop: Header=BB24_8 Depth=1
	s_or_b64 exec, exec, s[22:23]
	s_and_b64 s[10:11], exec, s[24:25]
	s_or_b64 s[86:87], s[10:11], s[86:87]
	s_andn2_b64 s[10:11], s[90:91], exec
	s_and_b64 s[12:13], s[66:67], exec
	s_or_b64 s[90:91], s[10:11], s[12:13]
	s_andn2_b64 s[10:11], s[92:93], exec
	s_and_b64 s[12:13], s[64:65], exec
	;; [unrolled: 3-line block ×3, first 2 shown]
	s_waitcnt vmcnt(0)
	v_pk_mov_b32 v[4:5], s[82:83], s[82:83] op_sel:[0,1]
	s_or_b64 s[88:89], s[10:11], s[12:13]
	s_andn2_b64 exec, exec, s[86:87]
	s_cbranch_execz .LBB24_246
.LBB24_8:                               ; =>This Loop Header: Depth=1
                                        ;     Child Loop BB24_16 Depth 2
                                        ;     Child Loop BB24_35 Depth 2
	;; [unrolled: 1-line block ×17, first 2 shown]
	ds_read_b64 v[4:5], v19 offset:4096
	s_waitcnt lgkmcnt(0)
	v_readfirstlane_b32 s7, v4
	s_cmp_gt_i32 s7, 0
	s_cbranch_scc1 .LBB24_42
; %bb.9:                                ;   in Loop: Header=BB24_8 Depth=1
	v_readlane_b32 s10, v54, 10
	v_readlane_b32 s11, v54, 11
	s_and_b64 vcc, exec, s[10:11]
	s_cbranch_vccz .LBB24_24
; %bb.10:                               ;   in Loop: Header=BB24_8 Depth=1
	s_movk_i32 s10, 0x181
	v_cmp_gt_i32_e32 vcc, s10, v5
	s_mov_b64 s[20:21], 0
	s_mov_b64 s[18:19], 0
	s_cbranch_vccz .LBB24_29
; %bb.11:                               ;   in Loop: Header=BB24_8 Depth=1
	v_pk_mov_b32 v[4:5], 0, 0
	s_mov_b64 s[18:19], exec
	v_readlane_b32 s10, v54, 18
	v_readlane_b32 s11, v54, 19
	s_and_b64 s[10:11], s[18:19], s[10:11]
	s_mov_b64 exec, s[10:11]
	s_cbranch_execz .LBB24_13
; %bb.12:                               ;   in Loop: Header=BB24_8 Depth=1
	global_load_dwordx2 v[4:5], v[20:21], off
.LBB24_13:                              ;   in Loop: Header=BB24_8 Depth=1
	s_or_b64 exec, exec, s[18:19]
	s_mov_b64 s[22:23], exec
	v_readlane_b32 s10, v54, 18
	v_readlane_b32 s11, v54, 19
	s_and_b64 s[10:11], s[22:23], s[10:11]
	s_mov_b64 exec, s[10:11]
	s_cbranch_execz .LBB24_25
; %bb.14:                               ;   in Loop: Header=BB24_8 Depth=1
	v_readlane_b32 s10, v54, 14
	v_readlane_b32 s11, v54, 15
	s_mov_b64 s[24:25], 0
	v_mov_b32_e32 v11, v0
	s_nop 2
	global_load_ushort v3, v19, s[10:11]
	s_waitcnt vmcnt(0)
	v_add_u32_e32 v8, v0, v3
	v_mul_lo_u32 v10, s63, v3
	v_mul_lo_u32 v18, s63, v8
	s_branch .LBB24_16
.LBB24_15:                              ;   in Loop: Header=BB24_16 Depth=2
	s_or_b64 exec, exec, s[18:19]
	v_cmp_le_i32_e32 vcc, s60, v11
	v_add_u32_e32 v18, v18, v10
	s_or_b64 s[24:25], vcc, s[24:25]
	s_waitcnt vmcnt(0)
	v_pk_mov_b32 v[4:5], v[8:9], v[8:9] op_sel:[0,1]
	s_andn2_b64 exec, exec, s[24:25]
	s_cbranch_execz .LBB24_25
.LBB24_16:                              ;   Parent Loop BB24_8 Depth=1
                                        ; =>  This Inner Loop Header: Depth=2
	v_add_u32_e32 v11, v11, v3
	v_cmp_gt_u32_e32 vcc, s60, v11
	v_pk_mov_b32 v[8:9], 0, 0
	s_and_saveexec_b64 s[18:19], vcc
	s_cbranch_execz .LBB24_18
; %bb.17:                               ;   in Loop: Header=BB24_16 Depth=2
	v_lshlrev_b64 v[8:9], 3, v[18:19]
	v_add_co_u32_e32 v8, vcc, s62, v8
	v_addc_co_u32_e32 v9, vcc, v17, v9, vcc
	global_load_dwordx2 v[8:9], v[8:9], off
.LBB24_18:                              ;   in Loop: Header=BB24_16 Depth=2
	s_or_b64 exec, exec, s[18:19]
	s_waitcnt lgkmcnt(0)
	v_xor_b32_e32 v12, 0x80000000, v5
	v_and_b32_e32 v13, s81, v12
	v_and_b32_e32 v12, s80, v4
	v_cmp_eq_u64_e32 vcc, s[82:83], v[12:13]
	s_cmp_lg_u64 vcc, 0
	s_cselect_b64 s[10:11], -1, 0
	s_and_b64 s[10:11], s[2:3], s[10:11]
	v_mov_b32_e32 v12, 0
	s_and_saveexec_b64 s[26:27], s[10:11]
	s_cbranch_execz .LBB24_22
; %bb.19:                               ;   in Loop: Header=BB24_16 Depth=2
	s_mov_b64 s[30:31], exec
	v_mbcnt_lo_u32_b32 v12, s30, 0
	v_mbcnt_hi_u32_b32 v12, s31, v12
	s_bcnt1_i32_b64 s7, vcc
	v_cmp_eq_u32_e64 s[18:19], 0, v12
                                        ; implicit-def: $vgpr13
	s_and_saveexec_b64 s[28:29], s[18:19]
	s_cbranch_execz .LBB24_21
; %bb.20:                               ;   in Loop: Header=BB24_16 Depth=2
	s_bcnt1_i32_b64 s10, s[30:31]
	s_mul_i32 s10, s7, s10
	v_mov_b32_e32 v13, s10
	ds_add_rtn_u32 v13, v19, v13 offset:4104
.LBB24_21:                              ;   in Loop: Header=BB24_16 Depth=2
	s_or_b64 exec, exec, s[28:29]
	s_waitcnt lgkmcnt(0)
	v_readfirstlane_b32 s10, v13
	v_mov_b32_e32 v13, s10
	v_mad_u32_u24 v12, s7, v12, v13
.LBB24_22:                              ;   in Loop: Header=BB24_16 Depth=2
	s_or_b64 exec, exec, s[26:27]
	ds_bpermute_b32 v12, v34, v12
	s_and_saveexec_b64 s[18:19], vcc
	s_cbranch_execz .LBB24_15
; %bb.23:                               ;   in Loop: Header=BB24_16 Depth=2
	v_and_b32_e32 v14, vcc_lo, v22
	v_and_b32_e32 v13, vcc_hi, v1
	v_bcnt_u32_b32 v14, v14, 0
	v_bcnt_u32_b32 v13, v13, v14
	v_lshlrev_b32_e32 v13, 3, v13
	s_waitcnt lgkmcnt(0)
	v_lshl_add_u32 v12, v12, 3, v13
	ds_write_b64 v12, v[4:5]
	s_branch .LBB24_15
.LBB24_24:                              ;   in Loop: Header=BB24_8 Depth=1
	s_mov_b64 s[20:21], -1
	s_mov_b64 s[18:19], 0
	s_branch .LBB24_28
.LBB24_25:                              ;   in Loop: Header=BB24_8 Depth=1
	s_or_b64 exec, exec, s[22:23]
	s_waitcnt lgkmcnt(0)
	s_barrier
	s_mov_b64 s[18:19], exec
	v_readlane_b32 s10, v54, 4
	v_readlane_b32 s11, v54, 5
	s_and_b64 s[10:11], s[18:19], s[10:11]
	s_mov_b64 exec, s[10:11]
	s_cbranch_execz .LBB24_27
; %bb.26:                               ;   in Loop: Header=BB24_8 Depth=1
	ds_read_b32 v3, v19 offset:4104
	s_waitcnt lgkmcnt(0)
	ds_write_b32 v19, v3 offset:4096
.LBB24_27:                              ;   in Loop: Header=BB24_8 Depth=1
	s_or_b64 exec, exec, s[18:19]
	s_waitcnt lgkmcnt(0)
	s_barrier
	s_mov_b64 s[18:19], -1
.LBB24_28:                              ;   in Loop: Header=BB24_8 Depth=1
                                        ; implicit-def: $sgpr7
.LBB24_29:                              ;   in Loop: Header=BB24_8 Depth=1
	s_and_b64 vcc, exec, s[20:21]
	s_cbranch_vccz .LBB24_40
; %bb.30:                               ;   in Loop: Header=BB24_8 Depth=1
	s_waitcnt vmcnt(0)
	v_pk_mov_b32 v[4:5], 0, 0
	s_mov_b64 s[18:19], exec
	v_readlane_b32 s10, v54, 18
	v_readlane_b32 s11, v54, 19
	s_and_b64 s[10:11], s[18:19], s[10:11]
	s_mov_b64 exec, s[10:11]
	s_cbranch_execz .LBB24_32
; %bb.31:                               ;   in Loop: Header=BB24_8 Depth=1
	global_load_dwordx2 v[4:5], v[20:21], off
.LBB24_32:                              ;   in Loop: Header=BB24_8 Depth=1
	s_or_b64 exec, exec, s[18:19]
	s_mov_b64 s[18:19], exec
	v_readlane_b32 s10, v54, 20
	v_readlane_b32 s11, v54, 21
	s_and_b64 s[10:11], s[18:19], s[10:11]
	s_mov_b64 exec, s[10:11]
	s_cbranch_execz .LBB24_37
; %bb.33:                               ;   in Loop: Header=BB24_8 Depth=1
	v_readlane_b32 s10, v54, 14
	v_readlane_b32 s11, v54, 15
	s_mov_b64 s[20:21], 0
	v_mov_b32_e32 v10, v31
	v_mov_b32_e32 v13, v0
	s_nop 1
	global_load_ushort v3, v19, s[10:11]
	s_waitcnt vmcnt(0)
	v_add_u32_e32 v8, v0, v3
	v_lshlrev_b32_e32 v11, 3, v3
	v_mul_lo_u32 v12, s63, v3
	v_mul_lo_u32 v18, s63, v8
	s_branch .LBB24_35
.LBB24_34:                              ;   in Loop: Header=BB24_35 Depth=2
	s_or_b64 exec, exec, s[22:23]
	v_cmp_le_i32_e32 vcc, s60, v13
	ds_write_b64 v10, v[4:5]
	v_add_u32_e32 v10, v10, v11
	v_add_u32_e32 v18, v18, v12
	s_or_b64 s[20:21], vcc, s[20:21]
	s_waitcnt vmcnt(0)
	v_pk_mov_b32 v[4:5], v[8:9], v[8:9] op_sel:[0,1]
	s_andn2_b64 exec, exec, s[20:21]
	s_cbranch_execz .LBB24_37
.LBB24_35:                              ;   Parent Loop BB24_8 Depth=1
                                        ; =>  This Inner Loop Header: Depth=2
	v_add_u32_e32 v13, v13, v3
	v_cmp_gt_u32_e32 vcc, s60, v13
	v_pk_mov_b32 v[8:9], 0, 0
	s_and_saveexec_b64 s[22:23], vcc
	s_cbranch_execz .LBB24_34
; %bb.36:                               ;   in Loop: Header=BB24_35 Depth=2
	v_lshlrev_b64 v[8:9], 3, v[18:19]
	v_mov_b32_e32 v14, s16
	v_add_co_u32_e32 v8, vcc, s62, v8
	v_addc_co_u32_e32 v9, vcc, v14, v9, vcc
	global_load_dwordx2 v[8:9], v[8:9], off
	s_branch .LBB24_34
.LBB24_37:                              ;   in Loop: Header=BB24_8 Depth=1
	s_or_b64 exec, exec, s[18:19]
	s_waitcnt lgkmcnt(0)
	s_barrier
	s_mov_b64 s[18:19], exec
	v_readlane_b32 s10, v54, 4
	v_readlane_b32 s11, v54, 5
	s_and_b64 s[10:11], s[18:19], s[10:11]
	s_mov_b64 exec, s[10:11]
	s_cbranch_execz .LBB24_39
; %bb.38:                               ;   in Loop: Header=BB24_8 Depth=1
	v_mov_b32_e32 v3, s60
	ds_write_b32 v19, v3 offset:4096
.LBB24_39:                              ;   in Loop: Header=BB24_8 Depth=1
	s_or_b64 exec, exec, s[18:19]
	s_mov_b64 s[18:19], -1
	s_waitcnt lgkmcnt(0)
	s_barrier
                                        ; implicit-def: $sgpr7
.LBB24_40:                              ;   in Loop: Header=BB24_8 Depth=1
	s_and_b64 vcc, exec, s[18:19]
	s_cbranch_vccz .LBB24_42
; %bb.41:                               ;   in Loop: Header=BB24_8 Depth=1
	ds_read_b32 v3, v19 offset:4096
	s_waitcnt lgkmcnt(0)
	v_readfirstlane_b32 s7, v3
.LBB24_42:                              ;   in Loop: Header=BB24_8 Depth=1
	s_cmp_lt_i32 s7, 1
	s_cbranch_scc0 .LBB24_54
; %bb.43:                               ;   in Loop: Header=BB24_8 Depth=1
	v_mov_b32_e32 v8, 0
	s_mov_b32 s69, 0
	v_mov_b32_e32 v9, 0
	v_mov_b32_e32 v10, v8
	;; [unrolled: 1-line block ×3, first 2 shown]
	s_mov_b64 s[84:85], exec
	v_readlane_b32 s10, v54, 32
	v_readlane_b32 s11, v54, 33
	s_and_b64 s[10:11], s[84:85], s[10:11]
	s_mov_b64 exec, s[10:11]
	s_cbranch_execz .LBB24_47
; %bb.44:                               ;   in Loop: Header=BB24_8 Depth=1
	s_and_b32 s78, s75, 0xfe
	s_mov_b64 s[76:77], 0
	s_mov_b32 s79, 0
	s_mov_b32 s10, 0
	;; [unrolled: 1-line block ×4, first 2 shown]
	v_mov_b32_e32 v3, v30
.LBB24_45:                              ;   Parent Loop BB24_8 Depth=1
                                        ; =>  This Inner Loop Header: Depth=2
	s_waitcnt vmcnt(0)
	v_add_u32_e32 v4, s69, v39
	v_ashrrev_i32_e32 v5, 31, v4
	v_add_u32_e32 v8, s69, v36
	v_lshlrev_b64 v[4:5], 3, v[4:5]
	v_mov_b32_e32 v12, s16
	v_ashrrev_i32_e32 v9, 31, v8
	v_add_co_u32_e64 v4, s[18:19], s62, v4
	v_add_u32_e32 v10, s69, v37
	v_lshlrev_b64 v[8:9], 3, v[8:9]
	v_addc_co_u32_e64 v5, s[18:19], v12, v5, s[18:19]
	v_ashrrev_i32_e32 v11, 31, v10
	v_add_co_u32_e64 v8, s[18:19], s62, v8
	v_add_u32_e32 v28, s69, v38
	v_lshlrev_b64 v[10:11], 3, v[10:11]
	v_addc_co_u32_e64 v9, s[18:19], v12, v9, s[18:19]
	v_ashrrev_i32_e32 v29, 31, v28
	v_add_co_u32_e64 v10, s[18:19], s62, v10
	v_lshlrev_b64 v[28:29], 3, v[28:29]
	v_addc_co_u32_e64 v11, s[18:19], v12, v11, s[18:19]
	v_add_co_u32_e64 v28, s[18:19], s62, v28
	v_addc_co_u32_e64 v29, s[18:19], v12, v29, s[18:19]
	global_load_dwordx2 v[4:5], v[4:5], off
	s_nop 0
	global_load_dwordx2 v[8:9], v[8:9], off
	s_nop 0
	;; [unrolled: 2-line block ×3, first 2 shown]
	global_load_dwordx2 v[28:29], v[28:29], off
	v_mov_b32_e32 v13, v19
	v_mov_b32_e32 v15, v19
	;; [unrolled: 1-line block ×3, first 2 shown]
	v_add_u32_e32 v3, s17, v3
	s_add_i32 s69, s69, s72
	v_cmp_le_i32_e32 vcc, s9, v3
	s_waitcnt vmcnt(3)
	v_xor_b32_e32 v5, 0x80000000, v5
	s_waitcnt vmcnt(2)
	v_xor_b32_e32 v9, 0x80000000, v9
	v_and_b32_e32 v44, s80, v4
	v_and_b32_e32 v45, s81, v5
	v_lshrrev_b64 v[4:5], s78, v[4:5]
	s_waitcnt vmcnt(1)
	v_xor_b32_e32 v11, 0x80000000, v11
	v_and_b32_e32 v46, s80, v8
	v_and_b32_e32 v47, s81, v9
	v_lshrrev_b64 v[8:9], s78, v[8:9]
	v_and_b32_e32 v18, 3, v4
	s_waitcnt vmcnt(0)
	v_xor_b32_e32 v29, 0x80000000, v29
	v_and_b32_e32 v48, s80, v10
	v_and_b32_e32 v49, s81, v11
	v_lshrrev_b64 v[10:11], s78, v[10:11]
	v_cmp_eq_u64_e64 s[18:19], s[82:83], v[44:45]
	v_and_b32_e32 v12, 3, v8
	v_cmp_eq_u64_e64 s[26:27], 0, v[18:19]
	v_and_b32_e32 v50, s80, v28
	v_and_b32_e32 v51, s81, v29
	v_lshrrev_b64 v[28:29], s78, v[28:29]
	v_cmp_eq_u64_e64 s[20:21], s[82:83], v[46:47]
	v_and_b32_e32 v14, 3, v10
	v_cmp_eq_u64_e64 s[28:29], 0, v[12:13]
	s_and_b64 s[14:15], s[18:19], s[26:27]
	v_cmp_eq_u64_e64 s[22:23], s[82:83], v[48:49]
	v_and_b32_e32 v26, 3, v28
	v_cmp_eq_u64_e64 s[30:31], 0, v[14:15]
	v_cndmask_b32_e64 v4, 0, 1, s[14:15]
	s_and_b64 s[14:15], s[20:21], s[28:29]
	v_cmp_eq_u64_e64 s[24:25], s[82:83], v[50:51]
	v_cmp_eq_u64_e64 s[34:35], 0, v[26:27]
	v_cndmask_b32_e64 v5, 0, 1, s[14:15]
	s_and_b64 s[14:15], s[22:23], s[30:31]
	v_cmp_eq_u64_e64 s[36:37], 1, v[18:19]
	v_cndmask_b32_e64 v8, 0, 1, s[14:15]
	s_and_b64 s[14:15], s[24:25], s[34:35]
	;; [unrolled: 3-line block ×5, first 2 shown]
	v_cmp_eq_u64_e64 s[44:45], 2, v[18:19]
	v_cmp_eq_u64_e64 s[46:47], 2, v[12:13]
	;; [unrolled: 1-line block ×3, first 2 shown]
	v_cndmask_b32_e64 v12, 0, 1, s[14:15]
	s_and_b64 s[14:15], s[24:25], s[42:43]
	v_cndmask_b32_e64 v13, 0, 1, s[14:15]
	s_and_b64 s[14:15], s[18:19], s[44:45]
	v_cmp_eq_u64_e64 s[48:49], 2, v[14:15]
	v_cmp_eq_u64_e64 s[56:57], 3, v[14:15]
	v_cndmask_b32_e64 v14, 0, 1, s[14:15]
	s_and_b64 s[14:15], s[20:21], s[46:47]
	v_cmp_eq_u64_e64 s[50:51], 2, v[26:27]
	v_cndmask_b32_e64 v15, 0, 1, s[14:15]
	s_and_b64 s[14:15], s[22:23], s[48:49]
	;; [unrolled: 3-line block ×4, first 2 shown]
	v_cndmask_b32_e64 v27, 0, 1, s[14:15]
	s_and_b64 s[14:15], s[20:21], s[54:55]
	v_cndmask_b32_e64 v28, 0, 1, s[14:15]
	s_and_b64 s[14:15], s[22:23], s[56:57]
	;; [unrolled: 2-line block ×3, first 2 shown]
	v_cmp_ne_u32_e64 s[18:19], 0, v4
	v_cmp_ne_u32_e64 s[22:23], 0, v8
	;; [unrolled: 1-line block ×5, first 2 shown]
	v_cndmask_b32_e64 v44, 0, 1, s[14:15]
	v_cmp_ne_u32_e64 s[20:21], 0, v5
	v_cmp_ne_u32_e64 s[24:25], 0, v9
	;; [unrolled: 1-line block ×5, first 2 shown]
	s_bcnt1_i32_b64 s13, s[18:19]
	s_bcnt1_i32_b64 s15, s[22:23]
	;; [unrolled: 1-line block ×5, first 2 shown]
	v_cmp_ne_u32_e64 s[30:31], 0, v12
	v_cmp_ne_u32_e64 s[40:41], 0, v18
	;; [unrolled: 1-line block ×3, first 2 shown]
	s_bcnt1_i32_b64 s14, s[20:21]
	s_bcnt1_i32_b64 s18, s[24:25]
	;; [unrolled: 1-line block ×5, first 2 shown]
	s_add_i32 s12, s12, s13
	s_add_i32 s11, s11, s19
	;; [unrolled: 1-line block ×4, first 2 shown]
	v_cmp_ne_u32_e64 s[34:35], 0, v13
	v_cmp_ne_u32_e64 s[42:43], 0, v26
	;; [unrolled: 1-line block ×3, first 2 shown]
	s_bcnt1_i32_b64 s21, s[30:31]
	s_bcnt1_i32_b64 s25, s[40:41]
	;; [unrolled: 1-line block ×3, first 2 shown]
	s_add_i32 s12, s12, s14
	s_add_i32 s11, s11, s20
	;; [unrolled: 1-line block ×4, first 2 shown]
	s_bcnt1_i32_b64 s22, s[34:35]
	s_bcnt1_i32_b64 s26, s[42:43]
	;; [unrolled: 1-line block ×3, first 2 shown]
	s_add_i32 s12, s12, s15
	s_add_i32 s11, s11, s21
	;; [unrolled: 1-line block ×8, first 2 shown]
	s_or_b64 s[76:77], vcc, s[76:77]
	v_mov_b32_e32 v8, s12
	v_mov_b32_e32 v9, s11
	;; [unrolled: 1-line block ×4, first 2 shown]
	s_andn2_b64 exec, exec, s[76:77]
	s_cbranch_execnz .LBB24_45
; %bb.46:                               ;   in Loop: Header=BB24_8 Depth=1
	s_or_b64 exec, exec, s[76:77]
.LBB24_47:                              ;   in Loop: Header=BB24_8 Depth=1
	s_or_b64 exec, exec, s[84:85]
	v_pk_mov_b32 v[12:13], 0, 0
	s_mov_b64 s[18:19], exec
	v_readlane_b32 s10, v54, 34
	v_readlane_b32 s11, v54, 35
	s_and_b64 s[10:11], s[18:19], s[10:11]
	s_mov_b64 exec, s[10:11]
	s_cbranch_execz .LBB24_49
; %bb.48:                               ;   in Loop: Header=BB24_8 Depth=1
	global_load_dwordx2 v[12:13], v[24:25], off
.LBB24_49:                              ;   in Loop: Header=BB24_8 Depth=1
	s_or_b64 exec, exec, s[18:19]
	s_mov_b64 s[20:21], 0
	s_mov_b64 s[84:85], 0
	s_mov_b64 s[22:23], exec
	v_readlane_b32 s10, v54, 36
	v_readlane_b32 s11, v54, 37
	s_and_b64 s[10:11], s[22:23], s[10:11]
	s_mov_b64 exec, s[10:11]
	s_cbranch_execz .LBB24_56
; %bb.50:                               ;   in Loop: Header=BB24_8 Depth=1
	s_and_b32 s10, s75, 0xfe
	s_mov_b64 s[24:25], 0
	s_waitcnt vmcnt(0)
	v_mov_b32_e32 v4, v40
	v_mov_b32_e32 v3, v35
	s_branch .LBB24_52
.LBB24_51:                              ;   in Loop: Header=BB24_52 Depth=2
	s_or_b64 exec, exec, s[18:19]
	v_xor_b32_e32 v13, 0x80000000, v13
	v_and_b32_e32 v27, s81, v13
	v_and_b32_e32 v26, s80, v12
	v_lshrrev_b64 v[12:13], s10, v[12:13]
	v_and_b32_e32 v18, 3, v12
	v_cmp_eq_u64_e32 vcc, s[82:83], v[26:27]
	v_cmp_eq_u64_e64 s[18:19], 0, v[18:19]
	s_and_b64 s[12:13], vcc, s[18:19]
	v_cndmask_b32_e64 v5, 0, 1, s[12:13]
	v_cmp_ne_u32_e64 s[18:19], 0, v5
	s_bcnt1_i32_b64 s11, s[18:19]
	v_cmp_eq_u64_e64 s[18:19], 1, v[18:19]
	s_and_b64 s[12:13], vcc, s[18:19]
	v_cndmask_b32_e64 v5, 0, 1, s[12:13]
	v_cmp_ne_u32_e64 s[18:19], 0, v5
	v_add_u32_e32 v8, s11, v8
	s_bcnt1_i32_b64 s11, s[18:19]
	v_cmp_eq_u64_e64 s[18:19], 2, v[18:19]
	s_and_b64 s[12:13], vcc, s[18:19]
	v_cndmask_b32_e64 v5, 0, 1, s[12:13]
	v_cmp_ne_u32_e64 s[18:19], 0, v5
	v_add_u32_e32 v9, s11, v9
	s_bcnt1_i32_b64 s11, s[18:19]
	v_cmp_eq_u64_e64 s[18:19], 3, v[18:19]
	s_and_b64 s[12:13], vcc, s[18:19]
	v_cndmask_b32_e64 v5, 0, 1, s[12:13]
	v_cmp_ne_u32_e32 vcc, 0, v5
	v_add_u32_e32 v10, s11, v10
	s_bcnt1_i32_b64 s11, vcc
	v_cmp_le_i32_e32 vcc, s60, v3
	v_add_u32_e32 v11, s11, v11
	v_add_u32_e32 v4, s0, v4
	s_or_b64 s[24:25], vcc, s[24:25]
	s_waitcnt vmcnt(0)
	v_pk_mov_b32 v[12:13], v[14:15], v[14:15] op_sel:[0,1]
	s_andn2_b64 exec, exec, s[24:25]
	s_cbranch_execz .LBB24_55
.LBB24_52:                              ;   Parent Loop BB24_8 Depth=1
                                        ; =>  This Inner Loop Header: Depth=2
	v_add_u32_e32 v3, s33, v3
	v_cmp_gt_u32_e32 vcc, s60, v3
	v_pk_mov_b32 v[14:15], 0, 0
	s_and_saveexec_b64 s[18:19], vcc
	s_cbranch_execz .LBB24_51
; %bb.53:                               ;   in Loop: Header=BB24_52 Depth=2
	v_ashrrev_i32_e32 v5, 31, v4
	v_lshlrev_b64 v[14:15], 3, v[4:5]
	v_mov_b32_e32 v5, s16
	v_add_co_u32_e32 v14, vcc, s62, v14
	v_addc_co_u32_e32 v15, vcc, v5, v15, vcc
	global_load_dwordx2 v[14:15], v[14:15], off
	s_branch .LBB24_51
.LBB24_54:                              ;   in Loop: Header=BB24_8 Depth=1
	s_mov_b64 s[84:85], 0
                                        ; implicit-def: $vgpr11
	s_cbranch_execnz .LBB24_57
	s_branch .LBB24_66
.LBB24_55:                              ;   in Loop: Header=BB24_8 Depth=1
	s_or_b64 exec, exec, s[24:25]
	s_mov_b64 s[84:85], exec
.LBB24_56:                              ;   in Loop: Header=BB24_8 Depth=1
	s_or_b64 exec, exec, s[22:23]
	s_and_b64 vcc, exec, s[20:21]
	s_cbranch_vccz .LBB24_66
.LBB24_57:                              ;   in Loop: Header=BB24_8 Depth=1
	s_mul_hi_u32 s10, s7, s8
	s_mul_i32 s10, s10, s17
	s_sub_i32 s10, s7, s10
	s_sub_i32 s11, s10, s17
	s_cmp_ge_u32 s10, s17
	s_cselect_b32 s10, s11, s10
	s_sub_i32 s11, s10, s17
	s_cmp_ge_u32 s10, s17
	s_cselect_b32 s10, s11, s10
	s_sub_i32 s10, s7, s10
	v_cmp_gt_u32_e32 vcc, s10, v30
	s_mov_b32 s11, 0
	v_mov_b32_e32 v8, 0
	v_mov_b32_e32 v9, 0
	;; [unrolled: 1-line block ×4, first 2 shown]
	s_and_saveexec_b64 s[76:77], vcc
	s_cbranch_execz .LBB24_61
; %bb.58:                               ;   in Loop: Header=BB24_8 Depth=1
	s_and_b32 s12, s75, 0xfe
	s_mov_b64 s[78:79], 0
	v_mov_b32_e32 v3, v41
	s_mov_b32 s13, 0
	s_mov_b32 s69, 0
	;; [unrolled: 1-line block ×3, first 2 shown]
	v_mov_b32_e32 v44, v30
.LBB24_59:                              ;   Parent Loop BB24_8 Depth=1
                                        ; =>  This Inner Loop Header: Depth=2
	s_waitcnt vmcnt(0)
	ds_read_b128 v[12:15], v3
	ds_read_b128 v[8:11], v3 offset:16
	v_mov_b32_e32 v5, v19
	v_mov_b32_e32 v27, v19
	;; [unrolled: 1-line block ×3, first 2 shown]
	s_waitcnt lgkmcnt(1)
	v_xor_b32_e32 v13, 0x80000000, v13
	v_xor_b32_e32 v15, 0x80000000, v15
	v_and_b32_e32 v46, s80, v12
	v_and_b32_e32 v47, s81, v13
	v_lshrrev_b64 v[12:13], s12, v[12:13]
	s_waitcnt lgkmcnt(0)
	v_xor_b32_e32 v9, 0x80000000, v9
	v_and_b32_e32 v48, s80, v14
	v_and_b32_e32 v49, s81, v15
	v_lshrrev_b64 v[14:15], s12, v[14:15]
	v_and_b32_e32 v18, 3, v12
	v_xor_b32_e32 v11, 0x80000000, v11
	v_and_b32_e32 v50, s80, v8
	v_and_b32_e32 v51, s81, v9
	v_lshrrev_b64 v[8:9], s12, v[8:9]
	v_cmp_eq_u64_e64 s[18:19], s[82:83], v[46:47]
	v_and_b32_e32 v4, 3, v14
	v_cmp_eq_u64_e64 s[26:27], 0, v[18:19]
	v_and_b32_e32 v52, s80, v10
	v_and_b32_e32 v53, s81, v11
	v_lshrrev_b64 v[10:11], s12, v[10:11]
	v_cmp_eq_u64_e64 s[20:21], s[82:83], v[48:49]
	v_and_b32_e32 v26, 3, v8
	v_cmp_eq_u64_e64 s[28:29], 0, v[4:5]
	s_and_b64 s[26:27], s[18:19], s[26:27]
	v_cmp_eq_u64_e64 s[22:23], s[82:83], v[50:51]
	v_and_b32_e32 v28, 3, v10
	v_cmp_eq_u64_e64 s[30:31], 0, v[26:27]
	v_cmp_eq_u64_e64 s[38:39], 1, v[4:5]
	;; [unrolled: 1-line block ×4, first 2 shown]
	v_cndmask_b32_e64 v4, 0, 1, s[26:27]
	s_and_b64 s[26:27], s[20:21], s[28:29]
	v_cmp_eq_u64_e64 s[24:25], s[82:83], v[52:53]
	v_cmp_eq_u64_e64 s[34:35], 0, v[28:29]
	v_cndmask_b32_e64 v5, 0, 1, s[26:27]
	s_and_b64 s[26:27], s[22:23], s[30:31]
	v_cmp_eq_u64_e64 s[36:37], 1, v[18:19]
	v_cndmask_b32_e64 v8, 0, 1, s[26:27]
	s_and_b64 s[26:27], s[24:25], s[34:35]
	v_cndmask_b32_e64 v9, 0, 1, s[26:27]
	s_and_b64 s[26:27], s[18:19], s[36:37]
	v_cmp_eq_u64_e64 s[40:41], 1, v[26:27]
	v_cndmask_b32_e64 v10, 0, 1, s[26:27]
	s_and_b64 s[26:27], s[20:21], s[38:39]
	v_cmp_eq_u64_e64 s[42:43], 1, v[28:29]
	;; [unrolled: 3-line block ×3, first 2 shown]
	v_cmp_eq_u64_e64 s[52:53], 3, v[18:19]
	v_cndmask_b32_e64 v12, 0, 1, s[26:27]
	s_and_b64 s[26:27], s[24:25], s[42:43]
	v_cndmask_b32_e64 v13, 0, 1, s[26:27]
	s_and_b64 s[26:27], s[18:19], s[44:45]
	s_and_b64 s[18:19], s[18:19], s[52:53]
	v_cmp_eq_u64_e64 s[48:49], 2, v[26:27]
	v_cmp_eq_u64_e64 s[56:57], 3, v[26:27]
	v_cndmask_b32_e64 v14, 0, 1, s[26:27]
	s_and_b64 s[26:27], s[20:21], s[46:47]
	v_cndmask_b32_e64 v27, 0, 1, s[18:19]
	s_and_b64 s[18:19], s[20:21], s[54:55]
	v_cmp_eq_u64_e64 s[50:51], 2, v[28:29]
	v_cmp_eq_u64_e64 s[58:59], 3, v[28:29]
	v_cndmask_b32_e64 v15, 0, 1, s[26:27]
	s_and_b64 s[26:27], s[22:23], s[48:49]
	v_cndmask_b32_e64 v28, 0, 1, s[18:19]
	s_and_b64 s[18:19], s[22:23], s[56:57]
	;; [unrolled: 2-line block ×4, first 2 shown]
	v_cndmask_b32_e64 v26, 0, 1, s[26:27]
	v_cndmask_b32_e64 v45, 0, 1, s[18:19]
	v_cmp_ne_u32_e64 s[18:19], 0, v4
	v_cmp_ne_u32_e64 s[20:21], 0, v5
	;; [unrolled: 1-line block ×11, first 2 shown]
	s_bcnt1_i32_b64 s15, s[18:19]
	s_bcnt1_i32_b64 s18, s[20:21]
	;; [unrolled: 1-line block ×8, first 2 shown]
	v_cmp_ne_u32_e64 s[40:41], 0, v18
	v_cmp_ne_u32_e64 s[48:49], 0, v29
	s_bcnt1_i32_b64 s23, s[30:31]
	s_bcnt1_i32_b64 s26, s[38:39]
	;; [unrolled: 1-line block ×3, first 2 shown]
	s_add_i32 s14, s14, s15
	s_add_i32 s15, s69, s21
	;; [unrolled: 1-line block ×4, first 2 shown]
	v_cmp_ne_u32_e64 s[34:35], 0, v13
	v_cmp_ne_u32_e64 s[42:43], 0, v26
	;; [unrolled: 1-line block ×3, first 2 shown]
	s_bcnt1_i32_b64 s27, s[40:41]
	s_bcnt1_i32_b64 s31, s[48:49]
	s_add_i32 s14, s14, s18
	s_add_i32 s15, s15, s22
	;; [unrolled: 1-line block ×4, first 2 shown]
	v_add_u32_e32 v44, s17, v44
	s_bcnt1_i32_b64 s24, s[34:35]
	s_bcnt1_i32_b64 s28, s[42:43]
	;; [unrolled: 1-line block ×3, first 2 shown]
	s_add_i32 s14, s14, s19
	s_add_i32 s15, s15, s23
	;; [unrolled: 1-line block ×4, first 2 shown]
	v_cmp_le_i32_e32 vcc, s10, v44
	s_add_i32 s14, s14, s20
	s_add_i32 s69, s15, s24
	;; [unrolled: 1-line block ×4, first 2 shown]
	v_add_u32_e32 v3, s73, v3
	s_or_b64 s[78:79], vcc, s[78:79]
	v_mov_b32_e32 v8, s14
	v_mov_b32_e32 v9, s69
	;; [unrolled: 1-line block ×4, first 2 shown]
	s_andn2_b64 exec, exec, s[78:79]
	s_cbranch_execnz .LBB24_59
; %bb.60:                               ;   in Loop: Header=BB24_8 Depth=1
	s_or_b64 exec, exec, s[78:79]
.LBB24_61:                              ;   in Loop: Header=BB24_8 Depth=1
	s_or_b64 exec, exec, s[76:77]
	v_add_u32_e32 v3, s10, v0
	v_cmp_gt_i32_e32 vcc, s7, v3
	s_and_saveexec_b64 s[28:29], vcc
	s_cbranch_execz .LBB24_65
; %bb.62:                               ;   in Loop: Header=BB24_8 Depth=1
	s_and_b32 s10, s75, 0xfe
	s_waitcnt vmcnt(0)
	v_lshlrev_b32_e32 v4, 3, v3
	s_mov_b64 s[30:31], 0
.LBB24_63:                              ;   Parent Loop BB24_8 Depth=1
                                        ; =>  This Inner Loop Header: Depth=2
	ds_read_b64 v[12:13], v4
	v_add_u32_e32 v3, s33, v3
	v_cmp_le_i32_e32 vcc, s7, v3
	v_add_u32_e32 v4, s74, v4
	s_waitcnt lgkmcnt(0)
	v_xor_b32_e32 v13, 0x80000000, v13
	v_and_b32_e32 v14, s80, v12
	v_and_b32_e32 v15, s81, v13
	v_lshrrev_b64 v[12:13], s10, v[12:13]
	v_and_b32_e32 v18, 3, v12
	v_cmp_eq_u64_e64 s[18:19], s[82:83], v[14:15]
	v_cmp_eq_u64_e64 s[20:21], 0, v[18:19]
	;; [unrolled: 1-line block ×3, first 2 shown]
	s_and_b64 s[12:13], s[18:19], s[20:21]
	v_cmp_eq_u64_e64 s[24:25], 2, v[18:19]
	v_cndmask_b32_e64 v5, 0, 1, s[12:13]
	s_and_b64 s[12:13], s[18:19], s[22:23]
	v_cmp_eq_u64_e64 s[26:27], 3, v[18:19]
	v_cndmask_b32_e64 v12, 0, 1, s[12:13]
	s_and_b64 s[12:13], s[18:19], s[24:25]
	v_cndmask_b32_e64 v13, 0, 1, s[12:13]
	s_and_b64 s[12:13], s[18:19], s[26:27]
	v_cndmask_b32_e64 v14, 0, 1, s[12:13]
	v_cmp_ne_u32_e64 s[18:19], 0, v5
	v_cmp_ne_u32_e64 s[20:21], 0, v12
	;; [unrolled: 1-line block ×4, first 2 shown]
	s_bcnt1_i32_b64 s11, s[18:19]
	s_bcnt1_i32_b64 s12, s[20:21]
	;; [unrolled: 1-line block ×4, first 2 shown]
	v_add_u32_e32 v8, s11, v8
	v_add_u32_e32 v9, s12, v9
	;; [unrolled: 1-line block ×3, first 2 shown]
	s_or_b64 s[30:31], vcc, s[30:31]
	v_add_u32_e32 v11, s14, v11
	s_andn2_b64 exec, exec, s[30:31]
	s_cbranch_execnz .LBB24_63
; %bb.64:                               ;   in Loop: Header=BB24_8 Depth=1
	s_or_b64 exec, exec, s[30:31]
	s_or_b64 s[84:85], s[84:85], exec
.LBB24_65:                              ;   in Loop: Header=BB24_8 Depth=1
	s_or_b64 exec, exec, s[28:29]
.LBB24_66:                              ;   in Loop: Header=BB24_8 Depth=1
	s_and_saveexec_b64 s[18:19], s[84:85]
	s_or_b64 exec, exec, s[18:19]
	s_lshl_b32 s7, s6, 6
	s_and_saveexec_b64 s[18:19], s[2:3]
	s_cbranch_execz .LBB24_68
; %bb.67:                               ;   in Loop: Header=BB24_8 Depth=1
	v_or_b32_e32 v3, s7, v33
	v_lshlrev_b32_e32 v3, 2, v3
	ds_write_b128 v3, v[8:11] offset:3072
.LBB24_68:                              ;   in Loop: Header=BB24_8 Depth=1
	s_or_b64 exec, exec, s[18:19]
	s_waitcnt lgkmcnt(0)
	s_barrier
	s_and_saveexec_b64 s[18:19], s[70:71]
	s_cbranch_execz .LBB24_82
; %bb.69:                               ;   in Loop: Header=BB24_8 Depth=1
	v_readlane_b32 s10, v54, 12
	v_readlane_b32 s11, v54, 13
	v_add_u32_e32 v3, s7, v23
	s_andn2_b64 vcc, exec, s[10:11]
	s_waitcnt vmcnt(0)
	v_mov_b32_e32 v4, 0
	s_cbranch_vccnz .LBB24_81
; %bb.70:                               ;   in Loop: Header=BB24_8 Depth=1
	v_readlane_b32 s12, v54, 16
	v_readlane_b32 s13, v54, 17
	s_mov_b32 s10, 0
	s_and_b64 vcc, exec, s[12:13]
	v_mov_b32_e32 v4, 0
	s_cbranch_vccz .LBB24_74
; %bb.71:                               ;   in Loop: Header=BB24_8 Depth=1
	v_readlane_b32 s10, v54, 22
	v_readlane_b32 s11, v54, 23
	v_lshl_add_u32 v8, v3, 2, v43
	s_andn2_b64 vcc, exec, s[10:11]
	s_cbranch_vccnz .LBB24_75
; %bb.72:                               ;   in Loop: Header=BB24_8 Depth=1
	s_mov_b32 s21, 1
	s_mov_b32 s20, 0
	v_mov_b32_e32 v4, 0
	v_readlane_b32 s10, v54, 24
	v_mov_b32_e32 v5, 0
.LBB24_73:                              ;   Parent Loop BB24_8 Depth=1
                                        ; =>  This Inner Loop Header: Depth=2
	v_lshl_add_u32 v9, s20, 4, v8
	v_lshl_add_u32 v18, s21, 4, v8
	ds_read2_b32 v[10:11], v9 offset1:8
	ds_read2_b32 v[12:13], v18 offset1:8
	ds_read2_b32 v[14:15], v9 offset0:16 offset1:24
	ds_read2_b32 v[26:27], v18 offset0:16 offset1:24
	;; [unrolled: 1-line block ×6, first 2 shown]
	s_waitcnt lgkmcnt(7)
	v_add3_u32 v4, v10, v4, v11
	s_waitcnt lgkmcnt(6)
	v_add3_u32 v5, v12, v5, v13
	;; [unrolled: 2-line block ×3, first 2 shown]
	v_add3_u32 v4, v14, v4, v15
	s_add_i32 s21, s21, 16
	s_add_i32 s20, s20, 16
	s_add_i32 s10, s10, -8
	s_waitcnt lgkmcnt(3)
	v_add3_u32 v4, v28, v4, v29
	s_waitcnt lgkmcnt(2)
	v_add3_u32 v5, v44, v5, v45
	s_cmp_lg_u32 s10, 0
	s_waitcnt lgkmcnt(0)
	v_add3_u32 v5, v48, v5, v49
	v_add3_u32 v4, v46, v4, v47
	s_cbranch_scc1 .LBB24_73
	s_branch .LBB24_76
.LBB24_74:                              ;   in Loop: Header=BB24_8 Depth=1
	s_cbranch_execnz .LBB24_79
	s_branch .LBB24_81
.LBB24_75:                              ;   in Loop: Header=BB24_8 Depth=1
	s_mov_b32 s69, s68
	v_pk_mov_b32 v[4:5], s[68:69], s[68:69] op_sel:[0,1]
	s_mov_b32 s69, 1
	s_mov_b64 s[20:21], s[68:69]
.LBB24_76:                              ;   in Loop: Header=BB24_8 Depth=1
	v_readlane_b32 s10, v54, 26
	v_readlane_b32 s11, v54, 27
	s_andn2_b64 vcc, exec, s[10:11]
	v_readlane_b32 s10, v54, 25
	s_cbranch_vccnz .LBB24_78
.LBB24_77:                              ;   Parent Loop BB24_8 Depth=1
                                        ; =>  This Inner Loop Header: Depth=2
	v_lshl_add_u32 v9, s20, 4, v8
	v_lshl_add_u32 v10, s21, 4, v8
	ds_read_b32 v10, v10
	ds_read_b32 v9, v9
	s_add_i32 s21, s21, 2
	s_add_i32 s20, s20, 2
	s_add_i32 s10, s10, -1
	s_cmp_lg_u32 s10, 0
	s_waitcnt lgkmcnt(1)
	v_add_u32_e32 v5, v10, v5
	s_waitcnt lgkmcnt(0)
	v_add_u32_e32 v4, v9, v4
	s_cbranch_scc1 .LBB24_77
.LBB24_78:                              ;   in Loop: Header=BB24_8 Depth=1
	v_readlane_b32 s20, v54, 30
	v_add_u32_e32 v4, v4, v5
	v_readlane_b32 s10, v54, 29
	v_readlane_b32 s21, v54, 31
	s_and_b64 vcc, exec, s[20:21]
	s_cbranch_vccz .LBB24_81
.LBB24_79:                              ;   in Loop: Header=BB24_8 Depth=1
	s_lshl_b32 s11, s6, 8
	s_lshl_b32 s12, s10, 4
	s_add_i32 s11, s11, s12
	v_add_u32_e32 v5, s11, v42
	v_readlane_b32 s11, v54, 28
	s_sub_i32 s10, s11, s10
.LBB24_80:                              ;   Parent Loop BB24_8 Depth=1
                                        ; =>  This Inner Loop Header: Depth=2
	ds_read_b32 v8, v5
	s_add_i32 s10, s10, -1
	v_add_u32_e32 v5, 16, v5
	s_cmp_eq_u32 s10, 0
	s_waitcnt lgkmcnt(0)
	v_add_u32_e32 v4, v8, v4
	s_cbranch_scc0 .LBB24_80
.LBB24_81:                              ;   in Loop: Header=BB24_8 Depth=1
	v_lshlrev_b32_e32 v3, 2, v3
	ds_write_b32 v3, v4 offset:3072
.LBB24_82:                              ;   in Loop: Header=BB24_8 Depth=1
	s_or_b64 exec, exec, s[18:19]
	s_lshl_b32 s7, s7, 2
	v_mov_b32_e32 v3, s7
	s_waitcnt lgkmcnt(0)
	s_barrier
	ds_read_b128 v[8:11], v3 offset:3072
	s_and_b32 s51, s75, 0xfe
	s_lshl_b64 s[20:21], 3, s51
	s_not_b64 s[30:31], s[20:21]
	s_mov_b64 s[24:25], -1
	s_waitcnt lgkmcnt(0)
	v_readfirstlane_b32 s38, v8
	s_cmp_eq_u32 s38, 1
	s_cselect_b64 s[10:11], -1, 0
	s_cmp_eq_u32 s61, 1
	s_cselect_b64 s[12:13], -1, 0
	s_and_b64 s[26:27], s[10:11], s[12:13]
	v_readfirstlane_b32 s42, v9
	v_readfirstlane_b32 s50, v10
	;; [unrolled: 1-line block ×3, first 2 shown]
	s_and_b64 vcc, exec, s[26:27]
	s_cbranch_vccz .LBB24_94
; %bb.83:                               ;   in Loop: Header=BB24_8 Depth=1
	ds_read_b32 v3, v19 offset:4096
	s_waitcnt lgkmcnt(0)
	s_barrier
	v_readfirstlane_b32 s10, v3
	s_and_saveexec_b64 s[18:19], s[4:5]
	s_cbranch_execz .LBB24_85
; %bb.84:                               ;   in Loop: Header=BB24_8 Depth=1
	v_mov_b32_e32 v18, v19
	ds_write_b64 v32, v[18:19]
.LBB24_85:                              ;   in Loop: Header=BB24_8 Depth=1
	s_or_b64 exec, exec, s[18:19]
	s_and_b64 s[82:83], s[82:83], s[30:31]
	s_or_b64 s[80:81], s[80:81], s[20:21]
	s_cmp_lt_i32 s10, 1
	s_waitcnt lgkmcnt(0)
	s_barrier
	s_cbranch_scc0 .LBB24_95
; %bb.86:                               ;   in Loop: Header=BB24_8 Depth=1
	s_mov_b64 s[18:19], 0
                                        ; implicit-def: $vgpr6_vgpr7
	s_mov_b64 s[22:23], exec
	v_readlane_b32 s12, v54, 39
	v_readlane_b32 s13, v54, 40
	s_and_b64 s[12:13], s[22:23], s[12:13]
	s_mov_b64 exec, s[12:13]
	s_cbranch_execz .LBB24_97
; %bb.87:                               ;   in Loop: Header=BB24_8 Depth=1
	s_mov_b64 s[34:35], 0
	v_mov_b32_e32 v8, v16
	v_mov_b32_e32 v10, v0
                                        ; implicit-def: $sgpr28_sgpr29
	s_branch .LBB24_89
.LBB24_88:                              ;   in Loop: Header=BB24_89 Depth=2
	s_or_b64 exec, exec, s[18:19]
	s_waitcnt lgkmcnt(0)
	s_barrier
	s_waitcnt vmcnt(0)
	ds_read_b128 v[4:7], v19 offset:3072
	v_add_u32_e32 v10, s33, v10
	v_cmp_le_i32_e32 vcc, s1, v10
	v_add_u32_e32 v8, s0, v8
	s_waitcnt lgkmcnt(0)
	v_readfirstlane_b32 s13, v5
	v_readfirstlane_b32 s12, v4
	s_cmp_lg_u64 s[12:13], 0
	s_cselect_b64 s[12:13], -1, 0
	s_or_b64 s[14:15], vcc, s[12:13]
	s_and_b64 s[14:15], exec, s[14:15]
	s_or_b64 s[34:35], s[14:15], s[34:35]
	s_andn2_b64 s[14:15], s[28:29], exec
	s_and_b64 s[12:13], s[12:13], exec
	s_or_b64 s[28:29], s[14:15], s[12:13]
	s_barrier
	s_andn2_b64 exec, exec, s[34:35]
	s_cbranch_execz .LBB24_96
.LBB24_89:                              ;   Parent Loop BB24_8 Depth=1
                                        ; =>  This Inner Loop Header: Depth=2
	v_cmp_gt_i32_e32 vcc, s60, v10
	s_waitcnt vmcnt(0)
	v_pk_mov_b32 v[4:5], 0, 0
	s_and_saveexec_b64 s[36:37], vcc
	s_cbranch_execz .LBB24_91
; %bb.90:                               ;   in Loop: Header=BB24_89 Depth=2
	v_ashrrev_i32_e32 v9, 31, v8
	v_lshlrev_b64 v[4:5], 3, v[8:9]
	v_mov_b32_e32 v3, s16
	v_add_co_u32_e64 v4, s[18:19], s62, v4
	v_addc_co_u32_e64 v5, s[18:19], v3, v5, s[18:19]
	global_load_dwordx2 v[4:5], v[4:5], off
.LBB24_91:                              ;   in Loop: Header=BB24_89 Depth=2
	s_or_b64 exec, exec, s[36:37]
	s_and_saveexec_b64 s[18:19], vcc
	s_cbranch_execz .LBB24_88
; %bb.92:                               ;   in Loop: Header=BB24_89 Depth=2
	s_waitcnt vmcnt(0)
	v_xor_b32_e32 v3, 0x80000000, v5
	v_and_b32_e32 v7, s81, v3
	v_and_b32_e32 v6, s80, v4
	v_cmp_eq_u64_e32 vcc, s[82:83], v[6:7]
	s_and_b64 exec, exec, vcc
	s_cbranch_execz .LBB24_88
; %bb.93:                               ;   in Loop: Header=BB24_89 Depth=2
	v_mov_b32_e32 v3, v19
	ds_write_b128 v19, v[2:5] offset:3072
	s_branch .LBB24_88
.LBB24_94:                              ;   in Loop: Header=BB24_8 Depth=1
	s_mov_b64 s[18:19], -1
                                        ; implicit-def: $sgpr22_sgpr23
                                        ; implicit-def: $sgpr34_sgpr35
                                        ; implicit-def: $sgpr28_sgpr29
	s_branch .LBB24_108
.LBB24_95:                              ;   in Loop: Header=BB24_8 Depth=1
	s_mov_b64 s[22:23], -1
	s_mov_b64 s[18:19], 0
                                        ; implicit-def: $sgpr28_sgpr29
                                        ; implicit-def: $vgpr6_vgpr7
	s_mov_b64 s[34:35], s[22:23]
	s_cbranch_execnz .LBB24_98
	s_branch .LBB24_108
.LBB24_96:                              ;   in Loop: Header=BB24_8 Depth=1
	s_or_b64 exec, exec, s[34:35]
	s_and_b64 s[18:19], s[28:29], exec
.LBB24_97:                              ;   in Loop: Header=BB24_8 Depth=1
	s_or_b64 exec, exec, s[22:23]
	s_mov_b64 s[28:29], -1
	s_mov_b64 s[22:23], 0
	s_mov_b64 s[34:35], s[22:23]
	s_branch .LBB24_108
.LBB24_98:                              ;   in Loop: Header=BB24_8 Depth=1
	v_readlane_b32 s11, v54, 9
	s_add_i32 s11, s10, s11
	s_abs_i32 s13, s11
	v_readlane_b32 s14, v54, 38
	s_mul_hi_u32 s14, s13, s14
	s_mul_i32 s14, s14, s33
	s_sub_i32 s13, s13, s14
	s_ashr_i32 s12, s11, 31
	s_sub_i32 s14, s13, s33
	s_cmp_ge_u32 s13, s33
	s_cselect_b32 s13, s14, s13
	s_sub_i32 s14, s13, s33
	s_cmp_ge_u32 s13, s33
	s_cselect_b32 s13, s14, s13
	s_xor_b32 s13, s13, s12
	s_sub_i32 s12, s12, s13
	s_add_i32 s11, s11, s12
	v_cmp_gt_i32_e32 vcc, s11, v0
	s_mov_b64 s[18:19], 0
                                        ; implicit-def: $vgpr6_vgpr7
	s_and_saveexec_b64 s[22:23], vcc
	s_cbranch_execz .LBB24_107
; %bb.99:                               ;   in Loop: Header=BB24_8 Depth=1
	s_mov_b64 s[28:29], 0
	v_mov_b32_e32 v8, v31
	v_mov_b32_e32 v9, v0
                                        ; implicit-def: $sgpr18_sgpr19
	s_branch .LBB24_101
.LBB24_100:                             ;   in Loop: Header=BB24_101 Depth=2
	s_or_b64 exec, exec, s[34:35]
	s_waitcnt lgkmcnt(0)
	s_barrier
	ds_read_b128 v[4:7], v19 offset:3072
	v_add_u32_e32 v9, s33, v9
	v_cmp_le_i32_e32 vcc, s11, v9
	v_add_u32_e32 v8, s74, v8
	s_waitcnt lgkmcnt(0)
	v_readfirstlane_b32 s13, v5
	v_readfirstlane_b32 s12, v4
	s_cmp_lg_u64 s[12:13], 0
	s_cselect_b64 s[12:13], -1, 0
	s_or_b64 s[14:15], vcc, s[12:13]
	s_and_b64 s[14:15], exec, s[14:15]
	s_or_b64 s[28:29], s[14:15], s[28:29]
	s_andn2_b64 s[14:15], s[18:19], exec
	s_and_b64 s[12:13], s[12:13], exec
	s_or_b64 s[18:19], s[14:15], s[12:13]
	s_barrier
	s_andn2_b64 exec, exec, s[28:29]
	s_cbranch_execz .LBB24_106
.LBB24_101:                             ;   Parent Loop BB24_8 Depth=1
                                        ; =>  This Inner Loop Header: Depth=2
	v_cmp_gt_i32_e32 vcc, s10, v9
	s_waitcnt vmcnt(0)
	v_pk_mov_b32 v[4:5], 0, 0
	s_and_saveexec_b64 s[34:35], vcc
	s_cbranch_execz .LBB24_103
; %bb.102:                              ;   in Loop: Header=BB24_101 Depth=2
	ds_read_b64 v[4:5], v8
.LBB24_103:                             ;   in Loop: Header=BB24_101 Depth=2
	s_or_b64 exec, exec, s[34:35]
	s_and_saveexec_b64 s[34:35], vcc
	s_cbranch_execz .LBB24_100
; %bb.104:                              ;   in Loop: Header=BB24_101 Depth=2
	s_waitcnt lgkmcnt(0)
	v_xor_b32_e32 v3, 0x80000000, v5
	v_and_b32_e32 v7, s81, v3
	v_and_b32_e32 v6, s80, v4
	v_cmp_eq_u64_e32 vcc, s[82:83], v[6:7]
	s_and_b64 exec, exec, vcc
	s_cbranch_execz .LBB24_100
; %bb.105:                              ;   in Loop: Header=BB24_101 Depth=2
	v_mov_b32_e32 v3, v19
	ds_write_b128 v19, v[2:5] offset:3072
	s_branch .LBB24_100
.LBB24_106:                             ;   in Loop: Header=BB24_8 Depth=1
	s_or_b64 exec, exec, s[28:29]
	s_and_b64 s[18:19], s[18:19], exec
.LBB24_107:                             ;   in Loop: Header=BB24_8 Depth=1
	s_or_b64 exec, exec, s[22:23]
	s_mov_b64 s[34:35], -1
	s_mov_b64 s[22:23], 0
	s_mov_b64 s[28:29], 0
.LBB24_108:                             ;   in Loop: Header=BB24_8 Depth=1
	s_andn2_b64 s[10:11], s[66:67], exec
	s_and_b64 s[12:13], s[22:23], exec
	s_or_b64 s[66:67], s[10:11], s[12:13]
	s_andn2_b64 s[10:11], s[64:65], exec
	s_and_b64 s[12:13], s[34:35], exec
	s_or_b64 s[64:65], s[10:11], s[12:13]
	;; [unrolled: 3-line block ×3, first 2 shown]
	s_and_saveexec_b64 s[22:23], s[18:19]
	s_cbranch_execz .LBB24_7
; %bb.109:                              ;   in Loop: Header=BB24_8 Depth=1
	s_xor_b64 s[10:11], s[26:27], -1
	s_mov_b64 s[18:19], 0
	s_andn2_b64 vcc, exec, s[10:11]
	s_mov_b32 s43, 1
	s_cbranch_vccnz .LBB24_120
; %bb.110:                              ;   in Loop: Header=BB24_8 Depth=1
	s_cmp_gt_i32 s61, s38
	s_mov_b64 s[18:19], -1
                                        ; implicit-def: $sgpr57
                                        ; implicit-def: $sgpr24_sgpr25
                                        ; implicit-def: $sgpr26_sgpr27
	s_cbranch_scc1 .LBB24_116
; %bb.111:                              ;   in Loop: Header=BB24_8 Depth=1
	ds_read_b32 v3, v19 offset:4096
	s_waitcnt lgkmcnt(0)
	v_cmp_ne_u32_e32 vcc, 0, v3
	s_cbranch_vccnz .LBB24_115
; %bb.112:                              ;   in Loop: Header=BB24_8 Depth=1
	s_mov_b64 s[18:19], exec
	v_readlane_b32 s10, v54, 4
	v_readlane_b32 s11, v54, 5
	s_and_b64 s[10:11], s[18:19], s[10:11]
	s_mov_b64 exec, s[10:11]
	s_cbranch_execz .LBB24_114
; %bb.113:                              ;   in Loop: Header=BB24_8 Depth=1
	v_mov_b32_e32 v3, s38
	ds_write_b32 v19, v3 offset:4100
.LBB24_114:                             ;   in Loop: Header=BB24_8 Depth=1
	s_or_b64 exec, exec, s[18:19]
	s_waitcnt lgkmcnt(0)
	s_barrier
.LBB24_115:                             ;   in Loop: Header=BB24_8 Depth=1
	s_and_b64 s[24:25], s[82:83], s[30:31]
	s_or_b64 s[26:27], s[80:81], s[20:21]
	s_mov_b64 s[18:19], 0
	s_mov_b32 s57, 8
.LBB24_116:                             ;   in Loop: Header=BB24_8 Depth=1
	s_andn2_b64 vcc, exec, s[18:19]
	s_cbranch_vccnz .LBB24_118
; %bb.117:                              ;   in Loop: Header=BB24_8 Depth=1
	s_sub_i32 s61, s61, s38
	s_mov_b64 s[18:19], -1
	s_mov_b32 s57, 0
	s_mov_b64 s[24:25], s[82:83]
	s_mov_b64 s[26:27], s[80:81]
.LBB24_118:                             ;   in Loop: Header=BB24_8 Depth=1
	s_mov_b64 s[80:81], s[26:27]
	s_mov_b64 s[82:83], s[24:25]
	s_mov_b32 s43, s61
	s_mov_b64 s[24:25], -1
	s_and_b64 vcc, exec, s[18:19]
	s_cbranch_vccnz .LBB24_121
.LBB24_119:                             ;   in Loop: Header=BB24_8 Depth=1
	s_mov_b64 s[40:41], -1
                                        ; implicit-def: $sgpr26_sgpr27
                                        ; implicit-def: $sgpr34_sgpr35
                                        ; implicit-def: $sgpr28_sgpr29
	s_and_saveexec_b64 s[10:11], s[40:41]
	s_xor_b64 s[18:19], exec, s[10:11]
	s_cbranch_execz .LBB24_6
	s_branch .LBB24_244
.LBB24_120:                             ;   in Loop: Header=BB24_8 Depth=1
	s_mov_b32 s57, 1
	s_mov_b64 s[24:25], -1
	s_and_b64 vcc, exec, s[18:19]
	s_cbranch_vccz .LBB24_119
.LBB24_121:                             ;   in Loop: Header=BB24_8 Depth=1
	s_cmp_eq_u32 s42, 1
	s_cselect_b64 s[10:11], -1, 0
	s_cmp_eq_u32 s43, 1
	s_cselect_b64 s[12:13], -1, 0
	s_and_b64 s[38:39], s[10:11], s[12:13]
	s_mov_b64 s[18:19], -1
	s_and_b64 vcc, exec, s[38:39]
	s_cbranch_vccz .LBB24_133
; %bb.122:                              ;   in Loop: Header=BB24_8 Depth=1
	ds_read_b32 v3, v19 offset:4096
	s_waitcnt lgkmcnt(0)
	s_barrier
	v_readfirstlane_b32 s10, v3
	s_and_saveexec_b64 s[18:19], s[4:5]
	s_cbranch_execz .LBB24_124
; %bb.123:                              ;   in Loop: Header=BB24_8 Depth=1
	v_mov_b32_e32 v18, v19
	ds_write_b64 v32, v[18:19]
.LBB24_124:                             ;   in Loop: Header=BB24_8 Depth=1
	s_or_b64 exec, exec, s[18:19]
	s_lshl_b64 s[12:13], 1, s51
	s_and_b64 s[14:15], s[82:83], s[30:31]
	s_or_b64 s[82:83], s[14:15], s[12:13]
	s_or_b64 s[80:81], s[80:81], s[20:21]
	s_cmp_gt_i32 s10, 0
	s_waitcnt lgkmcnt(0)
	s_barrier
	s_cbranch_scc1 .LBB24_134
; %bb.125:                              ;   in Loop: Header=BB24_8 Depth=1
	s_mov_b64 s[18:19], 0
                                        ; implicit-def: $vgpr6_vgpr7
	s_mov_b64 s[26:27], exec
	v_readlane_b32 s12, v54, 39
	v_readlane_b32 s13, v54, 40
	s_and_b64 s[12:13], s[26:27], s[12:13]
	s_mov_b64 exec, s[12:13]
	s_cbranch_execz .LBB24_136
; %bb.126:                              ;   in Loop: Header=BB24_8 Depth=1
	s_mov_b64 s[34:35], 0
	v_mov_b32_e32 v8, v16
	v_mov_b32_e32 v10, v0
                                        ; implicit-def: $sgpr28_sgpr29
	s_branch .LBB24_128
.LBB24_127:                             ;   in Loop: Header=BB24_128 Depth=2
	s_or_b64 exec, exec, s[18:19]
	s_waitcnt lgkmcnt(0)
	s_barrier
	s_waitcnt vmcnt(0)
	ds_read_b128 v[4:7], v19 offset:3072
	v_add_u32_e32 v10, s33, v10
	v_cmp_le_i32_e32 vcc, s1, v10
	v_add_u32_e32 v8, s0, v8
	s_waitcnt lgkmcnt(0)
	v_readfirstlane_b32 s13, v5
	v_readfirstlane_b32 s12, v4
	s_cmp_lg_u64 s[12:13], 0
	s_cselect_b64 s[12:13], -1, 0
	s_or_b64 s[14:15], vcc, s[12:13]
	s_and_b64 s[14:15], exec, s[14:15]
	s_or_b64 s[34:35], s[14:15], s[34:35]
	s_andn2_b64 s[14:15], s[28:29], exec
	s_and_b64 s[12:13], s[12:13], exec
	s_or_b64 s[28:29], s[14:15], s[12:13]
	s_barrier
	s_andn2_b64 exec, exec, s[34:35]
	s_cbranch_execz .LBB24_135
.LBB24_128:                             ;   Parent Loop BB24_8 Depth=1
                                        ; =>  This Inner Loop Header: Depth=2
	v_cmp_gt_i32_e32 vcc, s60, v10
	s_waitcnt vmcnt(0)
	v_pk_mov_b32 v[4:5], 0, 0
	s_and_saveexec_b64 s[36:37], vcc
	s_cbranch_execz .LBB24_130
; %bb.129:                              ;   in Loop: Header=BB24_128 Depth=2
	v_ashrrev_i32_e32 v9, 31, v8
	v_lshlrev_b64 v[4:5], 3, v[8:9]
	v_mov_b32_e32 v3, s16
	v_add_co_u32_e64 v4, s[18:19], s62, v4
	v_addc_co_u32_e64 v5, s[18:19], v3, v5, s[18:19]
	global_load_dwordx2 v[4:5], v[4:5], off
.LBB24_130:                             ;   in Loop: Header=BB24_128 Depth=2
	s_or_b64 exec, exec, s[36:37]
	s_and_saveexec_b64 s[18:19], vcc
	s_cbranch_execz .LBB24_127
; %bb.131:                              ;   in Loop: Header=BB24_128 Depth=2
	s_waitcnt vmcnt(0)
	v_xor_b32_e32 v3, 0x80000000, v5
	v_and_b32_e32 v7, s81, v3
	v_and_b32_e32 v6, s80, v4
	v_cmp_eq_u64_e32 vcc, s[82:83], v[6:7]
	s_and_b64 exec, exec, vcc
	s_cbranch_execz .LBB24_127
; %bb.132:                              ;   in Loop: Header=BB24_128 Depth=2
	v_mov_b32_e32 v3, v19
	ds_write_b128 v19, v[2:5] offset:3072
	s_branch .LBB24_127
.LBB24_133:                             ;   in Loop: Header=BB24_8 Depth=1
                                        ; implicit-def: $sgpr28_sgpr29
                                        ; implicit-def: $sgpr34_sgpr35
                                        ; implicit-def: $sgpr26_sgpr27
	s_branch .LBB24_147
.LBB24_134:                             ;   in Loop: Header=BB24_8 Depth=1
	s_mov_b64 s[28:29], -1
	s_mov_b64 s[18:19], 0
                                        ; implicit-def: $sgpr26_sgpr27
                                        ; implicit-def: $vgpr6_vgpr7
	s_mov_b64 s[34:35], s[28:29]
	s_cbranch_execnz .LBB24_137
	s_branch .LBB24_147
.LBB24_135:                             ;   in Loop: Header=BB24_8 Depth=1
	s_or_b64 exec, exec, s[34:35]
	s_and_b64 s[18:19], s[28:29], exec
.LBB24_136:                             ;   in Loop: Header=BB24_8 Depth=1
	s_or_b64 exec, exec, s[26:27]
	s_mov_b64 s[26:27], -1
	s_mov_b64 s[28:29], 0
	s_mov_b64 s[34:35], s[28:29]
	s_branch .LBB24_147
.LBB24_137:                             ;   in Loop: Header=BB24_8 Depth=1
	v_readlane_b32 s11, v54, 9
	s_add_i32 s11, s10, s11
	s_abs_i32 s13, s11
	v_readlane_b32 s14, v54, 38
	s_mul_hi_u32 s14, s13, s14
	s_mul_i32 s14, s14, s33
	s_sub_i32 s13, s13, s14
	s_ashr_i32 s12, s11, 31
	s_sub_i32 s14, s13, s33
	s_cmp_ge_u32 s13, s33
	s_cselect_b32 s13, s14, s13
	s_sub_i32 s14, s13, s33
	s_cmp_ge_u32 s13, s33
	s_cselect_b32 s13, s14, s13
	s_xor_b32 s13, s13, s12
	s_sub_i32 s12, s12, s13
	s_add_i32 s11, s11, s12
	v_cmp_gt_i32_e32 vcc, s11, v0
	s_mov_b64 s[18:19], 0
                                        ; implicit-def: $vgpr6_vgpr7
	s_and_saveexec_b64 s[26:27], vcc
	s_cbranch_execz .LBB24_146
; %bb.138:                              ;   in Loop: Header=BB24_8 Depth=1
	s_mov_b64 s[28:29], 0
	v_mov_b32_e32 v8, v31
	v_mov_b32_e32 v9, v0
                                        ; implicit-def: $sgpr18_sgpr19
	s_branch .LBB24_140
.LBB24_139:                             ;   in Loop: Header=BB24_140 Depth=2
	s_or_b64 exec, exec, s[34:35]
	s_waitcnt lgkmcnt(0)
	s_barrier
	ds_read_b128 v[4:7], v19 offset:3072
	v_add_u32_e32 v9, s33, v9
	v_cmp_le_i32_e32 vcc, s11, v9
	v_add_u32_e32 v8, s74, v8
	s_waitcnt lgkmcnt(0)
	v_readfirstlane_b32 s13, v5
	v_readfirstlane_b32 s12, v4
	s_cmp_lg_u64 s[12:13], 0
	s_cselect_b64 s[12:13], -1, 0
	s_or_b64 s[14:15], vcc, s[12:13]
	s_and_b64 s[14:15], exec, s[14:15]
	s_or_b64 s[28:29], s[14:15], s[28:29]
	s_andn2_b64 s[14:15], s[18:19], exec
	s_and_b64 s[12:13], s[12:13], exec
	s_or_b64 s[18:19], s[14:15], s[12:13]
	s_barrier
	s_andn2_b64 exec, exec, s[28:29]
	s_cbranch_execz .LBB24_145
.LBB24_140:                             ;   Parent Loop BB24_8 Depth=1
                                        ; =>  This Inner Loop Header: Depth=2
	v_cmp_gt_i32_e32 vcc, s10, v9
	s_waitcnt vmcnt(0)
	v_pk_mov_b32 v[4:5], 0, 0
	s_and_saveexec_b64 s[34:35], vcc
	s_cbranch_execz .LBB24_142
; %bb.141:                              ;   in Loop: Header=BB24_140 Depth=2
	ds_read_b64 v[4:5], v8
.LBB24_142:                             ;   in Loop: Header=BB24_140 Depth=2
	s_or_b64 exec, exec, s[34:35]
	s_and_saveexec_b64 s[34:35], vcc
	s_cbranch_execz .LBB24_139
; %bb.143:                              ;   in Loop: Header=BB24_140 Depth=2
	s_waitcnt lgkmcnt(0)
	v_xor_b32_e32 v3, 0x80000000, v5
	v_and_b32_e32 v7, s81, v3
	v_and_b32_e32 v6, s80, v4
	v_cmp_eq_u64_e32 vcc, s[82:83], v[6:7]
	s_and_b64 exec, exec, vcc
	s_cbranch_execz .LBB24_139
; %bb.144:                              ;   in Loop: Header=BB24_140 Depth=2
	v_mov_b32_e32 v3, v19
	ds_write_b128 v19, v[2:5] offset:3072
	s_branch .LBB24_139
.LBB24_145:                             ;   in Loop: Header=BB24_8 Depth=1
	s_or_b64 exec, exec, s[28:29]
	s_and_b64 s[18:19], s[18:19], exec
.LBB24_146:                             ;   in Loop: Header=BB24_8 Depth=1
	s_or_b64 exec, exec, s[26:27]
	s_mov_b64 s[34:35], -1
	s_mov_b64 s[28:29], 0
	s_mov_b64 s[26:27], 0
.LBB24_147:                             ;   in Loop: Header=BB24_8 Depth=1
	s_mov_b64 s[40:41], 0
                                        ; implicit-def: $sgpr57
	s_and_saveexec_b64 s[36:37], s[18:19]
	s_cbranch_execz .LBB24_243
; %bb.148:                              ;   in Loop: Header=BB24_8 Depth=1
	s_xor_b64 s[10:11], s[38:39], -1
	s_mov_b64 s[18:19], 0
	s_andn2_b64 vcc, exec, s[10:11]
	s_mov_b32 s52, 1
	s_cbranch_vccnz .LBB24_159
; %bb.149:                              ;   in Loop: Header=BB24_8 Depth=1
	s_cmp_gt_i32 s43, s42
	s_mov_b64 s[18:19], -1
                                        ; implicit-def: $sgpr57
                                        ; implicit-def: $sgpr38_sgpr39
                                        ; implicit-def: $sgpr40_sgpr41
	s_cbranch_scc1 .LBB24_155
; %bb.150:                              ;   in Loop: Header=BB24_8 Depth=1
	ds_read_b32 v3, v19 offset:4096
	s_waitcnt lgkmcnt(0)
	v_cmp_ne_u32_e32 vcc, 0, v3
	s_cbranch_vccnz .LBB24_154
; %bb.151:                              ;   in Loop: Header=BB24_8 Depth=1
	s_mov_b64 s[18:19], exec
	v_readlane_b32 s10, v54, 4
	v_readlane_b32 s11, v54, 5
	s_and_b64 s[10:11], s[18:19], s[10:11]
	s_mov_b64 exec, s[10:11]
	s_cbranch_execz .LBB24_153
; %bb.152:                              ;   in Loop: Header=BB24_8 Depth=1
	v_mov_b32_e32 v3, s42
	ds_write_b32 v19, v3 offset:4100
.LBB24_153:                             ;   in Loop: Header=BB24_8 Depth=1
	s_or_b64 exec, exec, s[18:19]
	s_waitcnt lgkmcnt(0)
	s_barrier
.LBB24_154:                             ;   in Loop: Header=BB24_8 Depth=1
	s_lshl_b64 s[10:11], 1, s51
	s_and_b64 s[12:13], s[82:83], s[30:31]
	s_or_b64 s[38:39], s[12:13], s[10:11]
	s_or_b64 s[40:41], s[80:81], s[20:21]
	s_mov_b64 s[18:19], 0
	s_mov_b32 s57, 8
.LBB24_155:                             ;   in Loop: Header=BB24_8 Depth=1
	s_andn2_b64 vcc, exec, s[18:19]
	s_cbranch_vccnz .LBB24_157
; %bb.156:                              ;   in Loop: Header=BB24_8 Depth=1
	s_sub_i32 s43, s43, s42
	s_mov_b64 s[18:19], -1
	s_mov_b32 s57, 0
	s_mov_b64 s[38:39], s[82:83]
	s_mov_b64 s[40:41], s[80:81]
.LBB24_157:                             ;   in Loop: Header=BB24_8 Depth=1
	s_mov_b64 s[80:81], s[40:41]
	s_mov_b64 s[82:83], s[38:39]
	s_mov_b32 s52, s43
	s_andn2_b64 vcc, exec, s[18:19]
	s_mov_b64 s[48:49], -1
	s_cbranch_vccz .LBB24_160
.LBB24_158:                             ;   in Loop: Header=BB24_8 Depth=1
                                        ; implicit-def: $sgpr40_sgpr41
                                        ; implicit-def: $sgpr42_sgpr43
                                        ; implicit-def: $sgpr38_sgpr39
	s_branch .LBB24_242
.LBB24_159:                             ;   in Loop: Header=BB24_8 Depth=1
	s_mov_b32 s57, 1
	s_andn2_b64 vcc, exec, s[18:19]
	s_mov_b64 s[48:49], -1
	s_cbranch_vccnz .LBB24_158
.LBB24_160:                             ;   in Loop: Header=BB24_8 Depth=1
	s_cmp_eq_u32 s50, 1
	s_cselect_b64 s[10:11], -1, 0
	s_cmp_eq_u32 s52, 1
	s_cselect_b64 s[12:13], -1, 0
	s_and_b64 s[46:47], s[10:11], s[12:13]
	s_mov_b64 s[18:19], -1
	s_and_b64 vcc, exec, s[46:47]
	s_cbranch_vccz .LBB24_172
; %bb.161:                              ;   in Loop: Header=BB24_8 Depth=1
	ds_read_b32 v3, v19 offset:4096
	s_waitcnt lgkmcnt(0)
	s_barrier
	v_readfirstlane_b32 s10, v3
	s_and_saveexec_b64 s[18:19], s[4:5]
	s_cbranch_execz .LBB24_163
; %bb.162:                              ;   in Loop: Header=BB24_8 Depth=1
	v_mov_b32_e32 v18, v19
	ds_write_b64 v32, v[18:19]
.LBB24_163:                             ;   in Loop: Header=BB24_8 Depth=1
	s_or_b64 exec, exec, s[18:19]
	s_lshl_b64 s[12:13], 2, s51
	s_and_b64 s[14:15], s[82:83], s[30:31]
	s_or_b64 s[82:83], s[14:15], s[12:13]
	s_or_b64 s[80:81], s[80:81], s[20:21]
	s_cmp_gt_i32 s10, 0
	s_waitcnt lgkmcnt(0)
	s_barrier
	s_cbranch_scc1 .LBB24_173
; %bb.164:                              ;   in Loop: Header=BB24_8 Depth=1
	s_mov_b64 s[18:19], 0
                                        ; implicit-def: $vgpr6_vgpr7
	s_mov_b64 s[38:39], exec
	v_readlane_b32 s12, v54, 39
	v_readlane_b32 s13, v54, 40
	s_and_b64 s[12:13], s[38:39], s[12:13]
	s_mov_b64 exec, s[12:13]
	s_cbranch_execz .LBB24_175
; %bb.165:                              ;   in Loop: Header=BB24_8 Depth=1
	s_mov_b64 s[42:43], 0
	v_mov_b32_e32 v8, v16
	v_mov_b32_e32 v10, v0
                                        ; implicit-def: $sgpr40_sgpr41
	s_branch .LBB24_167
.LBB24_166:                             ;   in Loop: Header=BB24_167 Depth=2
	s_or_b64 exec, exec, s[18:19]
	s_waitcnt lgkmcnt(0)
	s_barrier
	s_waitcnt vmcnt(0)
	ds_read_b128 v[4:7], v19 offset:3072
	v_add_u32_e32 v10, s33, v10
	v_cmp_le_i32_e32 vcc, s1, v10
	v_add_u32_e32 v8, s0, v8
	s_waitcnt lgkmcnt(0)
	v_readfirstlane_b32 s13, v5
	v_readfirstlane_b32 s12, v4
	s_cmp_lg_u64 s[12:13], 0
	s_cselect_b64 s[12:13], -1, 0
	s_or_b64 s[14:15], vcc, s[12:13]
	s_and_b64 s[14:15], exec, s[14:15]
	s_or_b64 s[42:43], s[14:15], s[42:43]
	s_andn2_b64 s[14:15], s[40:41], exec
	s_and_b64 s[12:13], s[12:13], exec
	s_or_b64 s[40:41], s[14:15], s[12:13]
	s_barrier
	s_andn2_b64 exec, exec, s[42:43]
	s_cbranch_execz .LBB24_174
.LBB24_167:                             ;   Parent Loop BB24_8 Depth=1
                                        ; =>  This Inner Loop Header: Depth=2
	v_cmp_gt_i32_e32 vcc, s60, v10
	s_waitcnt vmcnt(0)
	v_pk_mov_b32 v[4:5], 0, 0
	s_and_saveexec_b64 s[44:45], vcc
	s_cbranch_execz .LBB24_169
; %bb.168:                              ;   in Loop: Header=BB24_167 Depth=2
	v_ashrrev_i32_e32 v9, 31, v8
	v_lshlrev_b64 v[4:5], 3, v[8:9]
	v_mov_b32_e32 v3, s16
	v_add_co_u32_e64 v4, s[18:19], s62, v4
	v_addc_co_u32_e64 v5, s[18:19], v3, v5, s[18:19]
	global_load_dwordx2 v[4:5], v[4:5], off
.LBB24_169:                             ;   in Loop: Header=BB24_167 Depth=2
	s_or_b64 exec, exec, s[44:45]
	s_and_saveexec_b64 s[18:19], vcc
	s_cbranch_execz .LBB24_166
; %bb.170:                              ;   in Loop: Header=BB24_167 Depth=2
	s_waitcnt vmcnt(0)
	v_xor_b32_e32 v3, 0x80000000, v5
	v_and_b32_e32 v7, s81, v3
	v_and_b32_e32 v6, s80, v4
	v_cmp_eq_u64_e32 vcc, s[82:83], v[6:7]
	s_and_b64 exec, exec, vcc
	s_cbranch_execz .LBB24_166
; %bb.171:                              ;   in Loop: Header=BB24_167 Depth=2
	v_mov_b32_e32 v3, v19
	ds_write_b128 v19, v[2:5] offset:3072
	s_branch .LBB24_166
.LBB24_172:                             ;   in Loop: Header=BB24_8 Depth=1
                                        ; implicit-def: $sgpr38_sgpr39
                                        ; implicit-def: $sgpr42_sgpr43
                                        ; implicit-def: $sgpr40_sgpr41
	s_branch .LBB24_186
.LBB24_173:                             ;   in Loop: Header=BB24_8 Depth=1
	s_mov_b64 s[38:39], -1
	s_mov_b64 s[18:19], 0
                                        ; implicit-def: $sgpr40_sgpr41
                                        ; implicit-def: $vgpr6_vgpr7
	s_mov_b64 s[42:43], s[38:39]
	s_cbranch_execnz .LBB24_176
	s_branch .LBB24_186
.LBB24_174:                             ;   in Loop: Header=BB24_8 Depth=1
	s_or_b64 exec, exec, s[42:43]
	s_and_b64 s[18:19], s[40:41], exec
.LBB24_175:                             ;   in Loop: Header=BB24_8 Depth=1
	s_or_b64 exec, exec, s[38:39]
	s_mov_b64 s[40:41], -1
	s_mov_b64 s[38:39], 0
	s_mov_b64 s[42:43], s[38:39]
	s_branch .LBB24_186
.LBB24_176:                             ;   in Loop: Header=BB24_8 Depth=1
	v_readlane_b32 s11, v54, 9
	s_add_i32 s11, s10, s11
	s_abs_i32 s13, s11
	v_readlane_b32 s14, v54, 38
	s_mul_hi_u32 s14, s13, s14
	s_mul_i32 s14, s14, s33
	s_sub_i32 s13, s13, s14
	s_ashr_i32 s12, s11, 31
	s_sub_i32 s14, s13, s33
	s_cmp_ge_u32 s13, s33
	s_cselect_b32 s13, s14, s13
	s_sub_i32 s14, s13, s33
	s_cmp_ge_u32 s13, s33
	s_cselect_b32 s13, s14, s13
	s_xor_b32 s13, s13, s12
	s_sub_i32 s12, s12, s13
	s_add_i32 s11, s11, s12
	v_cmp_gt_i32_e32 vcc, s11, v0
	s_mov_b64 s[18:19], 0
                                        ; implicit-def: $vgpr6_vgpr7
	s_and_saveexec_b64 s[38:39], vcc
	s_cbranch_execz .LBB24_185
; %bb.177:                              ;   in Loop: Header=BB24_8 Depth=1
	s_mov_b64 s[40:41], 0
	v_mov_b32_e32 v8, v31
	v_mov_b32_e32 v9, v0
                                        ; implicit-def: $sgpr18_sgpr19
	s_branch .LBB24_179
.LBB24_178:                             ;   in Loop: Header=BB24_179 Depth=2
	s_or_b64 exec, exec, s[42:43]
	s_waitcnt lgkmcnt(0)
	s_barrier
	ds_read_b128 v[4:7], v19 offset:3072
	v_add_u32_e32 v9, s33, v9
	v_cmp_le_i32_e32 vcc, s11, v9
	v_add_u32_e32 v8, s74, v8
	s_waitcnt lgkmcnt(0)
	v_readfirstlane_b32 s13, v5
	v_readfirstlane_b32 s12, v4
	s_cmp_lg_u64 s[12:13], 0
	s_cselect_b64 s[12:13], -1, 0
	s_or_b64 s[14:15], vcc, s[12:13]
	s_and_b64 s[14:15], exec, s[14:15]
	s_or_b64 s[40:41], s[14:15], s[40:41]
	s_andn2_b64 s[14:15], s[18:19], exec
	s_and_b64 s[12:13], s[12:13], exec
	s_or_b64 s[18:19], s[14:15], s[12:13]
	s_barrier
	s_andn2_b64 exec, exec, s[40:41]
	s_cbranch_execz .LBB24_184
.LBB24_179:                             ;   Parent Loop BB24_8 Depth=1
                                        ; =>  This Inner Loop Header: Depth=2
	v_cmp_gt_i32_e32 vcc, s10, v9
	s_waitcnt vmcnt(0)
	v_pk_mov_b32 v[4:5], 0, 0
	s_and_saveexec_b64 s[42:43], vcc
	s_cbranch_execz .LBB24_181
; %bb.180:                              ;   in Loop: Header=BB24_179 Depth=2
	ds_read_b64 v[4:5], v8
.LBB24_181:                             ;   in Loop: Header=BB24_179 Depth=2
	s_or_b64 exec, exec, s[42:43]
	s_and_saveexec_b64 s[42:43], vcc
	s_cbranch_execz .LBB24_178
; %bb.182:                              ;   in Loop: Header=BB24_179 Depth=2
	s_waitcnt lgkmcnt(0)
	v_xor_b32_e32 v3, 0x80000000, v5
	v_and_b32_e32 v7, s81, v3
	v_and_b32_e32 v6, s80, v4
	v_cmp_eq_u64_e32 vcc, s[82:83], v[6:7]
	s_and_b64 exec, exec, vcc
	s_cbranch_execz .LBB24_178
; %bb.183:                              ;   in Loop: Header=BB24_179 Depth=2
	v_mov_b32_e32 v3, v19
	ds_write_b128 v19, v[2:5] offset:3072
	s_branch .LBB24_178
.LBB24_184:                             ;   in Loop: Header=BB24_8 Depth=1
	s_or_b64 exec, exec, s[40:41]
	s_and_b64 s[18:19], s[18:19], exec
.LBB24_185:                             ;   in Loop: Header=BB24_8 Depth=1
	s_or_b64 exec, exec, s[38:39]
	s_mov_b64 s[42:43], -1
	s_mov_b64 s[38:39], 0
	s_mov_b64 s[40:41], 0
.LBB24_186:                             ;   in Loop: Header=BB24_8 Depth=1
	s_mov_b64 s[48:49], 0
                                        ; implicit-def: $sgpr57
	s_and_saveexec_b64 s[44:45], s[18:19]
	s_cbranch_execz .LBB24_241
; %bb.187:                              ;   in Loop: Header=BB24_8 Depth=1
	s_xor_b64 s[10:11], s[46:47], -1
	s_mov_b64 s[18:19], 0
	s_andn2_b64 vcc, exec, s[10:11]
	s_mov_b32 s56, 1
	s_cbranch_vccnz .LBB24_198
; %bb.188:                              ;   in Loop: Header=BB24_8 Depth=1
	s_cmp_gt_i32 s52, s50
	s_mov_b64 s[18:19], -1
                                        ; implicit-def: $sgpr57
                                        ; implicit-def: $sgpr46_sgpr47
                                        ; implicit-def: $sgpr48_sgpr49
	s_cbranch_scc1 .LBB24_194
; %bb.189:                              ;   in Loop: Header=BB24_8 Depth=1
	ds_read_b32 v3, v19 offset:4096
	s_waitcnt lgkmcnt(0)
	v_cmp_ne_u32_e32 vcc, 0, v3
	s_cbranch_vccnz .LBB24_193
; %bb.190:                              ;   in Loop: Header=BB24_8 Depth=1
	s_mov_b64 s[18:19], exec
	v_readlane_b32 s10, v54, 4
	v_readlane_b32 s11, v54, 5
	s_and_b64 s[10:11], s[18:19], s[10:11]
	s_mov_b64 exec, s[10:11]
	s_cbranch_execz .LBB24_192
; %bb.191:                              ;   in Loop: Header=BB24_8 Depth=1
	v_mov_b32_e32 v3, s50
	ds_write_b32 v19, v3 offset:4100
.LBB24_192:                             ;   in Loop: Header=BB24_8 Depth=1
	s_or_b64 exec, exec, s[18:19]
	s_waitcnt lgkmcnt(0)
	s_barrier
.LBB24_193:                             ;   in Loop: Header=BB24_8 Depth=1
	s_lshl_b64 s[10:11], 2, s51
	s_and_b64 s[12:13], s[82:83], s[30:31]
	s_or_b64 s[46:47], s[12:13], s[10:11]
	s_or_b64 s[48:49], s[80:81], s[20:21]
	s_mov_b64 s[18:19], 0
	s_mov_b32 s57, 8
.LBB24_194:                             ;   in Loop: Header=BB24_8 Depth=1
	s_andn2_b64 vcc, exec, s[18:19]
	s_cbranch_vccnz .LBB24_196
; %bb.195:                              ;   in Loop: Header=BB24_8 Depth=1
	s_sub_i32 s52, s52, s50
	s_mov_b64 s[18:19], -1
	s_mov_b32 s57, 0
	s_mov_b64 s[46:47], s[82:83]
	s_mov_b64 s[48:49], s[80:81]
.LBB24_196:                             ;   in Loop: Header=BB24_8 Depth=1
	s_mov_b64 s[80:81], s[48:49]
	s_mov_b64 s[82:83], s[46:47]
	s_mov_b32 s56, s52
	s_andn2_b64 vcc, exec, s[18:19]
	s_mov_b64 s[54:55], -1
	s_cbranch_vccz .LBB24_199
.LBB24_197:                             ;   in Loop: Header=BB24_8 Depth=1
                                        ; implicit-def: $sgpr18_sgpr19
                                        ; implicit-def: $sgpr48_sgpr49
                                        ; implicit-def: $sgpr46_sgpr47
	s_branch .LBB24_240
.LBB24_198:                             ;   in Loop: Header=BB24_8 Depth=1
	s_mov_b32 s57, 1
	s_andn2_b64 vcc, exec, s[18:19]
	s_mov_b64 s[54:55], -1
	s_cbranch_vccnz .LBB24_197
.LBB24_199:                             ;   in Loop: Header=BB24_8 Depth=1
	s_cmp_eq_u32 s7, 1
	s_cselect_b64 s[10:11], -1, 0
	s_cmp_eq_u32 s56, 1
	s_cselect_b64 s[12:13], -1, 0
	s_and_b64 s[30:31], s[10:11], s[12:13]
	s_mov_b64 s[50:51], -1
	s_and_b64 vcc, exec, s[30:31]
	s_cbranch_vccz .LBB24_211
; %bb.200:                              ;   in Loop: Header=BB24_8 Depth=1
	ds_read_b32 v3, v19 offset:4096
	s_waitcnt lgkmcnt(0)
	s_barrier
	v_readfirstlane_b32 s10, v3
	s_and_saveexec_b64 s[18:19], s[4:5]
	s_cbranch_execz .LBB24_202
; %bb.201:                              ;   in Loop: Header=BB24_8 Depth=1
	v_mov_b32_e32 v18, v19
	ds_write_b64 v32, v[18:19]
.LBB24_202:                             ;   in Loop: Header=BB24_8 Depth=1
	s_or_b64 exec, exec, s[18:19]
	s_or_b64 s[82:83], s[82:83], s[20:21]
	s_or_b64 s[80:81], s[80:81], s[20:21]
	s_cmp_gt_i32 s10, 0
	s_waitcnt lgkmcnt(0)
	s_barrier
	s_cbranch_scc1 .LBB24_212
; %bb.203:                              ;   in Loop: Header=BB24_8 Depth=1
	s_mov_b64 s[50:51], 0
                                        ; implicit-def: $vgpr6_vgpr7
	s_mov_b64 s[46:47], exec
	v_readlane_b32 s12, v54, 39
	v_readlane_b32 s13, v54, 40
	s_and_b64 s[12:13], s[46:47], s[12:13]
	s_mov_b64 exec, s[12:13]
	s_cbranch_execz .LBB24_214
; %bb.204:                              ;   in Loop: Header=BB24_8 Depth=1
	v_mov_b32_e32 v8, v16
	v_mov_b32_e32 v10, v0
                                        ; implicit-def: $sgpr48_sgpr49
	s_branch .LBB24_206
.LBB24_205:                             ;   in Loop: Header=BB24_206 Depth=2
	s_or_b64 exec, exec, s[18:19]
	s_waitcnt lgkmcnt(0)
	s_barrier
	s_waitcnt vmcnt(0)
	ds_read_b128 v[4:7], v19 offset:3072
	v_add_u32_e32 v10, s33, v10
	v_cmp_le_i32_e32 vcc, s1, v10
	v_add_u32_e32 v8, s0, v8
	s_waitcnt lgkmcnt(0)
	v_readfirstlane_b32 s13, v5
	v_readfirstlane_b32 s12, v4
	s_cmp_lg_u64 s[12:13], 0
	s_cselect_b64 s[12:13], -1, 0
	s_or_b64 s[14:15], vcc, s[12:13]
	s_and_b64 s[14:15], exec, s[14:15]
	s_or_b64 s[50:51], s[14:15], s[50:51]
	s_andn2_b64 s[14:15], s[48:49], exec
	s_and_b64 s[12:13], s[12:13], exec
	s_or_b64 s[48:49], s[14:15], s[12:13]
	s_barrier
	s_andn2_b64 exec, exec, s[50:51]
	s_cbranch_execz .LBB24_213
.LBB24_206:                             ;   Parent Loop BB24_8 Depth=1
                                        ; =>  This Inner Loop Header: Depth=2
	v_cmp_gt_i32_e32 vcc, s60, v10
	s_waitcnt vmcnt(0)
	v_pk_mov_b32 v[4:5], 0, 0
	s_and_saveexec_b64 s[52:53], vcc
	s_cbranch_execz .LBB24_208
; %bb.207:                              ;   in Loop: Header=BB24_206 Depth=2
	v_ashrrev_i32_e32 v9, 31, v8
	v_lshlrev_b64 v[4:5], 3, v[8:9]
	v_mov_b32_e32 v3, s16
	v_add_co_u32_e64 v4, s[18:19], s62, v4
	v_addc_co_u32_e64 v5, s[18:19], v3, v5, s[18:19]
	global_load_dwordx2 v[4:5], v[4:5], off
.LBB24_208:                             ;   in Loop: Header=BB24_206 Depth=2
	s_or_b64 exec, exec, s[52:53]
	s_and_saveexec_b64 s[18:19], vcc
	s_cbranch_execz .LBB24_205
; %bb.209:                              ;   in Loop: Header=BB24_206 Depth=2
	s_waitcnt vmcnt(0)
	v_xor_b32_e32 v3, 0x80000000, v5
	v_and_b32_e32 v7, s81, v3
	v_and_b32_e32 v6, s80, v4
	v_cmp_eq_u64_e32 vcc, s[82:83], v[6:7]
	s_and_b64 exec, exec, vcc
	s_cbranch_execz .LBB24_205
; %bb.210:                              ;   in Loop: Header=BB24_206 Depth=2
	v_mov_b32_e32 v3, v19
	ds_write_b128 v19, v[2:5] offset:3072
	s_branch .LBB24_205
.LBB24_211:                             ;   in Loop: Header=BB24_8 Depth=1
                                        ; implicit-def: $sgpr18_sgpr19
                                        ; implicit-def: $sgpr48_sgpr49
                                        ; implicit-def: $sgpr46_sgpr47
	s_branch .LBB24_225
.LBB24_212:                             ;   in Loop: Header=BB24_8 Depth=1
	s_mov_b64 s[18:19], -1
	s_mov_b64 s[50:51], 0
                                        ; implicit-def: $sgpr46_sgpr47
                                        ; implicit-def: $vgpr6_vgpr7
	s_mov_b64 s[48:49], s[18:19]
	s_cbranch_execnz .LBB24_215
	s_branch .LBB24_225
.LBB24_213:                             ;   in Loop: Header=BB24_8 Depth=1
	s_or_b64 exec, exec, s[50:51]
	s_and_b64 s[50:51], s[48:49], exec
.LBB24_214:                             ;   in Loop: Header=BB24_8 Depth=1
	s_or_b64 exec, exec, s[46:47]
	s_mov_b64 s[46:47], -1
	s_mov_b64 s[18:19], 0
	s_mov_b64 s[48:49], s[18:19]
	s_branch .LBB24_225
.LBB24_215:                             ;   in Loop: Header=BB24_8 Depth=1
	v_readlane_b32 s11, v54, 9
	s_add_i32 s11, s10, s11
	s_abs_i32 s13, s11
	v_readlane_b32 s14, v54, 38
	s_mul_hi_u32 s14, s13, s14
	s_mul_i32 s14, s14, s33
	s_sub_i32 s13, s13, s14
	s_ashr_i32 s12, s11, 31
	s_sub_i32 s14, s13, s33
	s_cmp_ge_u32 s13, s33
	s_cselect_b32 s13, s14, s13
	s_sub_i32 s14, s13, s33
	s_cmp_ge_u32 s13, s33
	s_cselect_b32 s13, s14, s13
	s_xor_b32 s13, s13, s12
	s_sub_i32 s12, s12, s13
	s_add_i32 s11, s11, s12
	v_cmp_gt_i32_e32 vcc, s11, v0
	s_mov_b64 s[50:51], 0
                                        ; implicit-def: $vgpr6_vgpr7
	s_and_saveexec_b64 s[18:19], vcc
	s_cbranch_execz .LBB24_224
; %bb.216:                              ;   in Loop: Header=BB24_8 Depth=1
	s_mov_b64 s[48:49], 0
	v_mov_b32_e32 v8, v31
	v_mov_b32_e32 v9, v0
                                        ; implicit-def: $sgpr46_sgpr47
	s_branch .LBB24_218
.LBB24_217:                             ;   in Loop: Header=BB24_218 Depth=2
	s_or_b64 exec, exec, s[50:51]
	s_waitcnt lgkmcnt(0)
	s_barrier
	ds_read_b128 v[4:7], v19 offset:3072
	v_add_u32_e32 v9, s33, v9
	v_cmp_le_i32_e32 vcc, s11, v9
	v_add_u32_e32 v8, s74, v8
	s_waitcnt lgkmcnt(0)
	v_readfirstlane_b32 s13, v5
	v_readfirstlane_b32 s12, v4
	s_cmp_lg_u64 s[12:13], 0
	s_cselect_b64 s[12:13], -1, 0
	s_or_b64 s[14:15], vcc, s[12:13]
	s_and_b64 s[14:15], exec, s[14:15]
	s_or_b64 s[48:49], s[14:15], s[48:49]
	s_andn2_b64 s[14:15], s[46:47], exec
	s_and_b64 s[12:13], s[12:13], exec
	s_or_b64 s[46:47], s[14:15], s[12:13]
	s_barrier
	s_andn2_b64 exec, exec, s[48:49]
	s_cbranch_execz .LBB24_223
.LBB24_218:                             ;   Parent Loop BB24_8 Depth=1
                                        ; =>  This Inner Loop Header: Depth=2
	v_cmp_gt_i32_e32 vcc, s10, v9
	s_waitcnt vmcnt(0)
	v_pk_mov_b32 v[4:5], 0, 0
	s_and_saveexec_b64 s[50:51], vcc
	s_cbranch_execz .LBB24_220
; %bb.219:                              ;   in Loop: Header=BB24_218 Depth=2
	ds_read_b64 v[4:5], v8
.LBB24_220:                             ;   in Loop: Header=BB24_218 Depth=2
	s_or_b64 exec, exec, s[50:51]
	s_and_saveexec_b64 s[50:51], vcc
	s_cbranch_execz .LBB24_217
; %bb.221:                              ;   in Loop: Header=BB24_218 Depth=2
	s_waitcnt lgkmcnt(0)
	v_xor_b32_e32 v3, 0x80000000, v5
	v_and_b32_e32 v7, s81, v3
	v_and_b32_e32 v6, s80, v4
	v_cmp_eq_u64_e32 vcc, s[82:83], v[6:7]
	s_and_b64 exec, exec, vcc
	s_cbranch_execz .LBB24_217
; %bb.222:                              ;   in Loop: Header=BB24_218 Depth=2
	v_mov_b32_e32 v3, v19
	ds_write_b128 v19, v[2:5] offset:3072
	s_branch .LBB24_217
.LBB24_223:                             ;   in Loop: Header=BB24_8 Depth=1
	s_or_b64 exec, exec, s[48:49]
	s_and_b64 s[50:51], s[46:47], exec
.LBB24_224:                             ;   in Loop: Header=BB24_8 Depth=1
	s_or_b64 exec, exec, s[18:19]
	s_mov_b64 s[48:49], -1
	s_mov_b64 s[18:19], 0
	s_mov_b64 s[46:47], 0
.LBB24_225:                             ;   in Loop: Header=BB24_8 Depth=1
	s_mov_b64 s[54:55], 0
                                        ; implicit-def: $sgpr57
	s_and_saveexec_b64 s[52:53], s[50:51]
	s_cbranch_execz .LBB24_239
; %bb.226:                              ;   in Loop: Header=BB24_8 Depth=1
	s_xor_b64 s[10:11], s[30:31], -1
	s_andn2_b64 vcc, exec, s[10:11]
	s_mov_b32 s57, 1
	s_cbranch_vccnz .LBB24_233
; %bb.227:                              ;   in Loop: Header=BB24_8 Depth=1
	s_cmp_gt_i32 s56, s7
	s_cbranch_scc1 .LBB24_234
; %bb.228:                              ;   in Loop: Header=BB24_8 Depth=1
	ds_read_b32 v3, v19 offset:4096
	s_waitcnt lgkmcnt(0)
	v_cmp_ne_u32_e32 vcc, 0, v3
	s_cbranch_vccnz .LBB24_232
; %bb.229:                              ;   in Loop: Header=BB24_8 Depth=1
	s_mov_b64 s[30:31], exec
	v_readlane_b32 s10, v54, 4
	v_readlane_b32 s11, v54, 5
	s_and_b64 s[10:11], s[30:31], s[10:11]
	s_mov_b64 exec, s[10:11]
	s_cbranch_execz .LBB24_231
; %bb.230:                              ;   in Loop: Header=BB24_8 Depth=1
	v_mov_b32_e32 v3, s7
	ds_write_b32 v19, v3 offset:4100
.LBB24_231:                             ;   in Loop: Header=BB24_8 Depth=1
	s_or_b64 exec, exec, s[30:31]
	s_waitcnt lgkmcnt(0)
	s_barrier
.LBB24_232:                             ;   in Loop: Header=BB24_8 Depth=1
	s_or_b64 s[30:31], s[82:83], s[20:21]
	s_or_b64 s[20:21], s[80:81], s[20:21]
	s_mov_b64 s[50:51], 0
	s_mov_b32 s57, 8
	s_branch .LBB24_235
.LBB24_233:                             ;   in Loop: Header=BB24_8 Depth=1
	s_mov_b32 s56, 1
	s_branch .LBB24_238
.LBB24_234:                             ;   in Loop: Header=BB24_8 Depth=1
	s_mov_b64 s[50:51], -1
                                        ; implicit-def: $sgpr57
                                        ; implicit-def: $sgpr30_sgpr31
                                        ; implicit-def: $sgpr20_sgpr21
.LBB24_235:                             ;   in Loop: Header=BB24_8 Depth=1
	s_andn2_b64 vcc, exec, s[50:51]
	s_cbranch_vccnz .LBB24_237
; %bb.236:                              ;   in Loop: Header=BB24_8 Depth=1
	s_sub_i32 s56, s56, s7
	s_mov_b32 s57, 8
	s_mov_b64 s[30:31], s[82:83]
	s_mov_b64 s[20:21], s[80:81]
.LBB24_237:                             ;   in Loop: Header=BB24_8 Depth=1
	s_mov_b64 s[82:83], s[30:31]
	s_mov_b64 s[80:81], s[20:21]
.LBB24_238:                             ;   in Loop: Header=BB24_8 Depth=1
	s_mov_b64 s[54:55], exec
.LBB24_239:                             ;   in Loop: Header=BB24_8 Depth=1
	s_or_b64 exec, exec, s[52:53]
.LBB24_240:                             ;   in Loop: Header=BB24_8 Depth=1
	s_andn2_b64 s[10:11], s[38:39], exec
	s_and_b64 s[12:13], s[18:19], exec
	s_or_b64 s[38:39], s[10:11], s[12:13]
	s_andn2_b64 s[10:11], s[42:43], exec
	s_and_b64 s[12:13], s[48:49], exec
	s_or_b64 s[42:43], s[10:11], s[12:13]
	;; [unrolled: 3-line block ×3, first 2 shown]
	s_and_b64 s[48:49], s[54:55], exec
	s_mov_b32 s52, s56
.LBB24_241:                             ;   in Loop: Header=BB24_8 Depth=1
	s_or_b64 exec, exec, s[44:45]
.LBB24_242:                             ;   in Loop: Header=BB24_8 Depth=1
	s_andn2_b64 s[10:11], s[28:29], exec
	s_and_b64 s[12:13], s[38:39], exec
	s_or_b64 s[28:29], s[10:11], s[12:13]
	s_andn2_b64 s[10:11], s[34:35], exec
	s_and_b64 s[12:13], s[42:43], exec
	s_or_b64 s[34:35], s[10:11], s[12:13]
	;; [unrolled: 3-line block ×3, first 2 shown]
	s_and_b64 s[40:41], s[48:49], exec
	s_mov_b32 s43, s52
.LBB24_243:                             ;   in Loop: Header=BB24_8 Depth=1
	s_or_b64 exec, exec, s[36:37]
	s_and_saveexec_b64 s[10:11], s[40:41]
	s_xor_b64 s[18:19], exec, s[10:11]
	s_cbranch_execz .LBB24_6
.LBB24_244:                             ;   in Loop: Header=BB24_8 Depth=1
	s_and_b32 s7, s57, -9
	s_cmp_eq_u32 s7, 0
	s_cbranch_scc1 .LBB24_4
; %bb.245:                              ;   in Loop: Header=BB24_8 Depth=1
	s_mov_b64 s[20:21], -1
                                        ; implicit-def: $sgpr80_sgpr81
                                        ; implicit-def: $sgpr43
                                        ; implicit-def: $sgpr75
                                        ; implicit-def: $sgpr6
	s_mov_b64 s[24:25], -1
	s_branch .LBB24_5
.LBB24_246:
	s_or_b64 exec, exec, s[86:87]
	s_xor_b64 s[8:9], s[92:93], -1
	s_xor_b64 s[2:3], s[88:89], -1
	;; [unrolled: 1-line block ×3, first 2 shown]
	s_mov_b64 s[4:5], 0
	s_and_saveexec_b64 s[10:11], s[2:3]
	s_xor_b64 s[2:3], exec, s[10:11]
	s_cbranch_execnz .LBB24_251
; %bb.247:
	s_andn2_saveexec_b64 s[0:1], s[2:3]
	s_cbranch_execnz .LBB24_271
.LBB24_248:
	s_or_b64 exec, exec, s[0:1]
	s_and_saveexec_b64 s[0:1], s[4:5]
.LBB24_249:
	; divergent unreachable
.LBB24_250:
	s_endpgm
.LBB24_251:
	s_and_saveexec_b64 s[4:5], s[8:9]
	s_xor_b64 s[4:5], exec, s[4:5]
	s_cbranch_execz .LBB24_269
; %bb.252:
	s_and_saveexec_b64 s[8:9], s[6:7]
	s_xor_b64 s[6:7], exec, s[8:9]
; %bb.253:
	v_xor_b32_e32 v5, 0x80000000, v5
	v_pk_mov_b32 v[6:7], v[4:5], v[4:5] op_sel:[0,1]
; %bb.254:
	s_or_b64 exec, exec, s[6:7]
	s_mov_b64 s[6:7], exec
	v_readlane_b32 s8, v54, 4
	v_readlane_b32 s9, v54, 5
	s_and_b64 s[8:9], s[6:7], s[8:9]
	s_mov_b64 exec, s[8:9]
	s_cbranch_execz .LBB24_256
; %bb.255:
	v_mov_b32_e32 v1, 0
	v_mov_b32_e32 v2, s60
	ds_write_b32 v1, v2 offset:4108
.LBB24_256:
	s_or_b64 exec, exec, s[6:7]
	v_mov_b32_e32 v1, 0
	s_waitcnt lgkmcnt(0)
	s_barrier
	ds_read_b32 v1, v1 offset:4108
	s_waitcnt lgkmcnt(0)
	v_min_i32_e32 v1, s60, v1
	v_cmp_lt_i32_e32 vcc, v0, v1
	s_and_saveexec_b64 s[6:7], vcc
	s_cbranch_execz .LBB24_266
; %bb.257:
	s_mov_b64 s[8:9], 0
	v_mov_b32_e32 v3, s16
                                        ; implicit-def: $sgpr10_sgpr11
                                        ; implicit-def: $sgpr14_sgpr15
                                        ; implicit-def: $sgpr12_sgpr13
	s_branch .LBB24_259
.LBB24_258:                             ;   in Loop: Header=BB24_259 Depth=1
	s_or_b64 exec, exec, s[16:17]
	s_and_b64 s[16:17], exec, s[14:15]
	s_or_b64 s[8:9], s[16:17], s[8:9]
	s_andn2_b64 s[10:11], s[10:11], exec
	s_and_b64 s[16:17], s[12:13], exec
	s_or_b64 s[10:11], s[10:11], s[16:17]
	s_andn2_b64 exec, exec, s[8:9]
	s_cbranch_execz .LBB24_261
.LBB24_259:                             ; =>This Inner Loop Header: Depth=1
	v_ashrrev_i32_e32 v17, 31, v16
	v_lshlrev_b64 v[4:5], 3, v[16:17]
	v_add_co_u32_e32 v4, vcc, s62, v4
	v_addc_co_u32_e32 v5, vcc, v3, v5, vcc
	global_load_dwordx2 v[4:5], v[4:5], off
	v_mov_b32_e32 v2, v0
	s_or_b64 s[12:13], s[12:13], exec
	s_or_b64 s[14:15], s[14:15], exec
                                        ; implicit-def: $vgpr0
	s_waitcnt vmcnt(0)
	v_cmp_ne_u64_e32 vcc, v[4:5], v[6:7]
	s_and_saveexec_b64 s[16:17], vcc
	s_cbranch_execz .LBB24_258
; %bb.260:                              ;   in Loop: Header=BB24_259 Depth=1
	v_add_u32_e32 v0, s33, v2
	v_cmp_ge_i32_e32 vcc, v0, v1
	s_andn2_b64 s[14:15], s[14:15], exec
	s_and_b64 s[18:19], vcc, exec
	v_add_u32_e32 v16, s0, v16
	s_andn2_b64 s[12:13], s[12:13], exec
	s_or_b64 s[14:15], s[14:15], s[18:19]
	s_branch .LBB24_258
.LBB24_261:
	s_or_b64 exec, exec, s[8:9]
	s_and_saveexec_b64 s[0:1], s[10:11]
	s_xor_b64 s[0:1], exec, s[0:1]
	s_cbranch_execz .LBB24_266
; %bb.262:
	s_mov_b64 s[8:9], exec
	s_brev_b32 s0, -2
.LBB24_263:                             ; =>This Inner Loop Header: Depth=1
	s_ff1_i32_b64 s1, s[8:9]
	v_readlane_b32 s12, v2, s1
	s_lshl_b64 s[10:11], 1, s1
	s_min_i32 s0, s0, s12
	s_andn2_b64 s[8:9], s[8:9], s[10:11]
	s_cmp_lg_u64 s[8:9], 0
	s_cbranch_scc1 .LBB24_263
; %bb.264:
	v_mbcnt_lo_u32_b32 v0, exec_lo, 0
	v_mbcnt_hi_u32_b32 v0, exec_hi, v0
	v_cmp_eq_u32_e32 vcc, 0, v0
	s_and_saveexec_b64 s[8:9], vcc
	s_xor_b64 s[8:9], exec, s[8:9]
	s_cbranch_execz .LBB24_266
; %bb.265:
	v_mov_b32_e32 v0, 0
	v_mov_b32_e32 v1, s0
	ds_min_i32 v0, v1 offset:4108
.LBB24_266:
	s_or_b64 exec, exec, s[6:7]
	s_waitcnt lgkmcnt(0)
	s_barrier
	s_mov_b64 s[6:7], exec
	v_readlane_b32 s0, v54, 4
	v_readlane_b32 s1, v54, 5
	s_and_b64 s[0:1], s[6:7], s[0:1]
	s_mov_b64 exec, s[0:1]
	s_cbranch_execz .LBB24_268
; %bb.267:
	v_readlane_b32 s1, v54, 8
	v_readlane_b32 s0, v54, 7
	s_mul_i32 s0, s0, s1
	v_readlane_b32 s8, v54, 6
	s_mul_i32 s8, s8, s1
	s_ashr_i32 s1, s0, 31
	v_mov_b32_e32 v2, 0
	s_lshl_b64 s[0:1], s[0:1], 3
	v_readlane_b32 s10, v54, 2
	ds_read_b32 v0, v2 offset:4108
	v_readlane_b32 s11, v54, 3
	s_add_u32 s0, s10, s0
	s_addc_u32 s1, s11, s1
	s_ashr_i32 s9, s8, 31
	s_lshl_b64 s[8:9], s[8:9], 3
	v_readlane_b32 s10, v54, 0
	v_readlane_b32 s11, v54, 1
	s_add_u32 s8, s10, s8
	s_addc_u32 s9, s11, s9
	s_waitcnt lgkmcnt(0)
	v_ashrrev_i32_e32 v1, 31, v0
	global_store_dwordx2 v2, v[0:1], s[8:9]
	global_store_dwordx2 v2, v[6:7], s[0:1]
.LBB24_268:
	s_or_b64 exec, exec, s[6:7]
.LBB24_269:
	s_or_saveexec_b64 s[0:1], s[4:5]
	s_mov_b64 s[4:5], 0
	s_xor_b64 exec, exec, s[0:1]
	s_cbranch_execnz .LBB24_272
.LBB24_270:
	s_or_b64 exec, exec, s[0:1]
	s_and_b64 s[4:5], s[4:5], exec
	s_andn2_saveexec_b64 s[0:1], s[2:3]
	s_cbranch_execz .LBB24_248
.LBB24_271:
	s_or_b64 s[4:5], s[4:5], exec
	s_trap 2
	s_or_b64 exec, exec, s[0:1]
	s_and_saveexec_b64 s[0:1], s[4:5]
	s_cbranch_execnz .LBB24_249
	s_branch .LBB24_250
.LBB24_272:
	s_mov_b64 s[4:5], exec
	s_trap 2
	s_branch .LBB24_270
	.section	.rodata,"a",@progbits
	.p2align	6, 0x0
	.amdhsa_kernel _ZN2at6native12_GLOBAL__N_114gatherKthValueIliLi1EEEvNS_4cuda6detail10TensorInfoIKT_T0_EES8_S8_S8_S8_NS5_IS6_S8_EENS5_IlS8_EE
		.amdhsa_group_segment_fixed_size 4112
		.amdhsa_private_segment_fixed_size 0
		.amdhsa_kernarg_size 920
		.amdhsa_user_sgpr_count 6
		.amdhsa_user_sgpr_private_segment_buffer 1
		.amdhsa_user_sgpr_dispatch_ptr 0
		.amdhsa_user_sgpr_queue_ptr 0
		.amdhsa_user_sgpr_kernarg_segment_ptr 1
		.amdhsa_user_sgpr_dispatch_id 0
		.amdhsa_user_sgpr_flat_scratch_init 0
		.amdhsa_user_sgpr_kernarg_preload_length 0
		.amdhsa_user_sgpr_kernarg_preload_offset 0
		.amdhsa_user_sgpr_private_segment_size 0
		.amdhsa_uses_dynamic_stack 0
		.amdhsa_system_sgpr_private_segment_wavefront_offset 0
		.amdhsa_system_sgpr_workgroup_id_x 1
		.amdhsa_system_sgpr_workgroup_id_y 1
		.amdhsa_system_sgpr_workgroup_id_z 1
		.amdhsa_system_sgpr_workgroup_info 0
		.amdhsa_system_vgpr_workitem_id 0
		.amdhsa_next_free_vgpr 55
		.amdhsa_next_free_sgpr 96
		.amdhsa_accum_offset 56
		.amdhsa_reserve_vcc 1
		.amdhsa_reserve_flat_scratch 0
		.amdhsa_float_round_mode_32 0
		.amdhsa_float_round_mode_16_64 0
		.amdhsa_float_denorm_mode_32 3
		.amdhsa_float_denorm_mode_16_64 3
		.amdhsa_dx10_clamp 1
		.amdhsa_ieee_mode 1
		.amdhsa_fp16_overflow 0
		.amdhsa_tg_split 0
		.amdhsa_exception_fp_ieee_invalid_op 0
		.amdhsa_exception_fp_denorm_src 0
		.amdhsa_exception_fp_ieee_div_zero 0
		.amdhsa_exception_fp_ieee_overflow 0
		.amdhsa_exception_fp_ieee_underflow 0
		.amdhsa_exception_fp_ieee_inexact 0
		.amdhsa_exception_int_div_zero 0
	.end_amdhsa_kernel
	.section	.text._ZN2at6native12_GLOBAL__N_114gatherKthValueIliLi1EEEvNS_4cuda6detail10TensorInfoIKT_T0_EES8_S8_S8_S8_NS5_IS6_S8_EENS5_IlS8_EE,"axG",@progbits,_ZN2at6native12_GLOBAL__N_114gatherKthValueIliLi1EEEvNS_4cuda6detail10TensorInfoIKT_T0_EES8_S8_S8_S8_NS5_IS6_S8_EENS5_IlS8_EE,comdat
.Lfunc_end24:
	.size	_ZN2at6native12_GLOBAL__N_114gatherKthValueIliLi1EEEvNS_4cuda6detail10TensorInfoIKT_T0_EES8_S8_S8_S8_NS5_IS6_S8_EENS5_IlS8_EE, .Lfunc_end24-_ZN2at6native12_GLOBAL__N_114gatherKthValueIliLi1EEEvNS_4cuda6detail10TensorInfoIKT_T0_EES8_S8_S8_S8_NS5_IS6_S8_EENS5_IlS8_EE
                                        ; -- End function
	.section	.AMDGPU.csdata,"",@progbits
; Kernel info:
; codeLenInByte = 10264
; NumSgprs: 100
; NumVgprs: 55
; NumAgprs: 0
; TotalNumVgprs: 55
; ScratchSize: 0
; MemoryBound: 0
; FloatMode: 240
; IeeeMode: 1
; LDSByteSize: 4112 bytes/workgroup (compile time only)
; SGPRBlocks: 12
; VGPRBlocks: 6
; NumSGPRsForWavesPerEU: 100
; NumVGPRsForWavesPerEU: 55
; AccumOffset: 56
; Occupancy: 8
; WaveLimiterHint : 1
; COMPUTE_PGM_RSRC2:SCRATCH_EN: 0
; COMPUTE_PGM_RSRC2:USER_SGPR: 6
; COMPUTE_PGM_RSRC2:TRAP_HANDLER: 0
; COMPUTE_PGM_RSRC2:TGID_X_EN: 1
; COMPUTE_PGM_RSRC2:TGID_Y_EN: 1
; COMPUTE_PGM_RSRC2:TGID_Z_EN: 1
; COMPUTE_PGM_RSRC2:TIDIG_COMP_CNT: 0
; COMPUTE_PGM_RSRC3_GFX90A:ACCUM_OFFSET: 13
; COMPUTE_PGM_RSRC3_GFX90A:TG_SPLIT: 0
	.section	.text._ZN2at6native12_GLOBAL__N_114gatherKthValueIliLi2EEEvNS_4cuda6detail10TensorInfoIKT_T0_EES8_S8_S8_S8_NS5_IS6_S8_EENS5_IlS8_EE,"axG",@progbits,_ZN2at6native12_GLOBAL__N_114gatherKthValueIliLi2EEEvNS_4cuda6detail10TensorInfoIKT_T0_EES8_S8_S8_S8_NS5_IS6_S8_EENS5_IlS8_EE,comdat
	.globl	_ZN2at6native12_GLOBAL__N_114gatherKthValueIliLi2EEEvNS_4cuda6detail10TensorInfoIKT_T0_EES8_S8_S8_S8_NS5_IS6_S8_EENS5_IlS8_EE ; -- Begin function _ZN2at6native12_GLOBAL__N_114gatherKthValueIliLi2EEEvNS_4cuda6detail10TensorInfoIKT_T0_EES8_S8_S8_S8_NS5_IS6_S8_EENS5_IlS8_EE
	.p2align	8
	.type	_ZN2at6native12_GLOBAL__N_114gatherKthValueIliLi2EEEvNS_4cuda6detail10TensorInfoIKT_T0_EES8_S8_S8_S8_NS5_IS6_S8_EENS5_IlS8_EE,@function
_ZN2at6native12_GLOBAL__N_114gatherKthValueIliLi2EEEvNS_4cuda6detail10TensorInfoIKT_T0_EES8_S8_S8_S8_NS5_IS6_S8_EENS5_IlS8_EE: ; @_ZN2at6native12_GLOBAL__N_114gatherKthValueIliLi2EEEvNS_4cuda6detail10TensorInfoIKT_T0_EES8_S8_S8_S8_NS5_IS6_S8_EENS5_IlS8_EE
; %bb.0:
	s_load_dwordx2 s[12:13], s[4:5], 0x298
	s_load_dwordx4 s[60:63], s[4:5], 0xd8
	s_add_u32 s10, s4, 0x298
	s_addc_u32 s11, s5, 0
	s_waitcnt lgkmcnt(0)
	s_mul_i32 s0, s13, s8
	s_add_i32 s0, s0, s7
	s_mul_i32 s0, s0, s12
	s_add_i32 s16, s0, s6
	s_cmp_ge_i32 s16, s62
	s_cbranch_scc1 .LBB25_250
; %bb.1:
	s_load_dword s0, s[4:5], 0xc
	s_load_dwordx2 s[2:3], s[4:5], 0xe8
                                        ; implicit-def: $vgpr54 : SGPR spill to VGPR lane
                                        ; kill: killed $sgpr4 killed $sgpr5
	s_abs_i32 s19, s16
	s_ashr_i32 s18, s16, 31
	s_mov_b32 s72, 0
	s_waitcnt lgkmcnt(0)
	s_abs_i32 s1, s0
	v_writelane_b32 v54, s2, 0
	v_writelane_b32 v54, s3, 1
	s_load_dwordx2 s[8:9], s[4:5], 0x6c
	s_load_dwordx2 s[2:3], s[4:5], 0x0
	;; [unrolled: 1-line block ×3, first 2 shown]
	v_cvt_f32_u32_e32 v1, s1
	s_ashr_i32 s7, s0, 31
	s_load_dword s20, s[4:5], 0xf4
	s_waitcnt lgkmcnt(0)
	v_writelane_b32 v54, s14, 2
	v_writelane_b32 v54, s15, 3
	s_load_dword s17, s[4:5], 0x1cc
	s_load_dwordx2 s[14:15], s[4:5], 0x1c0
	v_rcp_iflag_f32_e32 v1, v1
	s_waitcnt lgkmcnt(0)
	v_writelane_b32 v54, s14, 4
	v_writelane_b32 v54, s15, 5
	s_load_dwordx2 s[14:15], s[4:5], 0x154
	v_mul_f32_e32 v1, 0x4f7ffffe, v1
	v_cvt_u32_f32_e32 v1, v1
	s_sub_i32 s4, 0, s1
	s_waitcnt lgkmcnt(0)
	v_writelane_b32 v54, s14, 6
	v_writelane_b32 v54, s15, 7
	s_abs_i32 s15, s20
	v_cvt_f32_u32_e32 v2, s15
	v_readfirstlane_b32 s5, v1
	s_abs_i32 s14, s17
	s_mul_i32 s4, s4, s5
	v_rcp_iflag_f32_e32 v1, v2
	v_cvt_f32_u32_e32 v2, s14
	s_mul_hi_u32 s4, s5, s4
	s_add_i32 s5, s5, s4
	v_mul_f32_e32 v1, 0x4f7ffffe, v1
	v_cvt_u32_f32_e32 v1, v1
	v_rcp_iflag_f32_e32 v2, v2
	s_mul_hi_u32 s13, s19, s5
	s_sub_i32 s4, 0, s15
	v_readfirstlane_b32 s5, v1
	v_mul_f32_e32 v1, 0x4f7ffffe, v2
	s_mul_i32 s4, s4, s5
	v_cvt_u32_f32_e32 v1, v1
	s_mul_hi_u32 s4, s5, s4
	s_add_i32 s5, s5, s4
	v_writelane_b32 v54, s15, 8
	s_mul_hi_u32 s4, s19, s5
	v_writelane_b32 v54, s4, 9
	s_sub_i32 s4, 0, s14
	v_readfirstlane_b32 s5, v1
	s_mul_i32 s4, s4, s5
	s_mul_hi_u32 s4, s5, s4
	s_add_i32 s5, s5, s4
	v_writelane_b32 v54, s14, 10
	s_mul_hi_u32 s4, s19, s5
	v_writelane_b32 v54, s4, 11
	v_cmp_eq_u32_e64 s[14:15], 0, v0
	s_mov_b64 s[4:5], exec
	v_writelane_b32 v54, s14, 12
	v_writelane_b32 v54, s15, 13
	s_and_b64 s[14:15], s[4:5], s[14:15]
	s_mov_b64 exec, s[14:15]
	s_cbranch_execz .LBB25_3
; %bb.2:
	v_mov_b32_e32 v2, 0
	v_mov_b32_e32 v3, s60
	;; [unrolled: 1-line block ×3, first 2 shown]
	ds_write_b96 v2, v[2:4] offset:4096
.LBB25_3:
	s_or_b64 exec, exec, s[4:5]
	v_writelane_b32 v54, s20, 14
	s_ashr_i32 s4, s20, 31
	v_writelane_b32 v54, s4, 15
	s_mul_i32 s5, s13, s1
	v_writelane_b32 v54, s17, 16
	s_ashr_i32 s4, s17, 31
	s_sub_i32 s5, s19, s5
	v_writelane_b32 v54, s4, 17
	s_xor_b32 s4, s18, s7
	s_add_i32 s7, s13, 1
	s_sub_i32 s14, s5, s1
	s_cmp_ge_u32 s5, s1
	s_cselect_b32 s7, s7, s13
	s_cselect_b32 s5, s14, s5
	s_add_i32 s13, s7, 1
	s_cmp_ge_u32 s5, s1
	s_cselect_b32 s1, s13, s7
	s_xor_b32 s1, s1, s4
	s_sub_i32 s1, s1, s4
	s_mul_i32 s0, s1, s0
	s_sub_i32 s0, s16, s0
	s_mul_i32 s0, s0, s9
	s_mul_i32 s1, s1, s8
	s_waitcnt lgkmcnt(0)
	s_barrier
	s_load_dword s4, s[10:11], 0xc
	s_add_i32 s0, s1, s0
	s_ashr_i32 s1, s0, 31
	v_writelane_b32 v54, s18, 18
	s_lshl_b64 s[0:1], s[0:1], 3
	v_writelane_b32 v54, s19, 19
	s_add_u32 s62, s2, s0
	v_mbcnt_lo_u32_b32 v1, -1, 0
	v_writelane_b32 v54, s16, 20
	s_addc_u32 s16, s3, s1
	s_waitcnt lgkmcnt(0)
	s_and_b32 s33, s4, 0xffff
	v_mbcnt_hi_u32_b32 v23, -1, v1
	v_cmp_gt_u32_e32 vcc, 64, v0
	v_cmp_gt_i32_e64 s[2:3], 4, v23
	s_add_i32 s0, s33, -1
	s_lshl_b32 s17, s33, 2
	s_bfe_u32 s7, s4, 0xa0006
	s_and_b64 s[74:75], vcc, s[2:3]
	s_add_i32 s1, s0, s60
	s_cmpk_gt_i32 s60, 0x180
	v_writelane_b32 v54, s0, 21
	s_cselect_b64 s[2:3], -1, 0
	v_writelane_b32 v54, s2, 22
	s_cmp_gt_u32 s33, 63
	v_writelane_b32 v54, s3, 23
	s_cselect_b64 s[2:3], -1, 0
	s_cmp_lt_u32 s6, s12
	v_writelane_b32 v54, s2, 24
	s_cselect_b32 s0, 12, 18
	v_writelane_b32 v54, s3, 25
	s_add_u32 s2, s10, s0
	s_addc_u32 s3, s11, 0
	v_writelane_b32 v54, s2, 26
	s_add_i32 s0, s7, -2
	v_writelane_b32 v54, s3, 27
	s_lshr_b32 s2, s0, 1
	s_add_i32 s6, s2, 1
	s_cmpk_gt_u32 s33, 0x7f
	v_mov_b32_e32 v19, 0
	s_cselect_b64 s[2:3], -1, 0
	v_writelane_b32 v54, s2, 28
	v_mul_lo_u32 v16, v0, s63
	v_mov_b32_e32 v17, v19
	v_writelane_b32 v54, s3, 29
	v_cmp_gt_u32_e64 s[8:9], s60, v0
	v_lshlrev_b64 v[2:3], 3, v[16:17]
	v_writelane_b32 v54, s8, 30
	v_mov_b32_e32 v17, s16
	v_add_co_u32_e32 v20, vcc, s62, v2
	v_writelane_b32 v54, s9, 31
	v_addc_co_u32_e32 v21, vcc, v17, v3, vcc
	v_cmp_gt_i32_e64 s[8:9], s60, v0
	v_lshlrev_b64 v[2:3], v23, -1
	v_writelane_b32 v54, s8, 32
	v_not_b32_e32 v22, v2
	v_cvt_f32_u32_e32 v2, s17
	v_writelane_b32 v54, s9, 33
	s_and_b32 s8, s7, 0x3fe
	s_and_b32 s9, s6, 7
	s_cmp_gt_u32 s0, 13
	s_cselect_b64 s[10:11], -1, 0
	v_writelane_b32 v54, s10, 34
	v_rcp_iflag_f32_e32 v2, v2
	v_writelane_b32 v54, s11, 35
	s_and_b32 s0, s6, -8
	v_writelane_b32 v54, s0, 36
	s_cmp_lg_u32 s9, 0
	v_writelane_b32 v54, s9, 37
	s_cselect_b64 s[10:11], -1, 0
	v_writelane_b32 v54, s10, 38
	v_mul_f32_e32 v2, 0x4f7ffffe, v2
	v_writelane_b32 v54, s11, 39
	v_cvt_u32_f32_e32 v2, v2
	v_writelane_b32 v54, s7, 40
	s_cmp_lg_u32 s8, s7
	v_writelane_b32 v54, s8, 41
	s_cselect_b64 s[6:7], -1, 0
	v_writelane_b32 v54, s6, 42
	v_writelane_b32 v54, s7, 43
	s_sub_i32 s0, 0, s17
	v_readfirstlane_b32 s6, v2
	s_mul_i32 s0, s0, s6
	s_mul_hi_u32 s0, s6, s0
	s_add_i32 s8, s6, s0
	s_mul_hi_u32 s0, s60, s8
	s_mul_i32 s0, s0, s17
	s_sub_i32 s0, s60, s0
	s_sub_i32 s6, s0, s17
	s_cmp_ge_u32 s0, s17
	s_cselect_b32 s0, s6, s0
	s_sub_i32 s6, s0, s17
	v_cvt_f32_u32_e32 v5, s33
	s_cmp_ge_u32 s0, s17
	s_cselect_b32 s6, s6, s0
	s_sub_i32 s9, s60, s6
	v_add_u32_e32 v35, s9, v0
	v_rcp_iflag_f32_e32 v5, v5
	v_lshrrev_b32_e32 v1, 4, v0
	v_mul_lo_u32 v2, v35, s63
	v_lshlrev_b32_e32 v30, 2, v0
	v_and_b32_e32 v33, 60, v1
	v_not_b32_e32 v1, v3
	v_ashrrev_i32_e32 v3, 31, v2
	v_cmp_gt_i32_e64 s[10:11], s9, v30
	v_lshlrev_b64 v[2:3], 3, v[2:3]
	v_writelane_b32 v54, s10, 44
	v_add_co_u32_e32 v24, vcc, s62, v2
	v_mul_f32_e32 v2, 0x4f7ffffe, v5
	v_writelane_b32 v54, s11, 45
	v_cmp_gt_u32_e64 s[10:11], s60, v35
	v_cvt_u32_f32_e32 v2, v2
	v_writelane_b32 v54, s10, 46
	v_writelane_b32 v54, s11, 47
	v_cmp_gt_i32_e64 s[10:11], s60, v35
	v_writelane_b32 v54, s10, 48
	v_writelane_b32 v54, s11, 49
	s_sub_i32 s10, 0, s33
	v_readfirstlane_b32 s11, v2
	s_mul_i32 s10, s10, s11
	s_mul_hi_u32 s10, s11, s10
	s_abs_i32 s7, s1
	s_add_i32 s10, s11, s10
	v_writelane_b32 v54, s10, 50
	s_mul_hi_u32 s10, s7, s10
	s_mul_i32 s10, s10, s33
	s_sub_i32 s7, s7, s10
	s_ashr_i32 s0, s1, 31
	s_sub_i32 s10, s7, s33
	s_cmp_ge_u32 s7, s33
	s_cselect_b32 s7, s10, s7
	s_sub_i32 s10, s7, s33
	s_cmp_ge_u32 s7, s33
	s_cselect_b32 s7, s10, s7
	v_mul_lo_u32 v2, s63, v30
	s_xor_b32 s7, s7, s0
	v_add_u32_e32 v36, s63, v2
	v_or_b32_e32 v2, 2, v30
	s_sub_i32 s0, s0, s7
	v_mul_lo_u32 v37, s63, v2
	v_or_b32_e32 v2, 3, v30
	s_add_i32 s7, s33, s60
	s_add_i32 s1, s1, s0
	v_mul_lo_u32 v38, s63, v2
	v_add_u32_e32 v2, s7, v0
	v_lshlrev_b32_e32 v31, 3, v0
	v_lshlrev_b32_e32 v4, 2, v23
	v_mov_b32_e32 v6, s16
	v_cmp_gt_i32_e64 s[10:11], s1, v0
	s_mul_i32 s0, s63, s33
	v_subrev_u32_e32 v2, s6, v2
	v_cmp_eq_u32_e64 s[2:3], 0, v23
	v_cmp_gt_u32_e64 s[4:5], 2, v0
	v_add_u32_e32 v32, 0xc00, v31
	v_and_b32_e32 v34, 0x100, v4
	v_addc_co_u32_e32 v25, vcc, v6, v3, vcc
	v_writelane_b32 v54, s10, 51
	s_lshl_b32 s76, s0, 2
	v_lshlrev_b32_e32 v39, 2, v16
	v_mul_lo_u32 v40, s63, v2
	v_lshlrev_b32_e32 v41, 5, v0
	s_lshl_b32 s77, s33, 5
	s_lshl_b32 s78, s33, 3
	v_or_b32_e32 v42, 0xc00, v4
	s_mov_b32 s79, 62
	s_mov_b64 s[90:91], 0
	v_pk_mov_b32 v[6:7], 0, 0
	v_mov_b32_e32 v2, 1
	v_mov_b32_e32 v43, 0xc00
	s_mov_b32 s6, 0
	s_mov_b64 s[86:87], 0
	s_mov_b64 s[84:85], 0
	v_writelane_b32 v54, s11, 52
                                        ; implicit-def: $sgpr92_sgpr93
                                        ; implicit-def: $sgpr64_sgpr65
                                        ; implicit-def: $sgpr94_sgpr95
                                        ; implicit-def: $sgpr66_sgpr67
                                        ; implicit-def: $sgpr68_sgpr69
                                        ; implicit-def: $sgpr70_sgpr71
	s_branch .LBB25_8
.LBB25_4:                               ;   in Loop: Header=BB25_8 Depth=1
	s_xor_b32 s6, s6, 1
	s_add_i32 s7, s79, -2
	s_cmp_eq_u32 s79, 0
	s_mov_b64 s[20:21], 0
	s_cselect_b64 s[24:25], -1, 0
	s_mov_b32 s79, s7
.LBB25_5:                               ;   in Loop: Header=BB25_8 Depth=1
	s_andn2_b64 s[10:11], s[28:29], exec
	s_and_b64 s[12:13], s[20:21], exec
	s_or_b64 s[28:29], s[10:11], s[12:13]
	s_andn2_b64 s[34:35], s[34:35], exec
	s_andn2_b64 s[26:27], s[26:27], exec
	s_orn2_b64 s[24:25], s[24:25], exec
	s_mov_b32 s61, s43
.LBB25_6:                               ;   in Loop: Header=BB25_8 Depth=1
	s_or_b64 exec, exec, s[18:19]
	s_andn2_b64 s[10:11], s[70:71], exec
	s_and_b64 s[12:13], s[28:29], exec
	s_or_b64 s[70:71], s[10:11], s[12:13]
	s_andn2_b64 s[10:11], s[68:69], exec
	s_and_b64 s[12:13], s[34:35], exec
	s_or_b64 s[68:69], s[10:11], s[12:13]
	;; [unrolled: 3-line block ×3, first 2 shown]
	s_orn2_b64 s[24:25], s[24:25], exec
.LBB25_7:                               ;   in Loop: Header=BB25_8 Depth=1
	s_or_b64 exec, exec, s[22:23]
	s_and_b64 s[10:11], exec, s[24:25]
	s_or_b64 s[90:91], s[10:11], s[90:91]
	s_andn2_b64 s[10:11], s[94:95], exec
	s_and_b64 s[12:13], s[70:71], exec
	s_or_b64 s[94:95], s[10:11], s[12:13]
	s_andn2_b64 s[10:11], s[64:65], exec
	s_and_b64 s[12:13], s[68:69], exec
	;; [unrolled: 3-line block ×3, first 2 shown]
	s_waitcnt vmcnt(0)
	v_pk_mov_b32 v[4:5], s[86:87], s[86:87] op_sel:[0,1]
	s_or_b64 s[92:93], s[10:11], s[12:13]
	s_andn2_b64 exec, exec, s[90:91]
	s_cbranch_execz .LBB25_246
.LBB25_8:                               ; =>This Loop Header: Depth=1
                                        ;     Child Loop BB25_16 Depth 2
                                        ;     Child Loop BB25_35 Depth 2
	;; [unrolled: 1-line block ×17, first 2 shown]
	ds_read_b64 v[4:5], v19 offset:4096
	s_waitcnt lgkmcnt(0)
	v_readfirstlane_b32 s7, v4
	s_cmp_gt_i32 s7, 0
	s_cbranch_scc1 .LBB25_42
; %bb.9:                                ;   in Loop: Header=BB25_8 Depth=1
	v_readlane_b32 s10, v54, 22
	v_readlane_b32 s11, v54, 23
	s_and_b64 vcc, exec, s[10:11]
	s_cbranch_vccz .LBB25_24
; %bb.10:                               ;   in Loop: Header=BB25_8 Depth=1
	s_movk_i32 s10, 0x181
	v_cmp_gt_i32_e32 vcc, s10, v5
	s_mov_b64 s[20:21], 0
	s_mov_b64 s[18:19], 0
	s_cbranch_vccz .LBB25_29
; %bb.11:                               ;   in Loop: Header=BB25_8 Depth=1
	v_pk_mov_b32 v[4:5], 0, 0
	s_mov_b64 s[18:19], exec
	v_readlane_b32 s10, v54, 30
	v_readlane_b32 s11, v54, 31
	s_and_b64 s[10:11], s[18:19], s[10:11]
	s_mov_b64 exec, s[10:11]
	s_cbranch_execz .LBB25_13
; %bb.12:                               ;   in Loop: Header=BB25_8 Depth=1
	global_load_dwordx2 v[4:5], v[20:21], off
.LBB25_13:                              ;   in Loop: Header=BB25_8 Depth=1
	s_or_b64 exec, exec, s[18:19]
	s_mov_b64 s[22:23], exec
	v_readlane_b32 s10, v54, 30
	v_readlane_b32 s11, v54, 31
	s_and_b64 s[10:11], s[22:23], s[10:11]
	s_mov_b64 exec, s[10:11]
	s_cbranch_execz .LBB25_25
; %bb.14:                               ;   in Loop: Header=BB25_8 Depth=1
	v_readlane_b32 s10, v54, 26
	v_readlane_b32 s11, v54, 27
	s_mov_b64 s[24:25], 0
	v_mov_b32_e32 v11, v0
	s_nop 2
	global_load_ushort v3, v19, s[10:11]
	s_waitcnt vmcnt(0)
	v_add_u32_e32 v8, v0, v3
	v_mul_lo_u32 v10, s63, v3
	v_mul_lo_u32 v18, s63, v8
	s_branch .LBB25_16
.LBB25_15:                              ;   in Loop: Header=BB25_16 Depth=2
	s_or_b64 exec, exec, s[18:19]
	v_cmp_le_i32_e32 vcc, s60, v11
	v_add_u32_e32 v18, v18, v10
	s_or_b64 s[24:25], vcc, s[24:25]
	s_waitcnt vmcnt(0)
	v_pk_mov_b32 v[4:5], v[8:9], v[8:9] op_sel:[0,1]
	s_andn2_b64 exec, exec, s[24:25]
	s_cbranch_execz .LBB25_25
.LBB25_16:                              ;   Parent Loop BB25_8 Depth=1
                                        ; =>  This Inner Loop Header: Depth=2
	v_add_u32_e32 v11, v11, v3
	v_cmp_gt_u32_e32 vcc, s60, v11
	v_pk_mov_b32 v[8:9], 0, 0
	s_and_saveexec_b64 s[18:19], vcc
	s_cbranch_execz .LBB25_18
; %bb.17:                               ;   in Loop: Header=BB25_16 Depth=2
	v_lshlrev_b64 v[8:9], 3, v[18:19]
	v_add_co_u32_e32 v8, vcc, s62, v8
	v_addc_co_u32_e32 v9, vcc, v17, v9, vcc
	global_load_dwordx2 v[8:9], v[8:9], off
.LBB25_18:                              ;   in Loop: Header=BB25_16 Depth=2
	s_or_b64 exec, exec, s[18:19]
	s_waitcnt lgkmcnt(0)
	v_xor_b32_e32 v12, 0x80000000, v5
	v_and_b32_e32 v13, s85, v12
	v_and_b32_e32 v12, s84, v4
	v_cmp_eq_u64_e32 vcc, s[86:87], v[12:13]
	s_cmp_lg_u64 vcc, 0
	s_cselect_b64 s[10:11], -1, 0
	s_and_b64 s[10:11], s[2:3], s[10:11]
	v_mov_b32_e32 v12, 0
	s_and_saveexec_b64 s[26:27], s[10:11]
	s_cbranch_execz .LBB25_22
; %bb.19:                               ;   in Loop: Header=BB25_16 Depth=2
	s_mov_b64 s[30:31], exec
	v_mbcnt_lo_u32_b32 v12, s30, 0
	v_mbcnt_hi_u32_b32 v12, s31, v12
	s_bcnt1_i32_b64 s7, vcc
	v_cmp_eq_u32_e64 s[18:19], 0, v12
                                        ; implicit-def: $vgpr13
	s_and_saveexec_b64 s[28:29], s[18:19]
	s_cbranch_execz .LBB25_21
; %bb.20:                               ;   in Loop: Header=BB25_16 Depth=2
	s_bcnt1_i32_b64 s10, s[30:31]
	s_mul_i32 s10, s7, s10
	v_mov_b32_e32 v13, s10
	ds_add_rtn_u32 v13, v19, v13 offset:4104
.LBB25_21:                              ;   in Loop: Header=BB25_16 Depth=2
	s_or_b64 exec, exec, s[28:29]
	s_waitcnt lgkmcnt(0)
	v_readfirstlane_b32 s10, v13
	v_mov_b32_e32 v13, s10
	v_mad_u32_u24 v12, s7, v12, v13
.LBB25_22:                              ;   in Loop: Header=BB25_16 Depth=2
	s_or_b64 exec, exec, s[26:27]
	ds_bpermute_b32 v12, v34, v12
	s_and_saveexec_b64 s[18:19], vcc
	s_cbranch_execz .LBB25_15
; %bb.23:                               ;   in Loop: Header=BB25_16 Depth=2
	v_and_b32_e32 v14, vcc_lo, v22
	v_and_b32_e32 v13, vcc_hi, v1
	v_bcnt_u32_b32 v14, v14, 0
	v_bcnt_u32_b32 v13, v13, v14
	v_lshlrev_b32_e32 v13, 3, v13
	s_waitcnt lgkmcnt(0)
	v_lshl_add_u32 v12, v12, 3, v13
	ds_write_b64 v12, v[4:5]
	s_branch .LBB25_15
.LBB25_24:                              ;   in Loop: Header=BB25_8 Depth=1
	s_mov_b64 s[20:21], -1
	s_mov_b64 s[18:19], 0
	s_branch .LBB25_28
.LBB25_25:                              ;   in Loop: Header=BB25_8 Depth=1
	s_or_b64 exec, exec, s[22:23]
	s_waitcnt lgkmcnt(0)
	s_barrier
	s_mov_b64 s[18:19], exec
	v_readlane_b32 s10, v54, 12
	v_readlane_b32 s11, v54, 13
	s_and_b64 s[10:11], s[18:19], s[10:11]
	s_mov_b64 exec, s[10:11]
	s_cbranch_execz .LBB25_27
; %bb.26:                               ;   in Loop: Header=BB25_8 Depth=1
	ds_read_b32 v3, v19 offset:4104
	s_waitcnt lgkmcnt(0)
	ds_write_b32 v19, v3 offset:4096
.LBB25_27:                              ;   in Loop: Header=BB25_8 Depth=1
	s_or_b64 exec, exec, s[18:19]
	s_waitcnt lgkmcnt(0)
	s_barrier
	s_mov_b64 s[18:19], -1
.LBB25_28:                              ;   in Loop: Header=BB25_8 Depth=1
                                        ; implicit-def: $sgpr7
.LBB25_29:                              ;   in Loop: Header=BB25_8 Depth=1
	s_and_b64 vcc, exec, s[20:21]
	s_cbranch_vccz .LBB25_40
; %bb.30:                               ;   in Loop: Header=BB25_8 Depth=1
	s_waitcnt vmcnt(0)
	v_pk_mov_b32 v[4:5], 0, 0
	s_mov_b64 s[18:19], exec
	v_readlane_b32 s10, v54, 30
	v_readlane_b32 s11, v54, 31
	s_and_b64 s[10:11], s[18:19], s[10:11]
	s_mov_b64 exec, s[10:11]
	s_cbranch_execz .LBB25_32
; %bb.31:                               ;   in Loop: Header=BB25_8 Depth=1
	global_load_dwordx2 v[4:5], v[20:21], off
.LBB25_32:                              ;   in Loop: Header=BB25_8 Depth=1
	s_or_b64 exec, exec, s[18:19]
	s_mov_b64 s[18:19], exec
	v_readlane_b32 s10, v54, 32
	v_readlane_b32 s11, v54, 33
	s_and_b64 s[10:11], s[18:19], s[10:11]
	s_mov_b64 exec, s[10:11]
	s_cbranch_execz .LBB25_37
; %bb.33:                               ;   in Loop: Header=BB25_8 Depth=1
	v_readlane_b32 s10, v54, 26
	v_readlane_b32 s11, v54, 27
	s_mov_b64 s[20:21], 0
	v_mov_b32_e32 v10, v31
	v_mov_b32_e32 v13, v0
	s_nop 1
	global_load_ushort v3, v19, s[10:11]
	s_waitcnt vmcnt(0)
	v_add_u32_e32 v8, v0, v3
	v_lshlrev_b32_e32 v11, 3, v3
	v_mul_lo_u32 v12, s63, v3
	v_mul_lo_u32 v18, s63, v8
	s_branch .LBB25_35
.LBB25_34:                              ;   in Loop: Header=BB25_35 Depth=2
	s_or_b64 exec, exec, s[22:23]
	v_cmp_le_i32_e32 vcc, s60, v13
	ds_write_b64 v10, v[4:5]
	v_add_u32_e32 v10, v10, v11
	v_add_u32_e32 v18, v18, v12
	s_or_b64 s[20:21], vcc, s[20:21]
	s_waitcnt vmcnt(0)
	v_pk_mov_b32 v[4:5], v[8:9], v[8:9] op_sel:[0,1]
	s_andn2_b64 exec, exec, s[20:21]
	s_cbranch_execz .LBB25_37
.LBB25_35:                              ;   Parent Loop BB25_8 Depth=1
                                        ; =>  This Inner Loop Header: Depth=2
	v_add_u32_e32 v13, v13, v3
	v_cmp_gt_u32_e32 vcc, s60, v13
	v_pk_mov_b32 v[8:9], 0, 0
	s_and_saveexec_b64 s[22:23], vcc
	s_cbranch_execz .LBB25_34
; %bb.36:                               ;   in Loop: Header=BB25_35 Depth=2
	v_lshlrev_b64 v[8:9], 3, v[18:19]
	v_mov_b32_e32 v14, s16
	v_add_co_u32_e32 v8, vcc, s62, v8
	v_addc_co_u32_e32 v9, vcc, v14, v9, vcc
	global_load_dwordx2 v[8:9], v[8:9], off
	s_branch .LBB25_34
.LBB25_37:                              ;   in Loop: Header=BB25_8 Depth=1
	s_or_b64 exec, exec, s[18:19]
	s_waitcnt lgkmcnt(0)
	s_barrier
	s_mov_b64 s[18:19], exec
	v_readlane_b32 s10, v54, 12
	v_readlane_b32 s11, v54, 13
	s_and_b64 s[10:11], s[18:19], s[10:11]
	s_mov_b64 exec, s[10:11]
	s_cbranch_execz .LBB25_39
; %bb.38:                               ;   in Loop: Header=BB25_8 Depth=1
	v_mov_b32_e32 v3, s60
	ds_write_b32 v19, v3 offset:4096
.LBB25_39:                              ;   in Loop: Header=BB25_8 Depth=1
	s_or_b64 exec, exec, s[18:19]
	s_mov_b64 s[18:19], -1
	s_waitcnt lgkmcnt(0)
	s_barrier
                                        ; implicit-def: $sgpr7
.LBB25_40:                              ;   in Loop: Header=BB25_8 Depth=1
	s_and_b64 vcc, exec, s[18:19]
	s_cbranch_vccz .LBB25_42
; %bb.41:                               ;   in Loop: Header=BB25_8 Depth=1
	ds_read_b32 v3, v19 offset:4096
	s_waitcnt lgkmcnt(0)
	v_readfirstlane_b32 s7, v3
.LBB25_42:                              ;   in Loop: Header=BB25_8 Depth=1
	s_cmp_lt_i32 s7, 1
	s_cbranch_scc0 .LBB25_54
; %bb.43:                               ;   in Loop: Header=BB25_8 Depth=1
	v_mov_b32_e32 v8, 0
	s_mov_b32 s73, 0
	v_mov_b32_e32 v9, 0
	v_mov_b32_e32 v10, v8
	;; [unrolled: 1-line block ×3, first 2 shown]
	s_mov_b64 s[88:89], exec
	v_readlane_b32 s10, v54, 44
	v_readlane_b32 s11, v54, 45
	s_and_b64 s[10:11], s[88:89], s[10:11]
	s_mov_b64 exec, s[10:11]
	s_cbranch_execz .LBB25_47
; %bb.44:                               ;   in Loop: Header=BB25_8 Depth=1
	s_and_b32 s82, s79, 0xfe
	s_mov_b64 s[80:81], 0
	s_mov_b32 s83, 0
	s_mov_b32 s10, 0
	;; [unrolled: 1-line block ×4, first 2 shown]
	v_mov_b32_e32 v3, v30
.LBB25_45:                              ;   Parent Loop BB25_8 Depth=1
                                        ; =>  This Inner Loop Header: Depth=2
	s_waitcnt vmcnt(0)
	v_add_u32_e32 v4, s73, v39
	v_ashrrev_i32_e32 v5, 31, v4
	v_add_u32_e32 v8, s73, v36
	v_lshlrev_b64 v[4:5], 3, v[4:5]
	v_mov_b32_e32 v12, s16
	v_ashrrev_i32_e32 v9, 31, v8
	v_add_co_u32_e64 v4, s[18:19], s62, v4
	v_add_u32_e32 v10, s73, v37
	v_lshlrev_b64 v[8:9], 3, v[8:9]
	v_addc_co_u32_e64 v5, s[18:19], v12, v5, s[18:19]
	v_ashrrev_i32_e32 v11, 31, v10
	v_add_co_u32_e64 v8, s[18:19], s62, v8
	v_add_u32_e32 v28, s73, v38
	v_lshlrev_b64 v[10:11], 3, v[10:11]
	v_addc_co_u32_e64 v9, s[18:19], v12, v9, s[18:19]
	v_ashrrev_i32_e32 v29, 31, v28
	v_add_co_u32_e64 v10, s[18:19], s62, v10
	v_lshlrev_b64 v[28:29], 3, v[28:29]
	v_addc_co_u32_e64 v11, s[18:19], v12, v11, s[18:19]
	v_add_co_u32_e64 v28, s[18:19], s62, v28
	v_addc_co_u32_e64 v29, s[18:19], v12, v29, s[18:19]
	global_load_dwordx2 v[4:5], v[4:5], off
	s_nop 0
	global_load_dwordx2 v[8:9], v[8:9], off
	s_nop 0
	;; [unrolled: 2-line block ×3, first 2 shown]
	global_load_dwordx2 v[28:29], v[28:29], off
	v_mov_b32_e32 v13, v19
	v_mov_b32_e32 v15, v19
	;; [unrolled: 1-line block ×3, first 2 shown]
	v_add_u32_e32 v3, s17, v3
	s_add_i32 s73, s73, s76
	v_cmp_le_i32_e32 vcc, s9, v3
	s_waitcnt vmcnt(3)
	v_xor_b32_e32 v5, 0x80000000, v5
	s_waitcnt vmcnt(2)
	v_xor_b32_e32 v9, 0x80000000, v9
	v_and_b32_e32 v44, s84, v4
	v_and_b32_e32 v45, s85, v5
	v_lshrrev_b64 v[4:5], s82, v[4:5]
	s_waitcnt vmcnt(1)
	v_xor_b32_e32 v11, 0x80000000, v11
	v_and_b32_e32 v46, s84, v8
	v_and_b32_e32 v47, s85, v9
	v_lshrrev_b64 v[8:9], s82, v[8:9]
	v_and_b32_e32 v18, 3, v4
	s_waitcnt vmcnt(0)
	v_xor_b32_e32 v29, 0x80000000, v29
	v_and_b32_e32 v48, s84, v10
	v_and_b32_e32 v49, s85, v11
	v_lshrrev_b64 v[10:11], s82, v[10:11]
	v_cmp_eq_u64_e64 s[18:19], s[86:87], v[44:45]
	v_and_b32_e32 v12, 3, v8
	v_cmp_eq_u64_e64 s[26:27], 0, v[18:19]
	v_and_b32_e32 v50, s84, v28
	v_and_b32_e32 v51, s85, v29
	v_lshrrev_b64 v[28:29], s82, v[28:29]
	v_cmp_eq_u64_e64 s[20:21], s[86:87], v[46:47]
	v_and_b32_e32 v14, 3, v10
	v_cmp_eq_u64_e64 s[28:29], 0, v[12:13]
	s_and_b64 s[14:15], s[18:19], s[26:27]
	v_cmp_eq_u64_e64 s[22:23], s[86:87], v[48:49]
	v_and_b32_e32 v26, 3, v28
	v_cmp_eq_u64_e64 s[30:31], 0, v[14:15]
	v_cndmask_b32_e64 v4, 0, 1, s[14:15]
	s_and_b64 s[14:15], s[20:21], s[28:29]
	v_cmp_eq_u64_e64 s[24:25], s[86:87], v[50:51]
	v_cmp_eq_u64_e64 s[34:35], 0, v[26:27]
	v_cndmask_b32_e64 v5, 0, 1, s[14:15]
	s_and_b64 s[14:15], s[22:23], s[30:31]
	v_cmp_eq_u64_e64 s[36:37], 1, v[18:19]
	v_cndmask_b32_e64 v8, 0, 1, s[14:15]
	s_and_b64 s[14:15], s[24:25], s[34:35]
	;; [unrolled: 3-line block ×5, first 2 shown]
	v_cmp_eq_u64_e64 s[44:45], 2, v[18:19]
	v_cmp_eq_u64_e64 s[46:47], 2, v[12:13]
	;; [unrolled: 1-line block ×3, first 2 shown]
	v_cndmask_b32_e64 v12, 0, 1, s[14:15]
	s_and_b64 s[14:15], s[24:25], s[42:43]
	v_cndmask_b32_e64 v13, 0, 1, s[14:15]
	s_and_b64 s[14:15], s[18:19], s[44:45]
	v_cmp_eq_u64_e64 s[48:49], 2, v[14:15]
	v_cmp_eq_u64_e64 s[56:57], 3, v[14:15]
	v_cndmask_b32_e64 v14, 0, 1, s[14:15]
	s_and_b64 s[14:15], s[20:21], s[46:47]
	v_cmp_eq_u64_e64 s[50:51], 2, v[26:27]
	v_cndmask_b32_e64 v15, 0, 1, s[14:15]
	s_and_b64 s[14:15], s[22:23], s[48:49]
	;; [unrolled: 3-line block ×4, first 2 shown]
	v_cndmask_b32_e64 v27, 0, 1, s[14:15]
	s_and_b64 s[14:15], s[20:21], s[54:55]
	v_cndmask_b32_e64 v28, 0, 1, s[14:15]
	s_and_b64 s[14:15], s[22:23], s[56:57]
	;; [unrolled: 2-line block ×3, first 2 shown]
	v_cmp_ne_u32_e64 s[18:19], 0, v4
	v_cmp_ne_u32_e64 s[22:23], 0, v8
	;; [unrolled: 1-line block ×5, first 2 shown]
	v_cndmask_b32_e64 v44, 0, 1, s[14:15]
	v_cmp_ne_u32_e64 s[20:21], 0, v5
	v_cmp_ne_u32_e64 s[24:25], 0, v9
	;; [unrolled: 1-line block ×5, first 2 shown]
	s_bcnt1_i32_b64 s13, s[18:19]
	s_bcnt1_i32_b64 s15, s[22:23]
	;; [unrolled: 1-line block ×5, first 2 shown]
	v_cmp_ne_u32_e64 s[30:31], 0, v12
	v_cmp_ne_u32_e64 s[40:41], 0, v18
	;; [unrolled: 1-line block ×3, first 2 shown]
	s_bcnt1_i32_b64 s14, s[20:21]
	s_bcnt1_i32_b64 s18, s[24:25]
	;; [unrolled: 1-line block ×5, first 2 shown]
	s_add_i32 s12, s12, s13
	s_add_i32 s11, s11, s19
	;; [unrolled: 1-line block ×4, first 2 shown]
	v_cmp_ne_u32_e64 s[34:35], 0, v13
	v_cmp_ne_u32_e64 s[42:43], 0, v26
	;; [unrolled: 1-line block ×3, first 2 shown]
	s_bcnt1_i32_b64 s21, s[30:31]
	s_bcnt1_i32_b64 s25, s[40:41]
	s_bcnt1_i32_b64 s29, s[48:49]
	s_add_i32 s12, s12, s14
	s_add_i32 s11, s11, s20
	;; [unrolled: 1-line block ×4, first 2 shown]
	s_bcnt1_i32_b64 s22, s[34:35]
	s_bcnt1_i32_b64 s26, s[42:43]
	s_bcnt1_i32_b64 s30, s[50:51]
	s_add_i32 s12, s12, s15
	s_add_i32 s11, s11, s21
	;; [unrolled: 1-line block ×8, first 2 shown]
	s_or_b64 s[80:81], vcc, s[80:81]
	v_mov_b32_e32 v8, s12
	v_mov_b32_e32 v9, s11
	;; [unrolled: 1-line block ×4, first 2 shown]
	s_andn2_b64 exec, exec, s[80:81]
	s_cbranch_execnz .LBB25_45
; %bb.46:                               ;   in Loop: Header=BB25_8 Depth=1
	s_or_b64 exec, exec, s[80:81]
.LBB25_47:                              ;   in Loop: Header=BB25_8 Depth=1
	s_or_b64 exec, exec, s[88:89]
	v_pk_mov_b32 v[12:13], 0, 0
	s_mov_b64 s[18:19], exec
	v_readlane_b32 s10, v54, 46
	v_readlane_b32 s11, v54, 47
	s_and_b64 s[10:11], s[18:19], s[10:11]
	s_mov_b64 exec, s[10:11]
	s_cbranch_execz .LBB25_49
; %bb.48:                               ;   in Loop: Header=BB25_8 Depth=1
	global_load_dwordx2 v[12:13], v[24:25], off
.LBB25_49:                              ;   in Loop: Header=BB25_8 Depth=1
	s_or_b64 exec, exec, s[18:19]
	s_mov_b64 s[20:21], 0
	s_mov_b64 s[88:89], 0
	s_mov_b64 s[22:23], exec
	v_readlane_b32 s10, v54, 48
	v_readlane_b32 s11, v54, 49
	s_and_b64 s[10:11], s[22:23], s[10:11]
	s_mov_b64 exec, s[10:11]
	s_cbranch_execz .LBB25_56
; %bb.50:                               ;   in Loop: Header=BB25_8 Depth=1
	s_and_b32 s10, s79, 0xfe
	s_mov_b64 s[24:25], 0
	s_waitcnt vmcnt(0)
	v_mov_b32_e32 v4, v40
	v_mov_b32_e32 v3, v35
	s_branch .LBB25_52
.LBB25_51:                              ;   in Loop: Header=BB25_52 Depth=2
	s_or_b64 exec, exec, s[18:19]
	v_xor_b32_e32 v13, 0x80000000, v13
	v_and_b32_e32 v27, s85, v13
	v_and_b32_e32 v26, s84, v12
	v_lshrrev_b64 v[12:13], s10, v[12:13]
	v_and_b32_e32 v18, 3, v12
	v_cmp_eq_u64_e32 vcc, s[86:87], v[26:27]
	v_cmp_eq_u64_e64 s[18:19], 0, v[18:19]
	s_and_b64 s[12:13], vcc, s[18:19]
	v_cndmask_b32_e64 v5, 0, 1, s[12:13]
	v_cmp_ne_u32_e64 s[18:19], 0, v5
	s_bcnt1_i32_b64 s11, s[18:19]
	v_cmp_eq_u64_e64 s[18:19], 1, v[18:19]
	s_and_b64 s[12:13], vcc, s[18:19]
	v_cndmask_b32_e64 v5, 0, 1, s[12:13]
	v_cmp_ne_u32_e64 s[18:19], 0, v5
	v_add_u32_e32 v8, s11, v8
	s_bcnt1_i32_b64 s11, s[18:19]
	v_cmp_eq_u64_e64 s[18:19], 2, v[18:19]
	s_and_b64 s[12:13], vcc, s[18:19]
	v_cndmask_b32_e64 v5, 0, 1, s[12:13]
	v_cmp_ne_u32_e64 s[18:19], 0, v5
	v_add_u32_e32 v9, s11, v9
	s_bcnt1_i32_b64 s11, s[18:19]
	v_cmp_eq_u64_e64 s[18:19], 3, v[18:19]
	s_and_b64 s[12:13], vcc, s[18:19]
	v_cndmask_b32_e64 v5, 0, 1, s[12:13]
	v_cmp_ne_u32_e32 vcc, 0, v5
	v_add_u32_e32 v10, s11, v10
	s_bcnt1_i32_b64 s11, vcc
	v_cmp_le_i32_e32 vcc, s60, v3
	v_add_u32_e32 v11, s11, v11
	v_add_u32_e32 v4, s0, v4
	s_or_b64 s[24:25], vcc, s[24:25]
	s_waitcnt vmcnt(0)
	v_pk_mov_b32 v[12:13], v[14:15], v[14:15] op_sel:[0,1]
	s_andn2_b64 exec, exec, s[24:25]
	s_cbranch_execz .LBB25_55
.LBB25_52:                              ;   Parent Loop BB25_8 Depth=1
                                        ; =>  This Inner Loop Header: Depth=2
	v_add_u32_e32 v3, s33, v3
	v_cmp_gt_u32_e32 vcc, s60, v3
	v_pk_mov_b32 v[14:15], 0, 0
	s_and_saveexec_b64 s[18:19], vcc
	s_cbranch_execz .LBB25_51
; %bb.53:                               ;   in Loop: Header=BB25_52 Depth=2
	v_ashrrev_i32_e32 v5, 31, v4
	v_lshlrev_b64 v[14:15], 3, v[4:5]
	v_mov_b32_e32 v5, s16
	v_add_co_u32_e32 v14, vcc, s62, v14
	v_addc_co_u32_e32 v15, vcc, v5, v15, vcc
	global_load_dwordx2 v[14:15], v[14:15], off
	s_branch .LBB25_51
.LBB25_54:                              ;   in Loop: Header=BB25_8 Depth=1
	s_mov_b64 s[88:89], 0
                                        ; implicit-def: $vgpr11
	s_cbranch_execnz .LBB25_57
	s_branch .LBB25_66
.LBB25_55:                              ;   in Loop: Header=BB25_8 Depth=1
	s_or_b64 exec, exec, s[24:25]
	s_mov_b64 s[88:89], exec
.LBB25_56:                              ;   in Loop: Header=BB25_8 Depth=1
	s_or_b64 exec, exec, s[22:23]
	s_and_b64 vcc, exec, s[20:21]
	s_cbranch_vccz .LBB25_66
.LBB25_57:                              ;   in Loop: Header=BB25_8 Depth=1
	s_mul_hi_u32 s10, s7, s8
	s_mul_i32 s10, s10, s17
	s_sub_i32 s10, s7, s10
	s_sub_i32 s11, s10, s17
	s_cmp_ge_u32 s10, s17
	s_cselect_b32 s10, s11, s10
	s_sub_i32 s11, s10, s17
	s_cmp_ge_u32 s10, s17
	s_cselect_b32 s10, s11, s10
	s_sub_i32 s10, s7, s10
	v_cmp_gt_u32_e32 vcc, s10, v30
	s_mov_b32 s11, 0
	v_mov_b32_e32 v8, 0
	v_mov_b32_e32 v9, 0
	;; [unrolled: 1-line block ×4, first 2 shown]
	s_and_saveexec_b64 s[80:81], vcc
	s_cbranch_execz .LBB25_61
; %bb.58:                               ;   in Loop: Header=BB25_8 Depth=1
	s_and_b32 s12, s79, 0xfe
	s_mov_b64 s[82:83], 0
	v_mov_b32_e32 v3, v41
	s_mov_b32 s13, 0
	s_mov_b32 s73, 0
	;; [unrolled: 1-line block ×3, first 2 shown]
	v_mov_b32_e32 v44, v30
.LBB25_59:                              ;   Parent Loop BB25_8 Depth=1
                                        ; =>  This Inner Loop Header: Depth=2
	s_waitcnt vmcnt(0)
	ds_read_b128 v[12:15], v3
	ds_read_b128 v[8:11], v3 offset:16
	v_mov_b32_e32 v5, v19
	v_mov_b32_e32 v27, v19
	;; [unrolled: 1-line block ×3, first 2 shown]
	s_waitcnt lgkmcnt(1)
	v_xor_b32_e32 v13, 0x80000000, v13
	v_xor_b32_e32 v15, 0x80000000, v15
	v_and_b32_e32 v46, s84, v12
	v_and_b32_e32 v47, s85, v13
	v_lshrrev_b64 v[12:13], s12, v[12:13]
	s_waitcnt lgkmcnt(0)
	v_xor_b32_e32 v9, 0x80000000, v9
	v_and_b32_e32 v48, s84, v14
	v_and_b32_e32 v49, s85, v15
	v_lshrrev_b64 v[14:15], s12, v[14:15]
	v_and_b32_e32 v18, 3, v12
	v_xor_b32_e32 v11, 0x80000000, v11
	v_and_b32_e32 v50, s84, v8
	v_and_b32_e32 v51, s85, v9
	v_lshrrev_b64 v[8:9], s12, v[8:9]
	v_cmp_eq_u64_e64 s[18:19], s[86:87], v[46:47]
	v_and_b32_e32 v4, 3, v14
	v_cmp_eq_u64_e64 s[26:27], 0, v[18:19]
	v_and_b32_e32 v52, s84, v10
	v_and_b32_e32 v53, s85, v11
	v_lshrrev_b64 v[10:11], s12, v[10:11]
	v_cmp_eq_u64_e64 s[20:21], s[86:87], v[48:49]
	v_and_b32_e32 v26, 3, v8
	v_cmp_eq_u64_e64 s[28:29], 0, v[4:5]
	s_and_b64 s[26:27], s[18:19], s[26:27]
	v_cmp_eq_u64_e64 s[22:23], s[86:87], v[50:51]
	v_and_b32_e32 v28, 3, v10
	v_cmp_eq_u64_e64 s[30:31], 0, v[26:27]
	v_cmp_eq_u64_e64 s[38:39], 1, v[4:5]
	;; [unrolled: 1-line block ×4, first 2 shown]
	v_cndmask_b32_e64 v4, 0, 1, s[26:27]
	s_and_b64 s[26:27], s[20:21], s[28:29]
	v_cmp_eq_u64_e64 s[24:25], s[86:87], v[52:53]
	v_cmp_eq_u64_e64 s[34:35], 0, v[28:29]
	v_cndmask_b32_e64 v5, 0, 1, s[26:27]
	s_and_b64 s[26:27], s[22:23], s[30:31]
	v_cmp_eq_u64_e64 s[36:37], 1, v[18:19]
	v_cndmask_b32_e64 v8, 0, 1, s[26:27]
	s_and_b64 s[26:27], s[24:25], s[34:35]
	v_cndmask_b32_e64 v9, 0, 1, s[26:27]
	s_and_b64 s[26:27], s[18:19], s[36:37]
	v_cmp_eq_u64_e64 s[40:41], 1, v[26:27]
	v_cndmask_b32_e64 v10, 0, 1, s[26:27]
	s_and_b64 s[26:27], s[20:21], s[38:39]
	v_cmp_eq_u64_e64 s[42:43], 1, v[28:29]
	;; [unrolled: 3-line block ×3, first 2 shown]
	v_cmp_eq_u64_e64 s[52:53], 3, v[18:19]
	v_cndmask_b32_e64 v12, 0, 1, s[26:27]
	s_and_b64 s[26:27], s[24:25], s[42:43]
	v_cndmask_b32_e64 v13, 0, 1, s[26:27]
	s_and_b64 s[26:27], s[18:19], s[44:45]
	s_and_b64 s[18:19], s[18:19], s[52:53]
	v_cmp_eq_u64_e64 s[48:49], 2, v[26:27]
	v_cmp_eq_u64_e64 s[56:57], 3, v[26:27]
	v_cndmask_b32_e64 v14, 0, 1, s[26:27]
	s_and_b64 s[26:27], s[20:21], s[46:47]
	v_cndmask_b32_e64 v27, 0, 1, s[18:19]
	s_and_b64 s[18:19], s[20:21], s[54:55]
	v_cmp_eq_u64_e64 s[50:51], 2, v[28:29]
	v_cmp_eq_u64_e64 s[58:59], 3, v[28:29]
	v_cndmask_b32_e64 v15, 0, 1, s[26:27]
	s_and_b64 s[26:27], s[22:23], s[48:49]
	v_cndmask_b32_e64 v28, 0, 1, s[18:19]
	s_and_b64 s[18:19], s[22:23], s[56:57]
	;; [unrolled: 2-line block ×4, first 2 shown]
	v_cndmask_b32_e64 v26, 0, 1, s[26:27]
	v_cndmask_b32_e64 v45, 0, 1, s[18:19]
	v_cmp_ne_u32_e64 s[18:19], 0, v4
	v_cmp_ne_u32_e64 s[20:21], 0, v5
	;; [unrolled: 1-line block ×11, first 2 shown]
	s_bcnt1_i32_b64 s15, s[18:19]
	s_bcnt1_i32_b64 s18, s[20:21]
	;; [unrolled: 1-line block ×8, first 2 shown]
	v_cmp_ne_u32_e64 s[40:41], 0, v18
	v_cmp_ne_u32_e64 s[48:49], 0, v29
	s_bcnt1_i32_b64 s23, s[30:31]
	s_bcnt1_i32_b64 s26, s[38:39]
	s_bcnt1_i32_b64 s30, s[46:47]
	s_add_i32 s14, s14, s15
	s_add_i32 s15, s73, s21
	;; [unrolled: 1-line block ×4, first 2 shown]
	v_cmp_ne_u32_e64 s[34:35], 0, v13
	v_cmp_ne_u32_e64 s[42:43], 0, v26
	;; [unrolled: 1-line block ×3, first 2 shown]
	s_bcnt1_i32_b64 s27, s[40:41]
	s_bcnt1_i32_b64 s31, s[48:49]
	s_add_i32 s14, s14, s18
	s_add_i32 s15, s15, s22
	;; [unrolled: 1-line block ×4, first 2 shown]
	v_add_u32_e32 v44, s17, v44
	s_bcnt1_i32_b64 s24, s[34:35]
	s_bcnt1_i32_b64 s28, s[42:43]
	;; [unrolled: 1-line block ×3, first 2 shown]
	s_add_i32 s14, s14, s19
	s_add_i32 s15, s15, s23
	;; [unrolled: 1-line block ×4, first 2 shown]
	v_cmp_le_i32_e32 vcc, s10, v44
	s_add_i32 s14, s14, s20
	s_add_i32 s73, s15, s24
	;; [unrolled: 1-line block ×4, first 2 shown]
	v_add_u32_e32 v3, s77, v3
	s_or_b64 s[82:83], vcc, s[82:83]
	v_mov_b32_e32 v8, s14
	v_mov_b32_e32 v9, s73
	;; [unrolled: 1-line block ×4, first 2 shown]
	s_andn2_b64 exec, exec, s[82:83]
	s_cbranch_execnz .LBB25_59
; %bb.60:                               ;   in Loop: Header=BB25_8 Depth=1
	s_or_b64 exec, exec, s[82:83]
.LBB25_61:                              ;   in Loop: Header=BB25_8 Depth=1
	s_or_b64 exec, exec, s[80:81]
	v_add_u32_e32 v3, s10, v0
	v_cmp_gt_i32_e32 vcc, s7, v3
	s_and_saveexec_b64 s[28:29], vcc
	s_cbranch_execz .LBB25_65
; %bb.62:                               ;   in Loop: Header=BB25_8 Depth=1
	s_and_b32 s10, s79, 0xfe
	s_waitcnt vmcnt(0)
	v_lshlrev_b32_e32 v4, 3, v3
	s_mov_b64 s[30:31], 0
.LBB25_63:                              ;   Parent Loop BB25_8 Depth=1
                                        ; =>  This Inner Loop Header: Depth=2
	ds_read_b64 v[12:13], v4
	v_add_u32_e32 v3, s33, v3
	v_cmp_le_i32_e32 vcc, s7, v3
	v_add_u32_e32 v4, s78, v4
	s_waitcnt lgkmcnt(0)
	v_xor_b32_e32 v13, 0x80000000, v13
	v_and_b32_e32 v14, s84, v12
	v_and_b32_e32 v15, s85, v13
	v_lshrrev_b64 v[12:13], s10, v[12:13]
	v_and_b32_e32 v18, 3, v12
	v_cmp_eq_u64_e64 s[18:19], s[86:87], v[14:15]
	v_cmp_eq_u64_e64 s[20:21], 0, v[18:19]
	;; [unrolled: 1-line block ×3, first 2 shown]
	s_and_b64 s[12:13], s[18:19], s[20:21]
	v_cmp_eq_u64_e64 s[24:25], 2, v[18:19]
	v_cndmask_b32_e64 v5, 0, 1, s[12:13]
	s_and_b64 s[12:13], s[18:19], s[22:23]
	v_cmp_eq_u64_e64 s[26:27], 3, v[18:19]
	v_cndmask_b32_e64 v12, 0, 1, s[12:13]
	s_and_b64 s[12:13], s[18:19], s[24:25]
	v_cndmask_b32_e64 v13, 0, 1, s[12:13]
	s_and_b64 s[12:13], s[18:19], s[26:27]
	v_cndmask_b32_e64 v14, 0, 1, s[12:13]
	v_cmp_ne_u32_e64 s[18:19], 0, v5
	v_cmp_ne_u32_e64 s[20:21], 0, v12
	;; [unrolled: 1-line block ×4, first 2 shown]
	s_bcnt1_i32_b64 s11, s[18:19]
	s_bcnt1_i32_b64 s12, s[20:21]
	;; [unrolled: 1-line block ×4, first 2 shown]
	v_add_u32_e32 v8, s11, v8
	v_add_u32_e32 v9, s12, v9
	;; [unrolled: 1-line block ×3, first 2 shown]
	s_or_b64 s[30:31], vcc, s[30:31]
	v_add_u32_e32 v11, s14, v11
	s_andn2_b64 exec, exec, s[30:31]
	s_cbranch_execnz .LBB25_63
; %bb.64:                               ;   in Loop: Header=BB25_8 Depth=1
	s_or_b64 exec, exec, s[30:31]
	s_or_b64 s[88:89], s[88:89], exec
.LBB25_65:                              ;   in Loop: Header=BB25_8 Depth=1
	s_or_b64 exec, exec, s[28:29]
.LBB25_66:                              ;   in Loop: Header=BB25_8 Depth=1
	s_and_saveexec_b64 s[18:19], s[88:89]
	s_or_b64 exec, exec, s[18:19]
	s_lshl_b32 s7, s6, 6
	s_and_saveexec_b64 s[18:19], s[2:3]
	s_cbranch_execz .LBB25_68
; %bb.67:                               ;   in Loop: Header=BB25_8 Depth=1
	v_or_b32_e32 v3, s7, v33
	v_lshlrev_b32_e32 v3, 2, v3
	ds_write_b128 v3, v[8:11] offset:3072
.LBB25_68:                              ;   in Loop: Header=BB25_8 Depth=1
	s_or_b64 exec, exec, s[18:19]
	s_waitcnt lgkmcnt(0)
	s_barrier
	s_and_saveexec_b64 s[18:19], s[74:75]
	s_cbranch_execz .LBB25_82
; %bb.69:                               ;   in Loop: Header=BB25_8 Depth=1
	v_readlane_b32 s10, v54, 24
	v_readlane_b32 s11, v54, 25
	v_add_u32_e32 v3, s7, v23
	s_andn2_b64 vcc, exec, s[10:11]
	s_waitcnt vmcnt(0)
	v_mov_b32_e32 v4, 0
	s_cbranch_vccnz .LBB25_81
; %bb.70:                               ;   in Loop: Header=BB25_8 Depth=1
	v_readlane_b32 s12, v54, 28
	v_readlane_b32 s13, v54, 29
	s_mov_b32 s10, 0
	s_and_b64 vcc, exec, s[12:13]
	v_mov_b32_e32 v4, 0
	s_cbranch_vccz .LBB25_74
; %bb.71:                               ;   in Loop: Header=BB25_8 Depth=1
	v_readlane_b32 s10, v54, 34
	v_readlane_b32 s11, v54, 35
	v_lshl_add_u32 v8, v3, 2, v43
	s_andn2_b64 vcc, exec, s[10:11]
	s_cbranch_vccnz .LBB25_75
; %bb.72:                               ;   in Loop: Header=BB25_8 Depth=1
	s_mov_b32 s21, 1
	s_mov_b32 s20, 0
	v_mov_b32_e32 v4, 0
	v_readlane_b32 s10, v54, 36
	v_mov_b32_e32 v5, 0
.LBB25_73:                              ;   Parent Loop BB25_8 Depth=1
                                        ; =>  This Inner Loop Header: Depth=2
	v_lshl_add_u32 v9, s20, 4, v8
	v_lshl_add_u32 v18, s21, 4, v8
	ds_read2_b32 v[10:11], v9 offset1:8
	ds_read2_b32 v[12:13], v18 offset1:8
	ds_read2_b32 v[14:15], v9 offset0:16 offset1:24
	ds_read2_b32 v[26:27], v18 offset0:16 offset1:24
	;; [unrolled: 1-line block ×6, first 2 shown]
	s_waitcnt lgkmcnt(7)
	v_add3_u32 v4, v10, v4, v11
	s_waitcnt lgkmcnt(6)
	v_add3_u32 v5, v12, v5, v13
	s_waitcnt lgkmcnt(4)
	v_add3_u32 v5, v26, v5, v27
	v_add3_u32 v4, v14, v4, v15
	s_add_i32 s21, s21, 16
	s_add_i32 s20, s20, 16
	s_add_i32 s10, s10, -8
	s_waitcnt lgkmcnt(3)
	v_add3_u32 v4, v28, v4, v29
	s_waitcnt lgkmcnt(2)
	v_add3_u32 v5, v44, v5, v45
	s_cmp_lg_u32 s10, 0
	s_waitcnt lgkmcnt(0)
	v_add3_u32 v5, v48, v5, v49
	v_add3_u32 v4, v46, v4, v47
	s_cbranch_scc1 .LBB25_73
	s_branch .LBB25_76
.LBB25_74:                              ;   in Loop: Header=BB25_8 Depth=1
	s_cbranch_execnz .LBB25_79
	s_branch .LBB25_81
.LBB25_75:                              ;   in Loop: Header=BB25_8 Depth=1
	s_mov_b32 s73, s72
	v_pk_mov_b32 v[4:5], s[72:73], s[72:73] op_sel:[0,1]
	s_mov_b32 s73, 1
	s_mov_b64 s[20:21], s[72:73]
.LBB25_76:                              ;   in Loop: Header=BB25_8 Depth=1
	v_readlane_b32 s10, v54, 38
	v_readlane_b32 s11, v54, 39
	s_andn2_b64 vcc, exec, s[10:11]
	v_readlane_b32 s10, v54, 37
	s_cbranch_vccnz .LBB25_78
.LBB25_77:                              ;   Parent Loop BB25_8 Depth=1
                                        ; =>  This Inner Loop Header: Depth=2
	v_lshl_add_u32 v9, s20, 4, v8
	v_lshl_add_u32 v10, s21, 4, v8
	ds_read_b32 v10, v10
	ds_read_b32 v9, v9
	s_add_i32 s21, s21, 2
	s_add_i32 s20, s20, 2
	s_add_i32 s10, s10, -1
	s_cmp_lg_u32 s10, 0
	s_waitcnt lgkmcnt(1)
	v_add_u32_e32 v5, v10, v5
	s_waitcnt lgkmcnt(0)
	v_add_u32_e32 v4, v9, v4
	s_cbranch_scc1 .LBB25_77
.LBB25_78:                              ;   in Loop: Header=BB25_8 Depth=1
	v_readlane_b32 s20, v54, 42
	v_add_u32_e32 v4, v4, v5
	v_readlane_b32 s10, v54, 41
	v_readlane_b32 s21, v54, 43
	s_and_b64 vcc, exec, s[20:21]
	s_cbranch_vccz .LBB25_81
.LBB25_79:                              ;   in Loop: Header=BB25_8 Depth=1
	s_lshl_b32 s11, s6, 8
	s_lshl_b32 s12, s10, 4
	s_add_i32 s11, s11, s12
	v_add_u32_e32 v5, s11, v42
	v_readlane_b32 s11, v54, 40
	s_sub_i32 s10, s11, s10
.LBB25_80:                              ;   Parent Loop BB25_8 Depth=1
                                        ; =>  This Inner Loop Header: Depth=2
	ds_read_b32 v8, v5
	s_add_i32 s10, s10, -1
	v_add_u32_e32 v5, 16, v5
	s_cmp_eq_u32 s10, 0
	s_waitcnt lgkmcnt(0)
	v_add_u32_e32 v4, v8, v4
	s_cbranch_scc0 .LBB25_80
.LBB25_81:                              ;   in Loop: Header=BB25_8 Depth=1
	v_lshlrev_b32_e32 v3, 2, v3
	ds_write_b32 v3, v4 offset:3072
.LBB25_82:                              ;   in Loop: Header=BB25_8 Depth=1
	s_or_b64 exec, exec, s[18:19]
	s_lshl_b32 s7, s7, 2
	v_mov_b32_e32 v3, s7
	s_waitcnt lgkmcnt(0)
	s_barrier
	ds_read_b128 v[8:11], v3 offset:3072
	s_and_b32 s51, s79, 0xfe
	s_lshl_b64 s[20:21], 3, s51
	s_not_b64 s[30:31], s[20:21]
	s_mov_b64 s[24:25], -1
	s_waitcnt lgkmcnt(0)
	v_readfirstlane_b32 s38, v8
	s_cmp_eq_u32 s38, 1
	s_cselect_b64 s[10:11], -1, 0
	s_cmp_eq_u32 s61, 1
	s_cselect_b64 s[12:13], -1, 0
	s_and_b64 s[26:27], s[10:11], s[12:13]
	v_readfirstlane_b32 s42, v9
	v_readfirstlane_b32 s50, v10
	;; [unrolled: 1-line block ×3, first 2 shown]
	s_and_b64 vcc, exec, s[26:27]
	s_cbranch_vccz .LBB25_94
; %bb.83:                               ;   in Loop: Header=BB25_8 Depth=1
	ds_read_b32 v3, v19 offset:4096
	s_waitcnt lgkmcnt(0)
	s_barrier
	v_readfirstlane_b32 s10, v3
	s_and_saveexec_b64 s[18:19], s[4:5]
	s_cbranch_execz .LBB25_85
; %bb.84:                               ;   in Loop: Header=BB25_8 Depth=1
	v_mov_b32_e32 v18, v19
	ds_write_b64 v32, v[18:19]
.LBB25_85:                              ;   in Loop: Header=BB25_8 Depth=1
	s_or_b64 exec, exec, s[18:19]
	s_and_b64 s[86:87], s[86:87], s[30:31]
	s_or_b64 s[84:85], s[84:85], s[20:21]
	s_cmp_lt_i32 s10, 1
	s_waitcnt lgkmcnt(0)
	s_barrier
	s_cbranch_scc0 .LBB25_95
; %bb.86:                               ;   in Loop: Header=BB25_8 Depth=1
	s_mov_b64 s[18:19], 0
                                        ; implicit-def: $vgpr6_vgpr7
	s_mov_b64 s[22:23], exec
	v_readlane_b32 s12, v54, 51
	v_readlane_b32 s13, v54, 52
	s_and_b64 s[12:13], s[22:23], s[12:13]
	s_mov_b64 exec, s[12:13]
	s_cbranch_execz .LBB25_97
; %bb.87:                               ;   in Loop: Header=BB25_8 Depth=1
	s_mov_b64 s[34:35], 0
	v_mov_b32_e32 v8, v16
	v_mov_b32_e32 v10, v0
                                        ; implicit-def: $sgpr28_sgpr29
	s_branch .LBB25_89
.LBB25_88:                              ;   in Loop: Header=BB25_89 Depth=2
	s_or_b64 exec, exec, s[18:19]
	s_waitcnt lgkmcnt(0)
	s_barrier
	s_waitcnt vmcnt(0)
	ds_read_b128 v[4:7], v19 offset:3072
	v_add_u32_e32 v10, s33, v10
	v_cmp_le_i32_e32 vcc, s1, v10
	v_add_u32_e32 v8, s0, v8
	s_waitcnt lgkmcnt(0)
	v_readfirstlane_b32 s13, v5
	v_readfirstlane_b32 s12, v4
	s_cmp_lg_u64 s[12:13], 0
	s_cselect_b64 s[12:13], -1, 0
	s_or_b64 s[14:15], vcc, s[12:13]
	s_and_b64 s[14:15], exec, s[14:15]
	s_or_b64 s[34:35], s[14:15], s[34:35]
	s_andn2_b64 s[14:15], s[28:29], exec
	s_and_b64 s[12:13], s[12:13], exec
	s_or_b64 s[28:29], s[14:15], s[12:13]
	s_barrier
	s_andn2_b64 exec, exec, s[34:35]
	s_cbranch_execz .LBB25_96
.LBB25_89:                              ;   Parent Loop BB25_8 Depth=1
                                        ; =>  This Inner Loop Header: Depth=2
	v_cmp_gt_i32_e32 vcc, s60, v10
	s_waitcnt vmcnt(0)
	v_pk_mov_b32 v[4:5], 0, 0
	s_and_saveexec_b64 s[36:37], vcc
	s_cbranch_execz .LBB25_91
; %bb.90:                               ;   in Loop: Header=BB25_89 Depth=2
	v_ashrrev_i32_e32 v9, 31, v8
	v_lshlrev_b64 v[4:5], 3, v[8:9]
	v_mov_b32_e32 v3, s16
	v_add_co_u32_e64 v4, s[18:19], s62, v4
	v_addc_co_u32_e64 v5, s[18:19], v3, v5, s[18:19]
	global_load_dwordx2 v[4:5], v[4:5], off
.LBB25_91:                              ;   in Loop: Header=BB25_89 Depth=2
	s_or_b64 exec, exec, s[36:37]
	s_and_saveexec_b64 s[18:19], vcc
	s_cbranch_execz .LBB25_88
; %bb.92:                               ;   in Loop: Header=BB25_89 Depth=2
	s_waitcnt vmcnt(0)
	v_xor_b32_e32 v3, 0x80000000, v5
	v_and_b32_e32 v7, s85, v3
	v_and_b32_e32 v6, s84, v4
	v_cmp_eq_u64_e32 vcc, s[86:87], v[6:7]
	s_and_b64 exec, exec, vcc
	s_cbranch_execz .LBB25_88
; %bb.93:                               ;   in Loop: Header=BB25_89 Depth=2
	v_mov_b32_e32 v3, v19
	ds_write_b128 v19, v[2:5] offset:3072
	s_branch .LBB25_88
.LBB25_94:                              ;   in Loop: Header=BB25_8 Depth=1
	s_mov_b64 s[18:19], -1
                                        ; implicit-def: $sgpr22_sgpr23
                                        ; implicit-def: $sgpr34_sgpr35
                                        ; implicit-def: $sgpr28_sgpr29
	s_branch .LBB25_108
.LBB25_95:                              ;   in Loop: Header=BB25_8 Depth=1
	s_mov_b64 s[22:23], -1
	s_mov_b64 s[18:19], 0
                                        ; implicit-def: $sgpr28_sgpr29
                                        ; implicit-def: $vgpr6_vgpr7
	s_mov_b64 s[34:35], s[22:23]
	s_cbranch_execnz .LBB25_98
	s_branch .LBB25_108
.LBB25_96:                              ;   in Loop: Header=BB25_8 Depth=1
	s_or_b64 exec, exec, s[34:35]
	s_and_b64 s[18:19], s[28:29], exec
.LBB25_97:                              ;   in Loop: Header=BB25_8 Depth=1
	s_or_b64 exec, exec, s[22:23]
	s_mov_b64 s[28:29], -1
	s_mov_b64 s[22:23], 0
	s_mov_b64 s[34:35], s[22:23]
	s_branch .LBB25_108
.LBB25_98:                              ;   in Loop: Header=BB25_8 Depth=1
	v_readlane_b32 s11, v54, 21
	s_add_i32 s11, s10, s11
	s_abs_i32 s13, s11
	v_readlane_b32 s14, v54, 50
	s_mul_hi_u32 s14, s13, s14
	s_mul_i32 s14, s14, s33
	s_sub_i32 s13, s13, s14
	s_ashr_i32 s12, s11, 31
	s_sub_i32 s14, s13, s33
	s_cmp_ge_u32 s13, s33
	s_cselect_b32 s13, s14, s13
	s_sub_i32 s14, s13, s33
	s_cmp_ge_u32 s13, s33
	s_cselect_b32 s13, s14, s13
	s_xor_b32 s13, s13, s12
	s_sub_i32 s12, s12, s13
	s_add_i32 s11, s11, s12
	v_cmp_gt_i32_e32 vcc, s11, v0
	s_mov_b64 s[18:19], 0
                                        ; implicit-def: $vgpr6_vgpr7
	s_and_saveexec_b64 s[22:23], vcc
	s_cbranch_execz .LBB25_107
; %bb.99:                               ;   in Loop: Header=BB25_8 Depth=1
	s_mov_b64 s[28:29], 0
	v_mov_b32_e32 v8, v31
	v_mov_b32_e32 v9, v0
                                        ; implicit-def: $sgpr18_sgpr19
	s_branch .LBB25_101
.LBB25_100:                             ;   in Loop: Header=BB25_101 Depth=2
	s_or_b64 exec, exec, s[34:35]
	s_waitcnt lgkmcnt(0)
	s_barrier
	ds_read_b128 v[4:7], v19 offset:3072
	v_add_u32_e32 v9, s33, v9
	v_cmp_le_i32_e32 vcc, s11, v9
	v_add_u32_e32 v8, s78, v8
	s_waitcnt lgkmcnt(0)
	v_readfirstlane_b32 s13, v5
	v_readfirstlane_b32 s12, v4
	s_cmp_lg_u64 s[12:13], 0
	s_cselect_b64 s[12:13], -1, 0
	s_or_b64 s[14:15], vcc, s[12:13]
	s_and_b64 s[14:15], exec, s[14:15]
	s_or_b64 s[28:29], s[14:15], s[28:29]
	s_andn2_b64 s[14:15], s[18:19], exec
	s_and_b64 s[12:13], s[12:13], exec
	s_or_b64 s[18:19], s[14:15], s[12:13]
	s_barrier
	s_andn2_b64 exec, exec, s[28:29]
	s_cbranch_execz .LBB25_106
.LBB25_101:                             ;   Parent Loop BB25_8 Depth=1
                                        ; =>  This Inner Loop Header: Depth=2
	v_cmp_gt_i32_e32 vcc, s10, v9
	s_waitcnt vmcnt(0)
	v_pk_mov_b32 v[4:5], 0, 0
	s_and_saveexec_b64 s[34:35], vcc
	s_cbranch_execz .LBB25_103
; %bb.102:                              ;   in Loop: Header=BB25_101 Depth=2
	ds_read_b64 v[4:5], v8
.LBB25_103:                             ;   in Loop: Header=BB25_101 Depth=2
	s_or_b64 exec, exec, s[34:35]
	s_and_saveexec_b64 s[34:35], vcc
	s_cbranch_execz .LBB25_100
; %bb.104:                              ;   in Loop: Header=BB25_101 Depth=2
	s_waitcnt lgkmcnt(0)
	v_xor_b32_e32 v3, 0x80000000, v5
	v_and_b32_e32 v7, s85, v3
	v_and_b32_e32 v6, s84, v4
	v_cmp_eq_u64_e32 vcc, s[86:87], v[6:7]
	s_and_b64 exec, exec, vcc
	s_cbranch_execz .LBB25_100
; %bb.105:                              ;   in Loop: Header=BB25_101 Depth=2
	v_mov_b32_e32 v3, v19
	ds_write_b128 v19, v[2:5] offset:3072
	s_branch .LBB25_100
.LBB25_106:                             ;   in Loop: Header=BB25_8 Depth=1
	s_or_b64 exec, exec, s[28:29]
	s_and_b64 s[18:19], s[18:19], exec
.LBB25_107:                             ;   in Loop: Header=BB25_8 Depth=1
	s_or_b64 exec, exec, s[22:23]
	s_mov_b64 s[34:35], -1
	s_mov_b64 s[22:23], 0
	s_mov_b64 s[28:29], 0
.LBB25_108:                             ;   in Loop: Header=BB25_8 Depth=1
	s_andn2_b64 s[10:11], s[70:71], exec
	s_and_b64 s[12:13], s[22:23], exec
	s_or_b64 s[70:71], s[10:11], s[12:13]
	s_andn2_b64 s[10:11], s[68:69], exec
	s_and_b64 s[12:13], s[34:35], exec
	s_or_b64 s[68:69], s[10:11], s[12:13]
	;; [unrolled: 3-line block ×3, first 2 shown]
	s_and_saveexec_b64 s[22:23], s[18:19]
	s_cbranch_execz .LBB25_7
; %bb.109:                              ;   in Loop: Header=BB25_8 Depth=1
	s_xor_b64 s[10:11], s[26:27], -1
	s_mov_b64 s[18:19], 0
	s_andn2_b64 vcc, exec, s[10:11]
	s_mov_b32 s43, 1
	s_cbranch_vccnz .LBB25_120
; %bb.110:                              ;   in Loop: Header=BB25_8 Depth=1
	s_cmp_gt_i32 s61, s38
	s_mov_b64 s[18:19], -1
                                        ; implicit-def: $sgpr57
                                        ; implicit-def: $sgpr24_sgpr25
                                        ; implicit-def: $sgpr26_sgpr27
	s_cbranch_scc1 .LBB25_116
; %bb.111:                              ;   in Loop: Header=BB25_8 Depth=1
	ds_read_b32 v3, v19 offset:4096
	s_waitcnt lgkmcnt(0)
	v_cmp_ne_u32_e32 vcc, 0, v3
	s_cbranch_vccnz .LBB25_115
; %bb.112:                              ;   in Loop: Header=BB25_8 Depth=1
	s_mov_b64 s[18:19], exec
	v_readlane_b32 s10, v54, 12
	v_readlane_b32 s11, v54, 13
	s_and_b64 s[10:11], s[18:19], s[10:11]
	s_mov_b64 exec, s[10:11]
	s_cbranch_execz .LBB25_114
; %bb.113:                              ;   in Loop: Header=BB25_8 Depth=1
	v_mov_b32_e32 v3, s38
	ds_write_b32 v19, v3 offset:4100
.LBB25_114:                             ;   in Loop: Header=BB25_8 Depth=1
	s_or_b64 exec, exec, s[18:19]
	s_waitcnt lgkmcnt(0)
	s_barrier
.LBB25_115:                             ;   in Loop: Header=BB25_8 Depth=1
	s_and_b64 s[24:25], s[86:87], s[30:31]
	s_or_b64 s[26:27], s[84:85], s[20:21]
	s_mov_b64 s[18:19], 0
	s_mov_b32 s57, 8
.LBB25_116:                             ;   in Loop: Header=BB25_8 Depth=1
	s_andn2_b64 vcc, exec, s[18:19]
	s_cbranch_vccnz .LBB25_118
; %bb.117:                              ;   in Loop: Header=BB25_8 Depth=1
	s_sub_i32 s61, s61, s38
	s_mov_b64 s[18:19], -1
	s_mov_b32 s57, 0
	s_mov_b64 s[24:25], s[86:87]
	s_mov_b64 s[26:27], s[84:85]
.LBB25_118:                             ;   in Loop: Header=BB25_8 Depth=1
	s_mov_b64 s[84:85], s[26:27]
	s_mov_b64 s[86:87], s[24:25]
	s_mov_b32 s43, s61
	s_mov_b64 s[24:25], -1
	s_and_b64 vcc, exec, s[18:19]
	s_cbranch_vccnz .LBB25_121
.LBB25_119:                             ;   in Loop: Header=BB25_8 Depth=1
	s_mov_b64 s[40:41], -1
                                        ; implicit-def: $sgpr26_sgpr27
                                        ; implicit-def: $sgpr34_sgpr35
                                        ; implicit-def: $sgpr28_sgpr29
	s_and_saveexec_b64 s[10:11], s[40:41]
	s_xor_b64 s[18:19], exec, s[10:11]
	s_cbranch_execz .LBB25_6
	s_branch .LBB25_244
.LBB25_120:                             ;   in Loop: Header=BB25_8 Depth=1
	s_mov_b32 s57, 1
	s_mov_b64 s[24:25], -1
	s_and_b64 vcc, exec, s[18:19]
	s_cbranch_vccz .LBB25_119
.LBB25_121:                             ;   in Loop: Header=BB25_8 Depth=1
	s_cmp_eq_u32 s42, 1
	s_cselect_b64 s[10:11], -1, 0
	s_cmp_eq_u32 s43, 1
	s_cselect_b64 s[12:13], -1, 0
	s_and_b64 s[38:39], s[10:11], s[12:13]
	s_mov_b64 s[18:19], -1
	s_and_b64 vcc, exec, s[38:39]
	s_cbranch_vccz .LBB25_133
; %bb.122:                              ;   in Loop: Header=BB25_8 Depth=1
	ds_read_b32 v3, v19 offset:4096
	s_waitcnt lgkmcnt(0)
	s_barrier
	v_readfirstlane_b32 s10, v3
	s_and_saveexec_b64 s[18:19], s[4:5]
	s_cbranch_execz .LBB25_124
; %bb.123:                              ;   in Loop: Header=BB25_8 Depth=1
	v_mov_b32_e32 v18, v19
	ds_write_b64 v32, v[18:19]
.LBB25_124:                             ;   in Loop: Header=BB25_8 Depth=1
	s_or_b64 exec, exec, s[18:19]
	s_lshl_b64 s[12:13], 1, s51
	s_and_b64 s[14:15], s[86:87], s[30:31]
	s_or_b64 s[86:87], s[14:15], s[12:13]
	s_or_b64 s[84:85], s[84:85], s[20:21]
	s_cmp_gt_i32 s10, 0
	s_waitcnt lgkmcnt(0)
	s_barrier
	s_cbranch_scc1 .LBB25_134
; %bb.125:                              ;   in Loop: Header=BB25_8 Depth=1
	s_mov_b64 s[18:19], 0
                                        ; implicit-def: $vgpr6_vgpr7
	s_mov_b64 s[26:27], exec
	v_readlane_b32 s12, v54, 51
	v_readlane_b32 s13, v54, 52
	s_and_b64 s[12:13], s[26:27], s[12:13]
	s_mov_b64 exec, s[12:13]
	s_cbranch_execz .LBB25_136
; %bb.126:                              ;   in Loop: Header=BB25_8 Depth=1
	s_mov_b64 s[34:35], 0
	v_mov_b32_e32 v8, v16
	v_mov_b32_e32 v10, v0
                                        ; implicit-def: $sgpr28_sgpr29
	s_branch .LBB25_128
.LBB25_127:                             ;   in Loop: Header=BB25_128 Depth=2
	s_or_b64 exec, exec, s[18:19]
	s_waitcnt lgkmcnt(0)
	s_barrier
	s_waitcnt vmcnt(0)
	ds_read_b128 v[4:7], v19 offset:3072
	v_add_u32_e32 v10, s33, v10
	v_cmp_le_i32_e32 vcc, s1, v10
	v_add_u32_e32 v8, s0, v8
	s_waitcnt lgkmcnt(0)
	v_readfirstlane_b32 s13, v5
	v_readfirstlane_b32 s12, v4
	s_cmp_lg_u64 s[12:13], 0
	s_cselect_b64 s[12:13], -1, 0
	s_or_b64 s[14:15], vcc, s[12:13]
	s_and_b64 s[14:15], exec, s[14:15]
	s_or_b64 s[34:35], s[14:15], s[34:35]
	s_andn2_b64 s[14:15], s[28:29], exec
	s_and_b64 s[12:13], s[12:13], exec
	s_or_b64 s[28:29], s[14:15], s[12:13]
	s_barrier
	s_andn2_b64 exec, exec, s[34:35]
	s_cbranch_execz .LBB25_135
.LBB25_128:                             ;   Parent Loop BB25_8 Depth=1
                                        ; =>  This Inner Loop Header: Depth=2
	v_cmp_gt_i32_e32 vcc, s60, v10
	s_waitcnt vmcnt(0)
	v_pk_mov_b32 v[4:5], 0, 0
	s_and_saveexec_b64 s[36:37], vcc
	s_cbranch_execz .LBB25_130
; %bb.129:                              ;   in Loop: Header=BB25_128 Depth=2
	v_ashrrev_i32_e32 v9, 31, v8
	v_lshlrev_b64 v[4:5], 3, v[8:9]
	v_mov_b32_e32 v3, s16
	v_add_co_u32_e64 v4, s[18:19], s62, v4
	v_addc_co_u32_e64 v5, s[18:19], v3, v5, s[18:19]
	global_load_dwordx2 v[4:5], v[4:5], off
.LBB25_130:                             ;   in Loop: Header=BB25_128 Depth=2
	s_or_b64 exec, exec, s[36:37]
	s_and_saveexec_b64 s[18:19], vcc
	s_cbranch_execz .LBB25_127
; %bb.131:                              ;   in Loop: Header=BB25_128 Depth=2
	s_waitcnt vmcnt(0)
	v_xor_b32_e32 v3, 0x80000000, v5
	v_and_b32_e32 v7, s85, v3
	v_and_b32_e32 v6, s84, v4
	v_cmp_eq_u64_e32 vcc, s[86:87], v[6:7]
	s_and_b64 exec, exec, vcc
	s_cbranch_execz .LBB25_127
; %bb.132:                              ;   in Loop: Header=BB25_128 Depth=2
	v_mov_b32_e32 v3, v19
	ds_write_b128 v19, v[2:5] offset:3072
	s_branch .LBB25_127
.LBB25_133:                             ;   in Loop: Header=BB25_8 Depth=1
                                        ; implicit-def: $sgpr28_sgpr29
                                        ; implicit-def: $sgpr34_sgpr35
                                        ; implicit-def: $sgpr26_sgpr27
	s_branch .LBB25_147
.LBB25_134:                             ;   in Loop: Header=BB25_8 Depth=1
	s_mov_b64 s[28:29], -1
	s_mov_b64 s[18:19], 0
                                        ; implicit-def: $sgpr26_sgpr27
                                        ; implicit-def: $vgpr6_vgpr7
	s_mov_b64 s[34:35], s[28:29]
	s_cbranch_execnz .LBB25_137
	s_branch .LBB25_147
.LBB25_135:                             ;   in Loop: Header=BB25_8 Depth=1
	s_or_b64 exec, exec, s[34:35]
	s_and_b64 s[18:19], s[28:29], exec
.LBB25_136:                             ;   in Loop: Header=BB25_8 Depth=1
	s_or_b64 exec, exec, s[26:27]
	s_mov_b64 s[26:27], -1
	s_mov_b64 s[28:29], 0
	s_mov_b64 s[34:35], s[28:29]
	s_branch .LBB25_147
.LBB25_137:                             ;   in Loop: Header=BB25_8 Depth=1
	v_readlane_b32 s11, v54, 21
	s_add_i32 s11, s10, s11
	s_abs_i32 s13, s11
	v_readlane_b32 s14, v54, 50
	s_mul_hi_u32 s14, s13, s14
	s_mul_i32 s14, s14, s33
	s_sub_i32 s13, s13, s14
	s_ashr_i32 s12, s11, 31
	s_sub_i32 s14, s13, s33
	s_cmp_ge_u32 s13, s33
	s_cselect_b32 s13, s14, s13
	s_sub_i32 s14, s13, s33
	s_cmp_ge_u32 s13, s33
	s_cselect_b32 s13, s14, s13
	s_xor_b32 s13, s13, s12
	s_sub_i32 s12, s12, s13
	s_add_i32 s11, s11, s12
	v_cmp_gt_i32_e32 vcc, s11, v0
	s_mov_b64 s[18:19], 0
                                        ; implicit-def: $vgpr6_vgpr7
	s_and_saveexec_b64 s[26:27], vcc
	s_cbranch_execz .LBB25_146
; %bb.138:                              ;   in Loop: Header=BB25_8 Depth=1
	s_mov_b64 s[28:29], 0
	v_mov_b32_e32 v8, v31
	v_mov_b32_e32 v9, v0
                                        ; implicit-def: $sgpr18_sgpr19
	s_branch .LBB25_140
.LBB25_139:                             ;   in Loop: Header=BB25_140 Depth=2
	s_or_b64 exec, exec, s[34:35]
	s_waitcnt lgkmcnt(0)
	s_barrier
	ds_read_b128 v[4:7], v19 offset:3072
	v_add_u32_e32 v9, s33, v9
	v_cmp_le_i32_e32 vcc, s11, v9
	v_add_u32_e32 v8, s78, v8
	s_waitcnt lgkmcnt(0)
	v_readfirstlane_b32 s13, v5
	v_readfirstlane_b32 s12, v4
	s_cmp_lg_u64 s[12:13], 0
	s_cselect_b64 s[12:13], -1, 0
	s_or_b64 s[14:15], vcc, s[12:13]
	s_and_b64 s[14:15], exec, s[14:15]
	s_or_b64 s[28:29], s[14:15], s[28:29]
	s_andn2_b64 s[14:15], s[18:19], exec
	s_and_b64 s[12:13], s[12:13], exec
	s_or_b64 s[18:19], s[14:15], s[12:13]
	s_barrier
	s_andn2_b64 exec, exec, s[28:29]
	s_cbranch_execz .LBB25_145
.LBB25_140:                             ;   Parent Loop BB25_8 Depth=1
                                        ; =>  This Inner Loop Header: Depth=2
	v_cmp_gt_i32_e32 vcc, s10, v9
	s_waitcnt vmcnt(0)
	v_pk_mov_b32 v[4:5], 0, 0
	s_and_saveexec_b64 s[34:35], vcc
	s_cbranch_execz .LBB25_142
; %bb.141:                              ;   in Loop: Header=BB25_140 Depth=2
	ds_read_b64 v[4:5], v8
.LBB25_142:                             ;   in Loop: Header=BB25_140 Depth=2
	s_or_b64 exec, exec, s[34:35]
	s_and_saveexec_b64 s[34:35], vcc
	s_cbranch_execz .LBB25_139
; %bb.143:                              ;   in Loop: Header=BB25_140 Depth=2
	s_waitcnt lgkmcnt(0)
	v_xor_b32_e32 v3, 0x80000000, v5
	v_and_b32_e32 v7, s85, v3
	v_and_b32_e32 v6, s84, v4
	v_cmp_eq_u64_e32 vcc, s[86:87], v[6:7]
	s_and_b64 exec, exec, vcc
	s_cbranch_execz .LBB25_139
; %bb.144:                              ;   in Loop: Header=BB25_140 Depth=2
	v_mov_b32_e32 v3, v19
	ds_write_b128 v19, v[2:5] offset:3072
	s_branch .LBB25_139
.LBB25_145:                             ;   in Loop: Header=BB25_8 Depth=1
	s_or_b64 exec, exec, s[28:29]
	s_and_b64 s[18:19], s[18:19], exec
.LBB25_146:                             ;   in Loop: Header=BB25_8 Depth=1
	s_or_b64 exec, exec, s[26:27]
	s_mov_b64 s[34:35], -1
	s_mov_b64 s[28:29], 0
	s_mov_b64 s[26:27], 0
.LBB25_147:                             ;   in Loop: Header=BB25_8 Depth=1
	s_mov_b64 s[40:41], 0
                                        ; implicit-def: $sgpr57
	s_and_saveexec_b64 s[36:37], s[18:19]
	s_cbranch_execz .LBB25_243
; %bb.148:                              ;   in Loop: Header=BB25_8 Depth=1
	s_xor_b64 s[10:11], s[38:39], -1
	s_mov_b64 s[18:19], 0
	s_andn2_b64 vcc, exec, s[10:11]
	s_mov_b32 s52, 1
	s_cbranch_vccnz .LBB25_159
; %bb.149:                              ;   in Loop: Header=BB25_8 Depth=1
	s_cmp_gt_i32 s43, s42
	s_mov_b64 s[18:19], -1
                                        ; implicit-def: $sgpr57
                                        ; implicit-def: $sgpr38_sgpr39
                                        ; implicit-def: $sgpr40_sgpr41
	s_cbranch_scc1 .LBB25_155
; %bb.150:                              ;   in Loop: Header=BB25_8 Depth=1
	ds_read_b32 v3, v19 offset:4096
	s_waitcnt lgkmcnt(0)
	v_cmp_ne_u32_e32 vcc, 0, v3
	s_cbranch_vccnz .LBB25_154
; %bb.151:                              ;   in Loop: Header=BB25_8 Depth=1
	s_mov_b64 s[18:19], exec
	v_readlane_b32 s10, v54, 12
	v_readlane_b32 s11, v54, 13
	s_and_b64 s[10:11], s[18:19], s[10:11]
	s_mov_b64 exec, s[10:11]
	s_cbranch_execz .LBB25_153
; %bb.152:                              ;   in Loop: Header=BB25_8 Depth=1
	v_mov_b32_e32 v3, s42
	ds_write_b32 v19, v3 offset:4100
.LBB25_153:                             ;   in Loop: Header=BB25_8 Depth=1
	s_or_b64 exec, exec, s[18:19]
	s_waitcnt lgkmcnt(0)
	s_barrier
.LBB25_154:                             ;   in Loop: Header=BB25_8 Depth=1
	s_lshl_b64 s[10:11], 1, s51
	s_and_b64 s[12:13], s[86:87], s[30:31]
	s_or_b64 s[38:39], s[12:13], s[10:11]
	s_or_b64 s[40:41], s[84:85], s[20:21]
	s_mov_b64 s[18:19], 0
	s_mov_b32 s57, 8
.LBB25_155:                             ;   in Loop: Header=BB25_8 Depth=1
	s_andn2_b64 vcc, exec, s[18:19]
	s_cbranch_vccnz .LBB25_157
; %bb.156:                              ;   in Loop: Header=BB25_8 Depth=1
	s_sub_i32 s43, s43, s42
	s_mov_b64 s[18:19], -1
	s_mov_b32 s57, 0
	s_mov_b64 s[38:39], s[86:87]
	s_mov_b64 s[40:41], s[84:85]
.LBB25_157:                             ;   in Loop: Header=BB25_8 Depth=1
	s_mov_b64 s[84:85], s[40:41]
	s_mov_b64 s[86:87], s[38:39]
	s_mov_b32 s52, s43
	s_andn2_b64 vcc, exec, s[18:19]
	s_mov_b64 s[48:49], -1
	s_cbranch_vccz .LBB25_160
.LBB25_158:                             ;   in Loop: Header=BB25_8 Depth=1
                                        ; implicit-def: $sgpr40_sgpr41
                                        ; implicit-def: $sgpr42_sgpr43
                                        ; implicit-def: $sgpr38_sgpr39
	s_branch .LBB25_242
.LBB25_159:                             ;   in Loop: Header=BB25_8 Depth=1
	s_mov_b32 s57, 1
	s_andn2_b64 vcc, exec, s[18:19]
	s_mov_b64 s[48:49], -1
	s_cbranch_vccnz .LBB25_158
.LBB25_160:                             ;   in Loop: Header=BB25_8 Depth=1
	s_cmp_eq_u32 s50, 1
	s_cselect_b64 s[10:11], -1, 0
	s_cmp_eq_u32 s52, 1
	s_cselect_b64 s[12:13], -1, 0
	s_and_b64 s[46:47], s[10:11], s[12:13]
	s_mov_b64 s[18:19], -1
	s_and_b64 vcc, exec, s[46:47]
	s_cbranch_vccz .LBB25_172
; %bb.161:                              ;   in Loop: Header=BB25_8 Depth=1
	ds_read_b32 v3, v19 offset:4096
	s_waitcnt lgkmcnt(0)
	s_barrier
	v_readfirstlane_b32 s10, v3
	s_and_saveexec_b64 s[18:19], s[4:5]
	s_cbranch_execz .LBB25_163
; %bb.162:                              ;   in Loop: Header=BB25_8 Depth=1
	v_mov_b32_e32 v18, v19
	ds_write_b64 v32, v[18:19]
.LBB25_163:                             ;   in Loop: Header=BB25_8 Depth=1
	s_or_b64 exec, exec, s[18:19]
	s_lshl_b64 s[12:13], 2, s51
	s_and_b64 s[14:15], s[86:87], s[30:31]
	s_or_b64 s[86:87], s[14:15], s[12:13]
	s_or_b64 s[84:85], s[84:85], s[20:21]
	s_cmp_gt_i32 s10, 0
	s_waitcnt lgkmcnt(0)
	s_barrier
	s_cbranch_scc1 .LBB25_173
; %bb.164:                              ;   in Loop: Header=BB25_8 Depth=1
	s_mov_b64 s[18:19], 0
                                        ; implicit-def: $vgpr6_vgpr7
	s_mov_b64 s[38:39], exec
	v_readlane_b32 s12, v54, 51
	v_readlane_b32 s13, v54, 52
	s_and_b64 s[12:13], s[38:39], s[12:13]
	s_mov_b64 exec, s[12:13]
	s_cbranch_execz .LBB25_175
; %bb.165:                              ;   in Loop: Header=BB25_8 Depth=1
	s_mov_b64 s[42:43], 0
	v_mov_b32_e32 v8, v16
	v_mov_b32_e32 v10, v0
                                        ; implicit-def: $sgpr40_sgpr41
	s_branch .LBB25_167
.LBB25_166:                             ;   in Loop: Header=BB25_167 Depth=2
	s_or_b64 exec, exec, s[18:19]
	s_waitcnt lgkmcnt(0)
	s_barrier
	s_waitcnt vmcnt(0)
	ds_read_b128 v[4:7], v19 offset:3072
	v_add_u32_e32 v10, s33, v10
	v_cmp_le_i32_e32 vcc, s1, v10
	v_add_u32_e32 v8, s0, v8
	s_waitcnt lgkmcnt(0)
	v_readfirstlane_b32 s13, v5
	v_readfirstlane_b32 s12, v4
	s_cmp_lg_u64 s[12:13], 0
	s_cselect_b64 s[12:13], -1, 0
	s_or_b64 s[14:15], vcc, s[12:13]
	s_and_b64 s[14:15], exec, s[14:15]
	s_or_b64 s[42:43], s[14:15], s[42:43]
	s_andn2_b64 s[14:15], s[40:41], exec
	s_and_b64 s[12:13], s[12:13], exec
	s_or_b64 s[40:41], s[14:15], s[12:13]
	s_barrier
	s_andn2_b64 exec, exec, s[42:43]
	s_cbranch_execz .LBB25_174
.LBB25_167:                             ;   Parent Loop BB25_8 Depth=1
                                        ; =>  This Inner Loop Header: Depth=2
	v_cmp_gt_i32_e32 vcc, s60, v10
	s_waitcnt vmcnt(0)
	v_pk_mov_b32 v[4:5], 0, 0
	s_and_saveexec_b64 s[44:45], vcc
	s_cbranch_execz .LBB25_169
; %bb.168:                              ;   in Loop: Header=BB25_167 Depth=2
	v_ashrrev_i32_e32 v9, 31, v8
	v_lshlrev_b64 v[4:5], 3, v[8:9]
	v_mov_b32_e32 v3, s16
	v_add_co_u32_e64 v4, s[18:19], s62, v4
	v_addc_co_u32_e64 v5, s[18:19], v3, v5, s[18:19]
	global_load_dwordx2 v[4:5], v[4:5], off
.LBB25_169:                             ;   in Loop: Header=BB25_167 Depth=2
	s_or_b64 exec, exec, s[44:45]
	s_and_saveexec_b64 s[18:19], vcc
	s_cbranch_execz .LBB25_166
; %bb.170:                              ;   in Loop: Header=BB25_167 Depth=2
	s_waitcnt vmcnt(0)
	v_xor_b32_e32 v3, 0x80000000, v5
	v_and_b32_e32 v7, s85, v3
	v_and_b32_e32 v6, s84, v4
	v_cmp_eq_u64_e32 vcc, s[86:87], v[6:7]
	s_and_b64 exec, exec, vcc
	s_cbranch_execz .LBB25_166
; %bb.171:                              ;   in Loop: Header=BB25_167 Depth=2
	v_mov_b32_e32 v3, v19
	ds_write_b128 v19, v[2:5] offset:3072
	s_branch .LBB25_166
.LBB25_172:                             ;   in Loop: Header=BB25_8 Depth=1
                                        ; implicit-def: $sgpr38_sgpr39
                                        ; implicit-def: $sgpr42_sgpr43
                                        ; implicit-def: $sgpr40_sgpr41
	s_branch .LBB25_186
.LBB25_173:                             ;   in Loop: Header=BB25_8 Depth=1
	s_mov_b64 s[38:39], -1
	s_mov_b64 s[18:19], 0
                                        ; implicit-def: $sgpr40_sgpr41
                                        ; implicit-def: $vgpr6_vgpr7
	s_mov_b64 s[42:43], s[38:39]
	s_cbranch_execnz .LBB25_176
	s_branch .LBB25_186
.LBB25_174:                             ;   in Loop: Header=BB25_8 Depth=1
	s_or_b64 exec, exec, s[42:43]
	s_and_b64 s[18:19], s[40:41], exec
.LBB25_175:                             ;   in Loop: Header=BB25_8 Depth=1
	s_or_b64 exec, exec, s[38:39]
	s_mov_b64 s[40:41], -1
	s_mov_b64 s[38:39], 0
	s_mov_b64 s[42:43], s[38:39]
	s_branch .LBB25_186
.LBB25_176:                             ;   in Loop: Header=BB25_8 Depth=1
	v_readlane_b32 s11, v54, 21
	s_add_i32 s11, s10, s11
	s_abs_i32 s13, s11
	v_readlane_b32 s14, v54, 50
	s_mul_hi_u32 s14, s13, s14
	s_mul_i32 s14, s14, s33
	s_sub_i32 s13, s13, s14
	s_ashr_i32 s12, s11, 31
	s_sub_i32 s14, s13, s33
	s_cmp_ge_u32 s13, s33
	s_cselect_b32 s13, s14, s13
	s_sub_i32 s14, s13, s33
	s_cmp_ge_u32 s13, s33
	s_cselect_b32 s13, s14, s13
	s_xor_b32 s13, s13, s12
	s_sub_i32 s12, s12, s13
	s_add_i32 s11, s11, s12
	v_cmp_gt_i32_e32 vcc, s11, v0
	s_mov_b64 s[18:19], 0
                                        ; implicit-def: $vgpr6_vgpr7
	s_and_saveexec_b64 s[38:39], vcc
	s_cbranch_execz .LBB25_185
; %bb.177:                              ;   in Loop: Header=BB25_8 Depth=1
	s_mov_b64 s[40:41], 0
	v_mov_b32_e32 v8, v31
	v_mov_b32_e32 v9, v0
                                        ; implicit-def: $sgpr18_sgpr19
	s_branch .LBB25_179
.LBB25_178:                             ;   in Loop: Header=BB25_179 Depth=2
	s_or_b64 exec, exec, s[42:43]
	s_waitcnt lgkmcnt(0)
	s_barrier
	ds_read_b128 v[4:7], v19 offset:3072
	v_add_u32_e32 v9, s33, v9
	v_cmp_le_i32_e32 vcc, s11, v9
	v_add_u32_e32 v8, s78, v8
	s_waitcnt lgkmcnt(0)
	v_readfirstlane_b32 s13, v5
	v_readfirstlane_b32 s12, v4
	s_cmp_lg_u64 s[12:13], 0
	s_cselect_b64 s[12:13], -1, 0
	s_or_b64 s[14:15], vcc, s[12:13]
	s_and_b64 s[14:15], exec, s[14:15]
	s_or_b64 s[40:41], s[14:15], s[40:41]
	s_andn2_b64 s[14:15], s[18:19], exec
	s_and_b64 s[12:13], s[12:13], exec
	s_or_b64 s[18:19], s[14:15], s[12:13]
	s_barrier
	s_andn2_b64 exec, exec, s[40:41]
	s_cbranch_execz .LBB25_184
.LBB25_179:                             ;   Parent Loop BB25_8 Depth=1
                                        ; =>  This Inner Loop Header: Depth=2
	v_cmp_gt_i32_e32 vcc, s10, v9
	s_waitcnt vmcnt(0)
	v_pk_mov_b32 v[4:5], 0, 0
	s_and_saveexec_b64 s[42:43], vcc
	s_cbranch_execz .LBB25_181
; %bb.180:                              ;   in Loop: Header=BB25_179 Depth=2
	ds_read_b64 v[4:5], v8
.LBB25_181:                             ;   in Loop: Header=BB25_179 Depth=2
	s_or_b64 exec, exec, s[42:43]
	s_and_saveexec_b64 s[42:43], vcc
	s_cbranch_execz .LBB25_178
; %bb.182:                              ;   in Loop: Header=BB25_179 Depth=2
	s_waitcnt lgkmcnt(0)
	v_xor_b32_e32 v3, 0x80000000, v5
	v_and_b32_e32 v7, s85, v3
	v_and_b32_e32 v6, s84, v4
	v_cmp_eq_u64_e32 vcc, s[86:87], v[6:7]
	s_and_b64 exec, exec, vcc
	s_cbranch_execz .LBB25_178
; %bb.183:                              ;   in Loop: Header=BB25_179 Depth=2
	v_mov_b32_e32 v3, v19
	ds_write_b128 v19, v[2:5] offset:3072
	s_branch .LBB25_178
.LBB25_184:                             ;   in Loop: Header=BB25_8 Depth=1
	s_or_b64 exec, exec, s[40:41]
	s_and_b64 s[18:19], s[18:19], exec
.LBB25_185:                             ;   in Loop: Header=BB25_8 Depth=1
	s_or_b64 exec, exec, s[38:39]
	s_mov_b64 s[42:43], -1
	s_mov_b64 s[38:39], 0
	s_mov_b64 s[40:41], 0
.LBB25_186:                             ;   in Loop: Header=BB25_8 Depth=1
	s_mov_b64 s[48:49], 0
                                        ; implicit-def: $sgpr57
	s_and_saveexec_b64 s[44:45], s[18:19]
	s_cbranch_execz .LBB25_241
; %bb.187:                              ;   in Loop: Header=BB25_8 Depth=1
	s_xor_b64 s[10:11], s[46:47], -1
	s_mov_b64 s[18:19], 0
	s_andn2_b64 vcc, exec, s[10:11]
	s_mov_b32 s56, 1
	s_cbranch_vccnz .LBB25_198
; %bb.188:                              ;   in Loop: Header=BB25_8 Depth=1
	s_cmp_gt_i32 s52, s50
	s_mov_b64 s[18:19], -1
                                        ; implicit-def: $sgpr57
                                        ; implicit-def: $sgpr46_sgpr47
                                        ; implicit-def: $sgpr48_sgpr49
	s_cbranch_scc1 .LBB25_194
; %bb.189:                              ;   in Loop: Header=BB25_8 Depth=1
	ds_read_b32 v3, v19 offset:4096
	s_waitcnt lgkmcnt(0)
	v_cmp_ne_u32_e32 vcc, 0, v3
	s_cbranch_vccnz .LBB25_193
; %bb.190:                              ;   in Loop: Header=BB25_8 Depth=1
	s_mov_b64 s[18:19], exec
	v_readlane_b32 s10, v54, 12
	v_readlane_b32 s11, v54, 13
	s_and_b64 s[10:11], s[18:19], s[10:11]
	s_mov_b64 exec, s[10:11]
	s_cbranch_execz .LBB25_192
; %bb.191:                              ;   in Loop: Header=BB25_8 Depth=1
	v_mov_b32_e32 v3, s50
	ds_write_b32 v19, v3 offset:4100
.LBB25_192:                             ;   in Loop: Header=BB25_8 Depth=1
	s_or_b64 exec, exec, s[18:19]
	s_waitcnt lgkmcnt(0)
	s_barrier
.LBB25_193:                             ;   in Loop: Header=BB25_8 Depth=1
	s_lshl_b64 s[10:11], 2, s51
	s_and_b64 s[12:13], s[86:87], s[30:31]
	s_or_b64 s[46:47], s[12:13], s[10:11]
	s_or_b64 s[48:49], s[84:85], s[20:21]
	s_mov_b64 s[18:19], 0
	s_mov_b32 s57, 8
.LBB25_194:                             ;   in Loop: Header=BB25_8 Depth=1
	s_andn2_b64 vcc, exec, s[18:19]
	s_cbranch_vccnz .LBB25_196
; %bb.195:                              ;   in Loop: Header=BB25_8 Depth=1
	s_sub_i32 s52, s52, s50
	s_mov_b64 s[18:19], -1
	s_mov_b32 s57, 0
	s_mov_b64 s[46:47], s[86:87]
	s_mov_b64 s[48:49], s[84:85]
.LBB25_196:                             ;   in Loop: Header=BB25_8 Depth=1
	s_mov_b64 s[84:85], s[48:49]
	s_mov_b64 s[86:87], s[46:47]
	s_mov_b32 s56, s52
	s_andn2_b64 vcc, exec, s[18:19]
	s_mov_b64 s[54:55], -1
	s_cbranch_vccz .LBB25_199
.LBB25_197:                             ;   in Loop: Header=BB25_8 Depth=1
                                        ; implicit-def: $sgpr18_sgpr19
                                        ; implicit-def: $sgpr48_sgpr49
                                        ; implicit-def: $sgpr46_sgpr47
	s_branch .LBB25_240
.LBB25_198:                             ;   in Loop: Header=BB25_8 Depth=1
	s_mov_b32 s57, 1
	s_andn2_b64 vcc, exec, s[18:19]
	s_mov_b64 s[54:55], -1
	s_cbranch_vccnz .LBB25_197
.LBB25_199:                             ;   in Loop: Header=BB25_8 Depth=1
	s_cmp_eq_u32 s7, 1
	s_cselect_b64 s[10:11], -1, 0
	s_cmp_eq_u32 s56, 1
	s_cselect_b64 s[12:13], -1, 0
	s_and_b64 s[30:31], s[10:11], s[12:13]
	s_mov_b64 s[50:51], -1
	s_and_b64 vcc, exec, s[30:31]
	s_cbranch_vccz .LBB25_211
; %bb.200:                              ;   in Loop: Header=BB25_8 Depth=1
	ds_read_b32 v3, v19 offset:4096
	s_waitcnt lgkmcnt(0)
	s_barrier
	v_readfirstlane_b32 s10, v3
	s_and_saveexec_b64 s[18:19], s[4:5]
	s_cbranch_execz .LBB25_202
; %bb.201:                              ;   in Loop: Header=BB25_8 Depth=1
	v_mov_b32_e32 v18, v19
	ds_write_b64 v32, v[18:19]
.LBB25_202:                             ;   in Loop: Header=BB25_8 Depth=1
	s_or_b64 exec, exec, s[18:19]
	s_or_b64 s[86:87], s[86:87], s[20:21]
	s_or_b64 s[84:85], s[84:85], s[20:21]
	s_cmp_gt_i32 s10, 0
	s_waitcnt lgkmcnt(0)
	s_barrier
	s_cbranch_scc1 .LBB25_212
; %bb.203:                              ;   in Loop: Header=BB25_8 Depth=1
	s_mov_b64 s[50:51], 0
                                        ; implicit-def: $vgpr6_vgpr7
	s_mov_b64 s[46:47], exec
	v_readlane_b32 s12, v54, 51
	v_readlane_b32 s13, v54, 52
	s_and_b64 s[12:13], s[46:47], s[12:13]
	s_mov_b64 exec, s[12:13]
	s_cbranch_execz .LBB25_214
; %bb.204:                              ;   in Loop: Header=BB25_8 Depth=1
	v_mov_b32_e32 v8, v16
	v_mov_b32_e32 v10, v0
                                        ; implicit-def: $sgpr48_sgpr49
	s_branch .LBB25_206
.LBB25_205:                             ;   in Loop: Header=BB25_206 Depth=2
	s_or_b64 exec, exec, s[18:19]
	s_waitcnt lgkmcnt(0)
	s_barrier
	s_waitcnt vmcnt(0)
	ds_read_b128 v[4:7], v19 offset:3072
	v_add_u32_e32 v10, s33, v10
	v_cmp_le_i32_e32 vcc, s1, v10
	v_add_u32_e32 v8, s0, v8
	s_waitcnt lgkmcnt(0)
	v_readfirstlane_b32 s13, v5
	v_readfirstlane_b32 s12, v4
	s_cmp_lg_u64 s[12:13], 0
	s_cselect_b64 s[12:13], -1, 0
	s_or_b64 s[14:15], vcc, s[12:13]
	s_and_b64 s[14:15], exec, s[14:15]
	s_or_b64 s[50:51], s[14:15], s[50:51]
	s_andn2_b64 s[14:15], s[48:49], exec
	s_and_b64 s[12:13], s[12:13], exec
	s_or_b64 s[48:49], s[14:15], s[12:13]
	s_barrier
	s_andn2_b64 exec, exec, s[50:51]
	s_cbranch_execz .LBB25_213
.LBB25_206:                             ;   Parent Loop BB25_8 Depth=1
                                        ; =>  This Inner Loop Header: Depth=2
	v_cmp_gt_i32_e32 vcc, s60, v10
	s_waitcnt vmcnt(0)
	v_pk_mov_b32 v[4:5], 0, 0
	s_and_saveexec_b64 s[52:53], vcc
	s_cbranch_execz .LBB25_208
; %bb.207:                              ;   in Loop: Header=BB25_206 Depth=2
	v_ashrrev_i32_e32 v9, 31, v8
	v_lshlrev_b64 v[4:5], 3, v[8:9]
	v_mov_b32_e32 v3, s16
	v_add_co_u32_e64 v4, s[18:19], s62, v4
	v_addc_co_u32_e64 v5, s[18:19], v3, v5, s[18:19]
	global_load_dwordx2 v[4:5], v[4:5], off
.LBB25_208:                             ;   in Loop: Header=BB25_206 Depth=2
	s_or_b64 exec, exec, s[52:53]
	s_and_saveexec_b64 s[18:19], vcc
	s_cbranch_execz .LBB25_205
; %bb.209:                              ;   in Loop: Header=BB25_206 Depth=2
	s_waitcnt vmcnt(0)
	v_xor_b32_e32 v3, 0x80000000, v5
	v_and_b32_e32 v7, s85, v3
	v_and_b32_e32 v6, s84, v4
	v_cmp_eq_u64_e32 vcc, s[86:87], v[6:7]
	s_and_b64 exec, exec, vcc
	s_cbranch_execz .LBB25_205
; %bb.210:                              ;   in Loop: Header=BB25_206 Depth=2
	v_mov_b32_e32 v3, v19
	ds_write_b128 v19, v[2:5] offset:3072
	s_branch .LBB25_205
.LBB25_211:                             ;   in Loop: Header=BB25_8 Depth=1
                                        ; implicit-def: $sgpr18_sgpr19
                                        ; implicit-def: $sgpr48_sgpr49
                                        ; implicit-def: $sgpr46_sgpr47
	s_branch .LBB25_225
.LBB25_212:                             ;   in Loop: Header=BB25_8 Depth=1
	s_mov_b64 s[18:19], -1
	s_mov_b64 s[50:51], 0
                                        ; implicit-def: $sgpr46_sgpr47
                                        ; implicit-def: $vgpr6_vgpr7
	s_mov_b64 s[48:49], s[18:19]
	s_cbranch_execnz .LBB25_215
	s_branch .LBB25_225
.LBB25_213:                             ;   in Loop: Header=BB25_8 Depth=1
	s_or_b64 exec, exec, s[50:51]
	s_and_b64 s[50:51], s[48:49], exec
.LBB25_214:                             ;   in Loop: Header=BB25_8 Depth=1
	s_or_b64 exec, exec, s[46:47]
	s_mov_b64 s[46:47], -1
	s_mov_b64 s[18:19], 0
	s_mov_b64 s[48:49], s[18:19]
	s_branch .LBB25_225
.LBB25_215:                             ;   in Loop: Header=BB25_8 Depth=1
	v_readlane_b32 s11, v54, 21
	s_add_i32 s11, s10, s11
	s_abs_i32 s13, s11
	v_readlane_b32 s14, v54, 50
	s_mul_hi_u32 s14, s13, s14
	s_mul_i32 s14, s14, s33
	s_sub_i32 s13, s13, s14
	s_ashr_i32 s12, s11, 31
	s_sub_i32 s14, s13, s33
	s_cmp_ge_u32 s13, s33
	s_cselect_b32 s13, s14, s13
	s_sub_i32 s14, s13, s33
	s_cmp_ge_u32 s13, s33
	s_cselect_b32 s13, s14, s13
	s_xor_b32 s13, s13, s12
	s_sub_i32 s12, s12, s13
	s_add_i32 s11, s11, s12
	v_cmp_gt_i32_e32 vcc, s11, v0
	s_mov_b64 s[50:51], 0
                                        ; implicit-def: $vgpr6_vgpr7
	s_and_saveexec_b64 s[18:19], vcc
	s_cbranch_execz .LBB25_224
; %bb.216:                              ;   in Loop: Header=BB25_8 Depth=1
	s_mov_b64 s[48:49], 0
	v_mov_b32_e32 v8, v31
	v_mov_b32_e32 v9, v0
                                        ; implicit-def: $sgpr46_sgpr47
	s_branch .LBB25_218
.LBB25_217:                             ;   in Loop: Header=BB25_218 Depth=2
	s_or_b64 exec, exec, s[50:51]
	s_waitcnt lgkmcnt(0)
	s_barrier
	ds_read_b128 v[4:7], v19 offset:3072
	v_add_u32_e32 v9, s33, v9
	v_cmp_le_i32_e32 vcc, s11, v9
	v_add_u32_e32 v8, s78, v8
	s_waitcnt lgkmcnt(0)
	v_readfirstlane_b32 s13, v5
	v_readfirstlane_b32 s12, v4
	s_cmp_lg_u64 s[12:13], 0
	s_cselect_b64 s[12:13], -1, 0
	s_or_b64 s[14:15], vcc, s[12:13]
	s_and_b64 s[14:15], exec, s[14:15]
	s_or_b64 s[48:49], s[14:15], s[48:49]
	s_andn2_b64 s[14:15], s[46:47], exec
	s_and_b64 s[12:13], s[12:13], exec
	s_or_b64 s[46:47], s[14:15], s[12:13]
	s_barrier
	s_andn2_b64 exec, exec, s[48:49]
	s_cbranch_execz .LBB25_223
.LBB25_218:                             ;   Parent Loop BB25_8 Depth=1
                                        ; =>  This Inner Loop Header: Depth=2
	v_cmp_gt_i32_e32 vcc, s10, v9
	s_waitcnt vmcnt(0)
	v_pk_mov_b32 v[4:5], 0, 0
	s_and_saveexec_b64 s[50:51], vcc
	s_cbranch_execz .LBB25_220
; %bb.219:                              ;   in Loop: Header=BB25_218 Depth=2
	ds_read_b64 v[4:5], v8
.LBB25_220:                             ;   in Loop: Header=BB25_218 Depth=2
	s_or_b64 exec, exec, s[50:51]
	s_and_saveexec_b64 s[50:51], vcc
	s_cbranch_execz .LBB25_217
; %bb.221:                              ;   in Loop: Header=BB25_218 Depth=2
	s_waitcnt lgkmcnt(0)
	v_xor_b32_e32 v3, 0x80000000, v5
	v_and_b32_e32 v7, s85, v3
	v_and_b32_e32 v6, s84, v4
	v_cmp_eq_u64_e32 vcc, s[86:87], v[6:7]
	s_and_b64 exec, exec, vcc
	s_cbranch_execz .LBB25_217
; %bb.222:                              ;   in Loop: Header=BB25_218 Depth=2
	v_mov_b32_e32 v3, v19
	ds_write_b128 v19, v[2:5] offset:3072
	s_branch .LBB25_217
.LBB25_223:                             ;   in Loop: Header=BB25_8 Depth=1
	s_or_b64 exec, exec, s[48:49]
	s_and_b64 s[50:51], s[46:47], exec
.LBB25_224:                             ;   in Loop: Header=BB25_8 Depth=1
	s_or_b64 exec, exec, s[18:19]
	s_mov_b64 s[48:49], -1
	s_mov_b64 s[18:19], 0
	s_mov_b64 s[46:47], 0
.LBB25_225:                             ;   in Loop: Header=BB25_8 Depth=1
	s_mov_b64 s[54:55], 0
                                        ; implicit-def: $sgpr57
	s_and_saveexec_b64 s[52:53], s[50:51]
	s_cbranch_execz .LBB25_239
; %bb.226:                              ;   in Loop: Header=BB25_8 Depth=1
	s_xor_b64 s[10:11], s[30:31], -1
	s_andn2_b64 vcc, exec, s[10:11]
	s_mov_b32 s57, 1
	s_cbranch_vccnz .LBB25_233
; %bb.227:                              ;   in Loop: Header=BB25_8 Depth=1
	s_cmp_gt_i32 s56, s7
	s_cbranch_scc1 .LBB25_234
; %bb.228:                              ;   in Loop: Header=BB25_8 Depth=1
	ds_read_b32 v3, v19 offset:4096
	s_waitcnt lgkmcnt(0)
	v_cmp_ne_u32_e32 vcc, 0, v3
	s_cbranch_vccnz .LBB25_232
; %bb.229:                              ;   in Loop: Header=BB25_8 Depth=1
	s_mov_b64 s[30:31], exec
	v_readlane_b32 s10, v54, 12
	v_readlane_b32 s11, v54, 13
	s_and_b64 s[10:11], s[30:31], s[10:11]
	s_mov_b64 exec, s[10:11]
	s_cbranch_execz .LBB25_231
; %bb.230:                              ;   in Loop: Header=BB25_8 Depth=1
	v_mov_b32_e32 v3, s7
	ds_write_b32 v19, v3 offset:4100
.LBB25_231:                             ;   in Loop: Header=BB25_8 Depth=1
	s_or_b64 exec, exec, s[30:31]
	s_waitcnt lgkmcnt(0)
	s_barrier
.LBB25_232:                             ;   in Loop: Header=BB25_8 Depth=1
	s_or_b64 s[30:31], s[86:87], s[20:21]
	s_or_b64 s[20:21], s[84:85], s[20:21]
	s_mov_b64 s[50:51], 0
	s_mov_b32 s57, 8
	s_branch .LBB25_235
.LBB25_233:                             ;   in Loop: Header=BB25_8 Depth=1
	s_mov_b32 s56, 1
	s_branch .LBB25_238
.LBB25_234:                             ;   in Loop: Header=BB25_8 Depth=1
	s_mov_b64 s[50:51], -1
                                        ; implicit-def: $sgpr57
                                        ; implicit-def: $sgpr30_sgpr31
                                        ; implicit-def: $sgpr20_sgpr21
.LBB25_235:                             ;   in Loop: Header=BB25_8 Depth=1
	s_andn2_b64 vcc, exec, s[50:51]
	s_cbranch_vccnz .LBB25_237
; %bb.236:                              ;   in Loop: Header=BB25_8 Depth=1
	s_sub_i32 s56, s56, s7
	s_mov_b32 s57, 8
	s_mov_b64 s[30:31], s[86:87]
	s_mov_b64 s[20:21], s[84:85]
.LBB25_237:                             ;   in Loop: Header=BB25_8 Depth=1
	s_mov_b64 s[86:87], s[30:31]
	s_mov_b64 s[84:85], s[20:21]
.LBB25_238:                             ;   in Loop: Header=BB25_8 Depth=1
	s_mov_b64 s[54:55], exec
.LBB25_239:                             ;   in Loop: Header=BB25_8 Depth=1
	s_or_b64 exec, exec, s[52:53]
.LBB25_240:                             ;   in Loop: Header=BB25_8 Depth=1
	s_andn2_b64 s[10:11], s[38:39], exec
	s_and_b64 s[12:13], s[18:19], exec
	s_or_b64 s[38:39], s[10:11], s[12:13]
	s_andn2_b64 s[10:11], s[42:43], exec
	s_and_b64 s[12:13], s[48:49], exec
	s_or_b64 s[42:43], s[10:11], s[12:13]
	;; [unrolled: 3-line block ×3, first 2 shown]
	s_and_b64 s[48:49], s[54:55], exec
	s_mov_b32 s52, s56
.LBB25_241:                             ;   in Loop: Header=BB25_8 Depth=1
	s_or_b64 exec, exec, s[44:45]
.LBB25_242:                             ;   in Loop: Header=BB25_8 Depth=1
	s_andn2_b64 s[10:11], s[28:29], exec
	s_and_b64 s[12:13], s[38:39], exec
	s_or_b64 s[28:29], s[10:11], s[12:13]
	s_andn2_b64 s[10:11], s[34:35], exec
	s_and_b64 s[12:13], s[42:43], exec
	s_or_b64 s[34:35], s[10:11], s[12:13]
	;; [unrolled: 3-line block ×3, first 2 shown]
	s_and_b64 s[40:41], s[48:49], exec
	s_mov_b32 s43, s52
.LBB25_243:                             ;   in Loop: Header=BB25_8 Depth=1
	s_or_b64 exec, exec, s[36:37]
	s_and_saveexec_b64 s[10:11], s[40:41]
	s_xor_b64 s[18:19], exec, s[10:11]
	s_cbranch_execz .LBB25_6
.LBB25_244:                             ;   in Loop: Header=BB25_8 Depth=1
	s_and_b32 s7, s57, -9
	s_cmp_eq_u32 s7, 0
	s_cbranch_scc1 .LBB25_4
; %bb.245:                              ;   in Loop: Header=BB25_8 Depth=1
	s_mov_b64 s[20:21], -1
                                        ; implicit-def: $sgpr84_sgpr85
                                        ; implicit-def: $sgpr43
                                        ; implicit-def: $sgpr79
                                        ; implicit-def: $sgpr6
	s_mov_b64 s[24:25], -1
	s_branch .LBB25_5
.LBB25_246:
	s_or_b64 exec, exec, s[90:91]
	s_xor_b64 s[8:9], s[64:65], -1
	s_xor_b64 s[2:3], s[92:93], -1
	;; [unrolled: 1-line block ×3, first 2 shown]
	s_mov_b64 s[4:5], 0
	s_and_saveexec_b64 s[10:11], s[2:3]
	s_xor_b64 s[2:3], exec, s[10:11]
	s_cbranch_execnz .LBB25_251
; %bb.247:
	s_andn2_saveexec_b64 s[0:1], s[2:3]
	s_cbranch_execnz .LBB25_271
.LBB25_248:
	s_or_b64 exec, exec, s[0:1]
	s_and_saveexec_b64 s[0:1], s[4:5]
.LBB25_249:
	; divergent unreachable
.LBB25_250:
	s_endpgm
.LBB25_251:
	s_and_saveexec_b64 s[4:5], s[8:9]
	s_xor_b64 s[4:5], exec, s[4:5]
	s_cbranch_execz .LBB25_269
; %bb.252:
	s_and_saveexec_b64 s[8:9], s[6:7]
	s_xor_b64 s[6:7], exec, s[8:9]
; %bb.253:
	v_xor_b32_e32 v5, 0x80000000, v5
	v_pk_mov_b32 v[6:7], v[4:5], v[4:5] op_sel:[0,1]
; %bb.254:
	s_or_b64 exec, exec, s[6:7]
	s_mov_b64 s[6:7], exec
	v_readlane_b32 s8, v54, 12
	v_readlane_b32 s9, v54, 13
	s_and_b64 s[8:9], s[6:7], s[8:9]
	v_readlane_b32 s20, v54, 20
	v_readlane_b32 s21, v54, 16
	v_readlane_b32 s22, v54, 18
	v_readlane_b32 s23, v54, 19
	v_readlane_b32 s24, v54, 14
	s_mov_b64 exec, s[8:9]
	s_cbranch_execz .LBB25_256
; %bb.255:
	v_mov_b32_e32 v1, 0
	v_mov_b32_e32 v2, s60
	ds_write_b32 v1, v2 offset:4108
.LBB25_256:
	s_or_b64 exec, exec, s[6:7]
	v_mov_b32_e32 v1, 0
	s_waitcnt lgkmcnt(0)
	s_barrier
	ds_read_b32 v1, v1 offset:4108
	s_waitcnt lgkmcnt(0)
	v_min_i32_e32 v1, s60, v1
	v_cmp_lt_i32_e32 vcc, v0, v1
	s_and_saveexec_b64 s[6:7], vcc
	s_cbranch_execz .LBB25_266
; %bb.257:
	s_mov_b64 s[8:9], 0
	v_mov_b32_e32 v3, s16
                                        ; implicit-def: $sgpr10_sgpr11
                                        ; implicit-def: $sgpr14_sgpr15
                                        ; implicit-def: $sgpr12_sgpr13
	s_branch .LBB25_259
.LBB25_258:                             ;   in Loop: Header=BB25_259 Depth=1
	s_or_b64 exec, exec, s[16:17]
	s_and_b64 s[16:17], exec, s[14:15]
	s_or_b64 s[8:9], s[16:17], s[8:9]
	s_andn2_b64 s[10:11], s[10:11], exec
	s_and_b64 s[16:17], s[12:13], exec
	s_or_b64 s[10:11], s[10:11], s[16:17]
	s_andn2_b64 exec, exec, s[8:9]
	s_cbranch_execz .LBB25_261
.LBB25_259:                             ; =>This Inner Loop Header: Depth=1
	v_ashrrev_i32_e32 v17, 31, v16
	v_lshlrev_b64 v[4:5], 3, v[16:17]
	v_add_co_u32_e32 v4, vcc, s62, v4
	v_addc_co_u32_e32 v5, vcc, v3, v5, vcc
	global_load_dwordx2 v[4:5], v[4:5], off
	v_mov_b32_e32 v2, v0
	s_or_b64 s[12:13], s[12:13], exec
	s_or_b64 s[14:15], s[14:15], exec
                                        ; implicit-def: $vgpr0
	s_waitcnt vmcnt(0)
	v_cmp_ne_u64_e32 vcc, v[4:5], v[6:7]
	s_and_saveexec_b64 s[16:17], vcc
	s_cbranch_execz .LBB25_258
; %bb.260:                              ;   in Loop: Header=BB25_259 Depth=1
	v_add_u32_e32 v0, s33, v2
	v_cmp_ge_i32_e32 vcc, v0, v1
	s_andn2_b64 s[14:15], s[14:15], exec
	s_and_b64 s[18:19], vcc, exec
	v_add_u32_e32 v16, s0, v16
	s_andn2_b64 s[12:13], s[12:13], exec
	s_or_b64 s[14:15], s[14:15], s[18:19]
	s_branch .LBB25_258
.LBB25_261:
	s_or_b64 exec, exec, s[8:9]
	s_and_saveexec_b64 s[0:1], s[10:11]
	s_xor_b64 s[0:1], exec, s[0:1]
	s_cbranch_execz .LBB25_266
; %bb.262:
	s_mov_b64 s[8:9], exec
	s_brev_b32 s0, -2
.LBB25_263:                             ; =>This Inner Loop Header: Depth=1
	s_ff1_i32_b64 s1, s[8:9]
	v_readlane_b32 s12, v2, s1
	s_lshl_b64 s[10:11], 1, s1
	s_min_i32 s0, s0, s12
	s_andn2_b64 s[8:9], s[8:9], s[10:11]
	s_cmp_lg_u64 s[8:9], 0
	s_cbranch_scc1 .LBB25_263
; %bb.264:
	v_mbcnt_lo_u32_b32 v0, exec_lo, 0
	v_mbcnt_hi_u32_b32 v0, exec_hi, v0
	v_cmp_eq_u32_e32 vcc, 0, v0
	s_and_saveexec_b64 s[8:9], vcc
	s_xor_b64 s[8:9], exec, s[8:9]
	s_cbranch_execz .LBB25_266
; %bb.265:
	v_mov_b32_e32 v0, 0
	v_mov_b32_e32 v1, s0
	ds_min_i32 v0, v1 offset:4108
.LBB25_266:
	s_or_b64 exec, exec, s[6:7]
	s_waitcnt lgkmcnt(0)
	s_barrier
	s_mov_b64 s[6:7], exec
	v_readlane_b32 s0, v54, 12
	v_readlane_b32 s1, v54, 13
	s_and_b64 s[0:1], s[6:7], s[0:1]
	s_mov_b64 exec, s[0:1]
	s_cbranch_execz .LBB25_268
; %bb.267:
	v_readlane_b32 s10, v54, 8
	v_readlane_b32 s11, v54, 9
	s_mul_i32 s1, s11, s10
	v_readlane_b32 s0, v54, 15
	s_sub_i32 s1, s23, s1
	s_xor_b32 s0, s22, s0
	s_add_i32 s8, s11, 1
	s_sub_i32 s9, s1, s10
	s_cmp_ge_u32 s1, s10
	s_cselect_b32 s8, s8, s11
	s_cselect_b32 s1, s9, s1
	s_add_i32 s9, s8, 1
	s_cmp_ge_u32 s1, s10
	s_cselect_b32 s1, s9, s8
	s_xor_b32 s1, s1, s0
	s_sub_i32 s0, s1, s0
	s_mul_i32 s1, s0, s24
	v_readlane_b32 s8, v54, 6
	s_sub_i32 s1, s20, s1
	v_readlane_b32 s9, v54, 7
	v_readlane_b32 s11, v54, 10
	;; [unrolled: 1-line block ×3, first 2 shown]
	s_mul_i32 s1, s1, s9
	s_mul_i32 s0, s0, s8
	;; [unrolled: 1-line block ×3, first 2 shown]
	s_add_i32 s0, s0, s1
	v_readlane_b32 s1, v54, 17
	s_sub_i32 s8, s23, s8
	s_xor_b32 s1, s22, s1
	s_add_i32 s9, s12, 1
	s_sub_i32 s10, s8, s11
	s_cmp_ge_u32 s8, s11
	s_cselect_b32 s9, s9, s12
	s_cselect_b32 s8, s10, s8
	s_add_i32 s10, s9, 1
	s_cmp_ge_u32 s8, s11
	s_cselect_b32 s8, s10, s9
	s_xor_b32 s8, s8, s1
	s_sub_i32 s1, s8, s1
	s_mul_i32 s8, s1, s21
	v_readlane_b32 s10, v54, 2
	s_sub_i32 s8, s20, s8
	v_readlane_b32 s11, v54, 3
	s_mul_i32 s8, s8, s11
	s_mul_i32 s1, s1, s10
	s_add_i32 s8, s1, s8
	s_ashr_i32 s1, s0, 31
	v_mov_b32_e32 v2, 0
	s_lshl_b64 s[0:1], s[0:1], 3
	v_readlane_b32 s10, v54, 0
	ds_read_b32 v0, v2 offset:4108
	v_readlane_b32 s11, v54, 1
	s_add_u32 s0, s10, s0
	s_addc_u32 s1, s11, s1
	s_ashr_i32 s9, s8, 31
	s_lshl_b64 s[8:9], s[8:9], 3
	v_readlane_b32 s10, v54, 4
	v_readlane_b32 s11, v54, 5
	s_add_u32 s8, s10, s8
	s_addc_u32 s9, s11, s9
	s_waitcnt lgkmcnt(0)
	v_ashrrev_i32_e32 v1, 31, v0
	global_store_dwordx2 v2, v[0:1], s[8:9]
	global_store_dwordx2 v2, v[6:7], s[0:1]
.LBB25_268:
	s_or_b64 exec, exec, s[6:7]
.LBB25_269:
	s_or_saveexec_b64 s[0:1], s[4:5]
	s_mov_b64 s[4:5], 0
	s_xor_b64 exec, exec, s[0:1]
	s_cbranch_execnz .LBB25_272
.LBB25_270:
	s_or_b64 exec, exec, s[0:1]
	s_and_b64 s[4:5], s[4:5], exec
	s_andn2_saveexec_b64 s[0:1], s[2:3]
	s_cbranch_execz .LBB25_248
.LBB25_271:
	s_or_b64 s[4:5], s[4:5], exec
	s_trap 2
	s_or_b64 exec, exec, s[0:1]
	s_and_saveexec_b64 s[0:1], s[4:5]
	s_cbranch_execnz .LBB25_249
	s_branch .LBB25_250
.LBB25_272:
	s_mov_b64 s[4:5], exec
	s_trap 2
	s_branch .LBB25_270
	.section	.rodata,"a",@progbits
	.p2align	6, 0x0
	.amdhsa_kernel _ZN2at6native12_GLOBAL__N_114gatherKthValueIliLi2EEEvNS_4cuda6detail10TensorInfoIKT_T0_EES8_S8_S8_S8_NS5_IS6_S8_EENS5_IlS8_EE
		.amdhsa_group_segment_fixed_size 4112
		.amdhsa_private_segment_fixed_size 0
		.amdhsa_kernarg_size 920
		.amdhsa_user_sgpr_count 6
		.amdhsa_user_sgpr_private_segment_buffer 1
		.amdhsa_user_sgpr_dispatch_ptr 0
		.amdhsa_user_sgpr_queue_ptr 0
		.amdhsa_user_sgpr_kernarg_segment_ptr 1
		.amdhsa_user_sgpr_dispatch_id 0
		.amdhsa_user_sgpr_flat_scratch_init 0
		.amdhsa_user_sgpr_kernarg_preload_length 0
		.amdhsa_user_sgpr_kernarg_preload_offset 0
		.amdhsa_user_sgpr_private_segment_size 0
		.amdhsa_uses_dynamic_stack 0
		.amdhsa_system_sgpr_private_segment_wavefront_offset 0
		.amdhsa_system_sgpr_workgroup_id_x 1
		.amdhsa_system_sgpr_workgroup_id_y 1
		.amdhsa_system_sgpr_workgroup_id_z 1
		.amdhsa_system_sgpr_workgroup_info 0
		.amdhsa_system_vgpr_workitem_id 0
		.amdhsa_next_free_vgpr 55
		.amdhsa_next_free_sgpr 96
		.amdhsa_accum_offset 56
		.amdhsa_reserve_vcc 1
		.amdhsa_reserve_flat_scratch 0
		.amdhsa_float_round_mode_32 0
		.amdhsa_float_round_mode_16_64 0
		.amdhsa_float_denorm_mode_32 3
		.amdhsa_float_denorm_mode_16_64 3
		.amdhsa_dx10_clamp 1
		.amdhsa_ieee_mode 1
		.amdhsa_fp16_overflow 0
		.amdhsa_tg_split 0
		.amdhsa_exception_fp_ieee_invalid_op 0
		.amdhsa_exception_fp_denorm_src 0
		.amdhsa_exception_fp_ieee_div_zero 0
		.amdhsa_exception_fp_ieee_overflow 0
		.amdhsa_exception_fp_ieee_underflow 0
		.amdhsa_exception_fp_ieee_inexact 0
		.amdhsa_exception_int_div_zero 0
	.end_amdhsa_kernel
	.section	.text._ZN2at6native12_GLOBAL__N_114gatherKthValueIliLi2EEEvNS_4cuda6detail10TensorInfoIKT_T0_EES8_S8_S8_S8_NS5_IS6_S8_EENS5_IlS8_EE,"axG",@progbits,_ZN2at6native12_GLOBAL__N_114gatherKthValueIliLi2EEEvNS_4cuda6detail10TensorInfoIKT_T0_EES8_S8_S8_S8_NS5_IS6_S8_EENS5_IlS8_EE,comdat
.Lfunc_end25:
	.size	_ZN2at6native12_GLOBAL__N_114gatherKthValueIliLi2EEEvNS_4cuda6detail10TensorInfoIKT_T0_EES8_S8_S8_S8_NS5_IS6_S8_EENS5_IlS8_EE, .Lfunc_end25-_ZN2at6native12_GLOBAL__N_114gatherKthValueIliLi2EEEvNS_4cuda6detail10TensorInfoIKT_T0_EES8_S8_S8_S8_NS5_IS6_S8_EENS5_IlS8_EE
                                        ; -- End function
	.section	.AMDGPU.csdata,"",@progbits
; Kernel info:
; codeLenInByte = 10856
; NumSgprs: 100
; NumVgprs: 55
; NumAgprs: 0
; TotalNumVgprs: 55
; ScratchSize: 0
; MemoryBound: 0
; FloatMode: 240
; IeeeMode: 1
; LDSByteSize: 4112 bytes/workgroup (compile time only)
; SGPRBlocks: 12
; VGPRBlocks: 6
; NumSGPRsForWavesPerEU: 100
; NumVGPRsForWavesPerEU: 55
; AccumOffset: 56
; Occupancy: 8
; WaveLimiterHint : 1
; COMPUTE_PGM_RSRC2:SCRATCH_EN: 0
; COMPUTE_PGM_RSRC2:USER_SGPR: 6
; COMPUTE_PGM_RSRC2:TRAP_HANDLER: 0
; COMPUTE_PGM_RSRC2:TGID_X_EN: 1
; COMPUTE_PGM_RSRC2:TGID_Y_EN: 1
; COMPUTE_PGM_RSRC2:TGID_Z_EN: 1
; COMPUTE_PGM_RSRC2:TIDIG_COMP_CNT: 0
; COMPUTE_PGM_RSRC3_GFX90A:ACCUM_OFFSET: 13
; COMPUTE_PGM_RSRC3_GFX90A:TG_SPLIT: 0
	.section	.text._ZN2at6native12_GLOBAL__N_114gatherKthValueIliLi3EEEvNS_4cuda6detail10TensorInfoIKT_T0_EES8_S8_S8_S8_NS5_IS6_S8_EENS5_IlS8_EE,"axG",@progbits,_ZN2at6native12_GLOBAL__N_114gatherKthValueIliLi3EEEvNS_4cuda6detail10TensorInfoIKT_T0_EES8_S8_S8_S8_NS5_IS6_S8_EENS5_IlS8_EE,comdat
	.globl	_ZN2at6native12_GLOBAL__N_114gatherKthValueIliLi3EEEvNS_4cuda6detail10TensorInfoIKT_T0_EES8_S8_S8_S8_NS5_IS6_S8_EENS5_IlS8_EE ; -- Begin function _ZN2at6native12_GLOBAL__N_114gatherKthValueIliLi3EEEvNS_4cuda6detail10TensorInfoIKT_T0_EES8_S8_S8_S8_NS5_IS6_S8_EENS5_IlS8_EE
	.p2align	8
	.type	_ZN2at6native12_GLOBAL__N_114gatherKthValueIliLi3EEEvNS_4cuda6detail10TensorInfoIKT_T0_EES8_S8_S8_S8_NS5_IS6_S8_EENS5_IlS8_EE,@function
_ZN2at6native12_GLOBAL__N_114gatherKthValueIliLi3EEEvNS_4cuda6detail10TensorInfoIKT_T0_EES8_S8_S8_S8_NS5_IS6_S8_EENS5_IlS8_EE: ; @_ZN2at6native12_GLOBAL__N_114gatherKthValueIliLi3EEEvNS_4cuda6detail10TensorInfoIKT_T0_EES8_S8_S8_S8_NS5_IS6_S8_EENS5_IlS8_EE
; %bb.0:
	s_load_dwordx2 s[14:15], s[4:5], 0x298
	s_load_dwordx4 s[68:71], s[4:5], 0xd8
	s_add_u32 s12, s4, 0x298
	s_addc_u32 s13, s5, 0
	s_waitcnt lgkmcnt(0)
	s_mul_i32 s0, s15, s8
	s_add_i32 s0, s0, s7
	s_mul_i32 s0, s0, s14
	s_add_i32 s23, s0, s6
	s_cmp_ge_i32 s23, s70
	s_cbranch_scc1 .LBB26_250
; %bb.1:
	s_load_dwordx2 s[2:3], s[4:5], 0xc
	s_load_dwordx2 s[24:25], s[4:5], 0xf4
	s_ashr_i32 s8, s23, 31
	s_abs_i32 s9, s23
	s_load_dwordx4 s[28:31], s[4:5], 0x154
	s_waitcnt lgkmcnt(0)
	s_ashr_i32 s0, s3, 31
	s_add_i32 s1, s3, s0
	s_xor_b32 s1, s1, s0
	v_cvt_f32_u32_e32 v1, s1
	s_xor_b32 s7, s8, s0
	s_sub_i32 s0, 0, s1
                                        ; implicit-def: $vgpr54 : SGPR spill to VGPR lane
                                        ; kill: killed $sgpr4 killed $sgpr5
	s_mov_b32 s80, 0
	v_rcp_iflag_f32_e32 v1, v1
	v_writelane_b32 v54, s28, 0
	v_writelane_b32 v54, s29, 1
	;; [unrolled: 1-line block ×3, first 2 shown]
	v_mul_f32_e32 v1, 0x4f7ffffe, v1
	v_cvt_u32_f32_e32 v1, v1
	v_writelane_b32 v54, s31, 3
	v_readfirstlane_b32 s10, v1
	s_mul_i32 s0, s0, s10
	s_mul_hi_u32 s0, s10, s0
	s_add_i32 s10, s10, s0
	s_mul_hi_u32 s0, s9, s10
	s_mul_i32 s10, s0, s1
	s_sub_i32 s10, s9, s10
	s_add_i32 s11, s0, 1
	s_sub_i32 s15, s10, s1
	s_cmp_ge_u32 s10, s1
	s_cselect_b32 s0, s11, s0
	s_cselect_b32 s10, s15, s10
	s_add_i32 s11, s0, 1
	s_cmp_ge_u32 s10, s1
	s_cselect_b32 s10, s11, s0
	s_abs_i32 s0, s2
	s_ashr_i32 s11, s25, 31
	v_cvt_f32_u32_e32 v1, s0
	s_add_i32 s15, s25, s11
	s_xor_b32 s19, s8, s11
	s_xor_b32 s11, s15, s11
	v_cvt_f32_u32_e32 v2, s11
	v_rcp_iflag_f32_e32 v1, v1
	s_xor_b32 s10, s10, s7
	s_sub_i32 s16, 0, s0
	v_rcp_iflag_f32_e32 v2, v2
	v_mul_f32_e32 v1, 0x4f7ffffe, v1
	v_cvt_u32_f32_e32 v1, v1
	s_sub_i32 s7, s10, s7
	v_mul_f32_e32 v2, 0x4f7ffffe, v2
	v_cvt_u32_f32_e32 v2, v2
	v_readfirstlane_b32 s10, v1
	s_mul_i32 s16, s16, s10
	s_mul_hi_u32 s16, s10, s16
	s_add_i32 s20, s10, s16
	s_sub_i32 s10, 0, s11
	v_readfirstlane_b32 s16, v2
	s_mul_i32 s10, s10, s16
	s_mul_hi_u32 s10, s16, s10
	s_add_i32 s16, s16, s10
	s_mul_hi_u32 s10, s9, s16
	s_mul_i32 s16, s10, s11
	s_sub_i32 s16, s9, s16
	s_ashr_i32 s1, s2, 31
	s_ashr_i32 s15, s7, 31
	s_abs_i32 s18, s7
	s_add_i32 s17, s10, 1
	s_sub_i32 s21, s16, s11
	s_cmp_ge_u32 s16, s11
	s_cselect_b32 s10, s17, s10
	s_cselect_b32 s16, s21, s16
	s_add_i32 s17, s10, 1
	s_cmp_ge_u32 s16, s11
	s_cselect_b32 s10, s17, s10
	s_load_dwordx2 s[16:17], s[4:5], 0x0
	s_load_dwordx4 s[28:31], s[4:5], 0x22c
	s_abs_i32 s21, s24
	v_cvt_f32_u32_e32 v1, s21
	s_xor_b32 s10, s10, s19
	s_waitcnt lgkmcnt(0)
	v_writelane_b32 v54, s28, 4
	v_writelane_b32 v54, s29, 5
	;; [unrolled: 1-line block ×4, first 2 shown]
	s_load_dwordx2 s[28:29], s[4:5], 0x1cc
	s_load_dwordx2 s[26:27], s[4:5], 0x1c0
	v_rcp_iflag_f32_e32 v1, v1
	s_waitcnt lgkmcnt(0)
	v_writelane_b32 v54, s26, 8
	v_writelane_b32 v54, s27, 9
	s_sub_i32 s26, s10, s19
	s_ashr_i32 s10, s29, 31
	s_add_i32 s11, s29, s10
	s_xor_b32 s11, s11, s10
	v_cvt_f32_u32_e32 v2, s11
	v_mul_f32_e32 v1, 0x4f7ffffe, v1
	v_cvt_u32_f32_e32 v1, v1
	v_writelane_b32 v54, s21, 10
	v_rcp_iflag_f32_e32 v2, v2
	s_sub_i32 s19, 0, s21
	v_readfirstlane_b32 s21, v1
	s_mul_i32 s19, s19, s21
	v_mul_f32_e32 v1, 0x4f7ffffe, v2
	v_cvt_u32_f32_e32 v1, v1
	s_mul_hi_u32 s19, s21, s19
	s_add_i32 s21, s21, s19
	s_xor_b32 s19, s8, s10
	s_sub_i32 s8, 0, s11
	v_readfirstlane_b32 s10, v1
	s_mul_i32 s8, s8, s10
	s_mul_hi_u32 s8, s10, s8
	s_add_i32 s10, s10, s8
	s_mul_hi_u32 s8, s9, s10
	s_mul_i32 s10, s8, s11
	s_sub_i32 s9, s9, s10
	s_abs_i32 s27, s26
	s_add_i32 s10, s8, 1
	s_sub_i32 s22, s9, s11
	s_cmp_ge_u32 s9, s11
	s_cselect_b32 s8, s10, s8
	s_cselect_b32 s9, s22, s9
	s_add_i32 s10, s8, 1
	s_cmp_ge_u32 s9, s11
	s_cselect_b32 s22, s10, s8
	s_abs_i32 s30, s28
	v_cvt_f32_u32_e32 v1, s30
	s_load_dwordx2 s[8:9], s[4:5], 0xe8
	v_rcp_iflag_f32_e32 v1, v1
	s_waitcnt lgkmcnt(0)
	v_writelane_b32 v54, s8, 11
	v_writelane_b32 v54, s9, 12
	v_mul_f32_e32 v1, 0x4f7ffffe, v1
	v_cvt_u32_f32_e32 v1, v1
	s_load_dwordx4 s[8:11], s[4:5], 0x6c
	v_writelane_b32 v54, s27, 13
	s_mul_hi_u32 s4, s27, s21
	v_writelane_b32 v54, s4, 14
	s_xor_b32 s4, s22, s19
	s_sub_i32 s19, s4, s19
	s_sub_i32 s4, 0, s30
	v_readfirstlane_b32 s5, v1
	s_mul_i32 s4, s4, s5
	s_mul_hi_u32 s4, s5, s4
	s_waitcnt lgkmcnt(0)
	s_mul_hi_u32 s11, s18, s20
	s_abs_i32 s20, s19
	v_writelane_b32 v54, s30, 15
	s_add_i32 s5, s5, s4
	v_writelane_b32 v54, s20, 16
	s_mul_hi_u32 s4, s20, s5
	v_writelane_b32 v54, s4, 17
	v_cmp_eq_u32_e64 s[20:21], 0, v0
	s_mov_b64 s[4:5], exec
	v_writelane_b32 v54, s20, 18
	v_writelane_b32 v54, s21, 19
	s_and_b64 s[20:21], s[4:5], s[20:21]
	s_mov_b64 exec, s[20:21]
	s_cbranch_execz .LBB26_3
; %bb.2:
	v_mov_b32_e32 v2, 0
	v_mov_b32_e32 v3, s68
	;; [unrolled: 1-line block ×3, first 2 shown]
	ds_write_b96 v2, v[2:4] offset:4096
.LBB26_3:
	s_or_b64 exec, exec, s[4:5]
	v_writelane_b32 v54, s26, 20
	s_ashr_i32 s4, s26, 31
	v_writelane_b32 v54, s4, 21
	v_writelane_b32 v54, s24, 22
	;; [unrolled: 1-line block ×3, first 2 shown]
	s_ashr_i32 s4, s24, 31
	v_writelane_b32 v54, s4, 24
	v_writelane_b32 v54, s19, 25
	s_ashr_i32 s4, s19, 31
	v_writelane_b32 v54, s4, 26
	v_writelane_b32 v54, s28, 27
	;; [unrolled: 1-line block ×3, first 2 shown]
	s_ashr_i32 s4, s28, 31
	v_writelane_b32 v54, s4, 29
	s_mul_i32 s3, s7, s3
	s_mul_i32 s4, s11, s0
	s_sub_i32 s3, s23, s3
	s_sub_i32 s4, s18, s4
	s_mul_i32 s3, s3, s10
	s_xor_b32 s1, s15, s1
	s_add_i32 s5, s11, 1
	s_sub_i32 s10, s4, s0
	s_cmp_ge_u32 s4, s0
	s_cselect_b32 s5, s5, s11
	s_cselect_b32 s4, s10, s4
	s_add_i32 s10, s5, 1
	s_cmp_ge_u32 s4, s0
	s_cselect_b32 s0, s10, s5
	s_xor_b32 s0, s0, s1
	s_sub_i32 s0, s0, s1
	s_mul_i32 s1, s0, s2
	s_sub_i32 s1, s7, s1
	s_mul_i32 s1, s1, s9
	s_add_i32 s1, s1, s3
	s_mul_i32 s0, s0, s8
	s_waitcnt lgkmcnt(0)
	s_barrier
	s_load_dword s2, s[12:13], 0xc
	s_add_i32 s0, s1, s0
	s_ashr_i32 s1, s0, 31
	s_lshl_b64 s[0:1], s[0:1], 3
	s_add_u32 s70, s16, s0
	v_mbcnt_lo_u32_b32 v1, -1, 0
	s_addc_u32 s16, s17, s1
	s_waitcnt lgkmcnt(0)
	s_and_b32 s33, s2, 0xffff
	v_mbcnt_hi_u32_b32 v23, -1, v1
	s_bfe_u32 s7, s2, 0xa0006
	v_cmp_gt_u32_e32 vcc, 64, v0
	v_cmp_gt_i32_e64 s[2:3], 4, v23
	s_add_i32 s0, s33, -1
	s_lshl_b32 s17, s33, 2
	s_and_b64 s[82:83], vcc, s[2:3]
	s_add_i32 s1, s0, s68
	v_writelane_b32 v54, s23, 30
	s_cmpk_gt_i32 s68, 0x180
	v_writelane_b32 v54, s0, 31
	s_cselect_b64 s[2:3], -1, 0
	v_writelane_b32 v54, s2, 32
	s_cmp_gt_u32 s33, 63
	v_writelane_b32 v54, s3, 33
	s_cselect_b64 s[2:3], -1, 0
	s_cmp_lt_u32 s6, s14
	v_writelane_b32 v54, s2, 34
	s_cselect_b32 s0, 12, 18
	v_writelane_b32 v54, s3, 35
	s_add_u32 s2, s12, s0
	s_addc_u32 s3, s13, 0
	v_writelane_b32 v54, s2, 36
	s_add_i32 s0, s7, -2
	v_writelane_b32 v54, s3, 37
	s_lshr_b32 s2, s0, 1
	s_add_i32 s6, s2, 1
	s_cmpk_gt_u32 s33, 0x7f
	v_mov_b32_e32 v19, 0
	s_cselect_b64 s[2:3], -1, 0
	v_writelane_b32 v54, s2, 38
	v_mul_lo_u32 v16, v0, s71
	v_mov_b32_e32 v17, v19
	v_writelane_b32 v54, s3, 39
	v_cmp_gt_u32_e64 s[8:9], s68, v0
	v_lshlrev_b64 v[2:3], 3, v[16:17]
	v_writelane_b32 v54, s8, 40
	v_mov_b32_e32 v17, s16
	v_add_co_u32_e32 v20, vcc, s70, v2
	v_writelane_b32 v54, s9, 41
	v_addc_co_u32_e32 v21, vcc, v17, v3, vcc
	v_cmp_gt_i32_e64 s[8:9], s68, v0
	v_lshlrev_b64 v[2:3], v23, -1
	v_writelane_b32 v54, s8, 42
	v_not_b32_e32 v22, v2
	v_cvt_f32_u32_e32 v2, s17
	v_writelane_b32 v54, s9, 43
	s_and_b32 s8, s7, 0x3fe
	s_and_b32 s9, s6, 7
	s_cmp_gt_u32 s0, 13
	s_cselect_b64 s[10:11], -1, 0
	v_writelane_b32 v54, s10, 44
	v_rcp_iflag_f32_e32 v2, v2
	v_writelane_b32 v54, s11, 45
	s_and_b32 s0, s6, -8
	v_writelane_b32 v54, s0, 46
	s_cmp_lg_u32 s9, 0
	v_writelane_b32 v54, s9, 47
	s_cselect_b64 s[10:11], -1, 0
	v_writelane_b32 v54, s10, 48
	v_mul_f32_e32 v2, 0x4f7ffffe, v2
	v_writelane_b32 v54, s11, 49
	v_cvt_u32_f32_e32 v2, v2
	v_writelane_b32 v54, s7, 50
	s_cmp_lg_u32 s8, s7
	v_writelane_b32 v54, s8, 51
	s_cselect_b64 s[6:7], -1, 0
	v_writelane_b32 v54, s6, 52
	v_writelane_b32 v54, s7, 53
	s_sub_i32 s0, 0, s17
	v_readfirstlane_b32 s6, v2
	s_mul_i32 s0, s0, s6
	s_mul_hi_u32 s0, s6, s0
	s_add_i32 s8, s6, s0
	s_mul_hi_u32 s0, s68, s8
	s_mul_i32 s0, s0, s17
	s_sub_i32 s0, s68, s0
	s_sub_i32 s6, s0, s17
	s_cmp_ge_u32 s0, s17
	s_cselect_b32 s0, s6, s0
	s_sub_i32 s6, s0, s17
	v_cvt_f32_u32_e32 v5, s33
	s_cmp_ge_u32 s0, s17
	s_cselect_b32 s6, s6, s0
	s_sub_i32 s9, s68, s6
	v_add_u32_e32 v35, s9, v0
	v_rcp_iflag_f32_e32 v5, v5
	v_lshrrev_b32_e32 v1, 4, v0
	v_mul_lo_u32 v2, v35, s71
	v_lshlrev_b32_e32 v30, 2, v0
	v_and_b32_e32 v33, 60, v1
	v_not_b32_e32 v1, v3
	v_ashrrev_i32_e32 v3, 31, v2
	v_cmp_gt_i32_e64 s[10:11], s9, v30
	v_lshlrev_b64 v[2:3], 3, v[2:3]
	v_writelane_b32 v54, s10, 54
	v_add_co_u32_e32 v24, vcc, s70, v2
	v_mul_f32_e32 v2, 0x4f7ffffe, v5
	v_writelane_b32 v54, s11, 55
	v_cmp_gt_u32_e64 s[10:11], s68, v35
	v_cvt_u32_f32_e32 v2, v2
	v_writelane_b32 v54, s10, 56
	v_writelane_b32 v54, s11, 57
	v_cmp_gt_i32_e64 s[10:11], s68, v35
	v_writelane_b32 v54, s10, 58
	v_writelane_b32 v54, s11, 59
	s_sub_i32 s10, 0, s33
	v_readfirstlane_b32 s11, v2
	s_mul_i32 s10, s10, s11
	s_mul_hi_u32 s10, s11, s10
	s_abs_i32 s7, s1
	s_add_i32 s10, s11, s10
	v_writelane_b32 v54, s10, 60
	s_mul_hi_u32 s10, s7, s10
	s_mul_i32 s10, s10, s33
	s_sub_i32 s7, s7, s10
	s_ashr_i32 s0, s1, 31
	s_sub_i32 s10, s7, s33
	s_cmp_ge_u32 s7, s33
	s_cselect_b32 s7, s10, s7
	s_sub_i32 s10, s7, s33
	s_cmp_ge_u32 s7, s33
	s_cselect_b32 s7, s10, s7
	v_mul_lo_u32 v2, s71, v30
	s_xor_b32 s7, s7, s0
	v_add_u32_e32 v36, s71, v2
	v_or_b32_e32 v2, 2, v30
	s_sub_i32 s0, s0, s7
	v_mul_lo_u32 v37, s71, v2
	v_or_b32_e32 v2, 3, v30
	s_add_i32 s7, s33, s68
	s_add_i32 s1, s1, s0
	v_mul_lo_u32 v38, s71, v2
	v_add_u32_e32 v2, s7, v0
	v_lshlrev_b32_e32 v31, 3, v0
	v_lshlrev_b32_e32 v4, 2, v23
	v_mov_b32_e32 v6, s16
	v_cmp_gt_i32_e64 s[10:11], s1, v0
	s_mul_i32 s0, s71, s33
	v_subrev_u32_e32 v2, s6, v2
	v_cmp_eq_u32_e64 s[2:3], 0, v23
	v_cmp_gt_u32_e64 s[4:5], 2, v0
	v_add_u32_e32 v32, 0xc00, v31
	v_and_b32_e32 v34, 0x100, v4
	v_addc_co_u32_e32 v25, vcc, v6, v3, vcc
	v_writelane_b32 v54, s10, 61
	s_lshl_b32 s84, s0, 2
	v_lshlrev_b32_e32 v39, 2, v16
	v_mul_lo_u32 v40, s71, v2
	v_lshlrev_b32_e32 v41, 5, v0
	s_lshl_b32 s85, s33, 5
	s_lshl_b32 s86, s33, 3
	v_or_b32_e32 v42, 0xc00, v4
	s_mov_b32 s87, 62
	s_mov_b64 s[78:79], 0
	v_pk_mov_b32 v[6:7], 0, 0
	v_mov_b32_e32 v2, 1
	v_mov_b32_e32 v43, 0xc00
	s_mov_b32 s6, 0
	s_mov_b64 s[94:95], 0
	s_mov_b64 s[92:93], 0
	v_writelane_b32 v54, s11, 62
                                        ; implicit-def: $sgpr60_sgpr61
                                        ; implicit-def: $sgpr64_sgpr65
                                        ; implicit-def: $sgpr62_sgpr63
                                        ; implicit-def: $sgpr66_sgpr67
                                        ; implicit-def: $sgpr72_sgpr73
                                        ; implicit-def: $sgpr76_sgpr77
	s_branch .LBB26_8
.LBB26_4:                               ;   in Loop: Header=BB26_8 Depth=1
	s_xor_b32 s6, s6, 1
	s_add_i32 s7, s87, -2
	s_cmp_eq_u32 s87, 0
	s_mov_b64 s[20:21], 0
	s_cselect_b64 s[24:25], -1, 0
	s_mov_b32 s87, s7
.LBB26_5:                               ;   in Loop: Header=BB26_8 Depth=1
	s_andn2_b64 s[10:11], s[28:29], exec
	s_and_b64 s[12:13], s[20:21], exec
	s_or_b64 s[28:29], s[10:11], s[12:13]
	s_andn2_b64 s[34:35], s[34:35], exec
	s_andn2_b64 s[26:27], s[26:27], exec
	s_orn2_b64 s[24:25], s[24:25], exec
	s_mov_b32 s69, s43
.LBB26_6:                               ;   in Loop: Header=BB26_8 Depth=1
	s_or_b64 exec, exec, s[18:19]
	s_andn2_b64 s[10:11], s[76:77], exec
	s_and_b64 s[12:13], s[28:29], exec
	s_or_b64 s[76:77], s[10:11], s[12:13]
	s_andn2_b64 s[10:11], s[72:73], exec
	s_and_b64 s[12:13], s[34:35], exec
	s_or_b64 s[72:73], s[10:11], s[12:13]
	;; [unrolled: 3-line block ×3, first 2 shown]
	s_orn2_b64 s[24:25], s[24:25], exec
.LBB26_7:                               ;   in Loop: Header=BB26_8 Depth=1
	s_or_b64 exec, exec, s[22:23]
	s_and_b64 s[10:11], exec, s[24:25]
	s_or_b64 s[78:79], s[10:11], s[78:79]
	s_andn2_b64 s[10:11], s[62:63], exec
	s_and_b64 s[12:13], s[76:77], exec
	s_or_b64 s[62:63], s[10:11], s[12:13]
	s_andn2_b64 s[10:11], s[64:65], exec
	s_and_b64 s[12:13], s[72:73], exec
	;; [unrolled: 3-line block ×3, first 2 shown]
	s_waitcnt vmcnt(0)
	v_pk_mov_b32 v[4:5], s[94:95], s[94:95] op_sel:[0,1]
	s_or_b64 s[60:61], s[10:11], s[12:13]
	s_andn2_b64 exec, exec, s[78:79]
	s_cbranch_execz .LBB26_246
.LBB26_8:                               ; =>This Loop Header: Depth=1
                                        ;     Child Loop BB26_16 Depth 2
                                        ;     Child Loop BB26_35 Depth 2
	;; [unrolled: 1-line block ×17, first 2 shown]
	ds_read_b64 v[4:5], v19 offset:4096
	s_waitcnt lgkmcnt(0)
	v_readfirstlane_b32 s7, v4
	s_cmp_gt_i32 s7, 0
	s_cbranch_scc1 .LBB26_42
; %bb.9:                                ;   in Loop: Header=BB26_8 Depth=1
	v_readlane_b32 s10, v54, 32
	v_readlane_b32 s11, v54, 33
	s_and_b64 vcc, exec, s[10:11]
	s_cbranch_vccz .LBB26_24
; %bb.10:                               ;   in Loop: Header=BB26_8 Depth=1
	s_movk_i32 s10, 0x181
	v_cmp_gt_i32_e32 vcc, s10, v5
	s_mov_b64 s[20:21], 0
	s_mov_b64 s[18:19], 0
	s_cbranch_vccz .LBB26_29
; %bb.11:                               ;   in Loop: Header=BB26_8 Depth=1
	v_pk_mov_b32 v[4:5], 0, 0
	s_mov_b64 s[18:19], exec
	v_readlane_b32 s10, v54, 40
	v_readlane_b32 s11, v54, 41
	s_and_b64 s[10:11], s[18:19], s[10:11]
	s_mov_b64 exec, s[10:11]
	s_cbranch_execz .LBB26_13
; %bb.12:                               ;   in Loop: Header=BB26_8 Depth=1
	global_load_dwordx2 v[4:5], v[20:21], off
.LBB26_13:                              ;   in Loop: Header=BB26_8 Depth=1
	s_or_b64 exec, exec, s[18:19]
	s_mov_b64 s[22:23], exec
	v_readlane_b32 s10, v54, 40
	v_readlane_b32 s11, v54, 41
	s_and_b64 s[10:11], s[22:23], s[10:11]
	s_mov_b64 exec, s[10:11]
	s_cbranch_execz .LBB26_25
; %bb.14:                               ;   in Loop: Header=BB26_8 Depth=1
	v_readlane_b32 s10, v54, 36
	v_readlane_b32 s11, v54, 37
	s_mov_b64 s[24:25], 0
	v_mov_b32_e32 v11, v0
	s_nop 2
	global_load_ushort v3, v19, s[10:11]
	s_waitcnt vmcnt(0)
	v_add_u32_e32 v8, v0, v3
	v_mul_lo_u32 v10, s71, v3
	v_mul_lo_u32 v18, s71, v8
	s_branch .LBB26_16
.LBB26_15:                              ;   in Loop: Header=BB26_16 Depth=2
	s_or_b64 exec, exec, s[18:19]
	v_cmp_le_i32_e32 vcc, s68, v11
	v_add_u32_e32 v18, v18, v10
	s_or_b64 s[24:25], vcc, s[24:25]
	s_waitcnt vmcnt(0)
	v_pk_mov_b32 v[4:5], v[8:9], v[8:9] op_sel:[0,1]
	s_andn2_b64 exec, exec, s[24:25]
	s_cbranch_execz .LBB26_25
.LBB26_16:                              ;   Parent Loop BB26_8 Depth=1
                                        ; =>  This Inner Loop Header: Depth=2
	v_add_u32_e32 v11, v11, v3
	v_cmp_gt_u32_e32 vcc, s68, v11
	v_pk_mov_b32 v[8:9], 0, 0
	s_and_saveexec_b64 s[18:19], vcc
	s_cbranch_execz .LBB26_18
; %bb.17:                               ;   in Loop: Header=BB26_16 Depth=2
	v_lshlrev_b64 v[8:9], 3, v[18:19]
	v_add_co_u32_e32 v8, vcc, s70, v8
	v_addc_co_u32_e32 v9, vcc, v17, v9, vcc
	global_load_dwordx2 v[8:9], v[8:9], off
.LBB26_18:                              ;   in Loop: Header=BB26_16 Depth=2
	s_or_b64 exec, exec, s[18:19]
	s_waitcnt lgkmcnt(0)
	v_xor_b32_e32 v12, 0x80000000, v5
	v_and_b32_e32 v13, s93, v12
	v_and_b32_e32 v12, s92, v4
	v_cmp_eq_u64_e32 vcc, s[94:95], v[12:13]
	s_cmp_lg_u64 vcc, 0
	s_cselect_b64 s[10:11], -1, 0
	s_and_b64 s[10:11], s[2:3], s[10:11]
	v_mov_b32_e32 v12, 0
	s_and_saveexec_b64 s[26:27], s[10:11]
	s_cbranch_execz .LBB26_22
; %bb.19:                               ;   in Loop: Header=BB26_16 Depth=2
	s_mov_b64 s[30:31], exec
	v_mbcnt_lo_u32_b32 v12, s30, 0
	v_mbcnt_hi_u32_b32 v12, s31, v12
	s_bcnt1_i32_b64 s7, vcc
	v_cmp_eq_u32_e64 s[18:19], 0, v12
                                        ; implicit-def: $vgpr13
	s_and_saveexec_b64 s[28:29], s[18:19]
	s_cbranch_execz .LBB26_21
; %bb.20:                               ;   in Loop: Header=BB26_16 Depth=2
	s_bcnt1_i32_b64 s10, s[30:31]
	s_mul_i32 s10, s7, s10
	v_mov_b32_e32 v13, s10
	ds_add_rtn_u32 v13, v19, v13 offset:4104
.LBB26_21:                              ;   in Loop: Header=BB26_16 Depth=2
	s_or_b64 exec, exec, s[28:29]
	s_waitcnt lgkmcnt(0)
	v_readfirstlane_b32 s10, v13
	v_mov_b32_e32 v13, s10
	v_mad_u32_u24 v12, s7, v12, v13
.LBB26_22:                              ;   in Loop: Header=BB26_16 Depth=2
	s_or_b64 exec, exec, s[26:27]
	ds_bpermute_b32 v12, v34, v12
	s_and_saveexec_b64 s[18:19], vcc
	s_cbranch_execz .LBB26_15
; %bb.23:                               ;   in Loop: Header=BB26_16 Depth=2
	v_and_b32_e32 v14, vcc_lo, v22
	v_and_b32_e32 v13, vcc_hi, v1
	v_bcnt_u32_b32 v14, v14, 0
	v_bcnt_u32_b32 v13, v13, v14
	v_lshlrev_b32_e32 v13, 3, v13
	s_waitcnt lgkmcnt(0)
	v_lshl_add_u32 v12, v12, 3, v13
	ds_write_b64 v12, v[4:5]
	s_branch .LBB26_15
.LBB26_24:                              ;   in Loop: Header=BB26_8 Depth=1
	s_mov_b64 s[20:21], -1
	s_mov_b64 s[18:19], 0
	s_branch .LBB26_28
.LBB26_25:                              ;   in Loop: Header=BB26_8 Depth=1
	s_or_b64 exec, exec, s[22:23]
	s_waitcnt lgkmcnt(0)
	s_barrier
	s_mov_b64 s[18:19], exec
	v_readlane_b32 s10, v54, 18
	v_readlane_b32 s11, v54, 19
	s_and_b64 s[10:11], s[18:19], s[10:11]
	s_mov_b64 exec, s[10:11]
	s_cbranch_execz .LBB26_27
; %bb.26:                               ;   in Loop: Header=BB26_8 Depth=1
	ds_read_b32 v3, v19 offset:4104
	s_waitcnt lgkmcnt(0)
	ds_write_b32 v19, v3 offset:4096
.LBB26_27:                              ;   in Loop: Header=BB26_8 Depth=1
	s_or_b64 exec, exec, s[18:19]
	s_waitcnt lgkmcnt(0)
	s_barrier
	s_mov_b64 s[18:19], -1
.LBB26_28:                              ;   in Loop: Header=BB26_8 Depth=1
                                        ; implicit-def: $sgpr7
.LBB26_29:                              ;   in Loop: Header=BB26_8 Depth=1
	s_and_b64 vcc, exec, s[20:21]
	s_cbranch_vccz .LBB26_40
; %bb.30:                               ;   in Loop: Header=BB26_8 Depth=1
	s_waitcnt vmcnt(0)
	v_pk_mov_b32 v[4:5], 0, 0
	s_mov_b64 s[18:19], exec
	v_readlane_b32 s10, v54, 40
	v_readlane_b32 s11, v54, 41
	s_and_b64 s[10:11], s[18:19], s[10:11]
	s_mov_b64 exec, s[10:11]
	s_cbranch_execz .LBB26_32
; %bb.31:                               ;   in Loop: Header=BB26_8 Depth=1
	global_load_dwordx2 v[4:5], v[20:21], off
.LBB26_32:                              ;   in Loop: Header=BB26_8 Depth=1
	s_or_b64 exec, exec, s[18:19]
	s_mov_b64 s[18:19], exec
	v_readlane_b32 s10, v54, 42
	v_readlane_b32 s11, v54, 43
	s_and_b64 s[10:11], s[18:19], s[10:11]
	s_mov_b64 exec, s[10:11]
	s_cbranch_execz .LBB26_37
; %bb.33:                               ;   in Loop: Header=BB26_8 Depth=1
	v_readlane_b32 s10, v54, 36
	v_readlane_b32 s11, v54, 37
	s_mov_b64 s[20:21], 0
	v_mov_b32_e32 v10, v31
	v_mov_b32_e32 v13, v0
	s_nop 1
	global_load_ushort v3, v19, s[10:11]
	s_waitcnt vmcnt(0)
	v_add_u32_e32 v8, v0, v3
	v_lshlrev_b32_e32 v11, 3, v3
	v_mul_lo_u32 v12, s71, v3
	v_mul_lo_u32 v18, s71, v8
	s_branch .LBB26_35
.LBB26_34:                              ;   in Loop: Header=BB26_35 Depth=2
	s_or_b64 exec, exec, s[22:23]
	v_cmp_le_i32_e32 vcc, s68, v13
	ds_write_b64 v10, v[4:5]
	v_add_u32_e32 v10, v10, v11
	v_add_u32_e32 v18, v18, v12
	s_or_b64 s[20:21], vcc, s[20:21]
	s_waitcnt vmcnt(0)
	v_pk_mov_b32 v[4:5], v[8:9], v[8:9] op_sel:[0,1]
	s_andn2_b64 exec, exec, s[20:21]
	s_cbranch_execz .LBB26_37
.LBB26_35:                              ;   Parent Loop BB26_8 Depth=1
                                        ; =>  This Inner Loop Header: Depth=2
	v_add_u32_e32 v13, v13, v3
	v_cmp_gt_u32_e32 vcc, s68, v13
	v_pk_mov_b32 v[8:9], 0, 0
	s_and_saveexec_b64 s[22:23], vcc
	s_cbranch_execz .LBB26_34
; %bb.36:                               ;   in Loop: Header=BB26_35 Depth=2
	v_lshlrev_b64 v[8:9], 3, v[18:19]
	v_mov_b32_e32 v14, s16
	v_add_co_u32_e32 v8, vcc, s70, v8
	v_addc_co_u32_e32 v9, vcc, v14, v9, vcc
	global_load_dwordx2 v[8:9], v[8:9], off
	s_branch .LBB26_34
.LBB26_37:                              ;   in Loop: Header=BB26_8 Depth=1
	s_or_b64 exec, exec, s[18:19]
	s_waitcnt lgkmcnt(0)
	s_barrier
	s_mov_b64 s[18:19], exec
	v_readlane_b32 s10, v54, 18
	v_readlane_b32 s11, v54, 19
	s_and_b64 s[10:11], s[18:19], s[10:11]
	s_mov_b64 exec, s[10:11]
	s_cbranch_execz .LBB26_39
; %bb.38:                               ;   in Loop: Header=BB26_8 Depth=1
	v_mov_b32_e32 v3, s68
	ds_write_b32 v19, v3 offset:4096
.LBB26_39:                              ;   in Loop: Header=BB26_8 Depth=1
	s_or_b64 exec, exec, s[18:19]
	s_mov_b64 s[18:19], -1
	s_waitcnt lgkmcnt(0)
	s_barrier
                                        ; implicit-def: $sgpr7
.LBB26_40:                              ;   in Loop: Header=BB26_8 Depth=1
	s_and_b64 vcc, exec, s[18:19]
	s_cbranch_vccz .LBB26_42
; %bb.41:                               ;   in Loop: Header=BB26_8 Depth=1
	ds_read_b32 v3, v19 offset:4096
	s_waitcnt lgkmcnt(0)
	v_readfirstlane_b32 s7, v3
.LBB26_42:                              ;   in Loop: Header=BB26_8 Depth=1
	s_cmp_lt_i32 s7, 1
	s_cbranch_scc0 .LBB26_54
; %bb.43:                               ;   in Loop: Header=BB26_8 Depth=1
	v_mov_b32_e32 v8, 0
	s_mov_b32 s81, 0
	v_mov_b32_e32 v9, 0
	v_mov_b32_e32 v10, v8
	;; [unrolled: 1-line block ×3, first 2 shown]
	s_mov_b64 s[74:75], exec
	v_readlane_b32 s10, v54, 54
	v_readlane_b32 s11, v54, 55
	s_and_b64 s[10:11], s[74:75], s[10:11]
	s_mov_b64 exec, s[10:11]
	s_cbranch_execz .LBB26_47
; %bb.44:                               ;   in Loop: Header=BB26_8 Depth=1
	s_and_b32 s90, s87, 0xfe
	s_mov_b64 s[88:89], 0
	s_mov_b32 s91, 0
	s_mov_b32 s10, 0
	;; [unrolled: 1-line block ×4, first 2 shown]
	v_mov_b32_e32 v3, v30
.LBB26_45:                              ;   Parent Loop BB26_8 Depth=1
                                        ; =>  This Inner Loop Header: Depth=2
	s_waitcnt vmcnt(0)
	v_add_u32_e32 v4, s81, v39
	v_ashrrev_i32_e32 v5, 31, v4
	v_add_u32_e32 v8, s81, v36
	v_lshlrev_b64 v[4:5], 3, v[4:5]
	v_mov_b32_e32 v12, s16
	v_ashrrev_i32_e32 v9, 31, v8
	v_add_co_u32_e64 v4, s[18:19], s70, v4
	v_add_u32_e32 v10, s81, v37
	v_lshlrev_b64 v[8:9], 3, v[8:9]
	v_addc_co_u32_e64 v5, s[18:19], v12, v5, s[18:19]
	v_ashrrev_i32_e32 v11, 31, v10
	v_add_co_u32_e64 v8, s[18:19], s70, v8
	v_add_u32_e32 v28, s81, v38
	v_lshlrev_b64 v[10:11], 3, v[10:11]
	v_addc_co_u32_e64 v9, s[18:19], v12, v9, s[18:19]
	v_ashrrev_i32_e32 v29, 31, v28
	v_add_co_u32_e64 v10, s[18:19], s70, v10
	v_lshlrev_b64 v[28:29], 3, v[28:29]
	v_addc_co_u32_e64 v11, s[18:19], v12, v11, s[18:19]
	v_add_co_u32_e64 v28, s[18:19], s70, v28
	v_addc_co_u32_e64 v29, s[18:19], v12, v29, s[18:19]
	global_load_dwordx2 v[4:5], v[4:5], off
	s_nop 0
	global_load_dwordx2 v[8:9], v[8:9], off
	s_nop 0
	;; [unrolled: 2-line block ×3, first 2 shown]
	global_load_dwordx2 v[28:29], v[28:29], off
	v_mov_b32_e32 v13, v19
	v_mov_b32_e32 v15, v19
	;; [unrolled: 1-line block ×3, first 2 shown]
	v_add_u32_e32 v3, s17, v3
	s_add_i32 s81, s81, s84
	v_cmp_le_i32_e32 vcc, s9, v3
	s_waitcnt vmcnt(3)
	v_xor_b32_e32 v5, 0x80000000, v5
	s_waitcnt vmcnt(2)
	v_xor_b32_e32 v9, 0x80000000, v9
	v_and_b32_e32 v44, s92, v4
	v_and_b32_e32 v45, s93, v5
	v_lshrrev_b64 v[4:5], s90, v[4:5]
	s_waitcnt vmcnt(1)
	v_xor_b32_e32 v11, 0x80000000, v11
	v_and_b32_e32 v46, s92, v8
	v_and_b32_e32 v47, s93, v9
	v_lshrrev_b64 v[8:9], s90, v[8:9]
	v_and_b32_e32 v18, 3, v4
	s_waitcnt vmcnt(0)
	v_xor_b32_e32 v29, 0x80000000, v29
	v_and_b32_e32 v48, s92, v10
	v_and_b32_e32 v49, s93, v11
	v_lshrrev_b64 v[10:11], s90, v[10:11]
	v_cmp_eq_u64_e64 s[18:19], s[94:95], v[44:45]
	v_and_b32_e32 v12, 3, v8
	v_cmp_eq_u64_e64 s[26:27], 0, v[18:19]
	v_and_b32_e32 v50, s92, v28
	v_and_b32_e32 v51, s93, v29
	v_lshrrev_b64 v[28:29], s90, v[28:29]
	v_cmp_eq_u64_e64 s[20:21], s[94:95], v[46:47]
	v_and_b32_e32 v14, 3, v10
	v_cmp_eq_u64_e64 s[28:29], 0, v[12:13]
	s_and_b64 s[14:15], s[18:19], s[26:27]
	v_cmp_eq_u64_e64 s[22:23], s[94:95], v[48:49]
	v_and_b32_e32 v26, 3, v28
	v_cmp_eq_u64_e64 s[30:31], 0, v[14:15]
	v_cndmask_b32_e64 v4, 0, 1, s[14:15]
	s_and_b64 s[14:15], s[20:21], s[28:29]
	v_cmp_eq_u64_e64 s[24:25], s[94:95], v[50:51]
	v_cmp_eq_u64_e64 s[34:35], 0, v[26:27]
	v_cndmask_b32_e64 v5, 0, 1, s[14:15]
	s_and_b64 s[14:15], s[22:23], s[30:31]
	v_cmp_eq_u64_e64 s[36:37], 1, v[18:19]
	v_cndmask_b32_e64 v8, 0, 1, s[14:15]
	s_and_b64 s[14:15], s[24:25], s[34:35]
	;; [unrolled: 3-line block ×5, first 2 shown]
	v_cmp_eq_u64_e64 s[44:45], 2, v[18:19]
	v_cmp_eq_u64_e64 s[46:47], 2, v[12:13]
	;; [unrolled: 1-line block ×3, first 2 shown]
	v_cndmask_b32_e64 v12, 0, 1, s[14:15]
	s_and_b64 s[14:15], s[24:25], s[42:43]
	v_cndmask_b32_e64 v13, 0, 1, s[14:15]
	s_and_b64 s[14:15], s[18:19], s[44:45]
	v_cmp_eq_u64_e64 s[48:49], 2, v[14:15]
	v_cmp_eq_u64_e64 s[56:57], 3, v[14:15]
	v_cndmask_b32_e64 v14, 0, 1, s[14:15]
	s_and_b64 s[14:15], s[20:21], s[46:47]
	v_cmp_eq_u64_e64 s[50:51], 2, v[26:27]
	v_cndmask_b32_e64 v15, 0, 1, s[14:15]
	s_and_b64 s[14:15], s[22:23], s[48:49]
	;; [unrolled: 3-line block ×4, first 2 shown]
	v_cndmask_b32_e64 v27, 0, 1, s[14:15]
	s_and_b64 s[14:15], s[20:21], s[54:55]
	v_cndmask_b32_e64 v28, 0, 1, s[14:15]
	s_and_b64 s[14:15], s[22:23], s[56:57]
	;; [unrolled: 2-line block ×3, first 2 shown]
	v_cmp_ne_u32_e64 s[18:19], 0, v4
	v_cmp_ne_u32_e64 s[22:23], 0, v8
	;; [unrolled: 1-line block ×5, first 2 shown]
	v_cndmask_b32_e64 v44, 0, 1, s[14:15]
	v_cmp_ne_u32_e64 s[20:21], 0, v5
	v_cmp_ne_u32_e64 s[24:25], 0, v9
	;; [unrolled: 1-line block ×5, first 2 shown]
	s_bcnt1_i32_b64 s13, s[18:19]
	s_bcnt1_i32_b64 s15, s[22:23]
	;; [unrolled: 1-line block ×5, first 2 shown]
	v_cmp_ne_u32_e64 s[30:31], 0, v12
	v_cmp_ne_u32_e64 s[40:41], 0, v18
	;; [unrolled: 1-line block ×3, first 2 shown]
	s_bcnt1_i32_b64 s14, s[20:21]
	s_bcnt1_i32_b64 s18, s[24:25]
	;; [unrolled: 1-line block ×5, first 2 shown]
	s_add_i32 s12, s12, s13
	s_add_i32 s11, s11, s19
	;; [unrolled: 1-line block ×4, first 2 shown]
	v_cmp_ne_u32_e64 s[34:35], 0, v13
	v_cmp_ne_u32_e64 s[42:43], 0, v26
	;; [unrolled: 1-line block ×3, first 2 shown]
	s_bcnt1_i32_b64 s21, s[30:31]
	s_bcnt1_i32_b64 s25, s[40:41]
	;; [unrolled: 1-line block ×3, first 2 shown]
	s_add_i32 s12, s12, s14
	s_add_i32 s11, s11, s20
	;; [unrolled: 1-line block ×4, first 2 shown]
	s_bcnt1_i32_b64 s22, s[34:35]
	s_bcnt1_i32_b64 s26, s[42:43]
	;; [unrolled: 1-line block ×3, first 2 shown]
	s_add_i32 s12, s12, s15
	s_add_i32 s11, s11, s21
	;; [unrolled: 1-line block ×8, first 2 shown]
	s_or_b64 s[88:89], vcc, s[88:89]
	v_mov_b32_e32 v8, s12
	v_mov_b32_e32 v9, s11
	;; [unrolled: 1-line block ×4, first 2 shown]
	s_andn2_b64 exec, exec, s[88:89]
	s_cbranch_execnz .LBB26_45
; %bb.46:                               ;   in Loop: Header=BB26_8 Depth=1
	s_or_b64 exec, exec, s[88:89]
.LBB26_47:                              ;   in Loop: Header=BB26_8 Depth=1
	s_or_b64 exec, exec, s[74:75]
	v_pk_mov_b32 v[12:13], 0, 0
	s_mov_b64 s[18:19], exec
	v_readlane_b32 s10, v54, 56
	v_readlane_b32 s11, v54, 57
	s_and_b64 s[10:11], s[18:19], s[10:11]
	s_mov_b64 exec, s[10:11]
	s_cbranch_execz .LBB26_49
; %bb.48:                               ;   in Loop: Header=BB26_8 Depth=1
	global_load_dwordx2 v[12:13], v[24:25], off
.LBB26_49:                              ;   in Loop: Header=BB26_8 Depth=1
	s_or_b64 exec, exec, s[18:19]
	s_mov_b64 s[20:21], 0
	s_mov_b64 s[74:75], 0
	s_mov_b64 s[22:23], exec
	v_readlane_b32 s10, v54, 58
	v_readlane_b32 s11, v54, 59
	s_and_b64 s[10:11], s[22:23], s[10:11]
	s_mov_b64 exec, s[10:11]
	s_cbranch_execz .LBB26_56
; %bb.50:                               ;   in Loop: Header=BB26_8 Depth=1
	s_and_b32 s10, s87, 0xfe
	s_mov_b64 s[24:25], 0
	s_waitcnt vmcnt(0)
	v_mov_b32_e32 v4, v40
	v_mov_b32_e32 v3, v35
	s_branch .LBB26_52
.LBB26_51:                              ;   in Loop: Header=BB26_52 Depth=2
	s_or_b64 exec, exec, s[18:19]
	v_xor_b32_e32 v13, 0x80000000, v13
	v_and_b32_e32 v27, s93, v13
	v_and_b32_e32 v26, s92, v12
	v_lshrrev_b64 v[12:13], s10, v[12:13]
	v_and_b32_e32 v18, 3, v12
	v_cmp_eq_u64_e32 vcc, s[94:95], v[26:27]
	v_cmp_eq_u64_e64 s[18:19], 0, v[18:19]
	s_and_b64 s[12:13], vcc, s[18:19]
	v_cndmask_b32_e64 v5, 0, 1, s[12:13]
	v_cmp_ne_u32_e64 s[18:19], 0, v5
	s_bcnt1_i32_b64 s11, s[18:19]
	v_cmp_eq_u64_e64 s[18:19], 1, v[18:19]
	s_and_b64 s[12:13], vcc, s[18:19]
	v_cndmask_b32_e64 v5, 0, 1, s[12:13]
	v_cmp_ne_u32_e64 s[18:19], 0, v5
	v_add_u32_e32 v8, s11, v8
	s_bcnt1_i32_b64 s11, s[18:19]
	v_cmp_eq_u64_e64 s[18:19], 2, v[18:19]
	s_and_b64 s[12:13], vcc, s[18:19]
	v_cndmask_b32_e64 v5, 0, 1, s[12:13]
	v_cmp_ne_u32_e64 s[18:19], 0, v5
	v_add_u32_e32 v9, s11, v9
	s_bcnt1_i32_b64 s11, s[18:19]
	v_cmp_eq_u64_e64 s[18:19], 3, v[18:19]
	s_and_b64 s[12:13], vcc, s[18:19]
	v_cndmask_b32_e64 v5, 0, 1, s[12:13]
	v_cmp_ne_u32_e32 vcc, 0, v5
	v_add_u32_e32 v10, s11, v10
	s_bcnt1_i32_b64 s11, vcc
	v_cmp_le_i32_e32 vcc, s68, v3
	v_add_u32_e32 v11, s11, v11
	v_add_u32_e32 v4, s0, v4
	s_or_b64 s[24:25], vcc, s[24:25]
	s_waitcnt vmcnt(0)
	v_pk_mov_b32 v[12:13], v[14:15], v[14:15] op_sel:[0,1]
	s_andn2_b64 exec, exec, s[24:25]
	s_cbranch_execz .LBB26_55
.LBB26_52:                              ;   Parent Loop BB26_8 Depth=1
                                        ; =>  This Inner Loop Header: Depth=2
	v_add_u32_e32 v3, s33, v3
	v_cmp_gt_u32_e32 vcc, s68, v3
	v_pk_mov_b32 v[14:15], 0, 0
	s_and_saveexec_b64 s[18:19], vcc
	s_cbranch_execz .LBB26_51
; %bb.53:                               ;   in Loop: Header=BB26_52 Depth=2
	v_ashrrev_i32_e32 v5, 31, v4
	v_lshlrev_b64 v[14:15], 3, v[4:5]
	v_mov_b32_e32 v5, s16
	v_add_co_u32_e32 v14, vcc, s70, v14
	v_addc_co_u32_e32 v15, vcc, v5, v15, vcc
	global_load_dwordx2 v[14:15], v[14:15], off
	s_branch .LBB26_51
.LBB26_54:                              ;   in Loop: Header=BB26_8 Depth=1
	s_mov_b64 s[74:75], 0
                                        ; implicit-def: $vgpr11
	s_cbranch_execnz .LBB26_57
	s_branch .LBB26_66
.LBB26_55:                              ;   in Loop: Header=BB26_8 Depth=1
	s_or_b64 exec, exec, s[24:25]
	s_mov_b64 s[74:75], exec
.LBB26_56:                              ;   in Loop: Header=BB26_8 Depth=1
	s_or_b64 exec, exec, s[22:23]
	s_and_b64 vcc, exec, s[20:21]
	s_cbranch_vccz .LBB26_66
.LBB26_57:                              ;   in Loop: Header=BB26_8 Depth=1
	s_mul_hi_u32 s10, s7, s8
	s_mul_i32 s10, s10, s17
	s_sub_i32 s10, s7, s10
	s_sub_i32 s11, s10, s17
	s_cmp_ge_u32 s10, s17
	s_cselect_b32 s10, s11, s10
	s_sub_i32 s11, s10, s17
	s_cmp_ge_u32 s10, s17
	s_cselect_b32 s10, s11, s10
	s_sub_i32 s10, s7, s10
	v_cmp_gt_u32_e32 vcc, s10, v30
	s_mov_b32 s11, 0
	v_mov_b32_e32 v8, 0
	v_mov_b32_e32 v9, 0
	;; [unrolled: 1-line block ×4, first 2 shown]
	s_and_saveexec_b64 s[88:89], vcc
	s_cbranch_execz .LBB26_61
; %bb.58:                               ;   in Loop: Header=BB26_8 Depth=1
	s_and_b32 s12, s87, 0xfe
	s_mov_b64 s[90:91], 0
	v_mov_b32_e32 v3, v41
	s_mov_b32 s13, 0
	s_mov_b32 s81, 0
	s_mov_b32 s14, 0
	v_mov_b32_e32 v44, v30
.LBB26_59:                              ;   Parent Loop BB26_8 Depth=1
                                        ; =>  This Inner Loop Header: Depth=2
	s_waitcnt vmcnt(0)
	ds_read_b128 v[12:15], v3
	ds_read_b128 v[8:11], v3 offset:16
	v_mov_b32_e32 v5, v19
	v_mov_b32_e32 v27, v19
	;; [unrolled: 1-line block ×3, first 2 shown]
	s_waitcnt lgkmcnt(1)
	v_xor_b32_e32 v13, 0x80000000, v13
	v_xor_b32_e32 v15, 0x80000000, v15
	v_and_b32_e32 v46, s92, v12
	v_and_b32_e32 v47, s93, v13
	v_lshrrev_b64 v[12:13], s12, v[12:13]
	s_waitcnt lgkmcnt(0)
	v_xor_b32_e32 v9, 0x80000000, v9
	v_and_b32_e32 v48, s92, v14
	v_and_b32_e32 v49, s93, v15
	v_lshrrev_b64 v[14:15], s12, v[14:15]
	v_and_b32_e32 v18, 3, v12
	v_xor_b32_e32 v11, 0x80000000, v11
	v_and_b32_e32 v50, s92, v8
	v_and_b32_e32 v51, s93, v9
	v_lshrrev_b64 v[8:9], s12, v[8:9]
	v_cmp_eq_u64_e64 s[18:19], s[94:95], v[46:47]
	v_and_b32_e32 v4, 3, v14
	v_cmp_eq_u64_e64 s[26:27], 0, v[18:19]
	v_and_b32_e32 v52, s92, v10
	v_and_b32_e32 v53, s93, v11
	v_lshrrev_b64 v[10:11], s12, v[10:11]
	v_cmp_eq_u64_e64 s[20:21], s[94:95], v[48:49]
	v_and_b32_e32 v26, 3, v8
	v_cmp_eq_u64_e64 s[28:29], 0, v[4:5]
	s_and_b64 s[26:27], s[18:19], s[26:27]
	v_cmp_eq_u64_e64 s[22:23], s[94:95], v[50:51]
	v_and_b32_e32 v28, 3, v10
	v_cmp_eq_u64_e64 s[30:31], 0, v[26:27]
	v_cmp_eq_u64_e64 s[38:39], 1, v[4:5]
	;; [unrolled: 1-line block ×4, first 2 shown]
	v_cndmask_b32_e64 v4, 0, 1, s[26:27]
	s_and_b64 s[26:27], s[20:21], s[28:29]
	v_cmp_eq_u64_e64 s[24:25], s[94:95], v[52:53]
	v_cmp_eq_u64_e64 s[34:35], 0, v[28:29]
	v_cndmask_b32_e64 v5, 0, 1, s[26:27]
	s_and_b64 s[26:27], s[22:23], s[30:31]
	v_cmp_eq_u64_e64 s[36:37], 1, v[18:19]
	v_cndmask_b32_e64 v8, 0, 1, s[26:27]
	s_and_b64 s[26:27], s[24:25], s[34:35]
	v_cndmask_b32_e64 v9, 0, 1, s[26:27]
	s_and_b64 s[26:27], s[18:19], s[36:37]
	v_cmp_eq_u64_e64 s[40:41], 1, v[26:27]
	v_cndmask_b32_e64 v10, 0, 1, s[26:27]
	s_and_b64 s[26:27], s[20:21], s[38:39]
	v_cmp_eq_u64_e64 s[42:43], 1, v[28:29]
	;; [unrolled: 3-line block ×3, first 2 shown]
	v_cmp_eq_u64_e64 s[52:53], 3, v[18:19]
	v_cndmask_b32_e64 v12, 0, 1, s[26:27]
	s_and_b64 s[26:27], s[24:25], s[42:43]
	v_cndmask_b32_e64 v13, 0, 1, s[26:27]
	s_and_b64 s[26:27], s[18:19], s[44:45]
	s_and_b64 s[18:19], s[18:19], s[52:53]
	v_cmp_eq_u64_e64 s[48:49], 2, v[26:27]
	v_cmp_eq_u64_e64 s[56:57], 3, v[26:27]
	v_cndmask_b32_e64 v14, 0, 1, s[26:27]
	s_and_b64 s[26:27], s[20:21], s[46:47]
	v_cndmask_b32_e64 v27, 0, 1, s[18:19]
	s_and_b64 s[18:19], s[20:21], s[54:55]
	v_cmp_eq_u64_e64 s[50:51], 2, v[28:29]
	v_cmp_eq_u64_e64 s[58:59], 3, v[28:29]
	v_cndmask_b32_e64 v15, 0, 1, s[26:27]
	s_and_b64 s[26:27], s[22:23], s[48:49]
	v_cndmask_b32_e64 v28, 0, 1, s[18:19]
	s_and_b64 s[18:19], s[22:23], s[56:57]
	;; [unrolled: 2-line block ×4, first 2 shown]
	v_cndmask_b32_e64 v26, 0, 1, s[26:27]
	v_cndmask_b32_e64 v45, 0, 1, s[18:19]
	v_cmp_ne_u32_e64 s[18:19], 0, v4
	v_cmp_ne_u32_e64 s[20:21], 0, v5
	;; [unrolled: 1-line block ×11, first 2 shown]
	s_bcnt1_i32_b64 s15, s[18:19]
	s_bcnt1_i32_b64 s18, s[20:21]
	;; [unrolled: 1-line block ×8, first 2 shown]
	v_cmp_ne_u32_e64 s[40:41], 0, v18
	v_cmp_ne_u32_e64 s[48:49], 0, v29
	s_bcnt1_i32_b64 s23, s[30:31]
	s_bcnt1_i32_b64 s26, s[38:39]
	;; [unrolled: 1-line block ×3, first 2 shown]
	s_add_i32 s14, s14, s15
	s_add_i32 s15, s81, s21
	s_add_i32 s13, s13, s25
	s_add_i32 s11, s11, s29
	v_cmp_ne_u32_e64 s[34:35], 0, v13
	v_cmp_ne_u32_e64 s[42:43], 0, v26
	;; [unrolled: 1-line block ×3, first 2 shown]
	s_bcnt1_i32_b64 s27, s[40:41]
	s_bcnt1_i32_b64 s31, s[48:49]
	s_add_i32 s14, s14, s18
	s_add_i32 s15, s15, s22
	;; [unrolled: 1-line block ×4, first 2 shown]
	v_add_u32_e32 v44, s17, v44
	s_bcnt1_i32_b64 s24, s[34:35]
	s_bcnt1_i32_b64 s28, s[42:43]
	;; [unrolled: 1-line block ×3, first 2 shown]
	s_add_i32 s14, s14, s19
	s_add_i32 s15, s15, s23
	;; [unrolled: 1-line block ×4, first 2 shown]
	v_cmp_le_i32_e32 vcc, s10, v44
	s_add_i32 s14, s14, s20
	s_add_i32 s81, s15, s24
	;; [unrolled: 1-line block ×4, first 2 shown]
	v_add_u32_e32 v3, s85, v3
	s_or_b64 s[90:91], vcc, s[90:91]
	v_mov_b32_e32 v8, s14
	v_mov_b32_e32 v9, s81
	;; [unrolled: 1-line block ×4, first 2 shown]
	s_andn2_b64 exec, exec, s[90:91]
	s_cbranch_execnz .LBB26_59
; %bb.60:                               ;   in Loop: Header=BB26_8 Depth=1
	s_or_b64 exec, exec, s[90:91]
.LBB26_61:                              ;   in Loop: Header=BB26_8 Depth=1
	s_or_b64 exec, exec, s[88:89]
	v_add_u32_e32 v3, s10, v0
	v_cmp_gt_i32_e32 vcc, s7, v3
	s_and_saveexec_b64 s[28:29], vcc
	s_cbranch_execz .LBB26_65
; %bb.62:                               ;   in Loop: Header=BB26_8 Depth=1
	s_and_b32 s10, s87, 0xfe
	s_waitcnt vmcnt(0)
	v_lshlrev_b32_e32 v4, 3, v3
	s_mov_b64 s[30:31], 0
.LBB26_63:                              ;   Parent Loop BB26_8 Depth=1
                                        ; =>  This Inner Loop Header: Depth=2
	ds_read_b64 v[12:13], v4
	v_add_u32_e32 v3, s33, v3
	v_cmp_le_i32_e32 vcc, s7, v3
	v_add_u32_e32 v4, s86, v4
	s_waitcnt lgkmcnt(0)
	v_xor_b32_e32 v13, 0x80000000, v13
	v_and_b32_e32 v14, s92, v12
	v_and_b32_e32 v15, s93, v13
	v_lshrrev_b64 v[12:13], s10, v[12:13]
	v_and_b32_e32 v18, 3, v12
	v_cmp_eq_u64_e64 s[18:19], s[94:95], v[14:15]
	v_cmp_eq_u64_e64 s[20:21], 0, v[18:19]
	;; [unrolled: 1-line block ×3, first 2 shown]
	s_and_b64 s[12:13], s[18:19], s[20:21]
	v_cmp_eq_u64_e64 s[24:25], 2, v[18:19]
	v_cndmask_b32_e64 v5, 0, 1, s[12:13]
	s_and_b64 s[12:13], s[18:19], s[22:23]
	v_cmp_eq_u64_e64 s[26:27], 3, v[18:19]
	v_cndmask_b32_e64 v12, 0, 1, s[12:13]
	s_and_b64 s[12:13], s[18:19], s[24:25]
	v_cndmask_b32_e64 v13, 0, 1, s[12:13]
	s_and_b64 s[12:13], s[18:19], s[26:27]
	v_cndmask_b32_e64 v14, 0, 1, s[12:13]
	v_cmp_ne_u32_e64 s[18:19], 0, v5
	v_cmp_ne_u32_e64 s[20:21], 0, v12
	v_cmp_ne_u32_e64 s[22:23], 0, v13
	v_cmp_ne_u32_e64 s[24:25], 0, v14
	s_bcnt1_i32_b64 s11, s[18:19]
	s_bcnt1_i32_b64 s12, s[20:21]
	;; [unrolled: 1-line block ×4, first 2 shown]
	v_add_u32_e32 v8, s11, v8
	v_add_u32_e32 v9, s12, v9
	;; [unrolled: 1-line block ×3, first 2 shown]
	s_or_b64 s[30:31], vcc, s[30:31]
	v_add_u32_e32 v11, s14, v11
	s_andn2_b64 exec, exec, s[30:31]
	s_cbranch_execnz .LBB26_63
; %bb.64:                               ;   in Loop: Header=BB26_8 Depth=1
	s_or_b64 exec, exec, s[30:31]
	s_or_b64 s[74:75], s[74:75], exec
.LBB26_65:                              ;   in Loop: Header=BB26_8 Depth=1
	s_or_b64 exec, exec, s[28:29]
.LBB26_66:                              ;   in Loop: Header=BB26_8 Depth=1
	s_and_saveexec_b64 s[18:19], s[74:75]
	s_or_b64 exec, exec, s[18:19]
	s_lshl_b32 s7, s6, 6
	s_and_saveexec_b64 s[18:19], s[2:3]
	s_cbranch_execz .LBB26_68
; %bb.67:                               ;   in Loop: Header=BB26_8 Depth=1
	v_or_b32_e32 v3, s7, v33
	v_lshlrev_b32_e32 v3, 2, v3
	ds_write_b128 v3, v[8:11] offset:3072
.LBB26_68:                              ;   in Loop: Header=BB26_8 Depth=1
	s_or_b64 exec, exec, s[18:19]
	s_waitcnt lgkmcnt(0)
	s_barrier
	s_and_saveexec_b64 s[18:19], s[82:83]
	s_cbranch_execz .LBB26_82
; %bb.69:                               ;   in Loop: Header=BB26_8 Depth=1
	v_readlane_b32 s10, v54, 34
	v_readlane_b32 s11, v54, 35
	v_add_u32_e32 v3, s7, v23
	s_andn2_b64 vcc, exec, s[10:11]
	s_waitcnt vmcnt(0)
	v_mov_b32_e32 v4, 0
	s_cbranch_vccnz .LBB26_81
; %bb.70:                               ;   in Loop: Header=BB26_8 Depth=1
	v_readlane_b32 s12, v54, 38
	v_readlane_b32 s13, v54, 39
	s_mov_b32 s10, 0
	s_and_b64 vcc, exec, s[12:13]
	v_mov_b32_e32 v4, 0
	s_cbranch_vccz .LBB26_74
; %bb.71:                               ;   in Loop: Header=BB26_8 Depth=1
	v_readlane_b32 s10, v54, 44
	v_readlane_b32 s11, v54, 45
	v_lshl_add_u32 v8, v3, 2, v43
	s_andn2_b64 vcc, exec, s[10:11]
	s_cbranch_vccnz .LBB26_75
; %bb.72:                               ;   in Loop: Header=BB26_8 Depth=1
	s_mov_b32 s21, 1
	s_mov_b32 s20, 0
	v_mov_b32_e32 v4, 0
	v_readlane_b32 s10, v54, 46
	v_mov_b32_e32 v5, 0
.LBB26_73:                              ;   Parent Loop BB26_8 Depth=1
                                        ; =>  This Inner Loop Header: Depth=2
	v_lshl_add_u32 v9, s20, 4, v8
	v_lshl_add_u32 v18, s21, 4, v8
	ds_read2_b32 v[10:11], v9 offset1:8
	ds_read2_b32 v[12:13], v18 offset1:8
	ds_read2_b32 v[14:15], v9 offset0:16 offset1:24
	ds_read2_b32 v[26:27], v18 offset0:16 offset1:24
	;; [unrolled: 1-line block ×6, first 2 shown]
	s_waitcnt lgkmcnt(7)
	v_add3_u32 v4, v10, v4, v11
	s_waitcnt lgkmcnt(6)
	v_add3_u32 v5, v12, v5, v13
	;; [unrolled: 2-line block ×3, first 2 shown]
	v_add3_u32 v4, v14, v4, v15
	s_add_i32 s21, s21, 16
	s_add_i32 s20, s20, 16
	s_add_i32 s10, s10, -8
	s_waitcnt lgkmcnt(3)
	v_add3_u32 v4, v28, v4, v29
	s_waitcnt lgkmcnt(2)
	v_add3_u32 v5, v44, v5, v45
	s_cmp_lg_u32 s10, 0
	s_waitcnt lgkmcnt(0)
	v_add3_u32 v5, v48, v5, v49
	v_add3_u32 v4, v46, v4, v47
	s_cbranch_scc1 .LBB26_73
	s_branch .LBB26_76
.LBB26_74:                              ;   in Loop: Header=BB26_8 Depth=1
	s_cbranch_execnz .LBB26_79
	s_branch .LBB26_81
.LBB26_75:                              ;   in Loop: Header=BB26_8 Depth=1
	s_mov_b32 s81, s80
	v_pk_mov_b32 v[4:5], s[80:81], s[80:81] op_sel:[0,1]
	s_mov_b32 s81, 1
	s_mov_b64 s[20:21], s[80:81]
.LBB26_76:                              ;   in Loop: Header=BB26_8 Depth=1
	v_readlane_b32 s10, v54, 48
	v_readlane_b32 s11, v54, 49
	s_andn2_b64 vcc, exec, s[10:11]
	v_readlane_b32 s10, v54, 47
	s_cbranch_vccnz .LBB26_78
.LBB26_77:                              ;   Parent Loop BB26_8 Depth=1
                                        ; =>  This Inner Loop Header: Depth=2
	v_lshl_add_u32 v9, s20, 4, v8
	v_lshl_add_u32 v10, s21, 4, v8
	ds_read_b32 v10, v10
	ds_read_b32 v9, v9
	s_add_i32 s21, s21, 2
	s_add_i32 s20, s20, 2
	s_add_i32 s10, s10, -1
	s_cmp_lg_u32 s10, 0
	s_waitcnt lgkmcnt(1)
	v_add_u32_e32 v5, v10, v5
	s_waitcnt lgkmcnt(0)
	v_add_u32_e32 v4, v9, v4
	s_cbranch_scc1 .LBB26_77
.LBB26_78:                              ;   in Loop: Header=BB26_8 Depth=1
	v_readlane_b32 s20, v54, 52
	v_add_u32_e32 v4, v4, v5
	v_readlane_b32 s10, v54, 51
	v_readlane_b32 s21, v54, 53
	s_and_b64 vcc, exec, s[20:21]
	s_cbranch_vccz .LBB26_81
.LBB26_79:                              ;   in Loop: Header=BB26_8 Depth=1
	s_lshl_b32 s11, s6, 8
	s_lshl_b32 s12, s10, 4
	s_add_i32 s11, s11, s12
	v_add_u32_e32 v5, s11, v42
	v_readlane_b32 s11, v54, 50
	s_sub_i32 s10, s11, s10
.LBB26_80:                              ;   Parent Loop BB26_8 Depth=1
                                        ; =>  This Inner Loop Header: Depth=2
	ds_read_b32 v8, v5
	s_add_i32 s10, s10, -1
	v_add_u32_e32 v5, 16, v5
	s_cmp_eq_u32 s10, 0
	s_waitcnt lgkmcnt(0)
	v_add_u32_e32 v4, v8, v4
	s_cbranch_scc0 .LBB26_80
.LBB26_81:                              ;   in Loop: Header=BB26_8 Depth=1
	v_lshlrev_b32_e32 v3, 2, v3
	ds_write_b32 v3, v4 offset:3072
.LBB26_82:                              ;   in Loop: Header=BB26_8 Depth=1
	s_or_b64 exec, exec, s[18:19]
	s_lshl_b32 s7, s7, 2
	v_mov_b32_e32 v3, s7
	s_waitcnt lgkmcnt(0)
	s_barrier
	ds_read_b128 v[8:11], v3 offset:3072
	s_and_b32 s51, s87, 0xfe
	s_lshl_b64 s[20:21], 3, s51
	s_not_b64 s[30:31], s[20:21]
	s_mov_b64 s[24:25], -1
	s_waitcnt lgkmcnt(0)
	v_readfirstlane_b32 s38, v8
	s_cmp_eq_u32 s38, 1
	s_cselect_b64 s[10:11], -1, 0
	s_cmp_eq_u32 s69, 1
	s_cselect_b64 s[12:13], -1, 0
	s_and_b64 s[26:27], s[10:11], s[12:13]
	v_readfirstlane_b32 s42, v9
	v_readfirstlane_b32 s50, v10
	;; [unrolled: 1-line block ×3, first 2 shown]
	s_and_b64 vcc, exec, s[26:27]
	s_cbranch_vccz .LBB26_94
; %bb.83:                               ;   in Loop: Header=BB26_8 Depth=1
	ds_read_b32 v3, v19 offset:4096
	s_waitcnt lgkmcnt(0)
	s_barrier
	v_readfirstlane_b32 s10, v3
	s_and_saveexec_b64 s[18:19], s[4:5]
	s_cbranch_execz .LBB26_85
; %bb.84:                               ;   in Loop: Header=BB26_8 Depth=1
	v_mov_b32_e32 v18, v19
	ds_write_b64 v32, v[18:19]
.LBB26_85:                              ;   in Loop: Header=BB26_8 Depth=1
	s_or_b64 exec, exec, s[18:19]
	s_and_b64 s[94:95], s[94:95], s[30:31]
	s_or_b64 s[92:93], s[92:93], s[20:21]
	s_cmp_lt_i32 s10, 1
	s_waitcnt lgkmcnt(0)
	s_barrier
	s_cbranch_scc0 .LBB26_95
; %bb.86:                               ;   in Loop: Header=BB26_8 Depth=1
	s_mov_b64 s[18:19], 0
                                        ; implicit-def: $vgpr6_vgpr7
	s_mov_b64 s[22:23], exec
	v_readlane_b32 s12, v54, 61
	v_readlane_b32 s13, v54, 62
	s_and_b64 s[12:13], s[22:23], s[12:13]
	s_mov_b64 exec, s[12:13]
	s_cbranch_execz .LBB26_97
; %bb.87:                               ;   in Loop: Header=BB26_8 Depth=1
	s_mov_b64 s[34:35], 0
	v_mov_b32_e32 v8, v16
	v_mov_b32_e32 v10, v0
                                        ; implicit-def: $sgpr28_sgpr29
	s_branch .LBB26_89
.LBB26_88:                              ;   in Loop: Header=BB26_89 Depth=2
	s_or_b64 exec, exec, s[18:19]
	s_waitcnt lgkmcnt(0)
	s_barrier
	s_waitcnt vmcnt(0)
	ds_read_b128 v[4:7], v19 offset:3072
	v_add_u32_e32 v10, s33, v10
	v_cmp_le_i32_e32 vcc, s1, v10
	v_add_u32_e32 v8, s0, v8
	s_waitcnt lgkmcnt(0)
	v_readfirstlane_b32 s13, v5
	v_readfirstlane_b32 s12, v4
	s_cmp_lg_u64 s[12:13], 0
	s_cselect_b64 s[12:13], -1, 0
	s_or_b64 s[14:15], vcc, s[12:13]
	s_and_b64 s[14:15], exec, s[14:15]
	s_or_b64 s[34:35], s[14:15], s[34:35]
	s_andn2_b64 s[14:15], s[28:29], exec
	s_and_b64 s[12:13], s[12:13], exec
	s_or_b64 s[28:29], s[14:15], s[12:13]
	s_barrier
	s_andn2_b64 exec, exec, s[34:35]
	s_cbranch_execz .LBB26_96
.LBB26_89:                              ;   Parent Loop BB26_8 Depth=1
                                        ; =>  This Inner Loop Header: Depth=2
	v_cmp_gt_i32_e32 vcc, s68, v10
	s_waitcnt vmcnt(0)
	v_pk_mov_b32 v[4:5], 0, 0
	s_and_saveexec_b64 s[36:37], vcc
	s_cbranch_execz .LBB26_91
; %bb.90:                               ;   in Loop: Header=BB26_89 Depth=2
	v_ashrrev_i32_e32 v9, 31, v8
	v_lshlrev_b64 v[4:5], 3, v[8:9]
	v_mov_b32_e32 v3, s16
	v_add_co_u32_e64 v4, s[18:19], s70, v4
	v_addc_co_u32_e64 v5, s[18:19], v3, v5, s[18:19]
	global_load_dwordx2 v[4:5], v[4:5], off
.LBB26_91:                              ;   in Loop: Header=BB26_89 Depth=2
	s_or_b64 exec, exec, s[36:37]
	s_and_saveexec_b64 s[18:19], vcc
	s_cbranch_execz .LBB26_88
; %bb.92:                               ;   in Loop: Header=BB26_89 Depth=2
	s_waitcnt vmcnt(0)
	v_xor_b32_e32 v3, 0x80000000, v5
	v_and_b32_e32 v7, s93, v3
	v_and_b32_e32 v6, s92, v4
	v_cmp_eq_u64_e32 vcc, s[94:95], v[6:7]
	s_and_b64 exec, exec, vcc
	s_cbranch_execz .LBB26_88
; %bb.93:                               ;   in Loop: Header=BB26_89 Depth=2
	v_mov_b32_e32 v3, v19
	ds_write_b128 v19, v[2:5] offset:3072
	s_branch .LBB26_88
.LBB26_94:                              ;   in Loop: Header=BB26_8 Depth=1
	s_mov_b64 s[18:19], -1
                                        ; implicit-def: $sgpr22_sgpr23
                                        ; implicit-def: $sgpr34_sgpr35
                                        ; implicit-def: $sgpr28_sgpr29
	s_branch .LBB26_108
.LBB26_95:                              ;   in Loop: Header=BB26_8 Depth=1
	s_mov_b64 s[22:23], -1
	s_mov_b64 s[18:19], 0
                                        ; implicit-def: $sgpr28_sgpr29
                                        ; implicit-def: $vgpr6_vgpr7
	s_mov_b64 s[34:35], s[22:23]
	s_cbranch_execnz .LBB26_98
	s_branch .LBB26_108
.LBB26_96:                              ;   in Loop: Header=BB26_8 Depth=1
	s_or_b64 exec, exec, s[34:35]
	s_and_b64 s[18:19], s[28:29], exec
.LBB26_97:                              ;   in Loop: Header=BB26_8 Depth=1
	s_or_b64 exec, exec, s[22:23]
	s_mov_b64 s[28:29], -1
	s_mov_b64 s[22:23], 0
	s_mov_b64 s[34:35], s[22:23]
	s_branch .LBB26_108
.LBB26_98:                              ;   in Loop: Header=BB26_8 Depth=1
	v_readlane_b32 s11, v54, 31
	s_add_i32 s11, s10, s11
	s_abs_i32 s13, s11
	v_readlane_b32 s14, v54, 60
	s_mul_hi_u32 s14, s13, s14
	s_mul_i32 s14, s14, s33
	s_sub_i32 s13, s13, s14
	s_ashr_i32 s12, s11, 31
	s_sub_i32 s14, s13, s33
	s_cmp_ge_u32 s13, s33
	s_cselect_b32 s13, s14, s13
	s_sub_i32 s14, s13, s33
	s_cmp_ge_u32 s13, s33
	s_cselect_b32 s13, s14, s13
	s_xor_b32 s13, s13, s12
	s_sub_i32 s12, s12, s13
	s_add_i32 s11, s11, s12
	v_cmp_gt_i32_e32 vcc, s11, v0
	s_mov_b64 s[18:19], 0
                                        ; implicit-def: $vgpr6_vgpr7
	s_and_saveexec_b64 s[22:23], vcc
	s_cbranch_execz .LBB26_107
; %bb.99:                               ;   in Loop: Header=BB26_8 Depth=1
	s_mov_b64 s[28:29], 0
	v_mov_b32_e32 v8, v31
	v_mov_b32_e32 v9, v0
                                        ; implicit-def: $sgpr18_sgpr19
	s_branch .LBB26_101
.LBB26_100:                             ;   in Loop: Header=BB26_101 Depth=2
	s_or_b64 exec, exec, s[34:35]
	s_waitcnt lgkmcnt(0)
	s_barrier
	ds_read_b128 v[4:7], v19 offset:3072
	v_add_u32_e32 v9, s33, v9
	v_cmp_le_i32_e32 vcc, s11, v9
	v_add_u32_e32 v8, s86, v8
	s_waitcnt lgkmcnt(0)
	v_readfirstlane_b32 s13, v5
	v_readfirstlane_b32 s12, v4
	s_cmp_lg_u64 s[12:13], 0
	s_cselect_b64 s[12:13], -1, 0
	s_or_b64 s[14:15], vcc, s[12:13]
	s_and_b64 s[14:15], exec, s[14:15]
	s_or_b64 s[28:29], s[14:15], s[28:29]
	s_andn2_b64 s[14:15], s[18:19], exec
	s_and_b64 s[12:13], s[12:13], exec
	s_or_b64 s[18:19], s[14:15], s[12:13]
	s_barrier
	s_andn2_b64 exec, exec, s[28:29]
	s_cbranch_execz .LBB26_106
.LBB26_101:                             ;   Parent Loop BB26_8 Depth=1
                                        ; =>  This Inner Loop Header: Depth=2
	v_cmp_gt_i32_e32 vcc, s10, v9
	s_waitcnt vmcnt(0)
	v_pk_mov_b32 v[4:5], 0, 0
	s_and_saveexec_b64 s[34:35], vcc
	s_cbranch_execz .LBB26_103
; %bb.102:                              ;   in Loop: Header=BB26_101 Depth=2
	ds_read_b64 v[4:5], v8
.LBB26_103:                             ;   in Loop: Header=BB26_101 Depth=2
	s_or_b64 exec, exec, s[34:35]
	s_and_saveexec_b64 s[34:35], vcc
	s_cbranch_execz .LBB26_100
; %bb.104:                              ;   in Loop: Header=BB26_101 Depth=2
	s_waitcnt lgkmcnt(0)
	v_xor_b32_e32 v3, 0x80000000, v5
	v_and_b32_e32 v7, s93, v3
	v_and_b32_e32 v6, s92, v4
	v_cmp_eq_u64_e32 vcc, s[94:95], v[6:7]
	s_and_b64 exec, exec, vcc
	s_cbranch_execz .LBB26_100
; %bb.105:                              ;   in Loop: Header=BB26_101 Depth=2
	v_mov_b32_e32 v3, v19
	ds_write_b128 v19, v[2:5] offset:3072
	s_branch .LBB26_100
.LBB26_106:                             ;   in Loop: Header=BB26_8 Depth=1
	s_or_b64 exec, exec, s[28:29]
	s_and_b64 s[18:19], s[18:19], exec
.LBB26_107:                             ;   in Loop: Header=BB26_8 Depth=1
	s_or_b64 exec, exec, s[22:23]
	s_mov_b64 s[34:35], -1
	s_mov_b64 s[22:23], 0
	s_mov_b64 s[28:29], 0
.LBB26_108:                             ;   in Loop: Header=BB26_8 Depth=1
	s_andn2_b64 s[10:11], s[76:77], exec
	s_and_b64 s[12:13], s[22:23], exec
	s_or_b64 s[76:77], s[10:11], s[12:13]
	s_andn2_b64 s[10:11], s[72:73], exec
	s_and_b64 s[12:13], s[34:35], exec
	s_or_b64 s[72:73], s[10:11], s[12:13]
	;; [unrolled: 3-line block ×3, first 2 shown]
	s_and_saveexec_b64 s[22:23], s[18:19]
	s_cbranch_execz .LBB26_7
; %bb.109:                              ;   in Loop: Header=BB26_8 Depth=1
	s_xor_b64 s[10:11], s[26:27], -1
	s_mov_b64 s[18:19], 0
	s_andn2_b64 vcc, exec, s[10:11]
	s_mov_b32 s43, 1
	s_cbranch_vccnz .LBB26_120
; %bb.110:                              ;   in Loop: Header=BB26_8 Depth=1
	s_cmp_gt_i32 s69, s38
	s_mov_b64 s[18:19], -1
                                        ; implicit-def: $sgpr57
                                        ; implicit-def: $sgpr24_sgpr25
                                        ; implicit-def: $sgpr26_sgpr27
	s_cbranch_scc1 .LBB26_116
; %bb.111:                              ;   in Loop: Header=BB26_8 Depth=1
	ds_read_b32 v3, v19 offset:4096
	s_waitcnt lgkmcnt(0)
	v_cmp_ne_u32_e32 vcc, 0, v3
	s_cbranch_vccnz .LBB26_115
; %bb.112:                              ;   in Loop: Header=BB26_8 Depth=1
	s_mov_b64 s[18:19], exec
	v_readlane_b32 s10, v54, 18
	v_readlane_b32 s11, v54, 19
	s_and_b64 s[10:11], s[18:19], s[10:11]
	s_mov_b64 exec, s[10:11]
	s_cbranch_execz .LBB26_114
; %bb.113:                              ;   in Loop: Header=BB26_8 Depth=1
	v_mov_b32_e32 v3, s38
	ds_write_b32 v19, v3 offset:4100
.LBB26_114:                             ;   in Loop: Header=BB26_8 Depth=1
	s_or_b64 exec, exec, s[18:19]
	s_waitcnt lgkmcnt(0)
	s_barrier
.LBB26_115:                             ;   in Loop: Header=BB26_8 Depth=1
	s_and_b64 s[24:25], s[94:95], s[30:31]
	s_or_b64 s[26:27], s[92:93], s[20:21]
	s_mov_b64 s[18:19], 0
	s_mov_b32 s57, 8
.LBB26_116:                             ;   in Loop: Header=BB26_8 Depth=1
	s_andn2_b64 vcc, exec, s[18:19]
	s_cbranch_vccnz .LBB26_118
; %bb.117:                              ;   in Loop: Header=BB26_8 Depth=1
	s_sub_i32 s69, s69, s38
	s_mov_b64 s[18:19], -1
	s_mov_b32 s57, 0
	s_mov_b64 s[24:25], s[94:95]
	s_mov_b64 s[26:27], s[92:93]
.LBB26_118:                             ;   in Loop: Header=BB26_8 Depth=1
	s_mov_b64 s[92:93], s[26:27]
	s_mov_b64 s[94:95], s[24:25]
	s_mov_b32 s43, s69
	s_mov_b64 s[24:25], -1
	s_and_b64 vcc, exec, s[18:19]
	s_cbranch_vccnz .LBB26_121
.LBB26_119:                             ;   in Loop: Header=BB26_8 Depth=1
	s_mov_b64 s[40:41], -1
                                        ; implicit-def: $sgpr26_sgpr27
                                        ; implicit-def: $sgpr34_sgpr35
                                        ; implicit-def: $sgpr28_sgpr29
	s_and_saveexec_b64 s[10:11], s[40:41]
	s_xor_b64 s[18:19], exec, s[10:11]
	s_cbranch_execz .LBB26_6
	s_branch .LBB26_244
.LBB26_120:                             ;   in Loop: Header=BB26_8 Depth=1
	s_mov_b32 s57, 1
	s_mov_b64 s[24:25], -1
	s_and_b64 vcc, exec, s[18:19]
	s_cbranch_vccz .LBB26_119
.LBB26_121:                             ;   in Loop: Header=BB26_8 Depth=1
	s_cmp_eq_u32 s42, 1
	s_cselect_b64 s[10:11], -1, 0
	s_cmp_eq_u32 s43, 1
	s_cselect_b64 s[12:13], -1, 0
	s_and_b64 s[38:39], s[10:11], s[12:13]
	s_mov_b64 s[18:19], -1
	s_and_b64 vcc, exec, s[38:39]
	s_cbranch_vccz .LBB26_133
; %bb.122:                              ;   in Loop: Header=BB26_8 Depth=1
	ds_read_b32 v3, v19 offset:4096
	s_waitcnt lgkmcnt(0)
	s_barrier
	v_readfirstlane_b32 s10, v3
	s_and_saveexec_b64 s[18:19], s[4:5]
	s_cbranch_execz .LBB26_124
; %bb.123:                              ;   in Loop: Header=BB26_8 Depth=1
	v_mov_b32_e32 v18, v19
	ds_write_b64 v32, v[18:19]
.LBB26_124:                             ;   in Loop: Header=BB26_8 Depth=1
	s_or_b64 exec, exec, s[18:19]
	s_lshl_b64 s[12:13], 1, s51
	s_and_b64 s[14:15], s[94:95], s[30:31]
	s_or_b64 s[94:95], s[14:15], s[12:13]
	s_or_b64 s[92:93], s[92:93], s[20:21]
	s_cmp_gt_i32 s10, 0
	s_waitcnt lgkmcnt(0)
	s_barrier
	s_cbranch_scc1 .LBB26_134
; %bb.125:                              ;   in Loop: Header=BB26_8 Depth=1
	s_mov_b64 s[18:19], 0
                                        ; implicit-def: $vgpr6_vgpr7
	s_mov_b64 s[26:27], exec
	v_readlane_b32 s12, v54, 61
	v_readlane_b32 s13, v54, 62
	s_and_b64 s[12:13], s[26:27], s[12:13]
	s_mov_b64 exec, s[12:13]
	s_cbranch_execz .LBB26_136
; %bb.126:                              ;   in Loop: Header=BB26_8 Depth=1
	s_mov_b64 s[34:35], 0
	v_mov_b32_e32 v8, v16
	v_mov_b32_e32 v10, v0
                                        ; implicit-def: $sgpr28_sgpr29
	s_branch .LBB26_128
.LBB26_127:                             ;   in Loop: Header=BB26_128 Depth=2
	s_or_b64 exec, exec, s[18:19]
	s_waitcnt lgkmcnt(0)
	s_barrier
	s_waitcnt vmcnt(0)
	ds_read_b128 v[4:7], v19 offset:3072
	v_add_u32_e32 v10, s33, v10
	v_cmp_le_i32_e32 vcc, s1, v10
	v_add_u32_e32 v8, s0, v8
	s_waitcnt lgkmcnt(0)
	v_readfirstlane_b32 s13, v5
	v_readfirstlane_b32 s12, v4
	s_cmp_lg_u64 s[12:13], 0
	s_cselect_b64 s[12:13], -1, 0
	s_or_b64 s[14:15], vcc, s[12:13]
	s_and_b64 s[14:15], exec, s[14:15]
	s_or_b64 s[34:35], s[14:15], s[34:35]
	s_andn2_b64 s[14:15], s[28:29], exec
	s_and_b64 s[12:13], s[12:13], exec
	s_or_b64 s[28:29], s[14:15], s[12:13]
	s_barrier
	s_andn2_b64 exec, exec, s[34:35]
	s_cbranch_execz .LBB26_135
.LBB26_128:                             ;   Parent Loop BB26_8 Depth=1
                                        ; =>  This Inner Loop Header: Depth=2
	v_cmp_gt_i32_e32 vcc, s68, v10
	s_waitcnt vmcnt(0)
	v_pk_mov_b32 v[4:5], 0, 0
	s_and_saveexec_b64 s[36:37], vcc
	s_cbranch_execz .LBB26_130
; %bb.129:                              ;   in Loop: Header=BB26_128 Depth=2
	v_ashrrev_i32_e32 v9, 31, v8
	v_lshlrev_b64 v[4:5], 3, v[8:9]
	v_mov_b32_e32 v3, s16
	v_add_co_u32_e64 v4, s[18:19], s70, v4
	v_addc_co_u32_e64 v5, s[18:19], v3, v5, s[18:19]
	global_load_dwordx2 v[4:5], v[4:5], off
.LBB26_130:                             ;   in Loop: Header=BB26_128 Depth=2
	s_or_b64 exec, exec, s[36:37]
	s_and_saveexec_b64 s[18:19], vcc
	s_cbranch_execz .LBB26_127
; %bb.131:                              ;   in Loop: Header=BB26_128 Depth=2
	s_waitcnt vmcnt(0)
	v_xor_b32_e32 v3, 0x80000000, v5
	v_and_b32_e32 v7, s93, v3
	v_and_b32_e32 v6, s92, v4
	v_cmp_eq_u64_e32 vcc, s[94:95], v[6:7]
	s_and_b64 exec, exec, vcc
	s_cbranch_execz .LBB26_127
; %bb.132:                              ;   in Loop: Header=BB26_128 Depth=2
	v_mov_b32_e32 v3, v19
	ds_write_b128 v19, v[2:5] offset:3072
	s_branch .LBB26_127
.LBB26_133:                             ;   in Loop: Header=BB26_8 Depth=1
                                        ; implicit-def: $sgpr28_sgpr29
                                        ; implicit-def: $sgpr34_sgpr35
                                        ; implicit-def: $sgpr26_sgpr27
	s_branch .LBB26_147
.LBB26_134:                             ;   in Loop: Header=BB26_8 Depth=1
	s_mov_b64 s[28:29], -1
	s_mov_b64 s[18:19], 0
                                        ; implicit-def: $sgpr26_sgpr27
                                        ; implicit-def: $vgpr6_vgpr7
	s_mov_b64 s[34:35], s[28:29]
	s_cbranch_execnz .LBB26_137
	s_branch .LBB26_147
.LBB26_135:                             ;   in Loop: Header=BB26_8 Depth=1
	s_or_b64 exec, exec, s[34:35]
	s_and_b64 s[18:19], s[28:29], exec
.LBB26_136:                             ;   in Loop: Header=BB26_8 Depth=1
	s_or_b64 exec, exec, s[26:27]
	s_mov_b64 s[26:27], -1
	s_mov_b64 s[28:29], 0
	s_mov_b64 s[34:35], s[28:29]
	s_branch .LBB26_147
.LBB26_137:                             ;   in Loop: Header=BB26_8 Depth=1
	v_readlane_b32 s11, v54, 31
	s_add_i32 s11, s10, s11
	s_abs_i32 s13, s11
	v_readlane_b32 s14, v54, 60
	s_mul_hi_u32 s14, s13, s14
	s_mul_i32 s14, s14, s33
	s_sub_i32 s13, s13, s14
	s_ashr_i32 s12, s11, 31
	s_sub_i32 s14, s13, s33
	s_cmp_ge_u32 s13, s33
	s_cselect_b32 s13, s14, s13
	s_sub_i32 s14, s13, s33
	s_cmp_ge_u32 s13, s33
	s_cselect_b32 s13, s14, s13
	s_xor_b32 s13, s13, s12
	s_sub_i32 s12, s12, s13
	s_add_i32 s11, s11, s12
	v_cmp_gt_i32_e32 vcc, s11, v0
	s_mov_b64 s[18:19], 0
                                        ; implicit-def: $vgpr6_vgpr7
	s_and_saveexec_b64 s[26:27], vcc
	s_cbranch_execz .LBB26_146
; %bb.138:                              ;   in Loop: Header=BB26_8 Depth=1
	s_mov_b64 s[28:29], 0
	v_mov_b32_e32 v8, v31
	v_mov_b32_e32 v9, v0
                                        ; implicit-def: $sgpr18_sgpr19
	s_branch .LBB26_140
.LBB26_139:                             ;   in Loop: Header=BB26_140 Depth=2
	s_or_b64 exec, exec, s[34:35]
	s_waitcnt lgkmcnt(0)
	s_barrier
	ds_read_b128 v[4:7], v19 offset:3072
	v_add_u32_e32 v9, s33, v9
	v_cmp_le_i32_e32 vcc, s11, v9
	v_add_u32_e32 v8, s86, v8
	s_waitcnt lgkmcnt(0)
	v_readfirstlane_b32 s13, v5
	v_readfirstlane_b32 s12, v4
	s_cmp_lg_u64 s[12:13], 0
	s_cselect_b64 s[12:13], -1, 0
	s_or_b64 s[14:15], vcc, s[12:13]
	s_and_b64 s[14:15], exec, s[14:15]
	s_or_b64 s[28:29], s[14:15], s[28:29]
	s_andn2_b64 s[14:15], s[18:19], exec
	s_and_b64 s[12:13], s[12:13], exec
	s_or_b64 s[18:19], s[14:15], s[12:13]
	s_barrier
	s_andn2_b64 exec, exec, s[28:29]
	s_cbranch_execz .LBB26_145
.LBB26_140:                             ;   Parent Loop BB26_8 Depth=1
                                        ; =>  This Inner Loop Header: Depth=2
	v_cmp_gt_i32_e32 vcc, s10, v9
	s_waitcnt vmcnt(0)
	v_pk_mov_b32 v[4:5], 0, 0
	s_and_saveexec_b64 s[34:35], vcc
	s_cbranch_execz .LBB26_142
; %bb.141:                              ;   in Loop: Header=BB26_140 Depth=2
	ds_read_b64 v[4:5], v8
.LBB26_142:                             ;   in Loop: Header=BB26_140 Depth=2
	s_or_b64 exec, exec, s[34:35]
	s_and_saveexec_b64 s[34:35], vcc
	s_cbranch_execz .LBB26_139
; %bb.143:                              ;   in Loop: Header=BB26_140 Depth=2
	s_waitcnt lgkmcnt(0)
	v_xor_b32_e32 v3, 0x80000000, v5
	v_and_b32_e32 v7, s93, v3
	v_and_b32_e32 v6, s92, v4
	v_cmp_eq_u64_e32 vcc, s[94:95], v[6:7]
	s_and_b64 exec, exec, vcc
	s_cbranch_execz .LBB26_139
; %bb.144:                              ;   in Loop: Header=BB26_140 Depth=2
	v_mov_b32_e32 v3, v19
	ds_write_b128 v19, v[2:5] offset:3072
	s_branch .LBB26_139
.LBB26_145:                             ;   in Loop: Header=BB26_8 Depth=1
	s_or_b64 exec, exec, s[28:29]
	s_and_b64 s[18:19], s[18:19], exec
.LBB26_146:                             ;   in Loop: Header=BB26_8 Depth=1
	s_or_b64 exec, exec, s[26:27]
	s_mov_b64 s[34:35], -1
	s_mov_b64 s[28:29], 0
	s_mov_b64 s[26:27], 0
.LBB26_147:                             ;   in Loop: Header=BB26_8 Depth=1
	s_mov_b64 s[40:41], 0
                                        ; implicit-def: $sgpr57
	s_and_saveexec_b64 s[36:37], s[18:19]
	s_cbranch_execz .LBB26_243
; %bb.148:                              ;   in Loop: Header=BB26_8 Depth=1
	s_xor_b64 s[10:11], s[38:39], -1
	s_mov_b64 s[18:19], 0
	s_andn2_b64 vcc, exec, s[10:11]
	s_mov_b32 s52, 1
	s_cbranch_vccnz .LBB26_159
; %bb.149:                              ;   in Loop: Header=BB26_8 Depth=1
	s_cmp_gt_i32 s43, s42
	s_mov_b64 s[18:19], -1
                                        ; implicit-def: $sgpr57
                                        ; implicit-def: $sgpr38_sgpr39
                                        ; implicit-def: $sgpr40_sgpr41
	s_cbranch_scc1 .LBB26_155
; %bb.150:                              ;   in Loop: Header=BB26_8 Depth=1
	ds_read_b32 v3, v19 offset:4096
	s_waitcnt lgkmcnt(0)
	v_cmp_ne_u32_e32 vcc, 0, v3
	s_cbranch_vccnz .LBB26_154
; %bb.151:                              ;   in Loop: Header=BB26_8 Depth=1
	s_mov_b64 s[18:19], exec
	v_readlane_b32 s10, v54, 18
	v_readlane_b32 s11, v54, 19
	s_and_b64 s[10:11], s[18:19], s[10:11]
	s_mov_b64 exec, s[10:11]
	s_cbranch_execz .LBB26_153
; %bb.152:                              ;   in Loop: Header=BB26_8 Depth=1
	v_mov_b32_e32 v3, s42
	ds_write_b32 v19, v3 offset:4100
.LBB26_153:                             ;   in Loop: Header=BB26_8 Depth=1
	s_or_b64 exec, exec, s[18:19]
	s_waitcnt lgkmcnt(0)
	s_barrier
.LBB26_154:                             ;   in Loop: Header=BB26_8 Depth=1
	s_lshl_b64 s[10:11], 1, s51
	s_and_b64 s[12:13], s[94:95], s[30:31]
	s_or_b64 s[38:39], s[12:13], s[10:11]
	s_or_b64 s[40:41], s[92:93], s[20:21]
	s_mov_b64 s[18:19], 0
	s_mov_b32 s57, 8
.LBB26_155:                             ;   in Loop: Header=BB26_8 Depth=1
	s_andn2_b64 vcc, exec, s[18:19]
	s_cbranch_vccnz .LBB26_157
; %bb.156:                              ;   in Loop: Header=BB26_8 Depth=1
	s_sub_i32 s43, s43, s42
	s_mov_b64 s[18:19], -1
	s_mov_b32 s57, 0
	s_mov_b64 s[38:39], s[94:95]
	s_mov_b64 s[40:41], s[92:93]
.LBB26_157:                             ;   in Loop: Header=BB26_8 Depth=1
	s_mov_b64 s[92:93], s[40:41]
	s_mov_b64 s[94:95], s[38:39]
	s_mov_b32 s52, s43
	s_andn2_b64 vcc, exec, s[18:19]
	s_mov_b64 s[48:49], -1
	s_cbranch_vccz .LBB26_160
.LBB26_158:                             ;   in Loop: Header=BB26_8 Depth=1
                                        ; implicit-def: $sgpr40_sgpr41
                                        ; implicit-def: $sgpr42_sgpr43
                                        ; implicit-def: $sgpr38_sgpr39
	s_branch .LBB26_242
.LBB26_159:                             ;   in Loop: Header=BB26_8 Depth=1
	s_mov_b32 s57, 1
	s_andn2_b64 vcc, exec, s[18:19]
	s_mov_b64 s[48:49], -1
	s_cbranch_vccnz .LBB26_158
.LBB26_160:                             ;   in Loop: Header=BB26_8 Depth=1
	s_cmp_eq_u32 s50, 1
	s_cselect_b64 s[10:11], -1, 0
	s_cmp_eq_u32 s52, 1
	s_cselect_b64 s[12:13], -1, 0
	s_and_b64 s[46:47], s[10:11], s[12:13]
	s_mov_b64 s[18:19], -1
	s_and_b64 vcc, exec, s[46:47]
	s_cbranch_vccz .LBB26_172
; %bb.161:                              ;   in Loop: Header=BB26_8 Depth=1
	ds_read_b32 v3, v19 offset:4096
	s_waitcnt lgkmcnt(0)
	s_barrier
	v_readfirstlane_b32 s10, v3
	s_and_saveexec_b64 s[18:19], s[4:5]
	s_cbranch_execz .LBB26_163
; %bb.162:                              ;   in Loop: Header=BB26_8 Depth=1
	v_mov_b32_e32 v18, v19
	ds_write_b64 v32, v[18:19]
.LBB26_163:                             ;   in Loop: Header=BB26_8 Depth=1
	s_or_b64 exec, exec, s[18:19]
	s_lshl_b64 s[12:13], 2, s51
	s_and_b64 s[14:15], s[94:95], s[30:31]
	s_or_b64 s[94:95], s[14:15], s[12:13]
	s_or_b64 s[92:93], s[92:93], s[20:21]
	s_cmp_gt_i32 s10, 0
	s_waitcnt lgkmcnt(0)
	s_barrier
	s_cbranch_scc1 .LBB26_173
; %bb.164:                              ;   in Loop: Header=BB26_8 Depth=1
	s_mov_b64 s[18:19], 0
                                        ; implicit-def: $vgpr6_vgpr7
	s_mov_b64 s[38:39], exec
	v_readlane_b32 s12, v54, 61
	v_readlane_b32 s13, v54, 62
	s_and_b64 s[12:13], s[38:39], s[12:13]
	s_mov_b64 exec, s[12:13]
	s_cbranch_execz .LBB26_175
; %bb.165:                              ;   in Loop: Header=BB26_8 Depth=1
	s_mov_b64 s[42:43], 0
	v_mov_b32_e32 v8, v16
	v_mov_b32_e32 v10, v0
                                        ; implicit-def: $sgpr40_sgpr41
	s_branch .LBB26_167
.LBB26_166:                             ;   in Loop: Header=BB26_167 Depth=2
	s_or_b64 exec, exec, s[18:19]
	s_waitcnt lgkmcnt(0)
	s_barrier
	s_waitcnt vmcnt(0)
	ds_read_b128 v[4:7], v19 offset:3072
	v_add_u32_e32 v10, s33, v10
	v_cmp_le_i32_e32 vcc, s1, v10
	v_add_u32_e32 v8, s0, v8
	s_waitcnt lgkmcnt(0)
	v_readfirstlane_b32 s13, v5
	v_readfirstlane_b32 s12, v4
	s_cmp_lg_u64 s[12:13], 0
	s_cselect_b64 s[12:13], -1, 0
	s_or_b64 s[14:15], vcc, s[12:13]
	s_and_b64 s[14:15], exec, s[14:15]
	s_or_b64 s[42:43], s[14:15], s[42:43]
	s_andn2_b64 s[14:15], s[40:41], exec
	s_and_b64 s[12:13], s[12:13], exec
	s_or_b64 s[40:41], s[14:15], s[12:13]
	s_barrier
	s_andn2_b64 exec, exec, s[42:43]
	s_cbranch_execz .LBB26_174
.LBB26_167:                             ;   Parent Loop BB26_8 Depth=1
                                        ; =>  This Inner Loop Header: Depth=2
	v_cmp_gt_i32_e32 vcc, s68, v10
	s_waitcnt vmcnt(0)
	v_pk_mov_b32 v[4:5], 0, 0
	s_and_saveexec_b64 s[44:45], vcc
	s_cbranch_execz .LBB26_169
; %bb.168:                              ;   in Loop: Header=BB26_167 Depth=2
	v_ashrrev_i32_e32 v9, 31, v8
	v_lshlrev_b64 v[4:5], 3, v[8:9]
	v_mov_b32_e32 v3, s16
	v_add_co_u32_e64 v4, s[18:19], s70, v4
	v_addc_co_u32_e64 v5, s[18:19], v3, v5, s[18:19]
	global_load_dwordx2 v[4:5], v[4:5], off
.LBB26_169:                             ;   in Loop: Header=BB26_167 Depth=2
	s_or_b64 exec, exec, s[44:45]
	s_and_saveexec_b64 s[18:19], vcc
	s_cbranch_execz .LBB26_166
; %bb.170:                              ;   in Loop: Header=BB26_167 Depth=2
	s_waitcnt vmcnt(0)
	v_xor_b32_e32 v3, 0x80000000, v5
	v_and_b32_e32 v7, s93, v3
	v_and_b32_e32 v6, s92, v4
	v_cmp_eq_u64_e32 vcc, s[94:95], v[6:7]
	s_and_b64 exec, exec, vcc
	s_cbranch_execz .LBB26_166
; %bb.171:                              ;   in Loop: Header=BB26_167 Depth=2
	v_mov_b32_e32 v3, v19
	ds_write_b128 v19, v[2:5] offset:3072
	s_branch .LBB26_166
.LBB26_172:                             ;   in Loop: Header=BB26_8 Depth=1
                                        ; implicit-def: $sgpr38_sgpr39
                                        ; implicit-def: $sgpr42_sgpr43
                                        ; implicit-def: $sgpr40_sgpr41
	s_branch .LBB26_186
.LBB26_173:                             ;   in Loop: Header=BB26_8 Depth=1
	s_mov_b64 s[38:39], -1
	s_mov_b64 s[18:19], 0
                                        ; implicit-def: $sgpr40_sgpr41
                                        ; implicit-def: $vgpr6_vgpr7
	s_mov_b64 s[42:43], s[38:39]
	s_cbranch_execnz .LBB26_176
	s_branch .LBB26_186
.LBB26_174:                             ;   in Loop: Header=BB26_8 Depth=1
	s_or_b64 exec, exec, s[42:43]
	s_and_b64 s[18:19], s[40:41], exec
.LBB26_175:                             ;   in Loop: Header=BB26_8 Depth=1
	s_or_b64 exec, exec, s[38:39]
	s_mov_b64 s[40:41], -1
	s_mov_b64 s[38:39], 0
	s_mov_b64 s[42:43], s[38:39]
	s_branch .LBB26_186
.LBB26_176:                             ;   in Loop: Header=BB26_8 Depth=1
	v_readlane_b32 s11, v54, 31
	s_add_i32 s11, s10, s11
	s_abs_i32 s13, s11
	v_readlane_b32 s14, v54, 60
	s_mul_hi_u32 s14, s13, s14
	s_mul_i32 s14, s14, s33
	s_sub_i32 s13, s13, s14
	s_ashr_i32 s12, s11, 31
	s_sub_i32 s14, s13, s33
	s_cmp_ge_u32 s13, s33
	s_cselect_b32 s13, s14, s13
	s_sub_i32 s14, s13, s33
	s_cmp_ge_u32 s13, s33
	s_cselect_b32 s13, s14, s13
	s_xor_b32 s13, s13, s12
	s_sub_i32 s12, s12, s13
	s_add_i32 s11, s11, s12
	v_cmp_gt_i32_e32 vcc, s11, v0
	s_mov_b64 s[18:19], 0
                                        ; implicit-def: $vgpr6_vgpr7
	s_and_saveexec_b64 s[38:39], vcc
	s_cbranch_execz .LBB26_185
; %bb.177:                              ;   in Loop: Header=BB26_8 Depth=1
	s_mov_b64 s[40:41], 0
	v_mov_b32_e32 v8, v31
	v_mov_b32_e32 v9, v0
                                        ; implicit-def: $sgpr18_sgpr19
	s_branch .LBB26_179
.LBB26_178:                             ;   in Loop: Header=BB26_179 Depth=2
	s_or_b64 exec, exec, s[42:43]
	s_waitcnt lgkmcnt(0)
	s_barrier
	ds_read_b128 v[4:7], v19 offset:3072
	v_add_u32_e32 v9, s33, v9
	v_cmp_le_i32_e32 vcc, s11, v9
	v_add_u32_e32 v8, s86, v8
	s_waitcnt lgkmcnt(0)
	v_readfirstlane_b32 s13, v5
	v_readfirstlane_b32 s12, v4
	s_cmp_lg_u64 s[12:13], 0
	s_cselect_b64 s[12:13], -1, 0
	s_or_b64 s[14:15], vcc, s[12:13]
	s_and_b64 s[14:15], exec, s[14:15]
	s_or_b64 s[40:41], s[14:15], s[40:41]
	s_andn2_b64 s[14:15], s[18:19], exec
	s_and_b64 s[12:13], s[12:13], exec
	s_or_b64 s[18:19], s[14:15], s[12:13]
	s_barrier
	s_andn2_b64 exec, exec, s[40:41]
	s_cbranch_execz .LBB26_184
.LBB26_179:                             ;   Parent Loop BB26_8 Depth=1
                                        ; =>  This Inner Loop Header: Depth=2
	v_cmp_gt_i32_e32 vcc, s10, v9
	s_waitcnt vmcnt(0)
	v_pk_mov_b32 v[4:5], 0, 0
	s_and_saveexec_b64 s[42:43], vcc
	s_cbranch_execz .LBB26_181
; %bb.180:                              ;   in Loop: Header=BB26_179 Depth=2
	ds_read_b64 v[4:5], v8
.LBB26_181:                             ;   in Loop: Header=BB26_179 Depth=2
	s_or_b64 exec, exec, s[42:43]
	s_and_saveexec_b64 s[42:43], vcc
	s_cbranch_execz .LBB26_178
; %bb.182:                              ;   in Loop: Header=BB26_179 Depth=2
	s_waitcnt lgkmcnt(0)
	v_xor_b32_e32 v3, 0x80000000, v5
	v_and_b32_e32 v7, s93, v3
	v_and_b32_e32 v6, s92, v4
	v_cmp_eq_u64_e32 vcc, s[94:95], v[6:7]
	s_and_b64 exec, exec, vcc
	s_cbranch_execz .LBB26_178
; %bb.183:                              ;   in Loop: Header=BB26_179 Depth=2
	v_mov_b32_e32 v3, v19
	ds_write_b128 v19, v[2:5] offset:3072
	s_branch .LBB26_178
.LBB26_184:                             ;   in Loop: Header=BB26_8 Depth=1
	s_or_b64 exec, exec, s[40:41]
	s_and_b64 s[18:19], s[18:19], exec
.LBB26_185:                             ;   in Loop: Header=BB26_8 Depth=1
	s_or_b64 exec, exec, s[38:39]
	s_mov_b64 s[42:43], -1
	s_mov_b64 s[38:39], 0
	s_mov_b64 s[40:41], 0
.LBB26_186:                             ;   in Loop: Header=BB26_8 Depth=1
	s_mov_b64 s[48:49], 0
                                        ; implicit-def: $sgpr57
	s_and_saveexec_b64 s[44:45], s[18:19]
	s_cbranch_execz .LBB26_241
; %bb.187:                              ;   in Loop: Header=BB26_8 Depth=1
	s_xor_b64 s[10:11], s[46:47], -1
	s_mov_b64 s[18:19], 0
	s_andn2_b64 vcc, exec, s[10:11]
	s_mov_b32 s56, 1
	s_cbranch_vccnz .LBB26_198
; %bb.188:                              ;   in Loop: Header=BB26_8 Depth=1
	s_cmp_gt_i32 s52, s50
	s_mov_b64 s[18:19], -1
                                        ; implicit-def: $sgpr57
                                        ; implicit-def: $sgpr46_sgpr47
                                        ; implicit-def: $sgpr48_sgpr49
	s_cbranch_scc1 .LBB26_194
; %bb.189:                              ;   in Loop: Header=BB26_8 Depth=1
	ds_read_b32 v3, v19 offset:4096
	s_waitcnt lgkmcnt(0)
	v_cmp_ne_u32_e32 vcc, 0, v3
	s_cbranch_vccnz .LBB26_193
; %bb.190:                              ;   in Loop: Header=BB26_8 Depth=1
	s_mov_b64 s[18:19], exec
	v_readlane_b32 s10, v54, 18
	v_readlane_b32 s11, v54, 19
	s_and_b64 s[10:11], s[18:19], s[10:11]
	s_mov_b64 exec, s[10:11]
	s_cbranch_execz .LBB26_192
; %bb.191:                              ;   in Loop: Header=BB26_8 Depth=1
	v_mov_b32_e32 v3, s50
	ds_write_b32 v19, v3 offset:4100
.LBB26_192:                             ;   in Loop: Header=BB26_8 Depth=1
	s_or_b64 exec, exec, s[18:19]
	s_waitcnt lgkmcnt(0)
	s_barrier
.LBB26_193:                             ;   in Loop: Header=BB26_8 Depth=1
	s_lshl_b64 s[10:11], 2, s51
	s_and_b64 s[12:13], s[94:95], s[30:31]
	s_or_b64 s[46:47], s[12:13], s[10:11]
	s_or_b64 s[48:49], s[92:93], s[20:21]
	s_mov_b64 s[18:19], 0
	s_mov_b32 s57, 8
.LBB26_194:                             ;   in Loop: Header=BB26_8 Depth=1
	s_andn2_b64 vcc, exec, s[18:19]
	s_cbranch_vccnz .LBB26_196
; %bb.195:                              ;   in Loop: Header=BB26_8 Depth=1
	s_sub_i32 s52, s52, s50
	s_mov_b64 s[18:19], -1
	s_mov_b32 s57, 0
	s_mov_b64 s[46:47], s[94:95]
	s_mov_b64 s[48:49], s[92:93]
.LBB26_196:                             ;   in Loop: Header=BB26_8 Depth=1
	s_mov_b64 s[92:93], s[48:49]
	s_mov_b64 s[94:95], s[46:47]
	s_mov_b32 s56, s52
	s_andn2_b64 vcc, exec, s[18:19]
	s_mov_b64 s[54:55], -1
	s_cbranch_vccz .LBB26_199
.LBB26_197:                             ;   in Loop: Header=BB26_8 Depth=1
                                        ; implicit-def: $sgpr18_sgpr19
                                        ; implicit-def: $sgpr48_sgpr49
                                        ; implicit-def: $sgpr46_sgpr47
	s_branch .LBB26_240
.LBB26_198:                             ;   in Loop: Header=BB26_8 Depth=1
	s_mov_b32 s57, 1
	s_andn2_b64 vcc, exec, s[18:19]
	s_mov_b64 s[54:55], -1
	s_cbranch_vccnz .LBB26_197
.LBB26_199:                             ;   in Loop: Header=BB26_8 Depth=1
	s_cmp_eq_u32 s7, 1
	s_cselect_b64 s[10:11], -1, 0
	s_cmp_eq_u32 s56, 1
	s_cselect_b64 s[12:13], -1, 0
	s_and_b64 s[30:31], s[10:11], s[12:13]
	s_mov_b64 s[50:51], -1
	s_and_b64 vcc, exec, s[30:31]
	s_cbranch_vccz .LBB26_211
; %bb.200:                              ;   in Loop: Header=BB26_8 Depth=1
	ds_read_b32 v3, v19 offset:4096
	s_waitcnt lgkmcnt(0)
	s_barrier
	v_readfirstlane_b32 s10, v3
	s_and_saveexec_b64 s[18:19], s[4:5]
	s_cbranch_execz .LBB26_202
; %bb.201:                              ;   in Loop: Header=BB26_8 Depth=1
	v_mov_b32_e32 v18, v19
	ds_write_b64 v32, v[18:19]
.LBB26_202:                             ;   in Loop: Header=BB26_8 Depth=1
	s_or_b64 exec, exec, s[18:19]
	s_or_b64 s[94:95], s[94:95], s[20:21]
	s_or_b64 s[92:93], s[92:93], s[20:21]
	s_cmp_gt_i32 s10, 0
	s_waitcnt lgkmcnt(0)
	s_barrier
	s_cbranch_scc1 .LBB26_212
; %bb.203:                              ;   in Loop: Header=BB26_8 Depth=1
	s_mov_b64 s[50:51], 0
                                        ; implicit-def: $vgpr6_vgpr7
	s_mov_b64 s[46:47], exec
	v_readlane_b32 s12, v54, 61
	v_readlane_b32 s13, v54, 62
	s_and_b64 s[12:13], s[46:47], s[12:13]
	s_mov_b64 exec, s[12:13]
	s_cbranch_execz .LBB26_214
; %bb.204:                              ;   in Loop: Header=BB26_8 Depth=1
	v_mov_b32_e32 v8, v16
	v_mov_b32_e32 v10, v0
                                        ; implicit-def: $sgpr48_sgpr49
	s_branch .LBB26_206
.LBB26_205:                             ;   in Loop: Header=BB26_206 Depth=2
	s_or_b64 exec, exec, s[18:19]
	s_waitcnt lgkmcnt(0)
	s_barrier
	s_waitcnt vmcnt(0)
	ds_read_b128 v[4:7], v19 offset:3072
	v_add_u32_e32 v10, s33, v10
	v_cmp_le_i32_e32 vcc, s1, v10
	v_add_u32_e32 v8, s0, v8
	s_waitcnt lgkmcnt(0)
	v_readfirstlane_b32 s13, v5
	v_readfirstlane_b32 s12, v4
	s_cmp_lg_u64 s[12:13], 0
	s_cselect_b64 s[12:13], -1, 0
	s_or_b64 s[14:15], vcc, s[12:13]
	s_and_b64 s[14:15], exec, s[14:15]
	s_or_b64 s[50:51], s[14:15], s[50:51]
	s_andn2_b64 s[14:15], s[48:49], exec
	s_and_b64 s[12:13], s[12:13], exec
	s_or_b64 s[48:49], s[14:15], s[12:13]
	s_barrier
	s_andn2_b64 exec, exec, s[50:51]
	s_cbranch_execz .LBB26_213
.LBB26_206:                             ;   Parent Loop BB26_8 Depth=1
                                        ; =>  This Inner Loop Header: Depth=2
	v_cmp_gt_i32_e32 vcc, s68, v10
	s_waitcnt vmcnt(0)
	v_pk_mov_b32 v[4:5], 0, 0
	s_and_saveexec_b64 s[52:53], vcc
	s_cbranch_execz .LBB26_208
; %bb.207:                              ;   in Loop: Header=BB26_206 Depth=2
	v_ashrrev_i32_e32 v9, 31, v8
	v_lshlrev_b64 v[4:5], 3, v[8:9]
	v_mov_b32_e32 v3, s16
	v_add_co_u32_e64 v4, s[18:19], s70, v4
	v_addc_co_u32_e64 v5, s[18:19], v3, v5, s[18:19]
	global_load_dwordx2 v[4:5], v[4:5], off
.LBB26_208:                             ;   in Loop: Header=BB26_206 Depth=2
	s_or_b64 exec, exec, s[52:53]
	s_and_saveexec_b64 s[18:19], vcc
	s_cbranch_execz .LBB26_205
; %bb.209:                              ;   in Loop: Header=BB26_206 Depth=2
	s_waitcnt vmcnt(0)
	v_xor_b32_e32 v3, 0x80000000, v5
	v_and_b32_e32 v7, s93, v3
	v_and_b32_e32 v6, s92, v4
	v_cmp_eq_u64_e32 vcc, s[94:95], v[6:7]
	s_and_b64 exec, exec, vcc
	s_cbranch_execz .LBB26_205
; %bb.210:                              ;   in Loop: Header=BB26_206 Depth=2
	v_mov_b32_e32 v3, v19
	ds_write_b128 v19, v[2:5] offset:3072
	s_branch .LBB26_205
.LBB26_211:                             ;   in Loop: Header=BB26_8 Depth=1
                                        ; implicit-def: $sgpr18_sgpr19
                                        ; implicit-def: $sgpr48_sgpr49
                                        ; implicit-def: $sgpr46_sgpr47
	s_branch .LBB26_225
.LBB26_212:                             ;   in Loop: Header=BB26_8 Depth=1
	s_mov_b64 s[18:19], -1
	s_mov_b64 s[50:51], 0
                                        ; implicit-def: $sgpr46_sgpr47
                                        ; implicit-def: $vgpr6_vgpr7
	s_mov_b64 s[48:49], s[18:19]
	s_cbranch_execnz .LBB26_215
	s_branch .LBB26_225
.LBB26_213:                             ;   in Loop: Header=BB26_8 Depth=1
	s_or_b64 exec, exec, s[50:51]
	s_and_b64 s[50:51], s[48:49], exec
.LBB26_214:                             ;   in Loop: Header=BB26_8 Depth=1
	s_or_b64 exec, exec, s[46:47]
	s_mov_b64 s[46:47], -1
	s_mov_b64 s[18:19], 0
	s_mov_b64 s[48:49], s[18:19]
	s_branch .LBB26_225
.LBB26_215:                             ;   in Loop: Header=BB26_8 Depth=1
	v_readlane_b32 s11, v54, 31
	s_add_i32 s11, s10, s11
	s_abs_i32 s13, s11
	v_readlane_b32 s14, v54, 60
	s_mul_hi_u32 s14, s13, s14
	s_mul_i32 s14, s14, s33
	s_sub_i32 s13, s13, s14
	s_ashr_i32 s12, s11, 31
	s_sub_i32 s14, s13, s33
	s_cmp_ge_u32 s13, s33
	s_cselect_b32 s13, s14, s13
	s_sub_i32 s14, s13, s33
	s_cmp_ge_u32 s13, s33
	s_cselect_b32 s13, s14, s13
	s_xor_b32 s13, s13, s12
	s_sub_i32 s12, s12, s13
	s_add_i32 s11, s11, s12
	v_cmp_gt_i32_e32 vcc, s11, v0
	s_mov_b64 s[50:51], 0
                                        ; implicit-def: $vgpr6_vgpr7
	s_and_saveexec_b64 s[18:19], vcc
	s_cbranch_execz .LBB26_224
; %bb.216:                              ;   in Loop: Header=BB26_8 Depth=1
	s_mov_b64 s[48:49], 0
	v_mov_b32_e32 v8, v31
	v_mov_b32_e32 v9, v0
                                        ; implicit-def: $sgpr46_sgpr47
	s_branch .LBB26_218
.LBB26_217:                             ;   in Loop: Header=BB26_218 Depth=2
	s_or_b64 exec, exec, s[50:51]
	s_waitcnt lgkmcnt(0)
	s_barrier
	ds_read_b128 v[4:7], v19 offset:3072
	v_add_u32_e32 v9, s33, v9
	v_cmp_le_i32_e32 vcc, s11, v9
	v_add_u32_e32 v8, s86, v8
	s_waitcnt lgkmcnt(0)
	v_readfirstlane_b32 s13, v5
	v_readfirstlane_b32 s12, v4
	s_cmp_lg_u64 s[12:13], 0
	s_cselect_b64 s[12:13], -1, 0
	s_or_b64 s[14:15], vcc, s[12:13]
	s_and_b64 s[14:15], exec, s[14:15]
	s_or_b64 s[48:49], s[14:15], s[48:49]
	s_andn2_b64 s[14:15], s[46:47], exec
	s_and_b64 s[12:13], s[12:13], exec
	s_or_b64 s[46:47], s[14:15], s[12:13]
	s_barrier
	s_andn2_b64 exec, exec, s[48:49]
	s_cbranch_execz .LBB26_223
.LBB26_218:                             ;   Parent Loop BB26_8 Depth=1
                                        ; =>  This Inner Loop Header: Depth=2
	v_cmp_gt_i32_e32 vcc, s10, v9
	s_waitcnt vmcnt(0)
	v_pk_mov_b32 v[4:5], 0, 0
	s_and_saveexec_b64 s[50:51], vcc
	s_cbranch_execz .LBB26_220
; %bb.219:                              ;   in Loop: Header=BB26_218 Depth=2
	ds_read_b64 v[4:5], v8
.LBB26_220:                             ;   in Loop: Header=BB26_218 Depth=2
	s_or_b64 exec, exec, s[50:51]
	s_and_saveexec_b64 s[50:51], vcc
	s_cbranch_execz .LBB26_217
; %bb.221:                              ;   in Loop: Header=BB26_218 Depth=2
	s_waitcnt lgkmcnt(0)
	v_xor_b32_e32 v3, 0x80000000, v5
	v_and_b32_e32 v7, s93, v3
	v_and_b32_e32 v6, s92, v4
	v_cmp_eq_u64_e32 vcc, s[94:95], v[6:7]
	s_and_b64 exec, exec, vcc
	s_cbranch_execz .LBB26_217
; %bb.222:                              ;   in Loop: Header=BB26_218 Depth=2
	v_mov_b32_e32 v3, v19
	ds_write_b128 v19, v[2:5] offset:3072
	s_branch .LBB26_217
.LBB26_223:                             ;   in Loop: Header=BB26_8 Depth=1
	s_or_b64 exec, exec, s[48:49]
	s_and_b64 s[50:51], s[46:47], exec
.LBB26_224:                             ;   in Loop: Header=BB26_8 Depth=1
	s_or_b64 exec, exec, s[18:19]
	s_mov_b64 s[48:49], -1
	s_mov_b64 s[18:19], 0
	s_mov_b64 s[46:47], 0
.LBB26_225:                             ;   in Loop: Header=BB26_8 Depth=1
	s_mov_b64 s[54:55], 0
                                        ; implicit-def: $sgpr57
	s_and_saveexec_b64 s[52:53], s[50:51]
	s_cbranch_execz .LBB26_239
; %bb.226:                              ;   in Loop: Header=BB26_8 Depth=1
	s_xor_b64 s[10:11], s[30:31], -1
	s_andn2_b64 vcc, exec, s[10:11]
	s_mov_b32 s57, 1
	s_cbranch_vccnz .LBB26_233
; %bb.227:                              ;   in Loop: Header=BB26_8 Depth=1
	s_cmp_gt_i32 s56, s7
	s_cbranch_scc1 .LBB26_234
; %bb.228:                              ;   in Loop: Header=BB26_8 Depth=1
	ds_read_b32 v3, v19 offset:4096
	s_waitcnt lgkmcnt(0)
	v_cmp_ne_u32_e32 vcc, 0, v3
	s_cbranch_vccnz .LBB26_232
; %bb.229:                              ;   in Loop: Header=BB26_8 Depth=1
	s_mov_b64 s[30:31], exec
	v_readlane_b32 s10, v54, 18
	v_readlane_b32 s11, v54, 19
	s_and_b64 s[10:11], s[30:31], s[10:11]
	s_mov_b64 exec, s[10:11]
	s_cbranch_execz .LBB26_231
; %bb.230:                              ;   in Loop: Header=BB26_8 Depth=1
	v_mov_b32_e32 v3, s7
	ds_write_b32 v19, v3 offset:4100
.LBB26_231:                             ;   in Loop: Header=BB26_8 Depth=1
	s_or_b64 exec, exec, s[30:31]
	s_waitcnt lgkmcnt(0)
	s_barrier
.LBB26_232:                             ;   in Loop: Header=BB26_8 Depth=1
	s_or_b64 s[30:31], s[94:95], s[20:21]
	s_or_b64 s[20:21], s[92:93], s[20:21]
	s_mov_b64 s[50:51], 0
	s_mov_b32 s57, 8
	s_branch .LBB26_235
.LBB26_233:                             ;   in Loop: Header=BB26_8 Depth=1
	s_mov_b32 s56, 1
	s_branch .LBB26_238
.LBB26_234:                             ;   in Loop: Header=BB26_8 Depth=1
	s_mov_b64 s[50:51], -1
                                        ; implicit-def: $sgpr57
                                        ; implicit-def: $sgpr30_sgpr31
                                        ; implicit-def: $sgpr20_sgpr21
.LBB26_235:                             ;   in Loop: Header=BB26_8 Depth=1
	s_andn2_b64 vcc, exec, s[50:51]
	s_cbranch_vccnz .LBB26_237
; %bb.236:                              ;   in Loop: Header=BB26_8 Depth=1
	s_sub_i32 s56, s56, s7
	s_mov_b32 s57, 8
	s_mov_b64 s[30:31], s[94:95]
	s_mov_b64 s[20:21], s[92:93]
.LBB26_237:                             ;   in Loop: Header=BB26_8 Depth=1
	s_mov_b64 s[94:95], s[30:31]
	s_mov_b64 s[92:93], s[20:21]
.LBB26_238:                             ;   in Loop: Header=BB26_8 Depth=1
	s_mov_b64 s[54:55], exec
.LBB26_239:                             ;   in Loop: Header=BB26_8 Depth=1
	s_or_b64 exec, exec, s[52:53]
.LBB26_240:                             ;   in Loop: Header=BB26_8 Depth=1
	s_andn2_b64 s[10:11], s[38:39], exec
	s_and_b64 s[12:13], s[18:19], exec
	s_or_b64 s[38:39], s[10:11], s[12:13]
	s_andn2_b64 s[10:11], s[42:43], exec
	s_and_b64 s[12:13], s[48:49], exec
	s_or_b64 s[42:43], s[10:11], s[12:13]
	s_andn2_b64 s[10:11], s[40:41], exec
	s_and_b64 s[12:13], s[46:47], exec
	s_or_b64 s[40:41], s[10:11], s[12:13]
	s_and_b64 s[48:49], s[54:55], exec
	s_mov_b32 s52, s56
.LBB26_241:                             ;   in Loop: Header=BB26_8 Depth=1
	s_or_b64 exec, exec, s[44:45]
.LBB26_242:                             ;   in Loop: Header=BB26_8 Depth=1
	s_andn2_b64 s[10:11], s[28:29], exec
	s_and_b64 s[12:13], s[38:39], exec
	s_or_b64 s[28:29], s[10:11], s[12:13]
	s_andn2_b64 s[10:11], s[34:35], exec
	s_and_b64 s[12:13], s[42:43], exec
	s_or_b64 s[34:35], s[10:11], s[12:13]
	;; [unrolled: 3-line block ×3, first 2 shown]
	s_and_b64 s[40:41], s[48:49], exec
	s_mov_b32 s43, s52
.LBB26_243:                             ;   in Loop: Header=BB26_8 Depth=1
	s_or_b64 exec, exec, s[36:37]
	s_and_saveexec_b64 s[10:11], s[40:41]
	s_xor_b64 s[18:19], exec, s[10:11]
	s_cbranch_execz .LBB26_6
.LBB26_244:                             ;   in Loop: Header=BB26_8 Depth=1
	s_and_b32 s7, s57, -9
	s_cmp_eq_u32 s7, 0
	s_cbranch_scc1 .LBB26_4
; %bb.245:                              ;   in Loop: Header=BB26_8 Depth=1
	s_mov_b64 s[20:21], -1
                                        ; implicit-def: $sgpr92_sgpr93
                                        ; implicit-def: $sgpr43
                                        ; implicit-def: $sgpr87
                                        ; implicit-def: $sgpr6
	s_mov_b64 s[24:25], -1
	s_branch .LBB26_5
.LBB26_246:
	s_or_b64 exec, exec, s[78:79]
	s_xor_b64 s[8:9], s[64:65], -1
	s_xor_b64 s[2:3], s[60:61], -1
	;; [unrolled: 1-line block ×3, first 2 shown]
	s_mov_b64 s[4:5], 0
	s_and_saveexec_b64 s[10:11], s[2:3]
	s_xor_b64 s[2:3], exec, s[10:11]
	s_cbranch_execnz .LBB26_251
; %bb.247:
	s_andn2_saveexec_b64 s[0:1], s[2:3]
	s_cbranch_execnz .LBB26_271
.LBB26_248:
	s_or_b64 exec, exec, s[0:1]
	s_and_saveexec_b64 s[0:1], s[4:5]
.LBB26_249:
	; divergent unreachable
.LBB26_250:
	s_endpgm
.LBB26_251:
	s_and_saveexec_b64 s[4:5], s[8:9]
	s_xor_b64 s[4:5], exec, s[4:5]
	s_cbranch_execz .LBB26_269
; %bb.252:
	s_and_saveexec_b64 s[8:9], s[6:7]
	s_xor_b64 s[6:7], exec, s[8:9]
; %bb.253:
	v_xor_b32_e32 v5, 0x80000000, v5
	v_pk_mov_b32 v[6:7], v[4:5], v[4:5] op_sel:[0,1]
; %bb.254:
	s_or_b64 exec, exec, s[6:7]
	s_mov_b64 s[6:7], exec
	v_readlane_b32 s8, v54, 18
	v_readlane_b32 s9, v54, 19
	;; [unrolled: 1-line block ×4, first 2 shown]
	s_and_b64 s[8:9], s[6:7], s[8:9]
	v_readlane_b32 s20, v54, 30
	v_readlane_b32 s23, v54, 23
	;; [unrolled: 1-line block ×5, first 2 shown]
	s_mov_b64 exec, s[8:9]
	s_cbranch_execz .LBB26_256
; %bb.255:
	v_mov_b32_e32 v1, 0
	v_mov_b32_e32 v2, s68
	ds_write_b32 v1, v2 offset:4108
.LBB26_256:
	s_or_b64 exec, exec, s[6:7]
	v_mov_b32_e32 v1, 0
	s_waitcnt lgkmcnt(0)
	s_barrier
	ds_read_b32 v1, v1 offset:4108
	s_waitcnt lgkmcnt(0)
	v_min_i32_e32 v1, s68, v1
	v_cmp_lt_i32_e32 vcc, v0, v1
	s_and_saveexec_b64 s[6:7], vcc
	s_cbranch_execz .LBB26_266
; %bb.257:
	s_mov_b64 s[8:9], 0
	v_mov_b32_e32 v3, s16
                                        ; implicit-def: $sgpr10_sgpr11
                                        ; implicit-def: $sgpr14_sgpr15
                                        ; implicit-def: $sgpr12_sgpr13
	s_branch .LBB26_259
.LBB26_258:                             ;   in Loop: Header=BB26_259 Depth=1
	s_or_b64 exec, exec, s[16:17]
	s_and_b64 s[16:17], exec, s[14:15]
	s_or_b64 s[8:9], s[16:17], s[8:9]
	s_andn2_b64 s[10:11], s[10:11], exec
	s_and_b64 s[16:17], s[12:13], exec
	s_or_b64 s[10:11], s[10:11], s[16:17]
	s_andn2_b64 exec, exec, s[8:9]
	s_cbranch_execz .LBB26_261
.LBB26_259:                             ; =>This Inner Loop Header: Depth=1
	v_ashrrev_i32_e32 v17, 31, v16
	v_lshlrev_b64 v[4:5], 3, v[16:17]
	v_add_co_u32_e32 v4, vcc, s70, v4
	v_addc_co_u32_e32 v5, vcc, v3, v5, vcc
	global_load_dwordx2 v[4:5], v[4:5], off
	v_mov_b32_e32 v2, v0
	s_or_b64 s[12:13], s[12:13], exec
	s_or_b64 s[14:15], s[14:15], exec
                                        ; implicit-def: $vgpr0
	s_waitcnt vmcnt(0)
	v_cmp_ne_u64_e32 vcc, v[4:5], v[6:7]
	s_and_saveexec_b64 s[16:17], vcc
	s_cbranch_execz .LBB26_258
; %bb.260:                              ;   in Loop: Header=BB26_259 Depth=1
	v_add_u32_e32 v0, s33, v2
	v_cmp_ge_i32_e32 vcc, v0, v1
	s_andn2_b64 s[14:15], s[14:15], exec
	s_and_b64 s[18:19], vcc, exec
	v_add_u32_e32 v16, s0, v16
	s_andn2_b64 s[12:13], s[12:13], exec
	s_or_b64 s[14:15], s[14:15], s[18:19]
	s_branch .LBB26_258
.LBB26_261:
	s_or_b64 exec, exec, s[8:9]
	s_and_saveexec_b64 s[0:1], s[10:11]
	s_xor_b64 s[0:1], exec, s[0:1]
	s_cbranch_execz .LBB26_266
; %bb.262:
	s_mov_b64 s[8:9], exec
	s_brev_b32 s0, -2
.LBB26_263:                             ; =>This Inner Loop Header: Depth=1
	s_ff1_i32_b64 s1, s[8:9]
	v_readlane_b32 s12, v2, s1
	s_lshl_b64 s[10:11], 1, s1
	s_min_i32 s0, s0, s12
	s_andn2_b64 s[8:9], s[8:9], s[10:11]
	s_cmp_lg_u64 s[8:9], 0
	s_cbranch_scc1 .LBB26_263
; %bb.264:
	v_mbcnt_lo_u32_b32 v0, exec_lo, 0
	v_mbcnt_hi_u32_b32 v0, exec_hi, v0
	v_cmp_eq_u32_e32 vcc, 0, v0
	s_and_saveexec_b64 s[8:9], vcc
	s_xor_b64 s[8:9], exec, s[8:9]
	s_cbranch_execz .LBB26_266
; %bb.265:
	v_mov_b32_e32 v0, 0
	v_mov_b32_e32 v1, s0
	ds_min_i32 v0, v1 offset:4108
.LBB26_266:
	s_or_b64 exec, exec, s[6:7]
	s_waitcnt lgkmcnt(0)
	s_barrier
	s_mov_b64 s[6:7], exec
	v_readlane_b32 s0, v54, 18
	v_readlane_b32 s1, v54, 19
	s_and_b64 s[0:1], s[6:7], s[0:1]
	s_mov_b64 exec, s[0:1]
	s_cbranch_execz .LBB26_268
; %bb.267:
	v_readlane_b32 s8, v54, 0
	s_mul_i32 s0, s21, s23
	v_readlane_b32 s10, v54, 2
	s_sub_i32 s0, s20, s0
	v_readlane_b32 s9, v54, 1
	v_readlane_b32 s11, v54, 3
	s_mov_b32 s14, s10
	s_mov_b64 s[12:13], s[8:9]
	s_mul_i32 s0, s0, s14
	v_readlane_b32 s1, v54, 21
	v_readlane_b32 s8, v54, 24
	;; [unrolled: 1-line block ×4, first 2 shown]
	s_xor_b32 s1, s1, s8
	s_mul_i32 s8, s14, s11
	v_readlane_b32 s9, v54, 13
	s_sub_i32 s8, s9, s8
	s_add_i32 s9, s14, 1
	s_sub_i32 s10, s8, s11
	s_cmp_ge_u32 s8, s11
	s_cselect_b32 s9, s9, s14
	s_cselect_b32 s8, s10, s8
	s_add_i32 s10, s9, 1
	s_cmp_ge_u32 s8, s11
	s_cselect_b32 s8, s10, s9
	s_xor_b32 s8, s8, s1
	s_sub_i32 s1, s8, s1
	s_mul_i32 s8, s1, s22
	s_sub_i32 s8, s21, s8
	s_mul_i32 s8, s8, s13
	s_add_i32 s0, s8, s0
	s_mul_i32 s1, s1, s12
	v_readlane_b32 s8, v54, 4
	s_add_i32 s0, s0, s1
	s_mul_i32 s1, s26, s25
	v_readlane_b32 s10, v54, 6
	s_sub_i32 s1, s20, s1
	v_readlane_b32 s9, v54, 5
	s_mov_b32 s14, s10
	s_mov_b64 s[12:13], s[8:9]
	s_mul_i32 s1, s1, s14
	v_readlane_b32 s8, v54, 26
	v_readlane_b32 s9, v54, 29
	;; [unrolled: 1-line block ×4, first 2 shown]
	s_xor_b32 s8, s8, s9
	s_mul_i32 s9, s15, s14
	v_readlane_b32 s10, v54, 16
	v_readlane_b32 s11, v54, 7
	s_sub_i32 s9, s10, s9
	s_add_i32 s10, s15, 1
	s_sub_i32 s11, s9, s14
	s_cmp_ge_u32 s9, s14
	s_cselect_b32 s10, s10, s15
	s_cselect_b32 s9, s11, s9
	s_add_i32 s11, s10, 1
	s_cmp_ge_u32 s9, s14
	s_cselect_b32 s9, s11, s10
	s_xor_b32 s9, s9, s8
	s_sub_i32 s8, s9, s8
	s_mul_i32 s9, s8, s24
	s_sub_i32 s9, s26, s9
	s_mul_i32 s9, s9, s13
	s_add_i32 s1, s9, s1
	s_mul_i32 s8, s8, s12
	s_add_i32 s8, s1, s8
	s_ashr_i32 s1, s0, 31
	v_mov_b32_e32 v2, 0
	s_lshl_b64 s[0:1], s[0:1], 3
	v_readlane_b32 s10, v54, 11
	ds_read_b32 v0, v2 offset:4108
	v_readlane_b32 s11, v54, 12
	s_add_u32 s0, s10, s0
	s_addc_u32 s1, s11, s1
	s_ashr_i32 s9, s8, 31
	s_lshl_b64 s[8:9], s[8:9], 3
	v_readlane_b32 s10, v54, 8
	v_readlane_b32 s11, v54, 9
	s_add_u32 s8, s10, s8
	s_addc_u32 s9, s11, s9
	s_waitcnt lgkmcnt(0)
	v_ashrrev_i32_e32 v1, 31, v0
	global_store_dwordx2 v2, v[0:1], s[8:9]
	global_store_dwordx2 v2, v[6:7], s[0:1]
.LBB26_268:
	s_or_b64 exec, exec, s[6:7]
.LBB26_269:
	s_or_saveexec_b64 s[0:1], s[4:5]
	s_mov_b64 s[4:5], 0
	s_xor_b64 exec, exec, s[0:1]
	s_cbranch_execnz .LBB26_272
.LBB26_270:
	s_or_b64 exec, exec, s[0:1]
	s_and_b64 s[4:5], s[4:5], exec
	s_andn2_saveexec_b64 s[0:1], s[2:3]
	s_cbranch_execz .LBB26_248
.LBB26_271:
	s_or_b64 s[4:5], s[4:5], exec
	s_trap 2
	s_or_b64 exec, exec, s[0:1]
	s_and_saveexec_b64 s[0:1], s[4:5]
	s_cbranch_execnz .LBB26_249
	s_branch .LBB26_250
.LBB26_272:
	s_mov_b64 s[4:5], exec
	s_trap 2
	s_branch .LBB26_270
	.section	.rodata,"a",@progbits
	.p2align	6, 0x0
	.amdhsa_kernel _ZN2at6native12_GLOBAL__N_114gatherKthValueIliLi3EEEvNS_4cuda6detail10TensorInfoIKT_T0_EES8_S8_S8_S8_NS5_IS6_S8_EENS5_IlS8_EE
		.amdhsa_group_segment_fixed_size 4112
		.amdhsa_private_segment_fixed_size 0
		.amdhsa_kernarg_size 920
		.amdhsa_user_sgpr_count 6
		.amdhsa_user_sgpr_private_segment_buffer 1
		.amdhsa_user_sgpr_dispatch_ptr 0
		.amdhsa_user_sgpr_queue_ptr 0
		.amdhsa_user_sgpr_kernarg_segment_ptr 1
		.amdhsa_user_sgpr_dispatch_id 0
		.amdhsa_user_sgpr_flat_scratch_init 0
		.amdhsa_user_sgpr_kernarg_preload_length 0
		.amdhsa_user_sgpr_kernarg_preload_offset 0
		.amdhsa_user_sgpr_private_segment_size 0
		.amdhsa_uses_dynamic_stack 0
		.amdhsa_system_sgpr_private_segment_wavefront_offset 0
		.amdhsa_system_sgpr_workgroup_id_x 1
		.amdhsa_system_sgpr_workgroup_id_y 1
		.amdhsa_system_sgpr_workgroup_id_z 1
		.amdhsa_system_sgpr_workgroup_info 0
		.amdhsa_system_vgpr_workitem_id 0
		.amdhsa_next_free_vgpr 55
		.amdhsa_next_free_sgpr 96
		.amdhsa_accum_offset 56
		.amdhsa_reserve_vcc 1
		.amdhsa_reserve_flat_scratch 0
		.amdhsa_float_round_mode_32 0
		.amdhsa_float_round_mode_16_64 0
		.amdhsa_float_denorm_mode_32 3
		.amdhsa_float_denorm_mode_16_64 3
		.amdhsa_dx10_clamp 1
		.amdhsa_ieee_mode 1
		.amdhsa_fp16_overflow 0
		.amdhsa_tg_split 0
		.amdhsa_exception_fp_ieee_invalid_op 0
		.amdhsa_exception_fp_denorm_src 0
		.amdhsa_exception_fp_ieee_div_zero 0
		.amdhsa_exception_fp_ieee_overflow 0
		.amdhsa_exception_fp_ieee_underflow 0
		.amdhsa_exception_fp_ieee_inexact 0
		.amdhsa_exception_int_div_zero 0
	.end_amdhsa_kernel
	.section	.text._ZN2at6native12_GLOBAL__N_114gatherKthValueIliLi3EEEvNS_4cuda6detail10TensorInfoIKT_T0_EES8_S8_S8_S8_NS5_IS6_S8_EENS5_IlS8_EE,"axG",@progbits,_ZN2at6native12_GLOBAL__N_114gatherKthValueIliLi3EEEvNS_4cuda6detail10TensorInfoIKT_T0_EES8_S8_S8_S8_NS5_IS6_S8_EENS5_IlS8_EE,comdat
.Lfunc_end26:
	.size	_ZN2at6native12_GLOBAL__N_114gatherKthValueIliLi3EEEvNS_4cuda6detail10TensorInfoIKT_T0_EES8_S8_S8_S8_NS5_IS6_S8_EENS5_IlS8_EE, .Lfunc_end26-_ZN2at6native12_GLOBAL__N_114gatherKthValueIliLi3EEEvNS_4cuda6detail10TensorInfoIKT_T0_EES8_S8_S8_S8_NS5_IS6_S8_EENS5_IlS8_EE
                                        ; -- End function
	.section	.AMDGPU.csdata,"",@progbits
; Kernel info:
; codeLenInByte = 11432
; NumSgprs: 100
; NumVgprs: 55
; NumAgprs: 0
; TotalNumVgprs: 55
; ScratchSize: 0
; MemoryBound: 0
; FloatMode: 240
; IeeeMode: 1
; LDSByteSize: 4112 bytes/workgroup (compile time only)
; SGPRBlocks: 12
; VGPRBlocks: 6
; NumSGPRsForWavesPerEU: 100
; NumVGPRsForWavesPerEU: 55
; AccumOffset: 56
; Occupancy: 8
; WaveLimiterHint : 1
; COMPUTE_PGM_RSRC2:SCRATCH_EN: 0
; COMPUTE_PGM_RSRC2:USER_SGPR: 6
; COMPUTE_PGM_RSRC2:TRAP_HANDLER: 0
; COMPUTE_PGM_RSRC2:TGID_X_EN: 1
; COMPUTE_PGM_RSRC2:TGID_Y_EN: 1
; COMPUTE_PGM_RSRC2:TGID_Z_EN: 1
; COMPUTE_PGM_RSRC2:TIDIG_COMP_CNT: 0
; COMPUTE_PGM_RSRC3_GFX90A:ACCUM_OFFSET: 13
; COMPUTE_PGM_RSRC3_GFX90A:TG_SPLIT: 0
	.section	.text._ZN2at6native12_GLOBAL__N_114gatherKthValueIliLin1EEEvNS_4cuda6detail10TensorInfoIKT_T0_EES8_S8_S8_S8_NS5_IS6_S8_EENS5_IlS8_EE,"axG",@progbits,_ZN2at6native12_GLOBAL__N_114gatherKthValueIliLin1EEEvNS_4cuda6detail10TensorInfoIKT_T0_EES8_S8_S8_S8_NS5_IS6_S8_EENS5_IlS8_EE,comdat
	.globl	_ZN2at6native12_GLOBAL__N_114gatherKthValueIliLin1EEEvNS_4cuda6detail10TensorInfoIKT_T0_EES8_S8_S8_S8_NS5_IS6_S8_EENS5_IlS8_EE ; -- Begin function _ZN2at6native12_GLOBAL__N_114gatherKthValueIliLin1EEEvNS_4cuda6detail10TensorInfoIKT_T0_EES8_S8_S8_S8_NS5_IS6_S8_EENS5_IlS8_EE
	.p2align	8
	.type	_ZN2at6native12_GLOBAL__N_114gatherKthValueIliLin1EEEvNS_4cuda6detail10TensorInfoIKT_T0_EES8_S8_S8_S8_NS5_IS6_S8_EENS5_IlS8_EE,@function
_ZN2at6native12_GLOBAL__N_114gatherKthValueIliLin1EEEvNS_4cuda6detail10TensorInfoIKT_T0_EES8_S8_S8_S8_NS5_IS6_S8_EENS5_IlS8_EE: ; @_ZN2at6native12_GLOBAL__N_114gatherKthValueIliLin1EEEvNS_4cuda6detail10TensorInfoIKT_T0_EES8_S8_S8_S8_NS5_IS6_S8_EENS5_IlS8_EE
; %bb.0:
	s_load_dwordx2 s[12:13], s[4:5], 0x298
	s_load_dwordx4 s[60:63], s[4:5], 0xd8
	s_add_u32 s10, s4, 0x298
	s_addc_u32 s11, s5, 0
	s_waitcnt lgkmcnt(0)
	s_mul_i32 s0, s13, s8
	s_add_i32 s0, s0, s7
	s_mul_i32 s0, s0, s12
	s_add_i32 s33, s0, s6
	s_cmp_ge_i32 s33, s62
	s_cbranch_scc1 .LBB27_259
; %bb.1:
	s_load_dword s0, s[4:5], 0xd0
	s_mov_b32 s3, 0
	s_mov_b32 s2, s33
	s_waitcnt lgkmcnt(0)
	s_cmp_lt_i32 s0, 2
	s_cbranch_scc1 .LBB27_4
; %bb.2:
	s_add_i32 s2, s0, -1
	s_add_i32 s7, s0, 1
	s_lshl_b64 s[0:1], s[2:3], 2
	s_add_u32 s0, s0, s4
	s_addc_u32 s1, s1, s5
	s_add_u32 s0, s0, 8
	s_addc_u32 s1, s1, 0
	s_mov_b32 s2, s33
.LBB27_3:                               ; =>This Inner Loop Header: Depth=1
	s_load_dword s8, s[0:1], 0x0
	s_load_dword s13, s[0:1], 0x64
	s_mov_b32 s9, s2
	s_abs_i32 s2, s2
	s_waitcnt lgkmcnt(0)
	s_abs_i32 s15, s8
	v_cvt_f32_u32_e32 v1, s15
	s_sub_i32 s16, 0, s15
	s_xor_b32 s14, s9, s8
	s_ashr_i32 s14, s14, 31
	v_rcp_iflag_f32_e32 v1, v1
	v_mul_f32_e32 v1, 0x4f7ffffe, v1
	v_cvt_u32_f32_e32 v1, v1
	v_readfirstlane_b32 s17, v1
	s_mul_i32 s16, s16, s17
	s_mul_hi_u32 s16, s17, s16
	s_add_i32 s17, s17, s16
	s_mul_hi_u32 s16, s2, s17
	s_mul_i32 s17, s16, s15
	s_sub_i32 s2, s2, s17
	s_add_i32 s18, s16, 1
	s_sub_i32 s17, s2, s15
	s_cmp_ge_u32 s2, s15
	s_cselect_b32 s16, s18, s16
	s_cselect_b32 s2, s17, s2
	s_add_i32 s17, s16, 1
	s_cmp_ge_u32 s2, s15
	s_cselect_b32 s2, s17, s16
	s_xor_b32 s2, s2, s14
	s_sub_i32 s2, s2, s14
	s_mul_i32 s8, s2, s8
	s_sub_i32 s8, s9, s8
	s_mul_i32 s8, s13, s8
	s_add_i32 s7, s7, -1
	s_add_i32 s3, s8, s3
	s_add_u32 s0, s0, -4
	s_addc_u32 s1, s1, -1
	s_cmp_gt_u32 s7, 2
	s_cbranch_scc1 .LBB27_3
.LBB27_4:
	s_load_dword s8, s[4:5], 0x1b8
	s_add_u32 s0, s4, 0xe8
	s_addc_u32 s1, s5, 0
	s_mov_b32 s65, 0
	s_mov_b32 s62, s33
	s_waitcnt lgkmcnt(0)
	s_cmp_lt_i32 s8, 2
	s_cbranch_scc1 .LBB27_7
; %bb.5:
	s_add_i32 s64, s8, -1
	s_add_i32 s7, s8, 1
	s_lshl_b64 s[8:9], s[64:65], 2
	s_add_u32 s8, s8, s0
	s_addc_u32 s9, s9, s1
	s_add_u32 s8, s8, 8
	s_addc_u32 s9, s9, 0
	s_mov_b32 s62, s33
.LBB27_6:                               ; =>This Inner Loop Header: Depth=1
	s_load_dword s13, s[8:9], 0x0
	s_load_dword s15, s[8:9], 0x64
	s_abs_i32 s16, s62
	s_mov_b32 s14, s62
	s_waitcnt lgkmcnt(0)
	s_abs_i32 s18, s13
	v_cvt_f32_u32_e32 v1, s18
	s_sub_i32 s19, 0, s18
	s_xor_b32 s17, s62, s13
	s_ashr_i32 s17, s17, 31
	v_rcp_iflag_f32_e32 v1, v1
	v_mul_f32_e32 v1, 0x4f7ffffe, v1
	v_cvt_u32_f32_e32 v1, v1
	v_readfirstlane_b32 s20, v1
	s_mul_i32 s19, s19, s20
	s_mul_hi_u32 s19, s20, s19
	s_add_i32 s20, s20, s19
	s_mul_hi_u32 s19, s16, s20
	s_mul_i32 s20, s19, s18
	s_sub_i32 s16, s16, s20
	s_add_i32 s21, s19, 1
	s_sub_i32 s20, s16, s18
	s_cmp_ge_u32 s16, s18
	s_cselect_b32 s19, s21, s19
	s_cselect_b32 s16, s20, s16
	s_add_i32 s20, s19, 1
	s_cmp_ge_u32 s16, s18
	s_cselect_b32 s16, s20, s19
	s_xor_b32 s16, s16, s17
	s_sub_i32 s62, s16, s17
	s_mul_i32 s13, s62, s13
	s_sub_i32 s13, s14, s13
	s_mul_i32 s13, s15, s13
	s_add_i32 s7, s7, -1
	s_add_i32 s65, s13, s65
	s_add_u32 s8, s8, -4
	s_addc_u32 s9, s9, -1
	s_cmp_gt_u32 s7, 2
	s_cbranch_scc1 .LBB27_6
.LBB27_7:
	s_load_dword s7, s[4:5], 0x6c
	s_load_dword s14, s[4:5], 0x290
	s_add_u32 s8, s4, 0x1c0
	s_addc_u32 s9, s5, 0
	s_mov_b32 s67, 0
	s_waitcnt lgkmcnt(0)
	s_cmp_lt_i32 s14, 2
	s_cbranch_scc1 .LBB27_10
; %bb.8:
	s_add_i32 s66, s14, -1
	s_add_i32 s13, s14, 1
	s_lshl_b64 s[14:15], s[66:67], 2
	s_add_u32 s8, s14, s8
	s_addc_u32 s9, s15, s9
	s_add_u32 s8, s8, 8
	s_addc_u32 s9, s9, 0
.LBB27_9:                               ; =>This Inner Loop Header: Depth=1
	s_load_dword s14, s[8:9], 0x0
	s_load_dword s16, s[8:9], 0x64
	s_abs_i32 s17, s33
	s_mov_b32 s15, s33
	s_waitcnt lgkmcnt(0)
	s_abs_i32 s19, s14
	v_cvt_f32_u32_e32 v1, s19
	s_sub_i32 s20, 0, s19
	s_xor_b32 s18, s33, s14
	s_ashr_i32 s18, s18, 31
	v_rcp_iflag_f32_e32 v1, v1
	v_mul_f32_e32 v1, 0x4f7ffffe, v1
	v_cvt_u32_f32_e32 v1, v1
	v_readfirstlane_b32 s21, v1
	s_mul_i32 s20, s20, s21
	s_mul_hi_u32 s20, s21, s20
	s_add_i32 s21, s21, s20
	s_mul_hi_u32 s20, s17, s21
	s_mul_i32 s21, s20, s19
	s_sub_i32 s17, s17, s21
	s_add_i32 s22, s20, 1
	s_sub_i32 s21, s17, s19
	s_cmp_ge_u32 s17, s19
	s_cselect_b32 s20, s22, s20
	s_cselect_b32 s17, s21, s17
	s_add_i32 s21, s20, 1
	s_cmp_ge_u32 s17, s19
	s_cselect_b32 s17, s21, s20
	s_xor_b32 s17, s17, s18
	s_sub_i32 s33, s17, s18
	s_mul_i32 s14, s33, s14
	s_sub_i32 s14, s15, s14
	s_mul_i32 s14, s16, s14
	s_add_i32 s13, s13, -1
	s_add_i32 s67, s14, s67
	s_add_u32 s8, s8, -4
	s_addc_u32 s9, s9, -1
	s_cmp_gt_u32 s13, 2
	s_cbranch_scc1 .LBB27_9
.LBB27_10:
	s_load_dword s0, s[0:1], 0x6c
                                        ; implicit-def: $vgpr54 : SGPR spill to VGPR lane
	s_mov_b32 s54, 0
	s_waitcnt lgkmcnt(0)
	v_writelane_b32 v54, s0, 0
	s_load_dwordx2 s[8:9], s[4:5], 0x0
	s_load_dwordx2 s[0:1], s[4:5], 0xe8
	s_waitcnt lgkmcnt(0)
	v_writelane_b32 v54, s0, 1
	v_writelane_b32 v54, s1, 2
	s_load_dwordx2 s[0:1], s[4:5], 0x1c0
	s_waitcnt lgkmcnt(0)
	v_writelane_b32 v54, s0, 3
	v_writelane_b32 v54, s1, 4
	v_cmp_eq_u32_e64 s[0:1], 0, v0
	s_mov_b64 s[14:15], exec
	v_writelane_b32 v54, s0, 5
	v_writelane_b32 v54, s1, 6
	s_and_b64 s[0:1], s[14:15], s[0:1]
	s_mov_b64 exec, s[0:1]
	s_cbranch_execz .LBB27_12
; %bb.11:
	v_mov_b32_e32 v2, 0
	v_mov_b32_e32 v3, s60
	;; [unrolled: 1-line block ×3, first 2 shown]
	ds_write_b96 v2, v[2:4] offset:4096
.LBB27_12:
	s_or_b64 exec, exec, s[14:15]
	s_load_dword s0, s[4:5], 0x22c
	s_waitcnt lgkmcnt(0)
	s_barrier
	v_mbcnt_lo_u32_b32 v1, -1, 0
	v_writelane_b32 v54, s0, 7
	s_mul_i32 s0, s7, s2
	s_load_dword s2, s[10:11], 0xc
	s_add_i32 s0, s0, s3
	s_ashr_i32 s1, s0, 31
	s_lshl_b64 s[0:1], s[0:1], 3
	s_add_u32 s64, s8, s0
	v_mbcnt_hi_u32_b32 v23, -1, v1
	s_addc_u32 s0, s9, s1
	s_waitcnt lgkmcnt(0)
	s_and_b32 s66, s2, 0xffff
	s_bfe_u32 s7, s2, 0xa0006
	v_cmp_gt_u32_e32 vcc, 64, v0
	v_cmp_gt_i32_e64 s[2:3], 4, v23
	s_and_b64 s[56:57], vcc, s[2:3]
	s_add_i32 s2, s66, -1
	s_lshl_b32 s1, s66, 2
	s_add_i32 s79, s2, s60
	s_cmpk_gt_i32 s60, 0x180
	v_writelane_b32 v54, s2, 8
	s_cselect_b64 s[2:3], -1, 0
	v_writelane_b32 v54, s2, 9
	s_cmp_gt_u32 s66, 63
	v_writelane_b32 v54, s3, 10
	s_cselect_b64 s[2:3], -1, 0
	v_writelane_b32 v54, s2, 11
	s_cmp_lt_u32 s6, s12
	v_writelane_b32 v54, s3, 12
	s_cselect_b32 s2, 12, 18
	s_add_u32 s2, s10, s2
	s_addc_u32 s3, s11, 0
	v_writelane_b32 v54, s2, 13
	s_add_i32 s4, s7, -2
	v_writelane_b32 v54, s3, 14
	s_lshr_b32 s2, s4, 1
	s_add_i32 s5, s2, 1
	s_cmpk_gt_u32 s66, 0x7f
	s_cselect_b64 s[2:3], -1, 0
	v_writelane_b32 v54, s2, 15
	v_mov_b32_e32 v19, 0
	v_writelane_b32 v54, s3, 16
	v_cmp_gt_u32_e64 s[8:9], 2, v0
	v_writelane_b32 v54, s8, 17
	v_mul_lo_u32 v16, v0, s63
	v_mov_b32_e32 v17, v19
	v_writelane_b32 v54, s9, 18
	v_cmp_gt_u32_e64 s[8:9], s60, v0
	v_lshlrev_b64 v[2:3], 3, v[16:17]
	v_writelane_b32 v54, s8, 19
	v_mov_b32_e32 v17, s0
	v_add_co_u32_e32 v20, vcc, s64, v2
	v_writelane_b32 v54, s9, 20
	v_addc_co_u32_e32 v21, vcc, v17, v3, vcc
	v_cmp_gt_i32_e64 s[8:9], s60, v0
	v_lshlrev_b64 v[2:3], v23, -1
	v_writelane_b32 v54, s8, 21
	v_not_b32_e32 v22, v2
	v_cvt_f32_u32_e32 v2, s1
	v_writelane_b32 v54, s9, 22
	s_and_b32 s6, s7, 0x3fe
	s_and_b32 s8, s5, 7
	s_cmp_gt_u32 s4, 13
	s_cselect_b64 s[10:11], -1, 0
	v_writelane_b32 v54, s10, 23
	v_rcp_iflag_f32_e32 v2, v2
	v_writelane_b32 v54, s11, 24
	s_and_b32 s4, s5, -8
	v_writelane_b32 v54, s4, 25
	s_cmp_lg_u32 s8, 0
	v_writelane_b32 v54, s8, 26
	s_cselect_b64 s[4:5], -1, 0
	v_writelane_b32 v54, s4, 27
	v_mul_f32_e32 v2, 0x4f7ffffe, v2
	v_writelane_b32 v54, s5, 28
	v_cvt_u32_f32_e32 v2, v2
	v_writelane_b32 v54, s7, 29
	s_cmp_lg_u32 s6, s7
	v_writelane_b32 v54, s6, 30
	s_cselect_b64 s[4:5], -1, 0
	v_writelane_b32 v54, s4, 31
	v_writelane_b32 v54, s5, 32
	s_sub_i32 s4, 0, s1
	v_readfirstlane_b32 s5, v2
	s_mul_i32 s4, s4, s5
	s_mul_hi_u32 s4, s5, s4
	s_add_i32 s4, s5, s4
	s_mov_b32 s75, s4
	s_mul_hi_u32 s4, s60, s4
	s_mul_i32 s4, s4, s1
	s_sub_i32 s4, s60, s4
	s_sub_i32 s5, s4, s1
	s_cmp_ge_u32 s4, s1
	s_cselect_b32 s4, s5, s4
	s_sub_i32 s5, s4, s1
	v_cvt_f32_u32_e32 v5, s66
	s_cmp_ge_u32 s4, s1
	s_cselect_b32 s4, s5, s4
	s_sub_i32 s78, s60, s4
	v_add_u32_e32 v35, s78, v0
	v_rcp_iflag_f32_e32 v5, v5
	v_lshrrev_b32_e32 v1, 4, v0
	v_mul_lo_u32 v2, v35, s63
	v_lshlrev_b32_e32 v30, 2, v0
	v_and_b32_e32 v33, 60, v1
	v_not_b32_e32 v1, v3
	v_ashrrev_i32_e32 v3, 31, v2
	v_cmp_gt_i32_e64 s[6:7], s78, v30
	v_lshlrev_b64 v[2:3], 3, v[2:3]
	v_writelane_b32 v54, s6, 33
	v_add_co_u32_e32 v24, vcc, s64, v2
	v_mul_f32_e32 v2, 0x4f7ffffe, v5
	v_writelane_b32 v54, s7, 34
	v_cmp_gt_u32_e64 s[6:7], s60, v35
	v_cvt_u32_f32_e32 v2, v2
	v_writelane_b32 v54, s6, 35
	v_writelane_b32 v54, s7, 36
	v_cmp_gt_i32_e64 s[6:7], s60, v35
	v_writelane_b32 v54, s6, 37
	v_writelane_b32 v54, s7, 38
	s_sub_i32 s7, 0, s66
	v_readfirstlane_b32 s8, v2
	s_mul_i32 s7, s7, s8
	s_mul_hi_u32 s7, s8, s7
	s_abs_i32 s6, s79
	s_add_i32 s7, s8, s7
	v_writelane_b32 v54, s7, 39
	s_mul_hi_u32 s7, s6, s7
	s_mul_i32 s7, s7, s66
	s_sub_i32 s6, s6, s7
	s_ashr_i32 s5, s79, 31
	s_sub_i32 s7, s6, s66
	s_cmp_ge_u32 s6, s66
	s_cselect_b32 s6, s7, s6
	s_sub_i32 s7, s6, s66
	s_cmp_ge_u32 s6, s66
	s_cselect_b32 s6, s7, s6
	s_xor_b32 s6, s6, s5
	s_sub_i32 s5, s5, s6
	v_mul_lo_u32 v2, s63, v30
	s_add_i32 s79, s79, s5
	v_add_u32_e32 v36, s63, v2
	v_or_b32_e32 v2, 2, v30
	v_cmp_gt_i32_e64 s[6:7], s79, v0
	v_mul_lo_u32 v37, s63, v2
	v_or_b32_e32 v2, 3, v30
	s_add_i32 s5, s66, s60
	v_writelane_b32 v54, s6, 40
	v_mul_lo_u32 v38, s63, v2
	v_add_u32_e32 v2, s5, v0
	v_lshlrev_b32_e32 v31, 3, v0
	v_lshlrev_b32_e32 v4, 2, v23
	v_mov_b32_e32 v6, s0
	v_writelane_b32 v54, s7, 41
	s_mul_i32 s76, s63, s66
	v_subrev_u32_e32 v2, s4, v2
	v_cmp_eq_u32_e64 s[2:3], 0, v23
	v_add_u32_e32 v32, 0xc00, v31
	v_and_b32_e32 v34, 0x100, v4
	v_addc_co_u32_e32 v25, vcc, v6, v3, vcc
	s_lshl_b32 s6, s76, 2
	v_lshlrev_b32_e32 v39, 2, v16
	v_mul_lo_u32 v40, s63, v2
	v_lshlrev_b32_e32 v41, 5, v0
	s_lshl_b32 s7, s66, 5
	s_lshl_b32 s10, s66, 3
	v_or_b32_e32 v42, 0xc00, v4
	s_mov_b32 s11, 62
	s_mov_b64 s[90:91], 0
	v_pk_mov_b32 v[6:7], 0, 0
	v_mov_b32_e32 v2, 1
	v_mov_b32_e32 v43, 0xc00
	s_mov_b32 s12, 0
	s_mov_b64 s[80:81], 0
	s_mov_b64 s[88:89], 0
	v_writelane_b32 v54, s56, 42
                                        ; implicit-def: $sgpr92_sgpr93
                                        ; implicit-def: $sgpr68_sgpr69
                                        ; implicit-def: $sgpr94_sgpr95
                                        ; implicit-def: $sgpr70_sgpr71
                                        ; implicit-def: $sgpr84_sgpr85
                                        ; implicit-def: $sgpr86_sgpr87
	v_writelane_b32 v54, s57, 43
	s_branch .LBB27_17
.LBB27_13:                              ;   in Loop: Header=BB27_17 Depth=1
	s_xor_b32 s12, s12, 1
	s_add_i32 s4, s11, -2
	s_cmp_eq_u32 s11, 0
	s_mov_b64 s[16:17], 0
	s_cselect_b64 s[18:19], -1, 0
	s_mov_b32 s11, s4
.LBB27_14:                              ;   in Loop: Header=BB27_17 Depth=1
	s_andn2_b64 s[4:5], s[28:29], exec
	s_and_b64 s[14:15], s[16:17], exec
	s_or_b64 s[28:29], s[4:5], s[14:15]
	s_andn2_b64 s[34:35], s[34:35], exec
	s_andn2_b64 s[26:27], s[26:27], exec
	s_orn2_b64 s[24:25], s[18:19], exec
	s_mov_b32 s61, s39
.LBB27_15:                              ;   in Loop: Header=BB27_17 Depth=1
	s_or_b64 exec, exec, s[8:9]
	s_andn2_b64 s[4:5], s[86:87], exec
	s_and_b64 s[8:9], s[28:29], exec
	s_or_b64 s[86:87], s[4:5], s[8:9]
	s_andn2_b64 s[4:5], s[84:85], exec
	s_and_b64 s[8:9], s[34:35], exec
	s_or_b64 s[84:85], s[4:5], s[8:9]
	;; [unrolled: 3-line block ×3, first 2 shown]
	s_orn2_b64 s[24:25], s[24:25], exec
.LBB27_16:                              ;   in Loop: Header=BB27_17 Depth=1
	s_or_b64 exec, exec, s[22:23]
	s_and_b64 s[4:5], exec, s[24:25]
	s_or_b64 s[90:91], s[4:5], s[90:91]
	s_andn2_b64 s[4:5], s[94:95], exec
	s_and_b64 s[8:9], s[86:87], exec
	s_or_b64 s[94:95], s[4:5], s[8:9]
	s_andn2_b64 s[4:5], s[68:69], exec
	s_and_b64 s[8:9], s[84:85], exec
	;; [unrolled: 3-line block ×3, first 2 shown]
	s_waitcnt vmcnt(0)
	v_pk_mov_b32 v[4:5], s[80:81], s[80:81] op_sel:[0,1]
	s_or_b64 s[92:93], s[4:5], s[8:9]
	s_andn2_b64 exec, exec, s[90:91]
	s_cbranch_execz .LBB27_255
.LBB27_17:                              ; =>This Loop Header: Depth=1
                                        ;     Child Loop BB27_25 Depth 2
                                        ;     Child Loop BB27_44 Depth 2
	;; [unrolled: 1-line block ×17, first 2 shown]
	ds_read_b64 v[4:5], v19 offset:4096
	s_waitcnt lgkmcnt(0)
	v_readfirstlane_b32 s13, v4
	s_cmp_gt_i32 s13, 0
	s_cbranch_scc1 .LBB27_51
; %bb.18:                               ;   in Loop: Header=BB27_17 Depth=1
	v_readlane_b32 s4, v54, 9
	v_readlane_b32 s5, v54, 10
	s_and_b64 vcc, exec, s[4:5]
	s_cbranch_vccz .LBB27_33
; %bb.19:                               ;   in Loop: Header=BB27_17 Depth=1
	s_movk_i32 s4, 0x181
	v_cmp_gt_i32_e32 vcc, s4, v5
	s_mov_b64 s[8:9], 0
	s_mov_b64 s[16:17], 0
	s_cbranch_vccz .LBB27_38
; %bb.20:                               ;   in Loop: Header=BB27_17 Depth=1
	v_pk_mov_b32 v[4:5], 0, 0
	s_mov_b64 s[16:17], exec
	v_readlane_b32 s4, v54, 19
	v_readlane_b32 s5, v54, 20
	s_and_b64 s[4:5], s[16:17], s[4:5]
	s_mov_b64 exec, s[4:5]
	s_cbranch_execz .LBB27_22
; %bb.21:                               ;   in Loop: Header=BB27_17 Depth=1
	global_load_dwordx2 v[4:5], v[20:21], off
.LBB27_22:                              ;   in Loop: Header=BB27_17 Depth=1
	s_or_b64 exec, exec, s[16:17]
	s_mov_b64 s[16:17], exec
	v_readlane_b32 s4, v54, 19
	v_readlane_b32 s5, v54, 20
	s_and_b64 s[4:5], s[16:17], s[4:5]
	s_mov_b64 exec, s[4:5]
	s_cbranch_execz .LBB27_34
; %bb.23:                               ;   in Loop: Header=BB27_17 Depth=1
	v_readlane_b32 s4, v54, 13
	v_readlane_b32 s5, v54, 14
	s_mov_b64 s[20:21], 0
	v_mov_b32_e32 v11, v0
	s_nop 2
	global_load_ushort v3, v19, s[4:5]
	s_waitcnt vmcnt(0)
	v_add_u32_e32 v8, v0, v3
	v_mul_lo_u32 v10, s63, v3
	v_mul_lo_u32 v18, s63, v8
	s_branch .LBB27_25
.LBB27_24:                              ;   in Loop: Header=BB27_25 Depth=2
	s_or_b64 exec, exec, s[18:19]
	v_cmp_le_i32_e32 vcc, s60, v11
	v_add_u32_e32 v18, v18, v10
	s_or_b64 s[20:21], vcc, s[20:21]
	s_waitcnt vmcnt(0)
	v_pk_mov_b32 v[4:5], v[8:9], v[8:9] op_sel:[0,1]
	s_andn2_b64 exec, exec, s[20:21]
	s_cbranch_execz .LBB27_34
.LBB27_25:                              ;   Parent Loop BB27_17 Depth=1
                                        ; =>  This Inner Loop Header: Depth=2
	v_add_u32_e32 v11, v11, v3
	v_cmp_gt_u32_e32 vcc, s60, v11
	v_pk_mov_b32 v[8:9], 0, 0
	s_and_saveexec_b64 s[18:19], vcc
	s_cbranch_execz .LBB27_27
; %bb.26:                               ;   in Loop: Header=BB27_25 Depth=2
	v_lshlrev_b64 v[8:9], 3, v[18:19]
	v_add_co_u32_e32 v8, vcc, s64, v8
	v_addc_co_u32_e32 v9, vcc, v17, v9, vcc
	global_load_dwordx2 v[8:9], v[8:9], off
.LBB27_27:                              ;   in Loop: Header=BB27_25 Depth=2
	s_or_b64 exec, exec, s[18:19]
	s_waitcnt lgkmcnt(0)
	v_xor_b32_e32 v12, 0x80000000, v5
	v_and_b32_e32 v13, s89, v12
	v_and_b32_e32 v12, s88, v4
	v_cmp_eq_u64_e32 vcc, s[80:81], v[12:13]
	s_cmp_lg_u64 vcc, 0
	s_cselect_b64 s[4:5], -1, 0
	s_and_b64 s[4:5], s[2:3], s[4:5]
	v_mov_b32_e32 v12, 0
	s_and_saveexec_b64 s[22:23], s[4:5]
	s_cbranch_execz .LBB27_31
; %bb.28:                               ;   in Loop: Header=BB27_25 Depth=2
	s_mov_b64 s[26:27], exec
	v_mbcnt_lo_u32_b32 v12, s26, 0
	v_mbcnt_hi_u32_b32 v12, s27, v12
	s_bcnt1_i32_b64 s4, vcc
	v_cmp_eq_u32_e64 s[18:19], 0, v12
                                        ; implicit-def: $vgpr13
	s_and_saveexec_b64 s[24:25], s[18:19]
	s_cbranch_execz .LBB27_30
; %bb.29:                               ;   in Loop: Header=BB27_25 Depth=2
	s_bcnt1_i32_b64 s5, s[26:27]
	s_mul_i32 s5, s4, s5
	v_mov_b32_e32 v13, s5
	ds_add_rtn_u32 v13, v19, v13 offset:4104
.LBB27_30:                              ;   in Loop: Header=BB27_25 Depth=2
	s_or_b64 exec, exec, s[24:25]
	s_waitcnt lgkmcnt(0)
	v_readfirstlane_b32 s5, v13
	v_mov_b32_e32 v13, s5
	v_mad_u32_u24 v12, s4, v12, v13
.LBB27_31:                              ;   in Loop: Header=BB27_25 Depth=2
	s_or_b64 exec, exec, s[22:23]
	ds_bpermute_b32 v12, v34, v12
	s_and_saveexec_b64 s[18:19], vcc
	s_cbranch_execz .LBB27_24
; %bb.32:                               ;   in Loop: Header=BB27_25 Depth=2
	v_and_b32_e32 v14, vcc_lo, v22
	v_and_b32_e32 v13, vcc_hi, v1
	v_bcnt_u32_b32 v14, v14, 0
	v_bcnt_u32_b32 v13, v13, v14
	v_lshlrev_b32_e32 v13, 3, v13
	s_waitcnt lgkmcnt(0)
	v_lshl_add_u32 v12, v12, 3, v13
	ds_write_b64 v12, v[4:5]
	s_branch .LBB27_24
.LBB27_33:                              ;   in Loop: Header=BB27_17 Depth=1
	s_mov_b64 s[8:9], -1
	s_mov_b64 s[16:17], 0
	s_branch .LBB27_37
.LBB27_34:                              ;   in Loop: Header=BB27_17 Depth=1
	s_or_b64 exec, exec, s[16:17]
	s_waitcnt lgkmcnt(0)
	s_barrier
	s_mov_b64 s[16:17], exec
	v_readlane_b32 s4, v54, 5
	v_readlane_b32 s5, v54, 6
	s_and_b64 s[4:5], s[16:17], s[4:5]
	s_mov_b64 exec, s[4:5]
	s_cbranch_execz .LBB27_36
; %bb.35:                               ;   in Loop: Header=BB27_17 Depth=1
	ds_read_b32 v3, v19 offset:4104
	s_waitcnt lgkmcnt(0)
	ds_write_b32 v19, v3 offset:4096
.LBB27_36:                              ;   in Loop: Header=BB27_17 Depth=1
	s_or_b64 exec, exec, s[16:17]
	s_waitcnt lgkmcnt(0)
	s_barrier
	s_mov_b64 s[16:17], -1
.LBB27_37:                              ;   in Loop: Header=BB27_17 Depth=1
                                        ; implicit-def: $sgpr13
.LBB27_38:                              ;   in Loop: Header=BB27_17 Depth=1
	s_and_b64 vcc, exec, s[8:9]
	s_cbranch_vccz .LBB27_49
; %bb.39:                               ;   in Loop: Header=BB27_17 Depth=1
	s_waitcnt vmcnt(0)
	v_pk_mov_b32 v[4:5], 0, 0
	s_mov_b64 s[8:9], exec
	v_readlane_b32 s4, v54, 19
	v_readlane_b32 s5, v54, 20
	s_and_b64 s[4:5], s[8:9], s[4:5]
	s_mov_b64 exec, s[4:5]
	s_cbranch_execz .LBB27_41
; %bb.40:                               ;   in Loop: Header=BB27_17 Depth=1
	global_load_dwordx2 v[4:5], v[20:21], off
.LBB27_41:                              ;   in Loop: Header=BB27_17 Depth=1
	s_or_b64 exec, exec, s[8:9]
	s_mov_b64 s[8:9], exec
	v_readlane_b32 s4, v54, 21
	v_readlane_b32 s5, v54, 22
	s_and_b64 s[4:5], s[8:9], s[4:5]
	s_mov_b64 exec, s[4:5]
	s_cbranch_execz .LBB27_46
; %bb.42:                               ;   in Loop: Header=BB27_17 Depth=1
	v_readlane_b32 s4, v54, 13
	v_readlane_b32 s5, v54, 14
	s_mov_b64 s[16:17], 0
	v_mov_b32_e32 v10, v31
	v_mov_b32_e32 v13, v0
	s_nop 1
	global_load_ushort v3, v19, s[4:5]
	s_waitcnt vmcnt(0)
	v_add_u32_e32 v8, v0, v3
	v_lshlrev_b32_e32 v11, 3, v3
	v_mul_lo_u32 v12, s63, v3
	v_mul_lo_u32 v18, s63, v8
	s_branch .LBB27_44
.LBB27_43:                              ;   in Loop: Header=BB27_44 Depth=2
	s_or_b64 exec, exec, s[18:19]
	v_cmp_le_i32_e32 vcc, s60, v13
	ds_write_b64 v10, v[4:5]
	v_add_u32_e32 v10, v10, v11
	v_add_u32_e32 v18, v18, v12
	s_or_b64 s[16:17], vcc, s[16:17]
	s_waitcnt vmcnt(0)
	v_pk_mov_b32 v[4:5], v[8:9], v[8:9] op_sel:[0,1]
	s_andn2_b64 exec, exec, s[16:17]
	s_cbranch_execz .LBB27_46
.LBB27_44:                              ;   Parent Loop BB27_17 Depth=1
                                        ; =>  This Inner Loop Header: Depth=2
	v_add_u32_e32 v13, v13, v3
	v_cmp_gt_u32_e32 vcc, s60, v13
	v_pk_mov_b32 v[8:9], 0, 0
	s_and_saveexec_b64 s[18:19], vcc
	s_cbranch_execz .LBB27_43
; %bb.45:                               ;   in Loop: Header=BB27_44 Depth=2
	v_lshlrev_b64 v[8:9], 3, v[18:19]
	v_mov_b32_e32 v14, s0
	v_add_co_u32_e32 v8, vcc, s64, v8
	v_addc_co_u32_e32 v9, vcc, v14, v9, vcc
	global_load_dwordx2 v[8:9], v[8:9], off
	s_branch .LBB27_43
.LBB27_46:                              ;   in Loop: Header=BB27_17 Depth=1
	s_or_b64 exec, exec, s[8:9]
	s_waitcnt lgkmcnt(0)
	s_barrier
	s_mov_b64 s[8:9], exec
	v_readlane_b32 s4, v54, 5
	v_readlane_b32 s5, v54, 6
	s_and_b64 s[4:5], s[8:9], s[4:5]
	s_mov_b64 exec, s[4:5]
	s_cbranch_execz .LBB27_48
; %bb.47:                               ;   in Loop: Header=BB27_17 Depth=1
	v_mov_b32_e32 v3, s60
	ds_write_b32 v19, v3 offset:4096
.LBB27_48:                              ;   in Loop: Header=BB27_17 Depth=1
	s_or_b64 exec, exec, s[8:9]
	s_mov_b64 s[16:17], -1
	s_waitcnt lgkmcnt(0)
	s_barrier
                                        ; implicit-def: $sgpr13
.LBB27_49:                              ;   in Loop: Header=BB27_17 Depth=1
	s_and_b64 vcc, exec, s[16:17]
	s_cbranch_vccz .LBB27_51
; %bb.50:                               ;   in Loop: Header=BB27_17 Depth=1
	ds_read_b32 v3, v19 offset:4096
	s_waitcnt lgkmcnt(0)
	v_readfirstlane_b32 s13, v3
.LBB27_51:                              ;   in Loop: Header=BB27_17 Depth=1
	s_cmp_lt_i32 s13, 1
	s_cbranch_scc0 .LBB27_63
; %bb.52:                               ;   in Loop: Header=BB27_17 Depth=1
	v_mov_b32_e32 v8, 0
	s_mov_b32 s16, 0
	v_mov_b32_e32 v9, 0
	v_mov_b32_e32 v10, v8
	;; [unrolled: 1-line block ×3, first 2 shown]
	s_mov_b64 s[82:83], exec
	v_readlane_b32 s4, v54, 33
	v_readlane_b32 s5, v54, 34
	s_and_b64 s[4:5], s[82:83], s[4:5]
	s_mov_b64 exec, s[4:5]
	s_cbranch_execz .LBB27_56
; %bb.53:                               ;   in Loop: Header=BB27_17 Depth=1
	s_mov_b32 s72, s54
	s_and_b32 s17, s11, 0xfe
	s_mov_b64 s[8:9], 0
	s_mov_b32 s73, 0
	s_mov_b32 s14, 0
	;; [unrolled: 1-line block ×4, first 2 shown]
	v_mov_b32_e32 v3, v30
.LBB27_54:                              ;   Parent Loop BB27_17 Depth=1
                                        ; =>  This Inner Loop Header: Depth=2
	s_waitcnt vmcnt(0)
	v_add_u32_e32 v4, s16, v39
	v_ashrrev_i32_e32 v5, 31, v4
	v_add_u32_e32 v8, s16, v36
	v_lshlrev_b64 v[4:5], 3, v[4:5]
	v_mov_b32_e32 v12, s0
	v_ashrrev_i32_e32 v9, 31, v8
	v_add_co_u32_e64 v4, s[18:19], s64, v4
	v_add_u32_e32 v10, s16, v37
	v_lshlrev_b64 v[8:9], 3, v[8:9]
	v_addc_co_u32_e64 v5, s[18:19], v12, v5, s[18:19]
	v_ashrrev_i32_e32 v11, 31, v10
	v_add_co_u32_e64 v8, s[18:19], s64, v8
	v_add_u32_e32 v28, s16, v38
	v_lshlrev_b64 v[10:11], 3, v[10:11]
	v_addc_co_u32_e64 v9, s[18:19], v12, v9, s[18:19]
	v_ashrrev_i32_e32 v29, 31, v28
	v_add_co_u32_e64 v10, s[18:19], s64, v10
	v_lshlrev_b64 v[28:29], 3, v[28:29]
	v_addc_co_u32_e64 v11, s[18:19], v12, v11, s[18:19]
	v_add_co_u32_e64 v28, s[18:19], s64, v28
	v_addc_co_u32_e64 v29, s[18:19], v12, v29, s[18:19]
	global_load_dwordx2 v[4:5], v[4:5], off
	s_nop 0
	global_load_dwordx2 v[8:9], v[8:9], off
	s_nop 0
	;; [unrolled: 2-line block ×3, first 2 shown]
	global_load_dwordx2 v[28:29], v[28:29], off
	v_mov_b32_e32 v13, v19
	v_mov_b32_e32 v15, v19
	;; [unrolled: 1-line block ×3, first 2 shown]
	v_add_u32_e32 v3, s1, v3
	s_add_i32 s16, s16, s6
	v_cmp_le_i32_e32 vcc, s78, v3
	s_waitcnt vmcnt(3)
	v_xor_b32_e32 v5, 0x80000000, v5
	s_waitcnt vmcnt(2)
	v_xor_b32_e32 v9, 0x80000000, v9
	v_and_b32_e32 v44, s88, v4
	v_and_b32_e32 v45, s89, v5
	v_lshrrev_b64 v[4:5], s17, v[4:5]
	s_waitcnt vmcnt(1)
	v_xor_b32_e32 v11, 0x80000000, v11
	v_and_b32_e32 v46, s88, v8
	v_and_b32_e32 v47, s89, v9
	v_lshrrev_b64 v[8:9], s17, v[8:9]
	v_and_b32_e32 v18, 3, v4
	s_waitcnt vmcnt(0)
	v_xor_b32_e32 v29, 0x80000000, v29
	v_and_b32_e32 v48, s88, v10
	v_and_b32_e32 v49, s89, v11
	v_lshrrev_b64 v[10:11], s17, v[10:11]
	v_cmp_eq_u64_e64 s[18:19], s[80:81], v[44:45]
	v_and_b32_e32 v12, 3, v8
	v_cmp_eq_u64_e64 s[26:27], 0, v[18:19]
	v_and_b32_e32 v50, s88, v28
	v_and_b32_e32 v51, s89, v29
	v_lshrrev_b64 v[28:29], s17, v[28:29]
	v_cmp_eq_u64_e64 s[20:21], s[80:81], v[46:47]
	v_and_b32_e32 v14, 3, v10
	v_cmp_eq_u64_e64 s[28:29], 0, v[12:13]
	s_and_b64 s[4:5], s[18:19], s[26:27]
	v_cmp_eq_u64_e64 s[22:23], s[80:81], v[48:49]
	v_and_b32_e32 v26, 3, v28
	v_cmp_eq_u64_e64 s[30:31], 0, v[14:15]
	v_cndmask_b32_e64 v4, 0, 1, s[4:5]
	s_and_b64 s[4:5], s[20:21], s[28:29]
	v_cmp_eq_u64_e64 s[24:25], s[80:81], v[50:51]
	v_cmp_eq_u64_e64 s[34:35], 0, v[26:27]
	v_cndmask_b32_e64 v5, 0, 1, s[4:5]
	s_and_b64 s[4:5], s[22:23], s[30:31]
	v_cmp_eq_u64_e64 s[36:37], 1, v[18:19]
	v_cndmask_b32_e64 v8, 0, 1, s[4:5]
	s_and_b64 s[4:5], s[24:25], s[34:35]
	v_cmp_eq_u64_e64 s[38:39], 1, v[12:13]
	v_cndmask_b32_e64 v9, 0, 1, s[4:5]
	s_and_b64 s[4:5], s[18:19], s[36:37]
	v_cmp_eq_u64_e64 s[40:41], 1, v[14:15]
	v_cndmask_b32_e64 v10, 0, 1, s[4:5]
	s_and_b64 s[4:5], s[20:21], s[38:39]
	v_cmp_eq_u64_e64 s[42:43], 1, v[26:27]
	v_cndmask_b32_e64 v11, 0, 1, s[4:5]
	s_and_b64 s[4:5], s[22:23], s[40:41]
	v_cmp_eq_u64_e64 s[44:45], 2, v[18:19]
	v_cmp_eq_u64_e64 s[46:47], 2, v[12:13]
	;; [unrolled: 1-line block ×3, first 2 shown]
	v_cndmask_b32_e64 v12, 0, 1, s[4:5]
	s_and_b64 s[4:5], s[24:25], s[42:43]
	v_cndmask_b32_e64 v13, 0, 1, s[4:5]
	s_and_b64 s[4:5], s[18:19], s[44:45]
	v_cmp_eq_u64_e64 s[48:49], 2, v[14:15]
	v_cmp_eq_u64_e64 s[56:57], 3, v[14:15]
	v_cndmask_b32_e64 v14, 0, 1, s[4:5]
	s_and_b64 s[4:5], s[20:21], s[46:47]
	v_cmp_eq_u64_e64 s[50:51], 2, v[26:27]
	v_cndmask_b32_e64 v15, 0, 1, s[4:5]
	s_and_b64 s[4:5], s[22:23], s[48:49]
	;; [unrolled: 3-line block ×4, first 2 shown]
	v_cndmask_b32_e64 v27, 0, 1, s[4:5]
	s_and_b64 s[4:5], s[20:21], s[54:55]
	v_cndmask_b32_e64 v28, 0, 1, s[4:5]
	s_and_b64 s[4:5], s[22:23], s[56:57]
	;; [unrolled: 2-line block ×3, first 2 shown]
	v_cmp_ne_u32_e64 s[18:19], 0, v4
	v_cmp_ne_u32_e64 s[20:21], 0, v5
	;; [unrolled: 1-line block ×7, first 2 shown]
	v_cndmask_b32_e64 v44, 0, 1, s[4:5]
	v_cmp_ne_u32_e64 s[38:39], 0, v15
	v_cmp_ne_u32_e64 s[46:47], 0, v28
	s_bcnt1_i32_b64 s4, s[18:19]
	s_bcnt1_i32_b64 s5, s[20:21]
	s_bcnt1_i32_b64 s19, s[24:25]
	s_bcnt1_i32_b64 s20, s[26:27]
	s_bcnt1_i32_b64 s21, s[28:29]
	s_bcnt1_i32_b64 s24, s[36:37]
	s_bcnt1_i32_b64 s28, s[44:45]
	v_cmp_ne_u32_e64 s[22:23], 0, v8
	v_cmp_ne_u32_e64 s[30:31], 0, v12
	;; [unrolled: 1-line block ×4, first 2 shown]
	s_bcnt1_i32_b64 s25, s[38:39]
	s_bcnt1_i32_b64 s29, s[46:47]
	s_add_i32 s4, s77, s4
	s_add_i32 s15, s15, s20
	;; [unrolled: 1-line block ×4, first 2 shown]
	v_cmp_ne_u32_e64 s[34:35], 0, v13
	v_cmp_ne_u32_e64 s[42:43], 0, v26
	;; [unrolled: 1-line block ×3, first 2 shown]
	s_bcnt1_i32_b64 s18, s[22:23]
	s_bcnt1_i32_b64 s22, s[30:31]
	;; [unrolled: 1-line block ×4, first 2 shown]
	s_add_i32 s4, s4, s5
	s_add_i32 s5, s15, s21
	;; [unrolled: 1-line block ×4, first 2 shown]
	s_bcnt1_i32_b64 s23, s[34:35]
	s_bcnt1_i32_b64 s27, s[42:43]
	;; [unrolled: 1-line block ×3, first 2 shown]
	s_add_i32 s4, s4, s18
	s_add_i32 s5, s5, s22
	s_add_i32 s14, s14, s26
	s_add_i32 s18, s15, s30
	s_add_i32 s77, s4, s19
	s_add_i32 s15, s5, s23
	s_add_i32 s14, s14, s27
	s_add_i32 s73, s18, s31
	s_or_b64 s[8:9], vcc, s[8:9]
	v_mov_b32_e32 v8, s77
	v_mov_b32_e32 v9, s15
	;; [unrolled: 1-line block ×4, first 2 shown]
	s_andn2_b64 exec, exec, s[8:9]
	s_cbranch_execnz .LBB27_54
; %bb.55:                               ;   in Loop: Header=BB27_17 Depth=1
	s_or_b64 exec, exec, s[8:9]
	v_readlane_b32 s56, v54, 42
	s_mov_b32 s54, s72
	v_readlane_b32 s57, v54, 43
.LBB27_56:                              ;   in Loop: Header=BB27_17 Depth=1
	s_or_b64 exec, exec, s[82:83]
	v_pk_mov_b32 v[12:13], 0, 0
	s_mov_b64 s[8:9], exec
	v_readlane_b32 s4, v54, 35
	v_readlane_b32 s5, v54, 36
	s_and_b64 s[4:5], s[8:9], s[4:5]
	s_mov_b64 exec, s[4:5]
	s_cbranch_execz .LBB27_58
; %bb.57:                               ;   in Loop: Header=BB27_17 Depth=1
	global_load_dwordx2 v[12:13], v[24:25], off
.LBB27_58:                              ;   in Loop: Header=BB27_17 Depth=1
	s_or_b64 exec, exec, s[8:9]
	s_mov_b64 s[8:9], 0
	s_mov_b64 s[82:83], 0
	s_mov_b64 s[16:17], exec
	v_readlane_b32 s4, v54, 37
	v_readlane_b32 s5, v54, 38
	s_and_b64 s[4:5], s[16:17], s[4:5]
	s_mov_b64 exec, s[4:5]
	s_cbranch_execz .LBB27_65
; %bb.59:                               ;   in Loop: Header=BB27_17 Depth=1
	s_and_b32 s4, s11, 0xfe
	s_mov_b64 s[20:21], 0
	s_waitcnt vmcnt(0)
	v_mov_b32_e32 v4, v40
	v_mov_b32_e32 v3, v35
	s_branch .LBB27_61
.LBB27_60:                              ;   in Loop: Header=BB27_61 Depth=2
	s_or_b64 exec, exec, s[18:19]
	v_xor_b32_e32 v13, 0x80000000, v13
	v_and_b32_e32 v27, s89, v13
	v_and_b32_e32 v26, s88, v12
	v_lshrrev_b64 v[12:13], s4, v[12:13]
	v_and_b32_e32 v18, 3, v12
	v_cmp_eq_u64_e32 vcc, s[80:81], v[26:27]
	v_cmp_eq_u64_e64 s[18:19], 0, v[18:19]
	s_and_b64 s[14:15], vcc, s[18:19]
	v_cndmask_b32_e64 v5, 0, 1, s[14:15]
	v_cmp_ne_u32_e64 s[18:19], 0, v5
	s_bcnt1_i32_b64 s5, s[18:19]
	v_cmp_eq_u64_e64 s[18:19], 1, v[18:19]
	s_and_b64 s[14:15], vcc, s[18:19]
	v_cndmask_b32_e64 v5, 0, 1, s[14:15]
	v_cmp_ne_u32_e64 s[18:19], 0, v5
	v_add_u32_e32 v8, s5, v8
	s_bcnt1_i32_b64 s5, s[18:19]
	v_cmp_eq_u64_e64 s[18:19], 2, v[18:19]
	s_and_b64 s[14:15], vcc, s[18:19]
	v_cndmask_b32_e64 v5, 0, 1, s[14:15]
	v_cmp_ne_u32_e64 s[18:19], 0, v5
	v_add_u32_e32 v9, s5, v9
	s_bcnt1_i32_b64 s5, s[18:19]
	v_cmp_eq_u64_e64 s[18:19], 3, v[18:19]
	s_and_b64 s[14:15], vcc, s[18:19]
	v_cndmask_b32_e64 v5, 0, 1, s[14:15]
	v_cmp_ne_u32_e32 vcc, 0, v5
	v_add_u32_e32 v10, s5, v10
	s_bcnt1_i32_b64 s5, vcc
	v_cmp_le_i32_e32 vcc, s60, v3
	v_add_u32_e32 v11, s5, v11
	v_add_u32_e32 v4, s76, v4
	s_or_b64 s[20:21], vcc, s[20:21]
	s_waitcnt vmcnt(0)
	v_pk_mov_b32 v[12:13], v[14:15], v[14:15] op_sel:[0,1]
	s_andn2_b64 exec, exec, s[20:21]
	s_cbranch_execz .LBB27_64
.LBB27_61:                              ;   Parent Loop BB27_17 Depth=1
                                        ; =>  This Inner Loop Header: Depth=2
	v_add_u32_e32 v3, s66, v3
	v_cmp_gt_u32_e32 vcc, s60, v3
	v_pk_mov_b32 v[14:15], 0, 0
	s_and_saveexec_b64 s[18:19], vcc
	s_cbranch_execz .LBB27_60
; %bb.62:                               ;   in Loop: Header=BB27_61 Depth=2
	v_ashrrev_i32_e32 v5, 31, v4
	v_lshlrev_b64 v[14:15], 3, v[4:5]
	v_mov_b32_e32 v5, s0
	v_add_co_u32_e32 v14, vcc, s64, v14
	v_addc_co_u32_e32 v15, vcc, v5, v15, vcc
	global_load_dwordx2 v[14:15], v[14:15], off
	s_branch .LBB27_60
.LBB27_63:                              ;   in Loop: Header=BB27_17 Depth=1
	s_mov_b64 s[82:83], 0
                                        ; implicit-def: $vgpr11
	s_cbranch_execnz .LBB27_66
	s_branch .LBB27_75
.LBB27_64:                              ;   in Loop: Header=BB27_17 Depth=1
	s_or_b64 exec, exec, s[20:21]
	s_mov_b64 s[82:83], exec
.LBB27_65:                              ;   in Loop: Header=BB27_17 Depth=1
	s_or_b64 exec, exec, s[16:17]
	s_and_b64 vcc, exec, s[8:9]
	s_cbranch_vccz .LBB27_75
.LBB27_66:                              ;   in Loop: Header=BB27_17 Depth=1
	s_mul_hi_u32 s4, s13, s75
	s_mul_i32 s4, s4, s1
	s_sub_i32 s4, s13, s4
	s_sub_i32 s5, s4, s1
	s_cmp_ge_u32 s4, s1
	s_cselect_b32 s4, s5, s4
	s_sub_i32 s5, s4, s1
	s_cmp_ge_u32 s4, s1
	s_cselect_b32 s4, s5, s4
	s_sub_i32 s14, s13, s4
	v_cmp_gt_u32_e32 vcc, s14, v30
	s_mov_b32 s15, 0
	v_mov_b32_e32 v8, 0
	v_mov_b32_e32 v9, 0
	v_mov_b32_e32 v10, 0
	v_mov_b32_e32 v11, 0
	s_and_saveexec_b64 s[8:9], vcc
	s_cbranch_execz .LBB27_70
; %bb.67:                               ;   in Loop: Header=BB27_17 Depth=1
	s_mov_b32 s74, s54
	s_and_b32 s73, s11, 0xfe
	s_mov_b64 s[16:17], 0
	v_mov_b32_e32 v3, v41
	s_mov_b32 s77, 0
	s_mov_b32 s72, 0
	;; [unrolled: 1-line block ×3, first 2 shown]
	v_mov_b32_e32 v44, v30
.LBB27_68:                              ;   Parent Loop BB27_17 Depth=1
                                        ; =>  This Inner Loop Header: Depth=2
	s_waitcnt vmcnt(0)
	ds_read_b128 v[12:15], v3
	ds_read_b128 v[8:11], v3 offset:16
	v_mov_b32_e32 v5, v19
	v_mov_b32_e32 v27, v19
	;; [unrolled: 1-line block ×3, first 2 shown]
	s_waitcnt lgkmcnt(1)
	v_xor_b32_e32 v13, 0x80000000, v13
	v_xor_b32_e32 v15, 0x80000000, v15
	v_and_b32_e32 v46, s88, v12
	v_and_b32_e32 v47, s89, v13
	v_lshrrev_b64 v[12:13], s73, v[12:13]
	s_waitcnt lgkmcnt(0)
	v_xor_b32_e32 v9, 0x80000000, v9
	v_and_b32_e32 v48, s88, v14
	v_and_b32_e32 v49, s89, v15
	v_lshrrev_b64 v[14:15], s73, v[14:15]
	v_and_b32_e32 v18, 3, v12
	v_xor_b32_e32 v11, 0x80000000, v11
	v_and_b32_e32 v50, s88, v8
	v_and_b32_e32 v51, s89, v9
	v_lshrrev_b64 v[8:9], s73, v[8:9]
	v_cmp_eq_u64_e64 s[18:19], s[80:81], v[46:47]
	v_and_b32_e32 v4, 3, v14
	v_cmp_eq_u64_e64 s[26:27], 0, v[18:19]
	v_and_b32_e32 v52, s88, v10
	v_and_b32_e32 v53, s89, v11
	v_lshrrev_b64 v[10:11], s73, v[10:11]
	v_cmp_eq_u64_e64 s[20:21], s[80:81], v[48:49]
	v_and_b32_e32 v26, 3, v8
	v_cmp_eq_u64_e64 s[28:29], 0, v[4:5]
	s_and_b64 s[26:27], s[18:19], s[26:27]
	v_cmp_eq_u64_e64 s[22:23], s[80:81], v[50:51]
	v_and_b32_e32 v28, 3, v10
	v_cmp_eq_u64_e64 s[30:31], 0, v[26:27]
	v_cmp_eq_u64_e64 s[38:39], 1, v[4:5]
	v_cmp_eq_u64_e64 s[46:47], 2, v[4:5]
	v_cmp_eq_u64_e64 s[54:55], 3, v[4:5]
	v_cndmask_b32_e64 v4, 0, 1, s[26:27]
	s_and_b64 s[26:27], s[20:21], s[28:29]
	v_cmp_eq_u64_e64 s[24:25], s[80:81], v[52:53]
	v_cmp_eq_u64_e64 s[34:35], 0, v[28:29]
	v_cndmask_b32_e64 v5, 0, 1, s[26:27]
	s_and_b64 s[26:27], s[22:23], s[30:31]
	v_cmp_eq_u64_e64 s[36:37], 1, v[18:19]
	v_cndmask_b32_e64 v8, 0, 1, s[26:27]
	s_and_b64 s[26:27], s[24:25], s[34:35]
	v_cndmask_b32_e64 v9, 0, 1, s[26:27]
	s_and_b64 s[26:27], s[18:19], s[36:37]
	v_cmp_eq_u64_e64 s[40:41], 1, v[26:27]
	v_cndmask_b32_e64 v10, 0, 1, s[26:27]
	s_and_b64 s[26:27], s[20:21], s[38:39]
	v_cmp_eq_u64_e64 s[42:43], 1, v[28:29]
	;; [unrolled: 3-line block ×3, first 2 shown]
	v_cmp_eq_u64_e64 s[52:53], 3, v[18:19]
	v_cndmask_b32_e64 v12, 0, 1, s[26:27]
	s_and_b64 s[26:27], s[24:25], s[42:43]
	v_cndmask_b32_e64 v13, 0, 1, s[26:27]
	s_and_b64 s[26:27], s[18:19], s[44:45]
	s_and_b64 s[18:19], s[18:19], s[52:53]
	v_cmp_eq_u64_e64 s[48:49], 2, v[26:27]
	v_cmp_eq_u64_e64 s[56:57], 3, v[26:27]
	v_cndmask_b32_e64 v14, 0, 1, s[26:27]
	s_and_b64 s[26:27], s[20:21], s[46:47]
	v_cndmask_b32_e64 v27, 0, 1, s[18:19]
	s_and_b64 s[18:19], s[20:21], s[54:55]
	v_cmp_eq_u64_e64 s[50:51], 2, v[28:29]
	v_cmp_eq_u64_e64 s[58:59], 3, v[28:29]
	v_cndmask_b32_e64 v15, 0, 1, s[26:27]
	s_and_b64 s[26:27], s[22:23], s[48:49]
	v_cndmask_b32_e64 v28, 0, 1, s[18:19]
	s_and_b64 s[18:19], s[22:23], s[56:57]
	;; [unrolled: 2-line block ×4, first 2 shown]
	v_cndmask_b32_e64 v26, 0, 1, s[26:27]
	v_cndmask_b32_e64 v45, 0, 1, s[18:19]
	v_cmp_ne_u32_e64 s[18:19], 0, v4
	v_cmp_ne_u32_e64 s[20:21], 0, v5
	;; [unrolled: 1-line block ×11, first 2 shown]
	s_bcnt1_i32_b64 s5, s[18:19]
	s_bcnt1_i32_b64 s18, s[20:21]
	;; [unrolled: 1-line block ×8, first 2 shown]
	v_cmp_ne_u32_e64 s[40:41], 0, v18
	v_cmp_ne_u32_e64 s[48:49], 0, v29
	s_bcnt1_i32_b64 s23, s[30:31]
	s_bcnt1_i32_b64 s26, s[38:39]
	;; [unrolled: 1-line block ×3, first 2 shown]
	s_add_i32 s4, s4, s5
	s_add_i32 s5, s72, s21
	;; [unrolled: 1-line block ×4, first 2 shown]
	v_cmp_ne_u32_e64 s[34:35], 0, v13
	v_cmp_ne_u32_e64 s[42:43], 0, v26
	v_cmp_ne_u32_e64 s[50:51], 0, v45
	s_bcnt1_i32_b64 s27, s[40:41]
	s_bcnt1_i32_b64 s31, s[48:49]
	s_add_i32 s4, s4, s18
	s_add_i32 s5, s5, s22
	;; [unrolled: 1-line block ×4, first 2 shown]
	v_add_u32_e32 v44, s1, v44
	s_bcnt1_i32_b64 s24, s[34:35]
	s_bcnt1_i32_b64 s28, s[42:43]
	;; [unrolled: 1-line block ×3, first 2 shown]
	s_add_i32 s4, s4, s19
	s_add_i32 s5, s5, s23
	;; [unrolled: 1-line block ×4, first 2 shown]
	v_cmp_le_i32_e32 vcc, s14, v44
	s_add_i32 s4, s4, s20
	s_add_i32 s72, s5, s24
	;; [unrolled: 1-line block ×4, first 2 shown]
	v_add_u32_e32 v3, s7, v3
	s_or_b64 s[16:17], vcc, s[16:17]
	v_mov_b32_e32 v8, s4
	v_mov_b32_e32 v9, s72
	;; [unrolled: 1-line block ×4, first 2 shown]
	s_andn2_b64 exec, exec, s[16:17]
	s_cbranch_execnz .LBB27_68
; %bb.69:                               ;   in Loop: Header=BB27_17 Depth=1
	s_or_b64 exec, exec, s[16:17]
	v_readlane_b32 s56, v54, 42
	s_mov_b32 s54, s74
	v_readlane_b32 s57, v54, 43
.LBB27_70:                              ;   in Loop: Header=BB27_17 Depth=1
	s_or_b64 exec, exec, s[8:9]
	v_add_u32_e32 v3, s14, v0
	v_cmp_gt_i32_e32 vcc, s13, v3
	s_and_saveexec_b64 s[8:9], vcc
	s_cbranch_execz .LBB27_74
; %bb.71:                               ;   in Loop: Header=BB27_17 Depth=1
	s_and_b32 s4, s11, 0xfe
	s_waitcnt vmcnt(0)
	v_lshlrev_b32_e32 v4, 3, v3
	s_mov_b64 s[16:17], 0
.LBB27_72:                              ;   Parent Loop BB27_17 Depth=1
                                        ; =>  This Inner Loop Header: Depth=2
	ds_read_b64 v[12:13], v4
	v_add_u32_e32 v3, s66, v3
	v_cmp_le_i32_e32 vcc, s13, v3
	v_add_u32_e32 v4, s10, v4
	s_waitcnt lgkmcnt(0)
	v_xor_b32_e32 v13, 0x80000000, v13
	v_and_b32_e32 v14, s88, v12
	v_and_b32_e32 v15, s89, v13
	v_lshrrev_b64 v[12:13], s4, v[12:13]
	v_and_b32_e32 v18, 3, v12
	v_cmp_eq_u64_e64 s[18:19], s[80:81], v[14:15]
	v_cmp_eq_u64_e64 s[20:21], 0, v[18:19]
	;; [unrolled: 1-line block ×3, first 2 shown]
	s_and_b64 s[14:15], s[18:19], s[20:21]
	v_cmp_eq_u64_e64 s[24:25], 2, v[18:19]
	v_cndmask_b32_e64 v5, 0, 1, s[14:15]
	s_and_b64 s[14:15], s[18:19], s[22:23]
	v_cmp_eq_u64_e64 s[26:27], 3, v[18:19]
	v_cndmask_b32_e64 v12, 0, 1, s[14:15]
	s_and_b64 s[14:15], s[18:19], s[24:25]
	v_cndmask_b32_e64 v13, 0, 1, s[14:15]
	s_and_b64 s[14:15], s[18:19], s[26:27]
	v_cndmask_b32_e64 v14, 0, 1, s[14:15]
	v_cmp_ne_u32_e64 s[18:19], 0, v5
	v_cmp_ne_u32_e64 s[20:21], 0, v12
	v_cmp_ne_u32_e64 s[22:23], 0, v13
	v_cmp_ne_u32_e64 s[24:25], 0, v14
	s_bcnt1_i32_b64 s5, s[18:19]
	s_bcnt1_i32_b64 s14, s[20:21]
	s_bcnt1_i32_b64 s15, s[22:23]
	s_bcnt1_i32_b64 s18, s[24:25]
	v_add_u32_e32 v8, s5, v8
	v_add_u32_e32 v9, s14, v9
	;; [unrolled: 1-line block ×3, first 2 shown]
	s_or_b64 s[16:17], vcc, s[16:17]
	v_add_u32_e32 v11, s18, v11
	s_andn2_b64 exec, exec, s[16:17]
	s_cbranch_execnz .LBB27_72
; %bb.73:                               ;   in Loop: Header=BB27_17 Depth=1
	s_or_b64 exec, exec, s[16:17]
	s_or_b64 s[82:83], s[82:83], exec
.LBB27_74:                              ;   in Loop: Header=BB27_17 Depth=1
	s_or_b64 exec, exec, s[8:9]
.LBB27_75:                              ;   in Loop: Header=BB27_17 Depth=1
	s_and_saveexec_b64 s[8:9], s[82:83]
	s_or_b64 exec, exec, s[8:9]
	s_lshl_b32 s4, s12, 6
	s_and_saveexec_b64 s[8:9], s[2:3]
	s_cbranch_execz .LBB27_77
; %bb.76:                               ;   in Loop: Header=BB27_17 Depth=1
	v_or_b32_e32 v3, s4, v33
	v_lshlrev_b32_e32 v3, 2, v3
	ds_write_b128 v3, v[8:11] offset:3072
.LBB27_77:                              ;   in Loop: Header=BB27_17 Depth=1
	s_or_b64 exec, exec, s[8:9]
	s_waitcnt lgkmcnt(0)
	s_barrier
	s_and_saveexec_b64 s[8:9], s[56:57]
	s_cbranch_execz .LBB27_91
; %bb.78:                               ;   in Loop: Header=BB27_17 Depth=1
	v_readlane_b32 s14, v54, 11
	v_readlane_b32 s15, v54, 12
	v_add_u32_e32 v3, s4, v23
	s_andn2_b64 vcc, exec, s[14:15]
	s_waitcnt vmcnt(0)
	v_mov_b32_e32 v4, 0
	s_cbranch_vccnz .LBB27_90
; %bb.79:                               ;   in Loop: Header=BB27_17 Depth=1
	v_readlane_b32 s14, v54, 15
	v_readlane_b32 s15, v54, 16
	s_mov_b32 s5, 0
	s_and_b64 vcc, exec, s[14:15]
	v_mov_b32_e32 v4, 0
	s_cbranch_vccz .LBB27_83
; %bb.80:                               ;   in Loop: Header=BB27_17 Depth=1
	v_readlane_b32 s14, v54, 23
	v_readlane_b32 s15, v54, 24
	v_lshl_add_u32 v8, v3, 2, v43
	s_andn2_b64 vcc, exec, s[14:15]
	s_cbranch_vccnz .LBB27_84
; %bb.81:                               ;   in Loop: Header=BB27_17 Depth=1
	s_mov_b32 s17, 1
	s_mov_b32 s16, 0
	v_mov_b32_e32 v4, 0
	v_readlane_b32 s5, v54, 25
	v_mov_b32_e32 v5, 0
.LBB27_82:                              ;   Parent Loop BB27_17 Depth=1
                                        ; =>  This Inner Loop Header: Depth=2
	v_lshl_add_u32 v9, s16, 4, v8
	v_lshl_add_u32 v18, s17, 4, v8
	ds_read2_b32 v[10:11], v9 offset1:8
	ds_read2_b32 v[12:13], v18 offset1:8
	ds_read2_b32 v[14:15], v9 offset0:16 offset1:24
	ds_read2_b32 v[26:27], v18 offset0:16 offset1:24
	;; [unrolled: 1-line block ×6, first 2 shown]
	s_waitcnt lgkmcnt(7)
	v_add3_u32 v4, v10, v4, v11
	s_waitcnt lgkmcnt(6)
	v_add3_u32 v5, v12, v5, v13
	;; [unrolled: 2-line block ×3, first 2 shown]
	v_add3_u32 v4, v14, v4, v15
	s_add_i32 s17, s17, 16
	s_add_i32 s16, s16, 16
	s_add_i32 s5, s5, -8
	s_waitcnt lgkmcnt(3)
	v_add3_u32 v4, v28, v4, v29
	s_waitcnt lgkmcnt(2)
	v_add3_u32 v5, v44, v5, v45
	s_cmp_lg_u32 s5, 0
	s_waitcnt lgkmcnt(0)
	v_add3_u32 v5, v48, v5, v49
	v_add3_u32 v4, v46, v4, v47
	s_cbranch_scc1 .LBB27_82
	s_branch .LBB27_85
.LBB27_83:                              ;   in Loop: Header=BB27_17 Depth=1
	s_cbranch_execnz .LBB27_88
	s_branch .LBB27_90
.LBB27_84:                              ;   in Loop: Header=BB27_17 Depth=1
	s_mov_b32 s55, s54
	v_pk_mov_b32 v[4:5], s[54:55], s[54:55] op_sel:[0,1]
	s_mov_b32 s55, 1
	s_mov_b64 s[16:17], s[54:55]
.LBB27_85:                              ;   in Loop: Header=BB27_17 Depth=1
	v_readlane_b32 s14, v54, 27
	v_readlane_b32 s15, v54, 28
	s_andn2_b64 vcc, exec, s[14:15]
	v_readlane_b32 s5, v54, 26
	s_cbranch_vccnz .LBB27_87
.LBB27_86:                              ;   Parent Loop BB27_17 Depth=1
                                        ; =>  This Inner Loop Header: Depth=2
	v_lshl_add_u32 v9, s16, 4, v8
	v_lshl_add_u32 v10, s17, 4, v8
	ds_read_b32 v10, v10
	ds_read_b32 v9, v9
	s_add_i32 s17, s17, 2
	s_add_i32 s16, s16, 2
	s_add_i32 s5, s5, -1
	s_cmp_lg_u32 s5, 0
	s_waitcnt lgkmcnt(1)
	v_add_u32_e32 v5, v10, v5
	s_waitcnt lgkmcnt(0)
	v_add_u32_e32 v4, v9, v4
	s_cbranch_scc1 .LBB27_86
.LBB27_87:                              ;   in Loop: Header=BB27_17 Depth=1
	v_readlane_b32 s16, v54, 31
	v_add_u32_e32 v4, v4, v5
	v_readlane_b32 s5, v54, 30
	v_readlane_b32 s17, v54, 32
	s_and_b64 vcc, exec, s[16:17]
	s_cbranch_vccz .LBB27_90
.LBB27_88:                              ;   in Loop: Header=BB27_17 Depth=1
	s_lshl_b32 s13, s12, 8
	s_lshl_b32 s14, s5, 4
	s_add_i32 s13, s13, s14
	v_add_u32_e32 v5, s13, v42
	v_readlane_b32 s13, v54, 29
	s_sub_i32 s5, s13, s5
.LBB27_89:                              ;   Parent Loop BB27_17 Depth=1
                                        ; =>  This Inner Loop Header: Depth=2
	ds_read_b32 v8, v5
	s_add_i32 s5, s5, -1
	v_add_u32_e32 v5, 16, v5
	s_cmp_eq_u32 s5, 0
	s_waitcnt lgkmcnt(0)
	v_add_u32_e32 v4, v8, v4
	s_cbranch_scc0 .LBB27_89
.LBB27_90:                              ;   in Loop: Header=BB27_17 Depth=1
	v_lshlrev_b32_e32 v3, 2, v3
	ds_write_b32 v3, v4 offset:3072
.LBB27_91:                              ;   in Loop: Header=BB27_17 Depth=1
	s_or_b64 exec, exec, s[8:9]
	s_lshl_b32 s4, s4, 2
	v_mov_b32_e32 v3, s4
	s_waitcnt lgkmcnt(0)
	s_barrier
	ds_read_b128 v[8:11], v3 offset:3072
	s_and_b32 s47, s11, 0xfe
	s_lshl_b64 s[20:21], 3, s47
	s_not_b64 s[30:31], s[20:21]
	s_mov_b64 s[24:25], -1
	s_waitcnt lgkmcnt(0)
	v_readfirstlane_b32 s34, v8
	s_cmp_eq_u32 s34, 1
	s_cselect_b64 s[4:5], -1, 0
	s_cmp_eq_u32 s61, 1
	s_cselect_b64 s[8:9], -1, 0
	s_and_b64 s[8:9], s[4:5], s[8:9]
	v_readfirstlane_b32 s38, v9
	v_readfirstlane_b32 s46, v10
	;; [unrolled: 1-line block ×3, first 2 shown]
	s_and_b64 vcc, exec, s[8:9]
	s_cbranch_vccz .LBB27_103
; %bb.92:                               ;   in Loop: Header=BB27_17 Depth=1
	ds_read_b32 v3, v19 offset:4096
	s_waitcnt lgkmcnt(0)
	s_barrier
	v_readfirstlane_b32 s4, v3
	s_mov_b64 s[16:17], exec
	v_readlane_b32 s14, v54, 17
	v_readlane_b32 s15, v54, 18
	s_and_b64 s[14:15], s[16:17], s[14:15]
	s_mov_b64 exec, s[14:15]
	s_cbranch_execz .LBB27_94
; %bb.93:                               ;   in Loop: Header=BB27_17 Depth=1
	v_mov_b32_e32 v18, v19
	ds_write_b64 v32, v[18:19]
.LBB27_94:                              ;   in Loop: Header=BB27_17 Depth=1
	s_or_b64 exec, exec, s[16:17]
	s_and_b64 s[80:81], s[80:81], s[30:31]
	s_or_b64 s[88:89], s[88:89], s[20:21]
	s_cmp_lt_i32 s4, 1
	s_waitcnt lgkmcnt(0)
	s_barrier
	s_cbranch_scc0 .LBB27_104
; %bb.95:                               ;   in Loop: Header=BB27_17 Depth=1
	s_mov_b64 s[16:17], 0
                                        ; implicit-def: $vgpr6_vgpr7
	s_mov_b64 s[22:23], exec
	v_readlane_b32 s14, v54, 40
	v_readlane_b32 s15, v54, 41
	s_and_b64 s[14:15], s[22:23], s[14:15]
	s_mov_b64 exec, s[14:15]
	s_cbranch_execz .LBB27_106
; %bb.96:                               ;   in Loop: Header=BB27_17 Depth=1
	s_mov_b64 s[26:27], 0
	v_mov_b32_e32 v8, v16
	v_mov_b32_e32 v10, v0
                                        ; implicit-def: $sgpr16_sgpr17
	s_branch .LBB27_98
.LBB27_97:                              ;   in Loop: Header=BB27_98 Depth=2
	s_or_b64 exec, exec, s[18:19]
	s_waitcnt lgkmcnt(0)
	s_barrier
	s_waitcnt vmcnt(0)
	ds_read_b128 v[4:7], v19 offset:3072
	v_add_u32_e32 v10, s66, v10
	v_cmp_le_i32_e32 vcc, s79, v10
	v_add_u32_e32 v8, s76, v8
	s_waitcnt lgkmcnt(0)
	v_readfirstlane_b32 s15, v5
	v_readfirstlane_b32 s14, v4
	s_cmp_lg_u64 s[14:15], 0
	s_cselect_b64 s[14:15], -1, 0
	s_or_b64 s[18:19], vcc, s[14:15]
	s_and_b64 s[18:19], exec, s[18:19]
	s_or_b64 s[26:27], s[18:19], s[26:27]
	s_andn2_b64 s[16:17], s[16:17], exec
	s_and_b64 s[14:15], s[14:15], exec
	s_or_b64 s[16:17], s[16:17], s[14:15]
	s_barrier
	s_andn2_b64 exec, exec, s[26:27]
	s_cbranch_execz .LBB27_105
.LBB27_98:                              ;   Parent Loop BB27_17 Depth=1
                                        ; =>  This Inner Loop Header: Depth=2
	v_cmp_gt_i32_e32 vcc, s60, v10
	s_waitcnt vmcnt(0)
	v_pk_mov_b32 v[4:5], 0, 0
	s_and_saveexec_b64 s[28:29], vcc
	s_cbranch_execz .LBB27_100
; %bb.99:                               ;   in Loop: Header=BB27_98 Depth=2
	v_ashrrev_i32_e32 v9, 31, v8
	v_lshlrev_b64 v[4:5], 3, v[8:9]
	v_mov_b32_e32 v3, s0
	v_add_co_u32_e64 v4, s[18:19], s64, v4
	v_addc_co_u32_e64 v5, s[18:19], v3, v5, s[18:19]
	global_load_dwordx2 v[4:5], v[4:5], off
.LBB27_100:                             ;   in Loop: Header=BB27_98 Depth=2
	s_or_b64 exec, exec, s[28:29]
	s_and_saveexec_b64 s[18:19], vcc
	s_cbranch_execz .LBB27_97
; %bb.101:                              ;   in Loop: Header=BB27_98 Depth=2
	s_waitcnt vmcnt(0)
	v_xor_b32_e32 v3, 0x80000000, v5
	v_and_b32_e32 v7, s89, v3
	v_and_b32_e32 v6, s88, v4
	v_cmp_eq_u64_e32 vcc, s[80:81], v[6:7]
	s_and_b64 exec, exec, vcc
	s_cbranch_execz .LBB27_97
; %bb.102:                              ;   in Loop: Header=BB27_98 Depth=2
	v_mov_b32_e32 v3, v19
	ds_write_b128 v19, v[2:5] offset:3072
	s_branch .LBB27_97
.LBB27_103:                             ;   in Loop: Header=BB27_17 Depth=1
	s_mov_b64 s[16:17], -1
                                        ; implicit-def: $sgpr18_sgpr19
                                        ; implicit-def: $sgpr26_sgpr27
                                        ; implicit-def: $sgpr22_sgpr23
	s_branch .LBB27_117
.LBB27_104:                             ;   in Loop: Header=BB27_17 Depth=1
	s_mov_b64 s[18:19], -1
	s_mov_b64 s[16:17], 0
                                        ; implicit-def: $sgpr22_sgpr23
                                        ; implicit-def: $vgpr6_vgpr7
	s_mov_b64 s[26:27], s[18:19]
	s_cbranch_execnz .LBB27_107
	s_branch .LBB27_117
.LBB27_105:                             ;   in Loop: Header=BB27_17 Depth=1
	s_or_b64 exec, exec, s[26:27]
	s_and_b64 s[16:17], s[16:17], exec
.LBB27_106:                             ;   in Loop: Header=BB27_17 Depth=1
	s_or_b64 exec, exec, s[22:23]
	s_mov_b64 s[22:23], -1
	s_mov_b64 s[18:19], 0
	s_mov_b64 s[26:27], s[18:19]
	s_branch .LBB27_117
.LBB27_107:                             ;   in Loop: Header=BB27_17 Depth=1
	v_readlane_b32 s5, v54, 8
	s_add_i32 s5, s4, s5
	s_abs_i32 s15, s5
	v_readlane_b32 s16, v54, 39
	s_mul_hi_u32 s16, s15, s16
	s_mul_i32 s16, s16, s66
	s_sub_i32 s15, s15, s16
	s_ashr_i32 s14, s5, 31
	s_sub_i32 s16, s15, s66
	s_cmp_ge_u32 s15, s66
	s_cselect_b32 s15, s16, s15
	s_sub_i32 s16, s15, s66
	s_cmp_ge_u32 s15, s66
	s_cselect_b32 s15, s16, s15
	s_xor_b32 s15, s15, s14
	s_sub_i32 s14, s14, s15
	s_add_i32 s5, s5, s14
	v_cmp_gt_i32_e32 vcc, s5, v0
	s_mov_b64 s[16:17], 0
                                        ; implicit-def: $vgpr6_vgpr7
	s_and_saveexec_b64 s[18:19], vcc
	s_cbranch_execz .LBB27_116
; %bb.108:                              ;   in Loop: Header=BB27_17 Depth=1
	s_mov_b64 s[22:23], 0
	v_mov_b32_e32 v8, v31
	v_mov_b32_e32 v9, v0
                                        ; implicit-def: $sgpr16_sgpr17
	s_branch .LBB27_110
.LBB27_109:                             ;   in Loop: Header=BB27_110 Depth=2
	s_or_b64 exec, exec, s[26:27]
	s_waitcnt lgkmcnt(0)
	s_barrier
	ds_read_b128 v[4:7], v19 offset:3072
	v_add_u32_e32 v9, s66, v9
	v_cmp_le_i32_e32 vcc, s5, v9
	v_add_u32_e32 v8, s10, v8
	s_waitcnt lgkmcnt(0)
	v_readfirstlane_b32 s15, v5
	v_readfirstlane_b32 s14, v4
	s_cmp_lg_u64 s[14:15], 0
	s_cselect_b64 s[14:15], -1, 0
	s_or_b64 s[26:27], vcc, s[14:15]
	s_and_b64 s[26:27], exec, s[26:27]
	s_or_b64 s[22:23], s[26:27], s[22:23]
	s_andn2_b64 s[16:17], s[16:17], exec
	s_and_b64 s[14:15], s[14:15], exec
	s_or_b64 s[16:17], s[16:17], s[14:15]
	s_barrier
	s_andn2_b64 exec, exec, s[22:23]
	s_cbranch_execz .LBB27_115
.LBB27_110:                             ;   Parent Loop BB27_17 Depth=1
                                        ; =>  This Inner Loop Header: Depth=2
	v_cmp_gt_i32_e32 vcc, s4, v9
	s_waitcnt vmcnt(0)
	v_pk_mov_b32 v[4:5], 0, 0
	s_and_saveexec_b64 s[26:27], vcc
	s_cbranch_execz .LBB27_112
; %bb.111:                              ;   in Loop: Header=BB27_110 Depth=2
	ds_read_b64 v[4:5], v8
.LBB27_112:                             ;   in Loop: Header=BB27_110 Depth=2
	s_or_b64 exec, exec, s[26:27]
	s_and_saveexec_b64 s[26:27], vcc
	s_cbranch_execz .LBB27_109
; %bb.113:                              ;   in Loop: Header=BB27_110 Depth=2
	s_waitcnt lgkmcnt(0)
	v_xor_b32_e32 v3, 0x80000000, v5
	v_and_b32_e32 v7, s89, v3
	v_and_b32_e32 v6, s88, v4
	v_cmp_eq_u64_e32 vcc, s[80:81], v[6:7]
	s_and_b64 exec, exec, vcc
	s_cbranch_execz .LBB27_109
; %bb.114:                              ;   in Loop: Header=BB27_110 Depth=2
	v_mov_b32_e32 v3, v19
	ds_write_b128 v19, v[2:5] offset:3072
	s_branch .LBB27_109
.LBB27_115:                             ;   in Loop: Header=BB27_17 Depth=1
	s_or_b64 exec, exec, s[22:23]
	s_and_b64 s[16:17], s[16:17], exec
.LBB27_116:                             ;   in Loop: Header=BB27_17 Depth=1
	s_or_b64 exec, exec, s[18:19]
	s_mov_b64 s[26:27], -1
	s_mov_b64 s[18:19], 0
	s_mov_b64 s[22:23], 0
.LBB27_117:                             ;   in Loop: Header=BB27_17 Depth=1
	s_andn2_b64 s[4:5], s[86:87], exec
	s_and_b64 s[14:15], s[18:19], exec
	s_or_b64 s[86:87], s[4:5], s[14:15]
	s_andn2_b64 s[4:5], s[84:85], exec
	s_and_b64 s[14:15], s[26:27], exec
	s_or_b64 s[84:85], s[4:5], s[14:15]
	;; [unrolled: 3-line block ×3, first 2 shown]
	s_and_saveexec_b64 s[22:23], s[16:17]
	s_cbranch_execz .LBB27_16
; %bb.118:                              ;   in Loop: Header=BB27_17 Depth=1
	s_xor_b64 s[4:5], s[8:9], -1
	s_mov_b64 s[16:17], 0
	s_andn2_b64 vcc, exec, s[4:5]
	s_mov_b32 s39, 1
	s_cbranch_vccnz .LBB27_129
; %bb.119:                              ;   in Loop: Header=BB27_17 Depth=1
	s_cmp_gt_i32 s61, s34
	s_mov_b64 s[16:17], -1
                                        ; implicit-def: $sgpr53
                                        ; implicit-def: $sgpr8_sgpr9
                                        ; implicit-def: $sgpr18_sgpr19
	s_cbranch_scc1 .LBB27_125
; %bb.120:                              ;   in Loop: Header=BB27_17 Depth=1
	ds_read_b32 v3, v19 offset:4096
	s_waitcnt lgkmcnt(0)
	v_cmp_ne_u32_e32 vcc, 0, v3
	s_cbranch_vccnz .LBB27_124
; %bb.121:                              ;   in Loop: Header=BB27_17 Depth=1
	s_mov_b64 s[8:9], exec
	v_readlane_b32 s4, v54, 5
	v_readlane_b32 s5, v54, 6
	s_and_b64 s[4:5], s[8:9], s[4:5]
	s_mov_b64 exec, s[4:5]
	s_cbranch_execz .LBB27_123
; %bb.122:                              ;   in Loop: Header=BB27_17 Depth=1
	v_mov_b32_e32 v3, s34
	ds_write_b32 v19, v3 offset:4100
.LBB27_123:                             ;   in Loop: Header=BB27_17 Depth=1
	s_or_b64 exec, exec, s[8:9]
	s_waitcnt lgkmcnt(0)
	s_barrier
.LBB27_124:                             ;   in Loop: Header=BB27_17 Depth=1
	s_and_b64 s[8:9], s[80:81], s[30:31]
	s_or_b64 s[18:19], s[88:89], s[20:21]
	s_mov_b64 s[16:17], 0
	s_mov_b32 s53, 8
.LBB27_125:                             ;   in Loop: Header=BB27_17 Depth=1
	s_andn2_b64 vcc, exec, s[16:17]
	s_cbranch_vccnz .LBB27_127
; %bb.126:                              ;   in Loop: Header=BB27_17 Depth=1
	s_sub_i32 s61, s61, s34
	s_mov_b64 s[16:17], -1
	s_mov_b32 s53, 0
	s_mov_b64 s[8:9], s[80:81]
	s_mov_b64 s[18:19], s[88:89]
.LBB27_127:                             ;   in Loop: Header=BB27_17 Depth=1
	s_mov_b64 s[88:89], s[18:19]
	s_mov_b64 s[80:81], s[8:9]
	s_mov_b32 s39, s61
	s_mov_b64 s[24:25], -1
	s_and_b64 vcc, exec, s[16:17]
	s_cbranch_vccnz .LBB27_130
.LBB27_128:                             ;   in Loop: Header=BB27_17 Depth=1
	s_mov_b64 s[18:19], -1
                                        ; implicit-def: $sgpr26_sgpr27
                                        ; implicit-def: $sgpr34_sgpr35
                                        ; implicit-def: $sgpr28_sgpr29
	s_and_saveexec_b64 s[4:5], s[18:19]
	s_xor_b64 s[8:9], exec, s[4:5]
	s_cbranch_execz .LBB27_15
	s_branch .LBB27_253
.LBB27_129:                             ;   in Loop: Header=BB27_17 Depth=1
	s_mov_b32 s53, 1
	s_mov_b64 s[24:25], -1
	s_and_b64 vcc, exec, s[16:17]
	s_cbranch_vccz .LBB27_128
.LBB27_130:                             ;   in Loop: Header=BB27_17 Depth=1
	s_cmp_eq_u32 s38, 1
	s_cselect_b64 s[4:5], -1, 0
	s_cmp_eq_u32 s39, 1
	s_cselect_b64 s[8:9], -1, 0
	s_and_b64 s[8:9], s[4:5], s[8:9]
	s_mov_b64 s[16:17], -1
	s_and_b64 vcc, exec, s[8:9]
	s_cbranch_vccz .LBB27_142
; %bb.131:                              ;   in Loop: Header=BB27_17 Depth=1
	ds_read_b32 v3, v19 offset:4096
	s_waitcnt lgkmcnt(0)
	s_barrier
	v_readfirstlane_b32 s4, v3
	s_mov_b64 s[16:17], exec
	v_readlane_b32 s14, v54, 17
	v_readlane_b32 s15, v54, 18
	s_and_b64 s[14:15], s[16:17], s[14:15]
	s_mov_b64 exec, s[14:15]
	s_cbranch_execz .LBB27_133
; %bb.132:                              ;   in Loop: Header=BB27_17 Depth=1
	v_mov_b32_e32 v18, v19
	ds_write_b64 v32, v[18:19]
.LBB27_133:                             ;   in Loop: Header=BB27_17 Depth=1
	s_or_b64 exec, exec, s[16:17]
	s_lshl_b64 s[14:15], 1, s47
	s_and_b64 s[16:17], s[80:81], s[30:31]
	s_or_b64 s[80:81], s[16:17], s[14:15]
	s_or_b64 s[88:89], s[88:89], s[20:21]
	s_cmp_gt_i32 s4, 0
	s_waitcnt lgkmcnt(0)
	s_barrier
	s_cbranch_scc1 .LBB27_143
; %bb.134:                              ;   in Loop: Header=BB27_17 Depth=1
	s_mov_b64 s[16:17], 0
                                        ; implicit-def: $vgpr6_vgpr7
	s_mov_b64 s[26:27], exec
	v_readlane_b32 s14, v54, 40
	v_readlane_b32 s15, v54, 41
	s_and_b64 s[14:15], s[26:27], s[14:15]
	s_mov_b64 exec, s[14:15]
	s_cbranch_execz .LBB27_145
; %bb.135:                              ;   in Loop: Header=BB27_17 Depth=1
	s_mov_b64 s[28:29], 0
	v_mov_b32_e32 v8, v16
	v_mov_b32_e32 v10, v0
                                        ; implicit-def: $sgpr16_sgpr17
	s_branch .LBB27_137
.LBB27_136:                             ;   in Loop: Header=BB27_137 Depth=2
	s_or_b64 exec, exec, s[18:19]
	s_waitcnt lgkmcnt(0)
	s_barrier
	s_waitcnt vmcnt(0)
	ds_read_b128 v[4:7], v19 offset:3072
	v_add_u32_e32 v10, s66, v10
	v_cmp_le_i32_e32 vcc, s79, v10
	v_add_u32_e32 v8, s76, v8
	s_waitcnt lgkmcnt(0)
	v_readfirstlane_b32 s15, v5
	v_readfirstlane_b32 s14, v4
	s_cmp_lg_u64 s[14:15], 0
	s_cselect_b64 s[14:15], -1, 0
	s_or_b64 s[18:19], vcc, s[14:15]
	s_and_b64 s[18:19], exec, s[18:19]
	s_or_b64 s[28:29], s[18:19], s[28:29]
	s_andn2_b64 s[16:17], s[16:17], exec
	s_and_b64 s[14:15], s[14:15], exec
	s_or_b64 s[16:17], s[16:17], s[14:15]
	s_barrier
	s_andn2_b64 exec, exec, s[28:29]
	s_cbranch_execz .LBB27_144
.LBB27_137:                             ;   Parent Loop BB27_17 Depth=1
                                        ; =>  This Inner Loop Header: Depth=2
	v_cmp_gt_i32_e32 vcc, s60, v10
	s_waitcnt vmcnt(0)
	v_pk_mov_b32 v[4:5], 0, 0
	s_and_saveexec_b64 s[34:35], vcc
	s_cbranch_execz .LBB27_139
; %bb.138:                              ;   in Loop: Header=BB27_137 Depth=2
	v_ashrrev_i32_e32 v9, 31, v8
	v_lshlrev_b64 v[4:5], 3, v[8:9]
	v_mov_b32_e32 v3, s0
	v_add_co_u32_e64 v4, s[18:19], s64, v4
	v_addc_co_u32_e64 v5, s[18:19], v3, v5, s[18:19]
	global_load_dwordx2 v[4:5], v[4:5], off
.LBB27_139:                             ;   in Loop: Header=BB27_137 Depth=2
	s_or_b64 exec, exec, s[34:35]
	s_and_saveexec_b64 s[18:19], vcc
	s_cbranch_execz .LBB27_136
; %bb.140:                              ;   in Loop: Header=BB27_137 Depth=2
	s_waitcnt vmcnt(0)
	v_xor_b32_e32 v3, 0x80000000, v5
	v_and_b32_e32 v7, s89, v3
	v_and_b32_e32 v6, s88, v4
	v_cmp_eq_u64_e32 vcc, s[80:81], v[6:7]
	s_and_b64 exec, exec, vcc
	s_cbranch_execz .LBB27_136
; %bb.141:                              ;   in Loop: Header=BB27_137 Depth=2
	v_mov_b32_e32 v3, v19
	ds_write_b128 v19, v[2:5] offset:3072
	s_branch .LBB27_136
.LBB27_142:                             ;   in Loop: Header=BB27_17 Depth=1
                                        ; implicit-def: $sgpr28_sgpr29
                                        ; implicit-def: $sgpr34_sgpr35
                                        ; implicit-def: $sgpr26_sgpr27
	s_branch .LBB27_156
.LBB27_143:                             ;   in Loop: Header=BB27_17 Depth=1
	s_mov_b64 s[28:29], -1
	s_mov_b64 s[16:17], 0
                                        ; implicit-def: $sgpr26_sgpr27
                                        ; implicit-def: $vgpr6_vgpr7
	s_mov_b64 s[34:35], s[28:29]
	s_cbranch_execnz .LBB27_146
	s_branch .LBB27_156
.LBB27_144:                             ;   in Loop: Header=BB27_17 Depth=1
	s_or_b64 exec, exec, s[28:29]
	s_and_b64 s[16:17], s[16:17], exec
.LBB27_145:                             ;   in Loop: Header=BB27_17 Depth=1
	s_or_b64 exec, exec, s[26:27]
	s_mov_b64 s[26:27], -1
	s_mov_b64 s[28:29], 0
	s_mov_b64 s[34:35], s[28:29]
	s_branch .LBB27_156
.LBB27_146:                             ;   in Loop: Header=BB27_17 Depth=1
	v_readlane_b32 s5, v54, 8
	s_add_i32 s5, s4, s5
	s_abs_i32 s15, s5
	v_readlane_b32 s16, v54, 39
	s_mul_hi_u32 s16, s15, s16
	s_mul_i32 s16, s16, s66
	s_sub_i32 s15, s15, s16
	s_ashr_i32 s14, s5, 31
	s_sub_i32 s16, s15, s66
	s_cmp_ge_u32 s15, s66
	s_cselect_b32 s15, s16, s15
	s_sub_i32 s16, s15, s66
	s_cmp_ge_u32 s15, s66
	s_cselect_b32 s15, s16, s15
	s_xor_b32 s15, s15, s14
	s_sub_i32 s14, s14, s15
	s_add_i32 s5, s5, s14
	v_cmp_gt_i32_e32 vcc, s5, v0
	s_mov_b64 s[16:17], 0
                                        ; implicit-def: $vgpr6_vgpr7
	s_and_saveexec_b64 s[18:19], vcc
	s_cbranch_execz .LBB27_155
; %bb.147:                              ;   in Loop: Header=BB27_17 Depth=1
	s_mov_b64 s[26:27], 0
	v_mov_b32_e32 v8, v31
	v_mov_b32_e32 v9, v0
                                        ; implicit-def: $sgpr16_sgpr17
	s_branch .LBB27_149
.LBB27_148:                             ;   in Loop: Header=BB27_149 Depth=2
	s_or_b64 exec, exec, s[28:29]
	s_waitcnt lgkmcnt(0)
	s_barrier
	ds_read_b128 v[4:7], v19 offset:3072
	v_add_u32_e32 v9, s66, v9
	v_cmp_le_i32_e32 vcc, s5, v9
	v_add_u32_e32 v8, s10, v8
	s_waitcnt lgkmcnt(0)
	v_readfirstlane_b32 s15, v5
	v_readfirstlane_b32 s14, v4
	s_cmp_lg_u64 s[14:15], 0
	s_cselect_b64 s[14:15], -1, 0
	s_or_b64 s[28:29], vcc, s[14:15]
	s_and_b64 s[28:29], exec, s[28:29]
	s_or_b64 s[26:27], s[28:29], s[26:27]
	s_andn2_b64 s[16:17], s[16:17], exec
	s_and_b64 s[14:15], s[14:15], exec
	s_or_b64 s[16:17], s[16:17], s[14:15]
	s_barrier
	s_andn2_b64 exec, exec, s[26:27]
	s_cbranch_execz .LBB27_154
.LBB27_149:                             ;   Parent Loop BB27_17 Depth=1
                                        ; =>  This Inner Loop Header: Depth=2
	v_cmp_gt_i32_e32 vcc, s4, v9
	s_waitcnt vmcnt(0)
	v_pk_mov_b32 v[4:5], 0, 0
	s_and_saveexec_b64 s[28:29], vcc
	s_cbranch_execz .LBB27_151
; %bb.150:                              ;   in Loop: Header=BB27_149 Depth=2
	ds_read_b64 v[4:5], v8
.LBB27_151:                             ;   in Loop: Header=BB27_149 Depth=2
	s_or_b64 exec, exec, s[28:29]
	s_and_saveexec_b64 s[28:29], vcc
	s_cbranch_execz .LBB27_148
; %bb.152:                              ;   in Loop: Header=BB27_149 Depth=2
	s_waitcnt lgkmcnt(0)
	v_xor_b32_e32 v3, 0x80000000, v5
	v_and_b32_e32 v7, s89, v3
	v_and_b32_e32 v6, s88, v4
	v_cmp_eq_u64_e32 vcc, s[80:81], v[6:7]
	s_and_b64 exec, exec, vcc
	s_cbranch_execz .LBB27_148
; %bb.153:                              ;   in Loop: Header=BB27_149 Depth=2
	v_mov_b32_e32 v3, v19
	ds_write_b128 v19, v[2:5] offset:3072
	s_branch .LBB27_148
.LBB27_154:                             ;   in Loop: Header=BB27_17 Depth=1
	s_or_b64 exec, exec, s[26:27]
	s_and_b64 s[16:17], s[16:17], exec
.LBB27_155:                             ;   in Loop: Header=BB27_17 Depth=1
	s_or_b64 exec, exec, s[18:19]
	s_mov_b64 s[34:35], -1
	s_mov_b64 s[28:29], 0
	s_mov_b64 s[26:27], 0
.LBB27_156:                             ;   in Loop: Header=BB27_17 Depth=1
	s_mov_b64 s[18:19], 0
                                        ; implicit-def: $sgpr53
	s_and_saveexec_b64 s[36:37], s[16:17]
	s_cbranch_execz .LBB27_252
; %bb.157:                              ;   in Loop: Header=BB27_17 Depth=1
	s_xor_b64 s[4:5], s[8:9], -1
	s_mov_b64 s[16:17], 0
	s_andn2_b64 vcc, exec, s[4:5]
	s_mov_b32 s48, 1
	s_cbranch_vccnz .LBB27_168
; %bb.158:                              ;   in Loop: Header=BB27_17 Depth=1
	s_cmp_gt_i32 s39, s38
	s_mov_b64 s[16:17], -1
                                        ; implicit-def: $sgpr53
                                        ; implicit-def: $sgpr8_sgpr9
                                        ; implicit-def: $sgpr18_sgpr19
	s_cbranch_scc1 .LBB27_164
; %bb.159:                              ;   in Loop: Header=BB27_17 Depth=1
	ds_read_b32 v3, v19 offset:4096
	s_waitcnt lgkmcnt(0)
	v_cmp_ne_u32_e32 vcc, 0, v3
	s_cbranch_vccnz .LBB27_163
; %bb.160:                              ;   in Loop: Header=BB27_17 Depth=1
	s_mov_b64 s[8:9], exec
	v_readlane_b32 s4, v54, 5
	v_readlane_b32 s5, v54, 6
	s_and_b64 s[4:5], s[8:9], s[4:5]
	s_mov_b64 exec, s[4:5]
	s_cbranch_execz .LBB27_162
; %bb.161:                              ;   in Loop: Header=BB27_17 Depth=1
	v_mov_b32_e32 v3, s38
	ds_write_b32 v19, v3 offset:4100
.LBB27_162:                             ;   in Loop: Header=BB27_17 Depth=1
	s_or_b64 exec, exec, s[8:9]
	s_waitcnt lgkmcnt(0)
	s_barrier
.LBB27_163:                             ;   in Loop: Header=BB27_17 Depth=1
	s_lshl_b64 s[4:5], 1, s47
	s_and_b64 s[8:9], s[80:81], s[30:31]
	s_or_b64 s[8:9], s[8:9], s[4:5]
	s_or_b64 s[18:19], s[88:89], s[20:21]
	s_mov_b64 s[16:17], 0
	s_mov_b32 s53, 8
.LBB27_164:                             ;   in Loop: Header=BB27_17 Depth=1
	s_andn2_b64 vcc, exec, s[16:17]
	s_cbranch_vccnz .LBB27_166
; %bb.165:                              ;   in Loop: Header=BB27_17 Depth=1
	s_sub_i32 s39, s39, s38
	s_mov_b64 s[16:17], -1
	s_mov_b32 s53, 0
	s_mov_b64 s[8:9], s[80:81]
	s_mov_b64 s[18:19], s[88:89]
.LBB27_166:                             ;   in Loop: Header=BB27_17 Depth=1
	s_mov_b64 s[88:89], s[18:19]
	s_mov_b64 s[80:81], s[8:9]
	s_mov_b32 s48, s39
	s_andn2_b64 vcc, exec, s[16:17]
	s_mov_b64 s[18:19], -1
	s_cbranch_vccz .LBB27_169
.LBB27_167:                             ;   in Loop: Header=BB27_17 Depth=1
                                        ; implicit-def: $sgpr40_sgpr41
                                        ; implicit-def: $sgpr42_sgpr43
                                        ; implicit-def: $sgpr38_sgpr39
	s_branch .LBB27_251
.LBB27_168:                             ;   in Loop: Header=BB27_17 Depth=1
	s_mov_b32 s53, 1
	s_andn2_b64 vcc, exec, s[16:17]
	s_mov_b64 s[18:19], -1
	s_cbranch_vccnz .LBB27_167
.LBB27_169:                             ;   in Loop: Header=BB27_17 Depth=1
	s_cmp_eq_u32 s46, 1
	s_cselect_b64 s[4:5], -1, 0
	s_cmp_eq_u32 s48, 1
	s_cselect_b64 s[8:9], -1, 0
	s_and_b64 s[8:9], s[4:5], s[8:9]
	s_mov_b64 s[16:17], -1
	s_and_b64 vcc, exec, s[8:9]
	s_cbranch_vccz .LBB27_181
; %bb.170:                              ;   in Loop: Header=BB27_17 Depth=1
	ds_read_b32 v3, v19 offset:4096
	s_waitcnt lgkmcnt(0)
	s_barrier
	v_readfirstlane_b32 s4, v3
	s_mov_b64 s[16:17], exec
	v_readlane_b32 s14, v54, 17
	v_readlane_b32 s15, v54, 18
	s_and_b64 s[14:15], s[16:17], s[14:15]
	s_mov_b64 exec, s[14:15]
	s_cbranch_execz .LBB27_172
; %bb.171:                              ;   in Loop: Header=BB27_17 Depth=1
	v_mov_b32_e32 v18, v19
	ds_write_b64 v32, v[18:19]
.LBB27_172:                             ;   in Loop: Header=BB27_17 Depth=1
	s_or_b64 exec, exec, s[16:17]
	s_lshl_b64 s[14:15], 2, s47
	s_and_b64 s[16:17], s[80:81], s[30:31]
	s_or_b64 s[80:81], s[16:17], s[14:15]
	s_or_b64 s[88:89], s[88:89], s[20:21]
	s_cmp_gt_i32 s4, 0
	s_waitcnt lgkmcnt(0)
	s_barrier
	s_cbranch_scc1 .LBB27_182
; %bb.173:                              ;   in Loop: Header=BB27_17 Depth=1
	s_mov_b64 s[16:17], 0
                                        ; implicit-def: $vgpr6_vgpr7
	s_mov_b64 s[38:39], exec
	v_readlane_b32 s14, v54, 40
	v_readlane_b32 s15, v54, 41
	s_and_b64 s[14:15], s[38:39], s[14:15]
	s_mov_b64 exec, s[14:15]
	s_cbranch_execz .LBB27_184
; %bb.174:                              ;   in Loop: Header=BB27_17 Depth=1
	s_mov_b64 s[40:41], 0
	v_mov_b32_e32 v8, v16
	v_mov_b32_e32 v10, v0
                                        ; implicit-def: $sgpr16_sgpr17
	s_branch .LBB27_176
.LBB27_175:                             ;   in Loop: Header=BB27_176 Depth=2
	s_or_b64 exec, exec, s[18:19]
	s_waitcnt lgkmcnt(0)
	s_barrier
	s_waitcnt vmcnt(0)
	ds_read_b128 v[4:7], v19 offset:3072
	v_add_u32_e32 v10, s66, v10
	v_cmp_le_i32_e32 vcc, s79, v10
	v_add_u32_e32 v8, s76, v8
	s_waitcnt lgkmcnt(0)
	v_readfirstlane_b32 s15, v5
	v_readfirstlane_b32 s14, v4
	s_cmp_lg_u64 s[14:15], 0
	s_cselect_b64 s[14:15], -1, 0
	s_or_b64 s[18:19], vcc, s[14:15]
	s_and_b64 s[18:19], exec, s[18:19]
	s_or_b64 s[40:41], s[18:19], s[40:41]
	s_andn2_b64 s[16:17], s[16:17], exec
	s_and_b64 s[14:15], s[14:15], exec
	s_or_b64 s[16:17], s[16:17], s[14:15]
	s_barrier
	s_andn2_b64 exec, exec, s[40:41]
	s_cbranch_execz .LBB27_183
.LBB27_176:                             ;   Parent Loop BB27_17 Depth=1
                                        ; =>  This Inner Loop Header: Depth=2
	v_cmp_gt_i32_e32 vcc, s60, v10
	s_waitcnt vmcnt(0)
	v_pk_mov_b32 v[4:5], 0, 0
	s_and_saveexec_b64 s[42:43], vcc
	s_cbranch_execz .LBB27_178
; %bb.177:                              ;   in Loop: Header=BB27_176 Depth=2
	v_ashrrev_i32_e32 v9, 31, v8
	v_lshlrev_b64 v[4:5], 3, v[8:9]
	v_mov_b32_e32 v3, s0
	v_add_co_u32_e64 v4, s[18:19], s64, v4
	v_addc_co_u32_e64 v5, s[18:19], v3, v5, s[18:19]
	global_load_dwordx2 v[4:5], v[4:5], off
.LBB27_178:                             ;   in Loop: Header=BB27_176 Depth=2
	s_or_b64 exec, exec, s[42:43]
	s_and_saveexec_b64 s[18:19], vcc
	s_cbranch_execz .LBB27_175
; %bb.179:                              ;   in Loop: Header=BB27_176 Depth=2
	s_waitcnt vmcnt(0)
	v_xor_b32_e32 v3, 0x80000000, v5
	v_and_b32_e32 v7, s89, v3
	v_and_b32_e32 v6, s88, v4
	v_cmp_eq_u64_e32 vcc, s[80:81], v[6:7]
	s_and_b64 exec, exec, vcc
	s_cbranch_execz .LBB27_175
; %bb.180:                              ;   in Loop: Header=BB27_176 Depth=2
	v_mov_b32_e32 v3, v19
	ds_write_b128 v19, v[2:5] offset:3072
	s_branch .LBB27_175
.LBB27_181:                             ;   in Loop: Header=BB27_17 Depth=1
                                        ; implicit-def: $sgpr38_sgpr39
                                        ; implicit-def: $sgpr42_sgpr43
                                        ; implicit-def: $sgpr40_sgpr41
	s_branch .LBB27_195
.LBB27_182:                             ;   in Loop: Header=BB27_17 Depth=1
	s_mov_b64 s[38:39], -1
	s_mov_b64 s[16:17], 0
                                        ; implicit-def: $sgpr40_sgpr41
                                        ; implicit-def: $vgpr6_vgpr7
	s_mov_b64 s[42:43], s[38:39]
	s_cbranch_execnz .LBB27_185
	s_branch .LBB27_195
.LBB27_183:                             ;   in Loop: Header=BB27_17 Depth=1
	s_or_b64 exec, exec, s[40:41]
	s_and_b64 s[16:17], s[16:17], exec
.LBB27_184:                             ;   in Loop: Header=BB27_17 Depth=1
	s_or_b64 exec, exec, s[38:39]
	s_mov_b64 s[40:41], -1
	s_mov_b64 s[38:39], 0
	s_mov_b64 s[42:43], s[38:39]
	s_branch .LBB27_195
.LBB27_185:                             ;   in Loop: Header=BB27_17 Depth=1
	v_readlane_b32 s5, v54, 8
	s_add_i32 s5, s4, s5
	s_abs_i32 s15, s5
	v_readlane_b32 s16, v54, 39
	s_mul_hi_u32 s16, s15, s16
	s_mul_i32 s16, s16, s66
	s_sub_i32 s15, s15, s16
	s_ashr_i32 s14, s5, 31
	s_sub_i32 s16, s15, s66
	s_cmp_ge_u32 s15, s66
	s_cselect_b32 s15, s16, s15
	s_sub_i32 s16, s15, s66
	s_cmp_ge_u32 s15, s66
	s_cselect_b32 s15, s16, s15
	s_xor_b32 s15, s15, s14
	s_sub_i32 s14, s14, s15
	s_add_i32 s5, s5, s14
	v_cmp_gt_i32_e32 vcc, s5, v0
	s_mov_b64 s[16:17], 0
                                        ; implicit-def: $vgpr6_vgpr7
	s_and_saveexec_b64 s[18:19], vcc
	s_cbranch_execz .LBB27_194
; %bb.186:                              ;   in Loop: Header=BB27_17 Depth=1
	s_mov_b64 s[38:39], 0
	v_mov_b32_e32 v8, v31
	v_mov_b32_e32 v9, v0
                                        ; implicit-def: $sgpr16_sgpr17
	s_branch .LBB27_188
.LBB27_187:                             ;   in Loop: Header=BB27_188 Depth=2
	s_or_b64 exec, exec, s[40:41]
	s_waitcnt lgkmcnt(0)
	s_barrier
	ds_read_b128 v[4:7], v19 offset:3072
	v_add_u32_e32 v9, s66, v9
	v_cmp_le_i32_e32 vcc, s5, v9
	v_add_u32_e32 v8, s10, v8
	s_waitcnt lgkmcnt(0)
	v_readfirstlane_b32 s15, v5
	v_readfirstlane_b32 s14, v4
	s_cmp_lg_u64 s[14:15], 0
	s_cselect_b64 s[14:15], -1, 0
	s_or_b64 s[40:41], vcc, s[14:15]
	s_and_b64 s[40:41], exec, s[40:41]
	s_or_b64 s[38:39], s[40:41], s[38:39]
	s_andn2_b64 s[16:17], s[16:17], exec
	s_and_b64 s[14:15], s[14:15], exec
	s_or_b64 s[16:17], s[16:17], s[14:15]
	s_barrier
	s_andn2_b64 exec, exec, s[38:39]
	s_cbranch_execz .LBB27_193
.LBB27_188:                             ;   Parent Loop BB27_17 Depth=1
                                        ; =>  This Inner Loop Header: Depth=2
	v_cmp_gt_i32_e32 vcc, s4, v9
	s_waitcnt vmcnt(0)
	v_pk_mov_b32 v[4:5], 0, 0
	s_and_saveexec_b64 s[40:41], vcc
	s_cbranch_execz .LBB27_190
; %bb.189:                              ;   in Loop: Header=BB27_188 Depth=2
	ds_read_b64 v[4:5], v8
.LBB27_190:                             ;   in Loop: Header=BB27_188 Depth=2
	s_or_b64 exec, exec, s[40:41]
	s_and_saveexec_b64 s[40:41], vcc
	s_cbranch_execz .LBB27_187
; %bb.191:                              ;   in Loop: Header=BB27_188 Depth=2
	s_waitcnt lgkmcnt(0)
	v_xor_b32_e32 v3, 0x80000000, v5
	v_and_b32_e32 v7, s89, v3
	v_and_b32_e32 v6, s88, v4
	v_cmp_eq_u64_e32 vcc, s[80:81], v[6:7]
	s_and_b64 exec, exec, vcc
	s_cbranch_execz .LBB27_187
; %bb.192:                              ;   in Loop: Header=BB27_188 Depth=2
	v_mov_b32_e32 v3, v19
	ds_write_b128 v19, v[2:5] offset:3072
	s_branch .LBB27_187
.LBB27_193:                             ;   in Loop: Header=BB27_17 Depth=1
	s_or_b64 exec, exec, s[38:39]
	s_and_b64 s[16:17], s[16:17], exec
.LBB27_194:                             ;   in Loop: Header=BB27_17 Depth=1
	s_or_b64 exec, exec, s[18:19]
	s_mov_b64 s[42:43], -1
	s_mov_b64 s[38:39], 0
	s_mov_b64 s[40:41], 0
.LBB27_195:                             ;   in Loop: Header=BB27_17 Depth=1
	s_mov_b64 s[18:19], 0
                                        ; implicit-def: $sgpr53
	s_and_saveexec_b64 s[44:45], s[16:17]
	s_cbranch_execz .LBB27_250
; %bb.196:                              ;   in Loop: Header=BB27_17 Depth=1
	s_xor_b64 s[4:5], s[8:9], -1
	s_mov_b64 s[16:17], 0
	s_andn2_b64 vcc, exec, s[4:5]
	s_mov_b32 s52, 1
	s_cbranch_vccnz .LBB27_207
; %bb.197:                              ;   in Loop: Header=BB27_17 Depth=1
	s_cmp_gt_i32 s48, s46
	s_mov_b64 s[16:17], -1
                                        ; implicit-def: $sgpr53
                                        ; implicit-def: $sgpr8_sgpr9
                                        ; implicit-def: $sgpr18_sgpr19
	s_cbranch_scc1 .LBB27_203
; %bb.198:                              ;   in Loop: Header=BB27_17 Depth=1
	ds_read_b32 v3, v19 offset:4096
	s_waitcnt lgkmcnt(0)
	v_cmp_ne_u32_e32 vcc, 0, v3
	s_cbranch_vccnz .LBB27_202
; %bb.199:                              ;   in Loop: Header=BB27_17 Depth=1
	s_mov_b64 s[8:9], exec
	v_readlane_b32 s4, v54, 5
	v_readlane_b32 s5, v54, 6
	s_and_b64 s[4:5], s[8:9], s[4:5]
	s_mov_b64 exec, s[4:5]
	s_cbranch_execz .LBB27_201
; %bb.200:                              ;   in Loop: Header=BB27_17 Depth=1
	v_mov_b32_e32 v3, s46
	ds_write_b32 v19, v3 offset:4100
.LBB27_201:                             ;   in Loop: Header=BB27_17 Depth=1
	s_or_b64 exec, exec, s[8:9]
	s_waitcnt lgkmcnt(0)
	s_barrier
.LBB27_202:                             ;   in Loop: Header=BB27_17 Depth=1
	s_lshl_b64 s[4:5], 2, s47
	s_and_b64 s[8:9], s[80:81], s[30:31]
	s_or_b64 s[8:9], s[8:9], s[4:5]
	s_or_b64 s[18:19], s[88:89], s[20:21]
	s_mov_b64 s[16:17], 0
	s_mov_b32 s53, 8
.LBB27_203:                             ;   in Loop: Header=BB27_17 Depth=1
	s_andn2_b64 vcc, exec, s[16:17]
	s_cbranch_vccnz .LBB27_205
; %bb.204:                              ;   in Loop: Header=BB27_17 Depth=1
	s_sub_i32 s48, s48, s46
	s_mov_b64 s[16:17], -1
	s_mov_b32 s53, 0
	s_mov_b64 s[8:9], s[80:81]
	s_mov_b64 s[18:19], s[88:89]
.LBB27_205:                             ;   in Loop: Header=BB27_17 Depth=1
	s_mov_b64 s[88:89], s[18:19]
	s_mov_b64 s[80:81], s[8:9]
	s_mov_b32 s52, s48
	s_andn2_b64 vcc, exec, s[16:17]
	s_mov_b64 s[50:51], -1
	s_cbranch_vccz .LBB27_208
.LBB27_206:                             ;   in Loop: Header=BB27_17 Depth=1
                                        ; implicit-def: $sgpr16_sgpr17
                                        ; implicit-def: $sgpr30_sgpr31
                                        ; implicit-def: $sgpr18_sgpr19
	s_branch .LBB27_249
.LBB27_207:                             ;   in Loop: Header=BB27_17 Depth=1
	s_mov_b32 s53, 1
	s_andn2_b64 vcc, exec, s[16:17]
	s_mov_b64 s[50:51], -1
	s_cbranch_vccnz .LBB27_206
.LBB27_208:                             ;   in Loop: Header=BB27_17 Depth=1
	s_cmp_eq_u32 s13, 1
	s_cselect_b64 s[4:5], -1, 0
	s_cmp_eq_u32 s52, 1
	s_cselect_b64 s[8:9], -1, 0
	s_and_b64 s[8:9], s[4:5], s[8:9]
	s_mov_b64 s[46:47], -1
	s_and_b64 vcc, exec, s[8:9]
	s_cbranch_vccz .LBB27_220
; %bb.209:                              ;   in Loop: Header=BB27_17 Depth=1
	ds_read_b32 v3, v19 offset:4096
	s_waitcnt lgkmcnt(0)
	s_barrier
	v_readfirstlane_b32 s4, v3
	s_mov_b64 s[16:17], exec
	v_readlane_b32 s14, v54, 17
	v_readlane_b32 s15, v54, 18
	s_and_b64 s[14:15], s[16:17], s[14:15]
	s_mov_b64 exec, s[14:15]
	s_cbranch_execz .LBB27_211
; %bb.210:                              ;   in Loop: Header=BB27_17 Depth=1
	v_mov_b32_e32 v18, v19
	ds_write_b64 v32, v[18:19]
.LBB27_211:                             ;   in Loop: Header=BB27_17 Depth=1
	s_or_b64 exec, exec, s[16:17]
	s_or_b64 s[80:81], s[80:81], s[20:21]
	s_or_b64 s[88:89], s[88:89], s[20:21]
	s_cmp_gt_i32 s4, 0
	s_waitcnt lgkmcnt(0)
	s_barrier
	s_cbranch_scc1 .LBB27_221
; %bb.212:                              ;   in Loop: Header=BB27_17 Depth=1
	s_mov_b64 s[46:47], 0
                                        ; implicit-def: $vgpr6_vgpr7
	s_mov_b64 s[16:17], exec
	v_readlane_b32 s14, v54, 40
	v_readlane_b32 s15, v54, 41
	s_and_b64 s[14:15], s[16:17], s[14:15]
	s_mov_b64 exec, s[14:15]
	s_cbranch_execz .LBB27_223
; %bb.213:                              ;   in Loop: Header=BB27_17 Depth=1
	v_mov_b32_e32 v8, v16
	v_mov_b32_e32 v10, v0
                                        ; implicit-def: $sgpr30_sgpr31
	s_branch .LBB27_215
.LBB27_214:                             ;   in Loop: Header=BB27_215 Depth=2
	s_or_b64 exec, exec, s[18:19]
	s_waitcnt lgkmcnt(0)
	s_barrier
	s_waitcnt vmcnt(0)
	ds_read_b128 v[4:7], v19 offset:3072
	v_add_u32_e32 v10, s66, v10
	v_cmp_le_i32_e32 vcc, s79, v10
	v_add_u32_e32 v8, s76, v8
	s_waitcnt lgkmcnt(0)
	v_readfirstlane_b32 s15, v5
	v_readfirstlane_b32 s14, v4
	s_cmp_lg_u64 s[14:15], 0
	s_cselect_b64 s[14:15], -1, 0
	s_or_b64 s[18:19], vcc, s[14:15]
	s_and_b64 s[18:19], exec, s[18:19]
	s_or_b64 s[46:47], s[18:19], s[46:47]
	s_andn2_b64 s[18:19], s[30:31], exec
	s_and_b64 s[14:15], s[14:15], exec
	s_or_b64 s[30:31], s[18:19], s[14:15]
	s_barrier
	s_andn2_b64 exec, exec, s[46:47]
	s_cbranch_execz .LBB27_222
.LBB27_215:                             ;   Parent Loop BB27_17 Depth=1
                                        ; =>  This Inner Loop Header: Depth=2
	v_cmp_gt_i32_e32 vcc, s60, v10
	s_waitcnt vmcnt(0)
	v_pk_mov_b32 v[4:5], 0, 0
	s_and_saveexec_b64 s[48:49], vcc
	s_cbranch_execz .LBB27_217
; %bb.216:                              ;   in Loop: Header=BB27_215 Depth=2
	v_ashrrev_i32_e32 v9, 31, v8
	v_lshlrev_b64 v[4:5], 3, v[8:9]
	v_mov_b32_e32 v3, s0
	v_add_co_u32_e64 v4, s[18:19], s64, v4
	v_addc_co_u32_e64 v5, s[18:19], v3, v5, s[18:19]
	global_load_dwordx2 v[4:5], v[4:5], off
.LBB27_217:                             ;   in Loop: Header=BB27_215 Depth=2
	s_or_b64 exec, exec, s[48:49]
	s_and_saveexec_b64 s[18:19], vcc
	s_cbranch_execz .LBB27_214
; %bb.218:                              ;   in Loop: Header=BB27_215 Depth=2
	s_waitcnt vmcnt(0)
	v_xor_b32_e32 v3, 0x80000000, v5
	v_and_b32_e32 v7, s89, v3
	v_and_b32_e32 v6, s88, v4
	v_cmp_eq_u64_e32 vcc, s[80:81], v[6:7]
	s_and_b64 exec, exec, vcc
	s_cbranch_execz .LBB27_214
; %bb.219:                              ;   in Loop: Header=BB27_215 Depth=2
	v_mov_b32_e32 v3, v19
	ds_write_b128 v19, v[2:5] offset:3072
	s_branch .LBB27_214
.LBB27_220:                             ;   in Loop: Header=BB27_17 Depth=1
                                        ; implicit-def: $sgpr16_sgpr17
                                        ; implicit-def: $sgpr30_sgpr31
                                        ; implicit-def: $sgpr18_sgpr19
	s_branch .LBB27_234
.LBB27_221:                             ;   in Loop: Header=BB27_17 Depth=1
	s_mov_b64 s[16:17], -1
	s_mov_b64 s[46:47], 0
                                        ; implicit-def: $sgpr18_sgpr19
                                        ; implicit-def: $vgpr6_vgpr7
	s_mov_b64 s[30:31], s[16:17]
	s_cbranch_execnz .LBB27_224
	s_branch .LBB27_234
.LBB27_222:                             ;   in Loop: Header=BB27_17 Depth=1
	s_or_b64 exec, exec, s[46:47]
	s_and_b64 s[46:47], s[30:31], exec
.LBB27_223:                             ;   in Loop: Header=BB27_17 Depth=1
	s_or_b64 exec, exec, s[16:17]
	s_mov_b64 s[18:19], -1
	s_mov_b64 s[16:17], 0
	s_mov_b64 s[30:31], s[16:17]
	s_branch .LBB27_234
.LBB27_224:                             ;   in Loop: Header=BB27_17 Depth=1
	v_readlane_b32 s5, v54, 8
	s_add_i32 s5, s4, s5
	s_abs_i32 s15, s5
	v_readlane_b32 s16, v54, 39
	s_mul_hi_u32 s16, s15, s16
	s_mul_i32 s16, s16, s66
	s_sub_i32 s15, s15, s16
	s_ashr_i32 s14, s5, 31
	s_sub_i32 s16, s15, s66
	s_cmp_ge_u32 s15, s66
	s_cselect_b32 s15, s16, s15
	s_sub_i32 s16, s15, s66
	s_cmp_ge_u32 s15, s66
	s_cselect_b32 s15, s16, s15
	s_xor_b32 s15, s15, s14
	s_sub_i32 s14, s14, s15
	s_add_i32 s5, s5, s14
	v_cmp_gt_i32_e32 vcc, s5, v0
	s_mov_b64 s[46:47], 0
                                        ; implicit-def: $vgpr6_vgpr7
	s_and_saveexec_b64 s[16:17], vcc
	s_cbranch_execz .LBB27_233
; %bb.225:                              ;   in Loop: Header=BB27_17 Depth=1
	s_mov_b64 s[30:31], 0
	v_mov_b32_e32 v8, v31
	v_mov_b32_e32 v9, v0
                                        ; implicit-def: $sgpr18_sgpr19
	s_branch .LBB27_227
.LBB27_226:                             ;   in Loop: Header=BB27_227 Depth=2
	s_or_b64 exec, exec, s[46:47]
	s_waitcnt lgkmcnt(0)
	s_barrier
	ds_read_b128 v[4:7], v19 offset:3072
	v_add_u32_e32 v9, s66, v9
	v_cmp_le_i32_e32 vcc, s5, v9
	v_add_u32_e32 v8, s10, v8
	s_waitcnt lgkmcnt(0)
	v_readfirstlane_b32 s15, v5
	v_readfirstlane_b32 s14, v4
	s_cmp_lg_u64 s[14:15], 0
	s_cselect_b64 s[14:15], -1, 0
	s_or_b64 s[46:47], vcc, s[14:15]
	s_and_b64 s[46:47], exec, s[46:47]
	s_or_b64 s[30:31], s[46:47], s[30:31]
	s_andn2_b64 s[18:19], s[18:19], exec
	s_and_b64 s[14:15], s[14:15], exec
	s_or_b64 s[18:19], s[18:19], s[14:15]
	s_barrier
	s_andn2_b64 exec, exec, s[30:31]
	s_cbranch_execz .LBB27_232
.LBB27_227:                             ;   Parent Loop BB27_17 Depth=1
                                        ; =>  This Inner Loop Header: Depth=2
	v_cmp_gt_i32_e32 vcc, s4, v9
	s_waitcnt vmcnt(0)
	v_pk_mov_b32 v[4:5], 0, 0
	s_and_saveexec_b64 s[46:47], vcc
	s_cbranch_execz .LBB27_229
; %bb.228:                              ;   in Loop: Header=BB27_227 Depth=2
	ds_read_b64 v[4:5], v8
.LBB27_229:                             ;   in Loop: Header=BB27_227 Depth=2
	s_or_b64 exec, exec, s[46:47]
	s_and_saveexec_b64 s[46:47], vcc
	s_cbranch_execz .LBB27_226
; %bb.230:                              ;   in Loop: Header=BB27_227 Depth=2
	s_waitcnt lgkmcnt(0)
	v_xor_b32_e32 v3, 0x80000000, v5
	v_and_b32_e32 v7, s89, v3
	v_and_b32_e32 v6, s88, v4
	v_cmp_eq_u64_e32 vcc, s[80:81], v[6:7]
	s_and_b64 exec, exec, vcc
	s_cbranch_execz .LBB27_226
; %bb.231:                              ;   in Loop: Header=BB27_227 Depth=2
	v_mov_b32_e32 v3, v19
	ds_write_b128 v19, v[2:5] offset:3072
	s_branch .LBB27_226
.LBB27_232:                             ;   in Loop: Header=BB27_17 Depth=1
	s_or_b64 exec, exec, s[30:31]
	s_and_b64 s[46:47], s[18:19], exec
.LBB27_233:                             ;   in Loop: Header=BB27_17 Depth=1
	s_or_b64 exec, exec, s[16:17]
	s_mov_b64 s[30:31], -1
	s_mov_b64 s[16:17], 0
	s_mov_b64 s[18:19], 0
.LBB27_234:                             ;   in Loop: Header=BB27_17 Depth=1
	s_mov_b64 s[50:51], 0
                                        ; implicit-def: $sgpr53
	s_and_saveexec_b64 s[48:49], s[46:47]
	s_cbranch_execz .LBB27_248
; %bb.235:                              ;   in Loop: Header=BB27_17 Depth=1
	s_xor_b64 s[4:5], s[8:9], -1
	s_andn2_b64 vcc, exec, s[4:5]
	s_mov_b32 s53, 1
	s_cbranch_vccnz .LBB27_242
; %bb.236:                              ;   in Loop: Header=BB27_17 Depth=1
	s_cmp_gt_i32 s52, s13
	s_cbranch_scc1 .LBB27_243
; %bb.237:                              ;   in Loop: Header=BB27_17 Depth=1
	ds_read_b32 v3, v19 offset:4096
	s_waitcnt lgkmcnt(0)
	v_cmp_ne_u32_e32 vcc, 0, v3
	s_cbranch_vccnz .LBB27_241
; %bb.238:                              ;   in Loop: Header=BB27_17 Depth=1
	s_mov_b64 s[8:9], exec
	v_readlane_b32 s4, v54, 5
	v_readlane_b32 s5, v54, 6
	s_and_b64 s[4:5], s[8:9], s[4:5]
	s_mov_b64 exec, s[4:5]
	s_cbranch_execz .LBB27_240
; %bb.239:                              ;   in Loop: Header=BB27_17 Depth=1
	v_mov_b32_e32 v3, s13
	ds_write_b32 v19, v3 offset:4100
.LBB27_240:                             ;   in Loop: Header=BB27_17 Depth=1
	s_or_b64 exec, exec, s[8:9]
	s_waitcnt lgkmcnt(0)
	s_barrier
.LBB27_241:                             ;   in Loop: Header=BB27_17 Depth=1
	s_or_b64 s[8:9], s[80:81], s[20:21]
	s_or_b64 s[20:21], s[88:89], s[20:21]
	s_mov_b64 s[46:47], 0
	s_mov_b32 s53, 8
	s_branch .LBB27_244
.LBB27_242:                             ;   in Loop: Header=BB27_17 Depth=1
	s_mov_b32 s52, 1
	s_branch .LBB27_247
.LBB27_243:                             ;   in Loop: Header=BB27_17 Depth=1
	s_mov_b64 s[46:47], -1
                                        ; implicit-def: $sgpr53
                                        ; implicit-def: $sgpr8_sgpr9
                                        ; implicit-def: $sgpr20_sgpr21
.LBB27_244:                             ;   in Loop: Header=BB27_17 Depth=1
	s_andn2_b64 vcc, exec, s[46:47]
	s_cbranch_vccnz .LBB27_246
; %bb.245:                              ;   in Loop: Header=BB27_17 Depth=1
	s_sub_i32 s52, s52, s13
	s_mov_b32 s53, 8
	s_mov_b64 s[8:9], s[80:81]
	s_mov_b64 s[20:21], s[88:89]
.LBB27_246:                             ;   in Loop: Header=BB27_17 Depth=1
	s_mov_b64 s[80:81], s[8:9]
	s_mov_b64 s[88:89], s[20:21]
.LBB27_247:                             ;   in Loop: Header=BB27_17 Depth=1
	s_mov_b64 s[50:51], exec
.LBB27_248:                             ;   in Loop: Header=BB27_17 Depth=1
	s_or_b64 exec, exec, s[48:49]
.LBB27_249:                             ;   in Loop: Header=BB27_17 Depth=1
	s_andn2_b64 s[4:5], s[38:39], exec
	s_and_b64 s[8:9], s[16:17], exec
	s_or_b64 s[38:39], s[4:5], s[8:9]
	s_andn2_b64 s[4:5], s[42:43], exec
	s_and_b64 s[8:9], s[30:31], exec
	s_or_b64 s[42:43], s[4:5], s[8:9]
	;; [unrolled: 3-line block ×3, first 2 shown]
	s_and_b64 s[18:19], s[50:51], exec
	s_mov_b32 s48, s52
.LBB27_250:                             ;   in Loop: Header=BB27_17 Depth=1
	s_or_b64 exec, exec, s[44:45]
.LBB27_251:                             ;   in Loop: Header=BB27_17 Depth=1
	s_andn2_b64 s[4:5], s[28:29], exec
	s_and_b64 s[8:9], s[38:39], exec
	s_or_b64 s[28:29], s[4:5], s[8:9]
	s_andn2_b64 s[4:5], s[34:35], exec
	s_and_b64 s[8:9], s[42:43], exec
	s_or_b64 s[34:35], s[4:5], s[8:9]
	s_andn2_b64 s[4:5], s[26:27], exec
	s_and_b64 s[8:9], s[40:41], exec
	s_or_b64 s[26:27], s[4:5], s[8:9]
	s_and_b64 s[18:19], s[18:19], exec
	s_mov_b32 s39, s48
.LBB27_252:                             ;   in Loop: Header=BB27_17 Depth=1
	s_or_b64 exec, exec, s[36:37]
	s_and_saveexec_b64 s[4:5], s[18:19]
	s_xor_b64 s[8:9], exec, s[4:5]
	s_cbranch_execz .LBB27_15
.LBB27_253:                             ;   in Loop: Header=BB27_17 Depth=1
	s_and_b32 s4, s53, -9
	s_cmp_eq_u32 s4, 0
	s_cbranch_scc1 .LBB27_13
; %bb.254:                              ;   in Loop: Header=BB27_17 Depth=1
	s_mov_b64 s[16:17], -1
                                        ; implicit-def: $sgpr88_sgpr89
                                        ; implicit-def: $sgpr39
                                        ; implicit-def: $sgpr11
                                        ; implicit-def: $sgpr12
	s_mov_b64 s[18:19], -1
	s_branch .LBB27_14
.LBB27_255:
	s_or_b64 exec, exec, s[90:91]
	s_xor_b64 s[8:9], s[68:69], -1
	s_xor_b64 s[2:3], s[92:93], -1
	;; [unrolled: 1-line block ×3, first 2 shown]
	s_mov_b64 s[4:5], 0
	s_and_saveexec_b64 s[10:11], s[2:3]
	s_xor_b64 s[2:3], exec, s[10:11]
	s_cbranch_execnz .LBB27_260
; %bb.256:
	s_andn2_saveexec_b64 s[0:1], s[2:3]
	s_cbranch_execnz .LBB27_280
.LBB27_257:
	s_or_b64 exec, exec, s[0:1]
	s_and_saveexec_b64 s[0:1], s[4:5]
.LBB27_258:
	; divergent unreachable
.LBB27_259:
	s_endpgm
.LBB27_260:
	s_and_saveexec_b64 s[4:5], s[8:9]
	s_xor_b64 s[4:5], exec, s[4:5]
	s_cbranch_execz .LBB27_278
; %bb.261:
	s_and_saveexec_b64 s[8:9], s[6:7]
	s_xor_b64 s[6:7], exec, s[8:9]
; %bb.262:
	v_xor_b32_e32 v5, 0x80000000, v5
	v_pk_mov_b32 v[6:7], v[4:5], v[4:5] op_sel:[0,1]
; %bb.263:
	s_or_b64 exec, exec, s[6:7]
	s_mov_b64 s[6:7], exec
	v_readlane_b32 s8, v54, 5
	v_readlane_b32 s9, v54, 6
	s_and_b64 s[8:9], s[6:7], s[8:9]
	s_mov_b64 exec, s[8:9]
	s_cbranch_execz .LBB27_265
; %bb.264:
	v_mov_b32_e32 v1, 0
	v_mov_b32_e32 v2, s60
	ds_write_b32 v1, v2 offset:4108
.LBB27_265:
	s_or_b64 exec, exec, s[6:7]
	v_mov_b32_e32 v1, 0
	s_waitcnt lgkmcnt(0)
	s_barrier
	ds_read_b32 v1, v1 offset:4108
	s_waitcnt lgkmcnt(0)
	v_min_i32_e32 v1, s60, v1
	v_cmp_lt_i32_e32 vcc, v0, v1
	s_and_saveexec_b64 s[6:7], vcc
	s_cbranch_execz .LBB27_275
; %bb.266:
	s_mov_b64 s[8:9], 0
	v_mov_b32_e32 v3, s0
                                        ; implicit-def: $sgpr10_sgpr11
                                        ; implicit-def: $sgpr14_sgpr15
                                        ; implicit-def: $sgpr12_sgpr13
	s_branch .LBB27_268
.LBB27_267:                             ;   in Loop: Header=BB27_268 Depth=1
	s_or_b64 exec, exec, s[16:17]
	s_and_b64 s[0:1], exec, s[14:15]
	s_or_b64 s[8:9], s[0:1], s[8:9]
	s_andn2_b64 s[0:1], s[10:11], exec
	s_and_b64 s[10:11], s[12:13], exec
	s_or_b64 s[10:11], s[0:1], s[10:11]
	s_andn2_b64 exec, exec, s[8:9]
	s_cbranch_execz .LBB27_270
.LBB27_268:                             ; =>This Inner Loop Header: Depth=1
	v_ashrrev_i32_e32 v17, 31, v16
	v_lshlrev_b64 v[4:5], 3, v[16:17]
	v_add_co_u32_e32 v4, vcc, s64, v4
	v_addc_co_u32_e32 v5, vcc, v3, v5, vcc
	global_load_dwordx2 v[4:5], v[4:5], off
	v_mov_b32_e32 v2, v0
	s_or_b64 s[12:13], s[12:13], exec
	s_or_b64 s[14:15], s[14:15], exec
                                        ; implicit-def: $vgpr0
	s_waitcnt vmcnt(0)
	v_cmp_ne_u64_e32 vcc, v[4:5], v[6:7]
	s_and_saveexec_b64 s[16:17], vcc
	s_cbranch_execz .LBB27_267
; %bb.269:                              ;   in Loop: Header=BB27_268 Depth=1
	v_add_u32_e32 v0, s66, v2
	v_cmp_ge_i32_e32 vcc, v0, v1
	s_andn2_b64 s[0:1], s[14:15], exec
	s_and_b64 s[14:15], vcc, exec
	v_add_u32_e32 v16, s76, v16
	s_andn2_b64 s[12:13], s[12:13], exec
	s_or_b64 s[14:15], s[0:1], s[14:15]
	s_branch .LBB27_267
.LBB27_270:
	s_or_b64 exec, exec, s[8:9]
	s_and_saveexec_b64 s[0:1], s[10:11]
	s_xor_b64 s[0:1], exec, s[0:1]
	s_cbranch_execz .LBB27_275
; %bb.271:
	s_mov_b64 s[8:9], exec
	s_brev_b32 s0, -2
.LBB27_272:                             ; =>This Inner Loop Header: Depth=1
	s_ff1_i32_b64 s1, s[8:9]
	v_readlane_b32 s12, v2, s1
	s_lshl_b64 s[10:11], 1, s1
	s_min_i32 s0, s0, s12
	s_andn2_b64 s[8:9], s[8:9], s[10:11]
	s_cmp_lg_u64 s[8:9], 0
	s_cbranch_scc1 .LBB27_272
; %bb.273:
	v_mbcnt_lo_u32_b32 v0, exec_lo, 0
	v_mbcnt_hi_u32_b32 v0, exec_hi, v0
	v_cmp_eq_u32_e32 vcc, 0, v0
	s_and_saveexec_b64 s[8:9], vcc
	s_xor_b64 s[8:9], exec, s[8:9]
	s_cbranch_execz .LBB27_275
; %bb.274:
	v_mov_b32_e32 v0, 0
	v_mov_b32_e32 v1, s0
	ds_min_i32 v0, v1 offset:4108
.LBB27_275:
	s_or_b64 exec, exec, s[6:7]
	s_waitcnt lgkmcnt(0)
	s_barrier
	s_mov_b64 s[6:7], exec
	v_readlane_b32 s0, v54, 5
	v_readlane_b32 s1, v54, 6
	s_and_b64 s[0:1], s[6:7], s[0:1]
	s_mov_b64 exec, s[0:1]
	s_cbranch_execz .LBB27_277
; %bb.276:
	v_readlane_b32 s0, v54, 0
	s_mul_i32 s0, s0, s62
	v_readlane_b32 s1, v54, 7
	s_add_i32 s0, s0, s65
	s_mul_i32 s1, s1, s33
	s_add_i32 s8, s1, s67
	s_ashr_i32 s1, s0, 31
	v_mov_b32_e32 v2, 0
	s_lshl_b64 s[0:1], s[0:1], 3
	v_readlane_b32 s10, v54, 1
	ds_read_b32 v0, v2 offset:4108
	v_readlane_b32 s11, v54, 2
	s_add_u32 s0, s10, s0
	s_addc_u32 s1, s11, s1
	s_ashr_i32 s9, s8, 31
	s_lshl_b64 s[8:9], s[8:9], 3
	v_readlane_b32 s10, v54, 3
	v_readlane_b32 s11, v54, 4
	s_add_u32 s8, s10, s8
	s_addc_u32 s9, s11, s9
	s_waitcnt lgkmcnt(0)
	v_ashrrev_i32_e32 v1, 31, v0
	global_store_dwordx2 v2, v[0:1], s[8:9]
	global_store_dwordx2 v2, v[6:7], s[0:1]
.LBB27_277:
	s_or_b64 exec, exec, s[6:7]
.LBB27_278:
	s_or_saveexec_b64 s[0:1], s[4:5]
	s_mov_b64 s[4:5], 0
	s_xor_b64 exec, exec, s[0:1]
	s_cbranch_execnz .LBB27_281
.LBB27_279:
	s_or_b64 exec, exec, s[0:1]
	s_and_b64 s[4:5], s[4:5], exec
	s_andn2_saveexec_b64 s[0:1], s[2:3]
	s_cbranch_execz .LBB27_257
.LBB27_280:
	s_or_b64 s[4:5], s[4:5], exec
	s_trap 2
	s_or_b64 exec, exec, s[0:1]
	s_and_saveexec_b64 s[0:1], s[4:5]
	s_cbranch_execnz .LBB27_258
	s_branch .LBB27_259
.LBB27_281:
	s_mov_b64 s[4:5], exec
	s_trap 2
	s_branch .LBB27_279
	.section	.rodata,"a",@progbits
	.p2align	6, 0x0
	.amdhsa_kernel _ZN2at6native12_GLOBAL__N_114gatherKthValueIliLin1EEEvNS_4cuda6detail10TensorInfoIKT_T0_EES8_S8_S8_S8_NS5_IS6_S8_EENS5_IlS8_EE
		.amdhsa_group_segment_fixed_size 4112
		.amdhsa_private_segment_fixed_size 0
		.amdhsa_kernarg_size 920
		.amdhsa_user_sgpr_count 6
		.amdhsa_user_sgpr_private_segment_buffer 1
		.amdhsa_user_sgpr_dispatch_ptr 0
		.amdhsa_user_sgpr_queue_ptr 0
		.amdhsa_user_sgpr_kernarg_segment_ptr 1
		.amdhsa_user_sgpr_dispatch_id 0
		.amdhsa_user_sgpr_flat_scratch_init 0
		.amdhsa_user_sgpr_kernarg_preload_length 0
		.amdhsa_user_sgpr_kernarg_preload_offset 0
		.amdhsa_user_sgpr_private_segment_size 0
		.amdhsa_uses_dynamic_stack 0
		.amdhsa_system_sgpr_private_segment_wavefront_offset 0
		.amdhsa_system_sgpr_workgroup_id_x 1
		.amdhsa_system_sgpr_workgroup_id_y 1
		.amdhsa_system_sgpr_workgroup_id_z 1
		.amdhsa_system_sgpr_workgroup_info 0
		.amdhsa_system_vgpr_workitem_id 0
		.amdhsa_next_free_vgpr 55
		.amdhsa_next_free_sgpr 96
		.amdhsa_accum_offset 56
		.amdhsa_reserve_vcc 1
		.amdhsa_reserve_flat_scratch 0
		.amdhsa_float_round_mode_32 0
		.amdhsa_float_round_mode_16_64 0
		.amdhsa_float_denorm_mode_32 3
		.amdhsa_float_denorm_mode_16_64 3
		.amdhsa_dx10_clamp 1
		.amdhsa_ieee_mode 1
		.amdhsa_fp16_overflow 0
		.amdhsa_tg_split 0
		.amdhsa_exception_fp_ieee_invalid_op 0
		.amdhsa_exception_fp_denorm_src 0
		.amdhsa_exception_fp_ieee_div_zero 0
		.amdhsa_exception_fp_ieee_overflow 0
		.amdhsa_exception_fp_ieee_underflow 0
		.amdhsa_exception_fp_ieee_inexact 0
		.amdhsa_exception_int_div_zero 0
	.end_amdhsa_kernel
	.section	.text._ZN2at6native12_GLOBAL__N_114gatherKthValueIliLin1EEEvNS_4cuda6detail10TensorInfoIKT_T0_EES8_S8_S8_S8_NS5_IS6_S8_EENS5_IlS8_EE,"axG",@progbits,_ZN2at6native12_GLOBAL__N_114gatherKthValueIliLin1EEEvNS_4cuda6detail10TensorInfoIKT_T0_EES8_S8_S8_S8_NS5_IS6_S8_EENS5_IlS8_EE,comdat
.Lfunc_end27:
	.size	_ZN2at6native12_GLOBAL__N_114gatherKthValueIliLin1EEEvNS_4cuda6detail10TensorInfoIKT_T0_EES8_S8_S8_S8_NS5_IS6_S8_EENS5_IlS8_EE, .Lfunc_end27-_ZN2at6native12_GLOBAL__N_114gatherKthValueIliLin1EEEvNS_4cuda6detail10TensorInfoIKT_T0_EES8_S8_S8_S8_NS5_IS6_S8_EENS5_IlS8_EE
                                        ; -- End function
	.section	.AMDGPU.csdata,"",@progbits
; Kernel info:
; codeLenInByte = 11144
; NumSgprs: 100
; NumVgprs: 55
; NumAgprs: 0
; TotalNumVgprs: 55
; ScratchSize: 0
; MemoryBound: 0
; FloatMode: 240
; IeeeMode: 1
; LDSByteSize: 4112 bytes/workgroup (compile time only)
; SGPRBlocks: 12
; VGPRBlocks: 6
; NumSGPRsForWavesPerEU: 100
; NumVGPRsForWavesPerEU: 55
; AccumOffset: 56
; Occupancy: 8
; WaveLimiterHint : 1
; COMPUTE_PGM_RSRC2:SCRATCH_EN: 0
; COMPUTE_PGM_RSRC2:USER_SGPR: 6
; COMPUTE_PGM_RSRC2:TRAP_HANDLER: 0
; COMPUTE_PGM_RSRC2:TGID_X_EN: 1
; COMPUTE_PGM_RSRC2:TGID_Y_EN: 1
; COMPUTE_PGM_RSRC2:TGID_Z_EN: 1
; COMPUTE_PGM_RSRC2:TIDIG_COMP_CNT: 0
; COMPUTE_PGM_RSRC3_GFX90A:ACCUM_OFFSET: 13
; COMPUTE_PGM_RSRC3_GFX90A:TG_SPLIT: 0
	.section	.text._ZN2at6native12_GLOBAL__N_114gatherKthValueIllLi1EEEvNS_4cuda6detail10TensorInfoIKT_T0_EES8_S8_S8_S8_NS5_IS6_S8_EENS5_IlS8_EE,"axG",@progbits,_ZN2at6native12_GLOBAL__N_114gatherKthValueIllLi1EEEvNS_4cuda6detail10TensorInfoIKT_T0_EES8_S8_S8_S8_NS5_IS6_S8_EENS5_IlS8_EE,comdat
	.globl	_ZN2at6native12_GLOBAL__N_114gatherKthValueIllLi1EEEvNS_4cuda6detail10TensorInfoIKT_T0_EES8_S8_S8_S8_NS5_IS6_S8_EENS5_IlS8_EE ; -- Begin function _ZN2at6native12_GLOBAL__N_114gatherKthValueIllLi1EEEvNS_4cuda6detail10TensorInfoIKT_T0_EES8_S8_S8_S8_NS5_IS6_S8_EENS5_IlS8_EE
	.p2align	8
	.type	_ZN2at6native12_GLOBAL__N_114gatherKthValueIllLi1EEEvNS_4cuda6detail10TensorInfoIKT_T0_EES8_S8_S8_S8_NS5_IS6_S8_EENS5_IlS8_EE,@function
_ZN2at6native12_GLOBAL__N_114gatherKthValueIllLi1EEEvNS_4cuda6detail10TensorInfoIKT_T0_EES8_S8_S8_S8_NS5_IS6_S8_EENS5_IlS8_EE: ; @_ZN2at6native12_GLOBAL__N_114gatherKthValueIllLi1EEEvNS_4cuda6detail10TensorInfoIKT_T0_EES8_S8_S8_S8_NS5_IS6_S8_EENS5_IlS8_EE
; %bb.0:
	s_load_dwordx8 s[56:63], s[4:5], 0x1a0
	s_load_dwordx2 s[10:11], s[4:5], 0x500
	s_add_u32 s0, s4, 0x500
	s_addc_u32 s1, s5, 0
	s_mov_b32 s15, 0
	s_waitcnt lgkmcnt(0)
	v_mov_b32_e32 v2, s60
	s_mul_i32 s2, s11, s8
	s_add_i32 s2, s2, s7
	s_mul_i32 s2, s2, s10
	v_mov_b32_e32 v3, s61
	s_add_i32 s14, s2, s6
	v_cmp_ge_i64_e32 vcc, s[14:15], v[2:3]
	s_cbranch_vccnz .LBB28_282
; %bb.1:
	s_load_dwordx2 s[2:3], s[4:5], 0x430
                                        ; implicit-def: $vgpr60 : SGPR spill to VGPR lane
	v_cmp_eq_u32_e64 s[12:13], 0, v0
	s_waitcnt lgkmcnt(0)
	v_writelane_b32 v60, s2, 0
	v_writelane_b32 v60, s3, 1
	s_load_dwordx2 s[2:3], s[4:5], 0x360
	s_waitcnt lgkmcnt(0)
	v_writelane_b32 v60, s2, 2
	v_writelane_b32 v60, s3, 3
	s_load_dwordx2 s[2:3], s[4:5], 0x290
	s_waitcnt lgkmcnt(0)
	v_writelane_b32 v60, s2, 4
	v_writelane_b32 v60, s3, 5
	s_load_dwordx2 s[2:3], s[4:5], 0x1c0
	s_waitcnt lgkmcnt(0)
	v_writelane_b32 v60, s2, 6
	v_writelane_b32 v60, s3, 7
	s_load_dwordx2 s[8:9], s[4:5], 0xd0
	s_load_dwordx2 s[2:3], s[4:5], 0x0
	s_mov_b64 s[4:5], exec
	v_writelane_b32 v60, s12, 8
	v_writelane_b32 v60, s13, 9
	s_and_b64 s[12:13], s[4:5], s[12:13]
	s_mov_b64 exec, s[12:13]
	s_cbranch_execz .LBB28_3
; %bb.2:
	v_mov_b32_e32 v2, 0
	v_mov_b32_e32 v4, s56
	;; [unrolled: 1-line block ×4, first 2 shown]
	ds_write_b32 v2, v2 offset:5136
	ds_write_b128 v2, v[2:5] offset:5120
.LBB28_3:
	s_or_b64 exec, exec, s[4:5]
	s_waitcnt lgkmcnt(0)
	s_mul_i32 s4, s9, s14
	s_mul_hi_u32 s5, s8, s14
	s_add_i32 s5, s5, s4
	s_mov_b32 s4, s14
	v_writelane_b32 v60, s4, 10
	v_writelane_b32 v60, s5, 11
	s_mul_i32 s4, s8, s14
	s_lshl_b64 s[4:5], s[4:5], 3
	v_mbcnt_lo_u32_b32 v1, -1, 0
	s_add_u32 s90, s2, s4
	v_mbcnt_hi_u32_b32 v40, -1, v1
	s_addc_u32 s91, s3, s5
	v_cmp_gt_u32_e32 vcc, 64, v0
	v_cmp_gt_i32_e64 s[2:3], 4, v40
	s_and_b64 s[48:49], vcc, s[2:3]
	v_cmp_gt_u32_e64 s[2:3], 2, v0
	v_mov_b32_e32 v2, 0x180
	v_writelane_b32 v60, s2, 12
	v_mov_b32_e32 v3, 0
	v_mov_b32_e32 v19, 0
	v_writelane_b32 v60, s3, 13
	v_cmp_gt_i64_e64 s[2:3], s[56:57], v[2:3]
	v_mov_b32_e32 v1, v19
	v_writelane_b32 v60, s2, 14
	v_writelane_b32 v60, s3, 15
	v_cmp_gt_u64_e64 s[2:3], s[56:57], v[0:1]
	v_writelane_b32 v60, s2, 16
	v_writelane_b32 v60, s3, 17
	v_mad_u64_u32 v[2:3], s[2:3], v0, s62, 0
	v_mov_b32_e32 v4, v3
	v_mad_u64_u32 v[4:5], s[2:3], v0, s63, v[4:5]
	s_barrier
	s_load_dword s2, s[0:1], 0xc
	v_mov_b32_e32 v3, v4
	v_lshlrev_b64 v[4:5], 3, v[2:3]
	v_add_co_u32_e32 v16, vcc, s90, v4
	s_waitcnt lgkmcnt(0)
	s_and_b32 s33, s2, 0xffff
	s_bfe_u32 s3, s2, 0xa0006
	v_cmp_gt_u16_e64 s[8:9], s2, 63
	v_writelane_b32 v60, s8, 18
	s_add_u32 s2, s33, -1
	v_writelane_b32 v60, s9, 19
	s_addc_u32 s7, 0, -1
	v_writelane_b32 v60, s2, 20
	s_add_u32 s2, s2, s56
	s_addc_u32 s47, s7, s57
	s_cmp_lt_u32 s6, s10
	v_writelane_b32 v60, s2, 21
	s_cselect_b32 s2, 12, 18
	s_add_u32 s50, s0, s2
	s_addc_u32 s51, s1, 0
	s_add_i32 s0, s3, -1
	s_bfe_u32 s2, s33, 0x30006
	s_cmp_gt_u32 s0, 6
	v_writelane_b32 v60, s7, 22
	s_cselect_b64 s[0:1], -1, 0
	v_writelane_b32 v60, s0, 23
	s_and_b32 s76, s3, 0x3f8
	v_writelane_b32 v60, s1, 24
	s_cmp_lg_u32 s2, 0
	v_lshrrev_b32_e32 v4, 4, v0
	v_writelane_b32 v60, s2, 25
	s_cselect_b64 s[0:1], -1, 0
	v_mov_b32_e32 v6, s91
	v_and_b32_e32 v43, 60, v4
	v_lshlrev_b32_e32 v4, 2, v40
	v_writelane_b32 v60, s0, 26
	v_addc_co_u32_e32 v17, vcc, v6, v5, vcc
	v_and_b32_e32 v44, 0x100, v4
	v_lshlrev_b64 v[4:5], v40, -1
	v_writelane_b32 v60, s1, 27
	s_lshl_b64 s[0:1], s[62:63], 3
	v_lshlrev_b32_e32 v45, 5, v0
	v_not_b32_e32 v23, v5
	v_writelane_b32 v60, s0, 28
	v_or_b32_e32 v5, 24, v45
	v_writelane_b32 v60, s1, 29
	v_mad_u64_u32 v[24:25], s[0:1], s62, v5, 0
	v_not_b32_e32 v22, v4
	v_mov_b32_e32 v4, v25
	v_mad_u64_u32 v[4:5], s[0:1], s63, v5, v[4:5]
	s_lshl_b64 s[0:1], s[62:63], 5
	v_writelane_b32 v60, s0, 30
	v_or_b32_e32 v5, 16, v45
	v_writelane_b32 v60, s1, 31
	v_mad_u64_u32 v[26:27], s[0:1], s62, v5, 0
	v_mov_b32_e32 v25, v4
	v_mov_b32_e32 v4, v27
	v_mad_u64_u32 v[4:5], s[0:1], s63, v5, v[4:5]
	v_cmp_eq_u32_e64 s[4:5], 0, v40
	v_or_b32_e32 v5, 8, v45
	v_mad_u64_u32 v[28:29], s[0:1], s62, v5, 0
	v_writelane_b32 v60, s4, 32
	v_mov_b32_e32 v27, v4
	v_mov_b32_e32 v4, v29
	v_writelane_b32 v60, s5, 33
	v_mad_u64_u32 v[4:5], s[0:1], s63, v5, v[4:5]
	v_writelane_b32 v60, s48, 34
	v_lshlrev_b64 v[30:31], 5, v[2:3]
	v_mov_b32_e32 v2, s57
	v_add_co_u32_e32 v46, vcc, s56, v0
	s_mul_i32 s0, s63, s33
	s_mul_hi_u32 s1, s62, s33
	v_writelane_b32 v60, s49, 35
	s_mov_b32 s75, 0
	v_lshlrev_b32_e32 v41, 3, v0
	v_addc_co_u32_e32 v47, vcc, 0, v2, vcc
	v_mov_b32_e32 v2, 0xc00
	s_add_i32 s1, s1, s0
	s_mul_i32 s0, s62, s33
	v_writelane_b32 v60, s50, 36
	v_add_u32_e32 v42, 0xc00, v41
	v_cmp_gt_i64_e64 s[80:81], s[56:57], v[0:1]
	v_lshlrev_b32_e32 v20, 2, v0
	v_mov_b32_e32 v21, v19
	s_mov_b32 s82, s75
	v_mov_b32_e32 v29, v4
	v_lshl_or_b32 v48, v40, 3, v2
	s_lshl_b64 s[70:71], s[0:1], 3
	s_lshl_b32 s78, s33, 3
	s_mov_b32 s52, 62
	s_mov_b64 s[92:93], 0
	v_pk_mov_b32 v[6:7], 0, 0
	v_mov_b32_e32 v2, 1
	v_cvt_f32_ubyte0_e32 v49, 0
	s_mov_b32 s83, 0
	s_mov_b64 s[86:87], 0
	s_mov_b64 s[84:85], 0
	v_writelane_b32 v60, s51, 37
                                        ; implicit-def: $sgpr54_sgpr55
                                        ; implicit-def: $sgpr66_sgpr67
                                        ; implicit-def: $sgpr64_sgpr65
                                        ; implicit-def: $sgpr68_sgpr69
                                        ; implicit-def: $sgpr72_sgpr73
                                        ; implicit-def: $sgpr10_sgpr11
	v_writelane_b32 v60, s76, 38
	s_branch .LBB28_8
.LBB28_4:                               ;   in Loop: Header=BB28_8 Depth=1
	s_xor_b32 s83, s83, 1
	s_add_i32 s8, s52, -2
	s_cmp_eq_u32 s52, 0
	s_mov_b64 s[2:3], 0
	s_cselect_b64 s[6:7], -1, 0
	s_mov_b32 s52, s8
.LBB28_5:                               ;   in Loop: Header=BB28_8 Depth=1
	s_andn2_b64 s[8:9], s[24:25], exec
	s_and_b64 s[2:3], s[2:3], exec
	s_or_b64 s[24:25], s[8:9], s[2:3]
	s_andn2_b64 s[26:27], s[26:27], exec
	s_andn2_b64 s[22:23], s[22:23], exec
	s_orn2_b64 s[16:17], s[6:7], exec
.LBB28_6:                               ;   in Loop: Header=BB28_8 Depth=1
	s_or_b64 exec, exec, s[0:1]
	s_andn2_b64 s[0:1], s[10:11], exec
	s_and_b64 s[2:3], s[24:25], exec
	s_or_b64 s[10:11], s[0:1], s[2:3]
	s_andn2_b64 s[0:1], s[72:73], exec
	s_and_b64 s[2:3], s[26:27], exec
	s_or_b64 s[72:73], s[0:1], s[2:3]
	;; [unrolled: 3-line block ×3, first 2 shown]
	s_orn2_b64 s[22:23], s[16:17], exec
.LBB28_7:                               ;   in Loop: Header=BB28_8 Depth=1
	s_or_b64 exec, exec, s[14:15]
	s_and_b64 s[0:1], exec, s[22:23]
	s_or_b64 s[92:93], s[0:1], s[92:93]
	s_andn2_b64 s[0:1], s[64:65], exec
	s_and_b64 s[2:3], s[10:11], exec
	s_or_b64 s[64:65], s[0:1], s[2:3]
	s_andn2_b64 s[0:1], s[66:67], exec
	s_and_b64 s[2:3], s[72:73], exec
	;; [unrolled: 3-line block ×3, first 2 shown]
	s_waitcnt vmcnt(0)
	v_pk_mov_b32 v[4:5], s[86:87], s[86:87] op_sel:[0,1]
	s_or_b64 s[54:55], s[0:1], s[2:3]
	s_andn2_b64 exec, exec, s[92:93]
	s_cbranch_execz .LBB28_278
.LBB28_8:                               ; =>This Loop Header: Depth=1
                                        ;     Child Loop BB28_16 Depth 2
                                        ;     Child Loop BB28_35 Depth 2
	;; [unrolled: 1-line block ×16, first 2 shown]
	ds_read_b128 v[8:11], v19 offset:5120
	s_waitcnt lgkmcnt(0)
	v_readfirstlane_b32 s61, v9
	v_readfirstlane_b32 s60, v8
	v_cmp_gt_i64_e64 s[0:1], s[60:61], 0
	s_and_b64 vcc, exec, s[0:1]
	s_cbranch_vccnz .LBB28_42
; %bb.9:                                ;   in Loop: Header=BB28_8 Depth=1
	v_readlane_b32 s0, v60, 14
	v_readlane_b32 s1, v60, 15
	s_and_b64 vcc, exec, s[0:1]
	s_cbranch_vccz .LBB28_24
; %bb.10:                               ;   in Loop: Header=BB28_8 Depth=1
	s_mov_b64 s[0:1], 0x181
	v_cmp_gt_i64_e32 vcc, s[0:1], v[10:11]
	s_mov_b64 s[0:1], 0
	s_mov_b64 s[2:3], 0
	s_cbranch_vccz .LBB28_29
; %bb.11:                               ;   in Loop: Header=BB28_8 Depth=1
	v_pk_mov_b32 v[4:5], 0, 0
	s_mov_b64 s[2:3], exec
	v_readlane_b32 s6, v60, 16
	v_readlane_b32 s7, v60, 17
	s_and_b64 s[6:7], s[2:3], s[6:7]
	s_mov_b64 exec, s[6:7]
	s_cbranch_execz .LBB28_13
; %bb.12:                               ;   in Loop: Header=BB28_8 Depth=1
	global_load_dwordx2 v[4:5], v[16:17], off
.LBB28_13:                              ;   in Loop: Header=BB28_8 Depth=1
	s_or_b64 exec, exec, s[2:3]
	s_mov_b64 s[2:3], exec
	v_readlane_b32 s6, v60, 16
	v_readlane_b32 s7, v60, 17
	s_and_b64 s[6:7], s[2:3], s[6:7]
	s_mov_b64 exec, s[6:7]
	s_cbranch_execz .LBB28_25
; %bb.14:                               ;   in Loop: Header=BB28_8 Depth=1
	global_load_ushort v3, v19, s[50:51]
	v_readlane_b32 s14, v60, 28
	v_pk_mov_b32 v[8:9], s[90:91], s[90:91] op_sel:[0,1]
	v_readlane_b32 s15, v60, 29
	s_mov_b64 s[8:9], 0
	s_waitcnt vmcnt(0)
	v_readfirstlane_b32 s6, v3
	s_and_b32 s6, 0xffff, s6
	v_add_u32_e32 v11, s6, v0
	s_mul_i32 s12, s15, s6
	s_mul_hi_u32 s13, s14, s6
	s_mul_i32 s20, s14, s6
	v_mad_u64_u32 v[8:9], s[6:7], s14, v11, v[8:9]
	v_mov_b32_e32 v10, v9
	v_mad_u64_u32 v[10:11], s[6:7], s15, v11, v[10:11]
	s_add_i32 s21, s13, s12
	v_mov_b32_e32 v9, v10
	v_pk_mov_b32 v[10:11], v[0:1], v[0:1] op_sel:[0,1]
	s_branch .LBB28_16
.LBB28_15:                              ;   in Loop: Header=BB28_16 Depth=2
	s_or_b64 exec, exec, s[6:7]
	v_mov_b32_e32 v4, s21
	v_add_co_u32_e32 v8, vcc, s20, v8
	v_addc_co_u32_e32 v9, vcc, v9, v4, vcc
	s_waitcnt vmcnt(0)
	v_pk_mov_b32 v[4:5], v[12:13], v[12:13] op_sel:[0,1]
	s_andn2_b64 exec, exec, s[8:9]
	s_cbranch_execz .LBB28_25
.LBB28_16:                              ;   Parent Loop BB28_8 Depth=1
                                        ; =>  This Inner Loop Header: Depth=2
	v_add_co_u32_sdwa v10, vcc, v10, v3 dst_sel:DWORD dst_unused:UNUSED_PAD src0_sel:DWORD src1_sel:WORD_0
	v_addc_co_u32_e32 v11, vcc, 0, v11, vcc
	v_cmp_gt_i64_e64 s[6:7], s[56:57], v[10:11]
	v_cmp_le_i64_e32 vcc, s[56:57], v[10:11]
	v_pk_mov_b32 v[12:13], 0, 0
	s_and_saveexec_b64 s[12:13], s[6:7]
	s_cbranch_execz .LBB28_18
; %bb.17:                               ;   in Loop: Header=BB28_16 Depth=2
	global_load_dwordx2 v[12:13], v[8:9], off
.LBB28_18:                              ;   in Loop: Header=BB28_16 Depth=2
	s_or_b64 exec, exec, s[12:13]
	s_waitcnt lgkmcnt(0)
	v_xor_b32_e32 v14, 0x80000000, v5
	v_and_b32_e32 v15, s85, v14
	v_and_b32_e32 v14, s84, v4
	v_cmp_eq_u64_e64 s[12:13], s[86:87], v[14:15]
	s_cmp_lg_u64 s[12:13], 0
	s_cselect_b64 s[6:7], -1, 0
	s_and_b64 s[6:7], s[4:5], s[6:7]
	v_mov_b32_e32 v14, 0
	s_and_saveexec_b64 s[14:15], s[6:7]
	s_cbranch_execz .LBB28_22
; %bb.19:                               ;   in Loop: Header=BB28_16 Depth=2
	s_mov_b64 s[18:19], exec
	v_mbcnt_lo_u32_b32 v14, s18, 0
	v_mbcnt_hi_u32_b32 v14, s19, v14
	s_bcnt1_i32_b64 s22, s[12:13]
	v_cmp_eq_u32_e64 s[6:7], 0, v14
                                        ; implicit-def: $vgpr15
	s_and_saveexec_b64 s[16:17], s[6:7]
	s_cbranch_execz .LBB28_21
; %bb.20:                               ;   in Loop: Header=BB28_16 Depth=2
	s_bcnt1_i32_b64 s6, s[18:19]
	s_mul_i32 s6, s22, s6
	v_mov_b32_e32 v15, s6
	ds_add_rtn_u32 v15, v19, v15 offset:5136
.LBB28_21:                              ;   in Loop: Header=BB28_16 Depth=2
	s_or_b64 exec, exec, s[16:17]
	s_waitcnt lgkmcnt(0)
	v_readfirstlane_b32 s6, v15
	v_mov_b32_e32 v15, s6
	v_mad_u32_u24 v14, s22, v14, v15
.LBB28_22:                              ;   in Loop: Header=BB28_16 Depth=2
	s_or_b64 exec, exec, s[14:15]
	ds_bpermute_b32 v14, v44, v14
	s_and_b64 s[6:7], exec, vcc
	s_or_b64 s[8:9], s[6:7], s[8:9]
	s_and_saveexec_b64 s[6:7], s[12:13]
	s_cbranch_execz .LBB28_15
; %bb.23:                               ;   in Loop: Header=BB28_16 Depth=2
	v_and_b32_e32 v18, s12, v22
	v_and_b32_e32 v15, s13, v23
	v_bcnt_u32_b32 v18, v18, 0
	v_bcnt_u32_b32 v15, v15, v18
	v_lshlrev_b32_e32 v15, 3, v15
	s_waitcnt lgkmcnt(0)
	v_lshl_add_u32 v14, v14, 3, v15
	ds_write_b64 v14, v[4:5]
	s_branch .LBB28_15
.LBB28_24:                              ;   in Loop: Header=BB28_8 Depth=1
	s_mov_b64 s[0:1], -1
	s_mov_b64 s[2:3], 0
	s_branch .LBB28_28
.LBB28_25:                              ;   in Loop: Header=BB28_8 Depth=1
	s_or_b64 exec, exec, s[2:3]
	s_waitcnt lgkmcnt(0)
	s_barrier
	s_mov_b64 s[2:3], exec
	v_readlane_b32 s6, v60, 8
	v_readlane_b32 s7, v60, 9
	s_and_b64 s[6:7], s[2:3], s[6:7]
	s_mov_b64 exec, s[6:7]
	s_cbranch_execz .LBB28_27
; %bb.26:                               ;   in Loop: Header=BB28_8 Depth=1
	s_waitcnt vmcnt(0)
	ds_read_b32 v4, v19 offset:5136
	s_waitcnt lgkmcnt(0)
	v_ashrrev_i32_e32 v5, 31, v4
	ds_write_b64 v19, v[4:5] offset:5120
.LBB28_27:                              ;   in Loop: Header=BB28_8 Depth=1
	s_or_b64 exec, exec, s[2:3]
	s_waitcnt lgkmcnt(0)
	s_barrier
	s_mov_b64 s[2:3], -1
.LBB28_28:                              ;   in Loop: Header=BB28_8 Depth=1
                                        ; implicit-def: $sgpr60_sgpr61
.LBB28_29:                              ;   in Loop: Header=BB28_8 Depth=1
	s_and_b64 vcc, exec, s[0:1]
	s_cbranch_vccz .LBB28_40
; %bb.30:                               ;   in Loop: Header=BB28_8 Depth=1
	s_waitcnt vmcnt(0)
	v_pk_mov_b32 v[4:5], 0, 0
	s_and_saveexec_b64 s[0:1], s[80:81]
	s_cbranch_execz .LBB28_32
; %bb.31:                               ;   in Loop: Header=BB28_8 Depth=1
	global_load_dwordx2 v[4:5], v[16:17], off
.LBB28_32:                              ;   in Loop: Header=BB28_8 Depth=1
	s_or_b64 exec, exec, s[0:1]
	s_and_saveexec_b64 s[0:1], s[80:81]
	s_cbranch_execz .LBB28_37
; %bb.33:                               ;   in Loop: Header=BB28_8 Depth=1
	global_load_ushort v3, v19, s[50:51]
	v_readlane_b32 s14, v60, 28
	v_pk_mov_b32 v[8:9], s[90:91], s[90:91] op_sel:[0,1]
	v_readlane_b32 s15, v60, 29
	s_mov_b64 s[2:3], 0
	v_mov_b32_e32 v14, v41
	s_waitcnt vmcnt(0)
	v_readfirstlane_b32 s6, v3
	s_and_b32 s6, 0xffff, s6
	v_add_u32_e32 v11, s6, v0
	s_lshl_b32 s12, s6, 3
	s_mul_i32 s8, s15, s6
	s_mul_hi_u32 s9, s14, s6
	s_mul_i32 s13, s14, s6
	v_mad_u64_u32 v[8:9], s[6:7], s14, v11, v[8:9]
	v_mov_b32_e32 v10, v9
	v_mad_u64_u32 v[10:11], s[6:7], s15, v11, v[10:11]
	s_add_i32 s14, s9, s8
	v_mov_b32_e32 v9, v10
	v_pk_mov_b32 v[10:11], v[0:1], v[0:1] op_sel:[0,1]
	s_branch .LBB28_35
.LBB28_34:                              ;   in Loop: Header=BB28_35 Depth=2
	s_or_b64 exec, exec, s[8:9]
	s_and_b64 s[6:7], exec, vcc
	ds_write_b64 v14, v[4:5]
	v_mov_b32_e32 v4, s14
	v_add_co_u32_e32 v8, vcc, s13, v8
	s_or_b64 s[2:3], s[6:7], s[2:3]
	v_add_u32_e32 v14, s12, v14
	v_addc_co_u32_e32 v9, vcc, v9, v4, vcc
	s_waitcnt vmcnt(0)
	v_pk_mov_b32 v[4:5], v[12:13], v[12:13] op_sel:[0,1]
	s_andn2_b64 exec, exec, s[2:3]
	s_cbranch_execz .LBB28_37
.LBB28_35:                              ;   Parent Loop BB28_8 Depth=1
                                        ; =>  This Inner Loop Header: Depth=2
	v_add_co_u32_sdwa v10, vcc, v10, v3 dst_sel:DWORD dst_unused:UNUSED_PAD src0_sel:DWORD src1_sel:WORD_0
	v_addc_co_u32_e32 v11, vcc, 0, v11, vcc
	v_cmp_gt_i64_e64 s[6:7], s[56:57], v[10:11]
	v_cmp_le_i64_e32 vcc, s[56:57], v[10:11]
	v_pk_mov_b32 v[12:13], 0, 0
	s_and_saveexec_b64 s[8:9], s[6:7]
	s_cbranch_execz .LBB28_34
; %bb.36:                               ;   in Loop: Header=BB28_35 Depth=2
	global_load_dwordx2 v[12:13], v[8:9], off
	s_branch .LBB28_34
.LBB28_37:                              ;   in Loop: Header=BB28_8 Depth=1
	s_or_b64 exec, exec, s[0:1]
	s_waitcnt lgkmcnt(0)
	s_barrier
	s_mov_b64 s[0:1], exec
	v_readlane_b32 s2, v60, 8
	v_readlane_b32 s3, v60, 9
	s_and_b64 s[2:3], s[0:1], s[2:3]
	s_mov_b64 exec, s[2:3]
	s_cbranch_execz .LBB28_39
; %bb.38:                               ;   in Loop: Header=BB28_8 Depth=1
	s_waitcnt vmcnt(0)
	v_pk_mov_b32 v[4:5], s[56:57], s[56:57] op_sel:[0,1]
	ds_write_b64 v19, v[4:5] offset:5120
.LBB28_39:                              ;   in Loop: Header=BB28_8 Depth=1
	s_or_b64 exec, exec, s[0:1]
	s_mov_b64 s[2:3], -1
	s_waitcnt lgkmcnt(0)
	s_barrier
                                        ; implicit-def: $sgpr60_sgpr61
.LBB28_40:                              ;   in Loop: Header=BB28_8 Depth=1
	s_and_b64 vcc, exec, s[2:3]
	s_cbranch_vccz .LBB28_42
; %bb.41:                               ;   in Loop: Header=BB28_8 Depth=1
	s_waitcnt vmcnt(0)
	ds_read_b64 v[4:5], v19 offset:5120
	s_waitcnt lgkmcnt(0)
	v_readfirstlane_b32 s60, v4
.LBB28_42:                              ;   in Loop: Header=BB28_8 Depth=1
	s_cmp_lt_i32 s60, 1
	s_cbranch_scc0 .LBB28_57
; %bb.43:                               ;   in Loop: Header=BB28_8 Depth=1
	global_load_ushort v3, v19, s[50:51]
	s_mov_b32 s0, s75
	s_waitcnt vmcnt(0)
	v_readfirstlane_b32 s1, v3
	s_and_b32 s61, s1, 0xffff
	s_lshl_b32 s74, s61, 2
	s_mov_b32 s1, s57
	s_cmp_lg_u64 s[0:1], 0
	s_cbranch_scc0 .LBB28_77
; %bb.44:                               ;   in Loop: Header=BB28_8 Depth=1
	v_cvt_f32_u32_e32 v3, s74
	s_sub_u32 s0, 0, s74
	s_subb_u32 s1, 0, 0
	v_mac_f32_e32 v3, 0x4f800000, v49
	v_rcp_f32_e32 v3, v3
	v_mul_f32_e32 v3, 0x5f7ffffc, v3
	v_mul_f32_e32 v4, 0x2f800000, v3
	v_trunc_f32_e32 v4, v4
	v_mac_f32_e32 v3, 0xcf800000, v4
	v_cvt_u32_f32_e32 v4, v4
	v_cvt_u32_f32_e32 v3, v3
	v_readfirstlane_b32 s2, v4
	v_readfirstlane_b32 s3, v3
	s_mul_i32 s6, s0, s2
	s_mul_hi_u32 s8, s0, s3
	s_mul_i32 s7, s1, s3
	s_add_i32 s6, s8, s6
	s_mul_i32 s9, s0, s3
	s_add_i32 s6, s6, s7
	s_mul_hi_u32 s8, s3, s9
	s_mul_hi_u32 s7, s3, s6
	s_mul_i32 s3, s3, s6
	s_add_u32 s3, s8, s3
	s_addc_u32 s7, 0, s7
	s_mul_hi_u32 s12, s2, s9
	s_mul_i32 s9, s2, s9
	s_add_u32 s3, s3, s9
	s_mul_hi_u32 s8, s2, s6
	s_addc_u32 s3, s7, s12
	s_addc_u32 s7, s8, 0
	s_mul_i32 s6, s2, s6
	s_add_u32 s3, s3, s6
	s_addc_u32 s6, 0, s7
	v_add_co_u32_e32 v3, vcc, s3, v3
	s_cmp_lg_u64 vcc, 0
	s_addc_u32 s2, s2, s6
	v_readfirstlane_b32 s6, v3
	s_mul_i32 s3, s0, s2
	s_mul_hi_u32 s7, s0, s6
	s_add_i32 s3, s7, s3
	s_mul_i32 s1, s1, s6
	s_add_i32 s3, s3, s1
	s_mul_i32 s0, s0, s6
	s_mul_hi_u32 s7, s2, s0
	s_mul_i32 s8, s2, s0
	s_mul_i32 s12, s6, s3
	s_mul_hi_u32 s0, s6, s0
	s_mul_hi_u32 s9, s6, s3
	s_add_u32 s0, s0, s12
	s_addc_u32 s6, 0, s9
	s_add_u32 s0, s0, s8
	s_mul_hi_u32 s1, s2, s3
	s_addc_u32 s0, s6, s7
	s_addc_u32 s1, s1, 0
	s_mul_i32 s3, s2, s3
	s_add_u32 s0, s0, s3
	s_addc_u32 s1, 0, s1
	v_add_co_u32_e32 v3, vcc, s0, v3
	s_cmp_lg_u64 vcc, 0
	s_addc_u32 s6, s2, s1
	s_ashr_i32 s0, s57, 31
	s_add_u32 s2, s56, s0
	s_mov_b32 s1, s0
	s_addc_u32 s3, s57, s0
	s_xor_b64 s[2:3], s[2:3], s[0:1]
	v_readfirstlane_b32 s8, v3
	s_mul_i32 s7, s2, s6
	s_mul_hi_u32 s9, s2, s8
	s_mul_hi_u32 s1, s2, s6
	s_add_u32 s7, s9, s7
	s_addc_u32 s1, 0, s1
	s_mul_hi_u32 s12, s3, s8
	s_mul_i32 s8, s3, s8
	s_add_u32 s7, s7, s8
	s_mul_hi_u32 s9, s3, s6
	s_addc_u32 s1, s1, s12
	s_addc_u32 s7, s9, 0
	s_mul_i32 s6, s3, s6
	s_add_u32 s1, s1, s6
	s_addc_u32 s6, 0, s7
	s_mul_hi_u32 s7, s74, s1
	s_mul_i32 s1, s74, s1
	s_mul_i32 s6, s74, s6
	v_mov_b32_e32 v3, s1
	s_add_i32 s7, s7, s6
	v_sub_co_u32_e32 v3, vcc, s2, v3
	s_cmp_lg_u64 vcc, 0
	s_subb_u32 s1, s3, s7
	v_subrev_co_u32_e32 v4, vcc, s74, v3
	s_cmp_lg_u64 vcc, 0
	s_subb_u32 s2, s1, 0
	v_subrev_co_u32_e32 v5, vcc, s74, v4
	s_cmp_lg_u64 vcc, 0
	s_subb_u32 s3, s2, 0
	v_cmp_le_u32_e32 vcc, s74, v4
	s_cmp_eq_u32 s2, 0
	v_cndmask_b32_e64 v8, 0, -1, vcc
	s_cselect_b64 vcc, -1, 0
	v_cndmask_b32_e32 v8, -1, v8, vcc
	v_mov_b32_e32 v9, s2
	v_mov_b32_e32 v10, s3
	v_cmp_ne_u32_e32 vcc, 0, v8
	v_cndmask_b32_e32 v8, v9, v10, vcc
	v_cndmask_b32_e32 v4, v4, v5, vcc
	v_cmp_le_u32_e32 vcc, s74, v3
	s_cmp_eq_u32 s1, 0
	v_cndmask_b32_e64 v5, 0, -1, vcc
	s_cselect_b64 vcc, -1, 0
	v_cndmask_b32_e32 v5, -1, v5, vcc
	v_cmp_ne_u32_e32 vcc, 0, v5
	v_mov_b32_e32 v9, s1
	v_cndmask_b32_e32 v3, v3, v4, vcc
	v_cndmask_b32_e32 v5, v9, v8, vcc
	v_xor_b32_e32 v3, s0, v3
	v_xor_b32_e32 v5, s0, v5
	v_mov_b32_e32 v8, s0
	v_subrev_co_u32_e32 v4, vcc, s0, v3
	v_subb_co_u32_e32 v5, vcc, v5, v8, vcc
	s_cbranch_execnz .LBB28_46
.LBB28_45:                              ;   in Loop: Header=BB28_8 Depth=1
	v_cvt_f32_u32_e32 v3, s74
	s_sub_i32 s0, 0, s74
	v_rcp_iflag_f32_e32 v3, v3
	v_mul_f32_e32 v3, 0x4f7ffffe, v3
	v_cvt_u32_f32_e32 v3, v3
	v_mul_lo_u32 v4, s0, v3
	v_mul_hi_u32 v4, v3, v4
	v_add_u32_e32 v3, v3, v4
	v_mul_hi_u32 v3, s56, v3
	v_mul_lo_u32 v3, v3, s74
	v_sub_u32_e32 v3, s56, v3
	v_subrev_u32_e32 v4, s74, v3
	v_cmp_le_u32_e32 vcc, s74, v3
	v_cndmask_b32_e32 v3, v3, v4, vcc
	v_subrev_u32_e32 v4, s74, v3
	v_cmp_le_u32_e32 vcc, s74, v3
	v_cndmask_b32_e32 v18, v3, v4, vcc
	v_pk_mov_b32 v[4:5], v[18:19], v[18:19] op_sel:[0,1]
.LBB28_46:                              ;   in Loop: Header=BB28_8 Depth=1
	v_mov_b32_e32 v3, s57
	v_sub_co_u32_e32 v32, vcc, s56, v4
	v_subb_co_u32_e32 v33, vcc, v3, v5, vcc
	v_pk_mov_b32 v[8:9], 0, 0
	v_cmp_gt_i64_e32 vcc, v[32:33], v[20:21]
	s_mov_b64 s[8:9], 0
	v_pk_mov_b32 v[10:11], v[8:9], v[8:9] op_sel:[0,1]
	v_pk_mov_b32 v[12:13], v[8:9], v[8:9] op_sel:[0,1]
	;; [unrolled: 1-line block ×3, first 2 shown]
	s_and_saveexec_b64 s[0:1], vcc
	s_cbranch_execz .LBB28_50
; %bb.47:                               ;   in Loop: Header=BB28_8 Depth=1
	v_writelane_b32 v60, s66, 39
	v_writelane_b32 v60, s67, 40
	v_readlane_b32 s4, v60, 30
	v_readlane_b32 s5, v60, 31
	s_mul_i32 s2, s5, s61
	s_mul_hi_u32 s3, s4, s61
	s_mov_b64 s[66:67], s[64:65]
	s_mov_b64 s[64:65], s[54:55]
	;; [unrolled: 1-line block ×5, first 2 shown]
	s_mov_b32 s69, s47
	s_mov_b64 s[88:89], s[80:81]
	s_mov_b32 s68, s52
	s_and_b32 s80, s52, 0xfe
	s_add_i32 s81, s3, s2
	s_mul_i32 s79, s4, s61
	s_mov_b64 s[4:5], s[90:91]
	s_mov_b64 s[72:73], s[90:91]
	;; [unrolled: 1-line block ×6, first 2 shown]
	v_pk_mov_b32 v[34:35], v[20:21], v[20:21] op_sel:[0,1]
.LBB28_48:                              ;   Parent Loop BB28_8 Depth=1
                                        ; =>  This Inner Loop Header: Depth=2
	v_add_co_u32_e64 v34, s[6:7], s74, v34
	v_addc_co_u32_e64 v35, s[6:7], 0, v35, s[6:7]
	v_mov_b32_e32 v3, s73
	v_add_co_u32_e32 v8, vcc, s72, v28
	v_add_co_u32_e64 v10, s[12:13], s72, v26
	v_add_co_u32_e64 v12, s[14:15], s72, v24
	;; [unrolled: 1-line block ×3, first 2 shown]
	v_addc_co_u32_e64 v51, s[6:7], v3, v31, s[6:7]
	v_addc_co_u32_e32 v9, vcc, v3, v29, vcc
	v_addc_co_u32_e64 v11, vcc, v3, v27, s[12:13]
	v_addc_co_u32_e64 v13, vcc, v3, v25, s[14:15]
	global_load_dwordx2 v[50:51], v[50:51], off
	s_nop 0
	global_load_dwordx2 v[8:9], v[8:9], off
	s_nop 0
	;; [unrolled: 2-line block ×3, first 2 shown]
	global_load_dwordx2 v[12:13], v[12:13], off
	v_mov_b32_e32 v15, v19
	v_mov_b32_e32 v37, v19
	;; [unrolled: 1-line block ×3, first 2 shown]
	v_cmp_ge_i64_e32 vcc, v[34:35], v[32:33]
	s_waitcnt vmcnt(3)
	v_xor_b32_e32 v51, 0x80000000, v51
	s_waitcnt vmcnt(2)
	v_xor_b32_e32 v9, 0x80000000, v9
	v_and_b32_e32 v52, s84, v50
	v_and_b32_e32 v53, s85, v51
	v_lshrrev_b64 v[50:51], s80, v[50:51]
	s_waitcnt vmcnt(1)
	v_xor_b32_e32 v11, 0x80000000, v11
	v_and_b32_e32 v54, s84, v8
	v_and_b32_e32 v55, s85, v9
	v_lshrrev_b64 v[8:9], s80, v[8:9]
	v_and_b32_e32 v18, 3, v50
	s_waitcnt vmcnt(0)
	v_xor_b32_e32 v13, 0x80000000, v13
	v_and_b32_e32 v56, s84, v10
	v_and_b32_e32 v57, s85, v11
	v_lshrrev_b64 v[10:11], s80, v[10:11]
	v_cmp_eq_u64_e64 s[18:19], s[86:87], v[52:53]
	v_and_b32_e32 v14, 3, v8
	v_cmp_eq_u64_e64 s[6:7], 0, v[18:19]
	v_and_b32_e32 v58, s84, v12
	v_and_b32_e32 v59, s85, v13
	v_lshrrev_b64 v[12:13], s80, v[12:13]
	v_cmp_eq_u64_e64 s[16:17], s[86:87], v[54:55]
	v_and_b32_e32 v36, 3, v10
	v_cmp_eq_u64_e64 s[30:31], 0, v[14:15]
	s_and_b64 s[6:7], s[18:19], s[6:7]
	v_cmp_eq_u64_e64 s[14:15], s[86:87], v[56:57]
	v_and_b32_e32 v38, 3, v12
	v_cmp_eq_u64_e64 s[34:35], 0, v[36:37]
	v_cndmask_b32_e64 v3, 0, 1, s[6:7]
	s_and_b64 s[6:7], s[16:17], s[30:31]
	v_cmp_eq_u64_e64 s[12:13], s[86:87], v[58:59]
	v_cmp_eq_u64_e64 s[36:37], 0, v[38:39]
	v_cndmask_b32_e64 v8, 0, 1, s[6:7]
	s_and_b64 s[6:7], s[14:15], s[34:35]
	v_cndmask_b32_e64 v9, 0, 1, s[6:7]
	s_and_b64 s[6:7], s[12:13], s[36:37]
	v_cndmask_b32_e64 v10, 0, 1, s[6:7]
	v_cmp_ne_u32_e64 s[6:7], 0, v3
	v_cmp_ne_u32_e64 s[30:31], 0, v8
	;; [unrolled: 1-line block ×4, first 2 shown]
	s_bcnt1_i32_b64 s6, s[6:7]
	s_bcnt1_i32_b64 s7, s[30:31]
	;; [unrolled: 1-line block ×4, first 2 shown]
	s_add_u32 s6, s6, s76
	s_addc_u32 s34, 0, s77
	s_add_u32 s6, s6, s7
	s_addc_u32 s7, s34, 0
	;; [unrolled: 2-line block ×3, first 2 shown]
	v_cmp_eq_u64_e64 s[38:39], 1, v[18:19]
	s_add_u32 s76, s6, s31
	v_cmp_eq_u64_e64 s[40:41], 1, v[14:15]
	s_addc_u32 s77, s7, 0
	s_and_b64 s[6:7], s[18:19], s[38:39]
	v_cmp_eq_u64_e64 s[42:43], 1, v[36:37]
	v_cndmask_b32_e64 v3, 0, 1, s[6:7]
	s_and_b64 s[6:7], s[16:17], s[40:41]
	v_cmp_eq_u64_e64 s[44:45], 1, v[38:39]
	v_cndmask_b32_e64 v10, 0, 1, s[6:7]
	s_and_b64 s[6:7], s[14:15], s[42:43]
	v_cndmask_b32_e64 v11, 0, 1, s[6:7]
	s_and_b64 s[6:7], s[12:13], s[44:45]
	v_cndmask_b32_e64 v12, 0, 1, s[6:7]
	v_cmp_ne_u32_e64 s[6:7], 0, v3
	v_cmp_ne_u32_e64 s[30:31], 0, v10
	;; [unrolled: 1-line block ×4, first 2 shown]
	s_bcnt1_i32_b64 s6, s[6:7]
	s_bcnt1_i32_b64 s7, s[30:31]
	;; [unrolled: 1-line block ×4, first 2 shown]
	s_add_u32 s6, s6, s90
	s_addc_u32 s34, 0, s91
	s_add_u32 s6, s6, s7
	s_addc_u32 s7, s34, 0
	;; [unrolled: 2-line block ×3, first 2 shown]
	v_cmp_eq_u64_e64 s[46:47], 2, v[18:19]
	s_add_u32 s90, s6, s31
	v_cmp_eq_u64_e64 s[48:49], 2, v[14:15]
	s_addc_u32 s91, s7, 0
	s_and_b64 s[6:7], s[18:19], s[46:47]
	v_cmp_eq_u64_e64 s[50:51], 2, v[36:37]
	v_cndmask_b32_e64 v3, 0, 1, s[6:7]
	s_and_b64 s[6:7], s[16:17], s[48:49]
	v_cmp_eq_u64_e64 s[52:53], 2, v[38:39]
	v_cndmask_b32_e64 v12, 0, 1, s[6:7]
	s_and_b64 s[6:7], s[14:15], s[50:51]
	v_cndmask_b32_e64 v13, 0, 1, s[6:7]
	s_and_b64 s[6:7], s[12:13], s[52:53]
	v_cmp_eq_u64_e64 s[24:25], 3, v[14:15]
	v_cndmask_b32_e64 v14, 0, 1, s[6:7]
	v_cmp_ne_u32_e64 s[6:7], 0, v3
	v_cmp_ne_u32_e64 s[30:31], 0, v12
	;; [unrolled: 1-line block ×4, first 2 shown]
	s_bcnt1_i32_b64 s6, s[6:7]
	s_bcnt1_i32_b64 s7, s[30:31]
	s_bcnt1_i32_b64 s30, s[34:35]
	s_bcnt1_i32_b64 s31, s[36:37]
	s_add_u32 s6, s6, s28
	s_addc_u32 s28, 0, s29
	s_add_u32 s6, s6, s7
	s_addc_u32 s7, s28, 0
	;; [unrolled: 2-line block ×3, first 2 shown]
	v_cmp_eq_u64_e64 s[26:27], 3, v[18:19]
	s_add_u32 s28, s6, s31
	s_addc_u32 s29, s7, 0
	s_and_b64 s[6:7], s[18:19], s[26:27]
	v_cmp_eq_u64_e64 s[22:23], 3, v[36:37]
	v_cndmask_b32_e64 v3, 0, 1, s[6:7]
	s_and_b64 s[6:7], s[16:17], s[24:25]
	v_cmp_eq_u64_e64 s[20:21], 3, v[38:39]
	v_cndmask_b32_e64 v14, 0, 1, s[6:7]
	s_and_b64 s[6:7], s[14:15], s[22:23]
	v_cndmask_b32_e64 v15, 0, 1, s[6:7]
	s_and_b64 s[6:7], s[12:13], s[20:21]
	v_cndmask_b32_e64 v18, 0, 1, s[6:7]
	v_cmp_ne_u32_e64 s[6:7], 0, v3
	v_cmp_ne_u32_e64 s[12:13], 0, v14
	;; [unrolled: 1-line block ×4, first 2 shown]
	s_bcnt1_i32_b64 s6, s[6:7]
	s_bcnt1_i32_b64 s7, s[12:13]
	;; [unrolled: 1-line block ×4, first 2 shown]
	s_add_u32 s2, s6, s2
	s_addc_u32 s3, 0, s3
	s_add_u32 s2, s2, s7
	s_addc_u32 s3, s3, 0
	;; [unrolled: 2-line block ×5, first 2 shown]
	v_pk_mov_b32 v[8:9], s[76:77], s[76:77] op_sel:[0,1]
	v_pk_mov_b32 v[10:11], s[90:91], s[90:91] op_sel:[0,1]
	;; [unrolled: 1-line block ×3, first 2 shown]
	s_or_b64 s[8:9], vcc, s[8:9]
	v_pk_mov_b32 v[14:15], s[2:3], s[2:3] op_sel:[0,1]
	s_andn2_b64 exec, exec, s[8:9]
	s_cbranch_execnz .LBB28_48
; %bb.49:                               ;   in Loop: Header=BB28_8 Depth=1
	s_or_b64 exec, exec, s[8:9]
	s_mov_b64 s[90:91], s[4:5]
	v_readlane_b32 s4, v60, 32
	v_readlane_b32 s48, v60, 34
	;; [unrolled: 1-line block ×3, first 2 shown]
	s_mov_b64 s[72:73], s[10:11]
	s_mov_b64 s[10:11], s[54:55]
	;; [unrolled: 1-line block ×4, first 2 shown]
	v_readlane_b32 s66, v60, 39
	s_mov_b64 s[80:81], s[88:89]
	v_readlane_b32 s5, v60, 33
	v_readlane_b32 s49, v60, 35
	s_mov_b32 s47, s69
	v_readlane_b32 s51, v60, 37
	s_mov_b32 s52, s68
	s_mov_b64 s[68:69], s[94:95]
	v_readlane_b32 s67, v60, 40
	v_readlane_b32 s76, v60, 38
.LBB28_50:                              ;   in Loop: Header=BB28_8 Depth=1
	s_or_b64 exec, exec, s[0:1]
	v_add_co_u32_e32 v32, vcc, v32, v0
	v_addc_co_u32_e32 v33, vcc, 0, v33, vcc
	v_cmp_gt_i64_e32 vcc, s[56:57], v[32:33]
	v_pk_mov_b32 v[34:35], 0, 0
	s_and_saveexec_b64 s[0:1], vcc
	s_cbranch_execz .LBB28_52
; %bb.51:                               ;   in Loop: Header=BB28_8 Depth=1
	v_mul_lo_u32 v3, v33, s62
	v_mul_lo_u32 v18, v32, s63
	v_mad_u64_u32 v[34:35], s[2:3], v32, s62, 0
	v_add3_u32 v35, v35, v18, v3
	v_lshlrev_b64 v[34:35], 3, v[34:35]
	v_mov_b32_e32 v3, s91
	v_add_co_u32_e64 v34, s[6:7], s90, v34
	v_addc_co_u32_e64 v35, s[6:7], v3, v35, s[6:7]
	global_load_dwordx2 v[34:35], v[34:35], off
.LBB28_52:                              ;   in Loop: Header=BB28_8 Depth=1
	s_or_b64 exec, exec, s[0:1]
	s_and_saveexec_b64 s[0:1], vcc
	s_cbranch_execz .LBB28_59
; %bb.53:                               ;   in Loop: Header=BB28_8 Depth=1
	v_mov_b32_e32 v3, s75
	v_add_co_u32_e32 v18, vcc, s61, v46
	v_addc_co_u32_e32 v3, vcc, v47, v3, vcc
	v_sub_co_u32_e32 v18, vcc, v18, v4
	v_subb_co_u32_e32 v3, vcc, v3, v5, vcc
	v_readlane_b32 s6, v60, 28
	v_pk_mov_b32 v[4:5], s[90:91], s[90:91] op_sel:[0,1]
	v_readlane_b32 s7, v60, 29
	v_mad_u64_u32 v[4:5], s[2:3], s6, v18, v[4:5]
	v_mul_lo_u32 v3, s6, v3
	v_mul_lo_u32 v36, s7, v18
	s_mul_i32 s2, s7, s61
	s_mul_hi_u32 s3, s6, s61
	s_and_b32 s12, s52, 0xfe
	v_add3_u32 v5, v36, v5, v3
	s_add_i32 s13, s3, s2
	s_mul_i32 s14, s6, s61
	s_mov_b64 s[2:3], 0
	s_branch .LBB28_55
.LBB28_54:                              ;   in Loop: Header=BB28_55 Depth=2
	s_or_b64 exec, exec, s[8:9]
	s_waitcnt vmcnt(0)
	v_xor_b32_e32 v35, 0x80000000, v35
	v_and_b32_e32 v39, s85, v35
	v_and_b32_e32 v38, s84, v34
	v_lshrrev_b64 v[34:35], s12, v[34:35]
	s_and_b64 s[6:7], exec, vcc
	v_and_b32_e32 v18, 3, v34
	s_or_b64 s[2:3], s[6:7], s[2:3]
	v_cmp_eq_u64_e32 vcc, s[86:87], v[38:39]
	v_cmp_eq_u64_e64 s[6:7], 0, v[18:19]
	s_and_b64 s[6:7], vcc, s[6:7]
	v_cndmask_b32_e64 v3, 0, 1, s[6:7]
	v_cmp_ne_u32_e64 s[6:7], 0, v3
	s_bcnt1_i32_b64 s6, s[6:7]
	v_add_co_u32_e64 v8, s[6:7], s6, v8
	v_addc_co_u32_e64 v9, s[6:7], 0, v9, s[6:7]
	v_cmp_eq_u64_e64 s[6:7], 1, v[18:19]
	s_and_b64 s[6:7], vcc, s[6:7]
	v_cndmask_b32_e64 v3, 0, 1, s[6:7]
	v_cmp_ne_u32_e64 s[6:7], 0, v3
	s_bcnt1_i32_b64 s6, s[6:7]
	v_add_co_u32_e64 v10, s[6:7], s6, v10
	v_addc_co_u32_e64 v11, s[6:7], 0, v11, s[6:7]
	;; [unrolled: 7-line block ×3, first 2 shown]
	v_cmp_eq_u64_e64 s[6:7], 3, v[18:19]
	s_and_b64 s[6:7], vcc, s[6:7]
	v_cndmask_b32_e64 v3, 0, 1, s[6:7]
	v_cmp_ne_u32_e32 vcc, 0, v3
	s_bcnt1_i32_b64 s6, vcc
	v_add_co_u32_e32 v14, vcc, s6, v14
	v_addc_co_u32_e32 v15, vcc, 0, v15, vcc
	v_mov_b32_e32 v3, s13
	v_add_co_u32_e32 v4, vcc, s14, v4
	v_addc_co_u32_e32 v5, vcc, v5, v3, vcc
	v_pk_mov_b32 v[34:35], v[36:37], v[36:37] op_sel:[0,1]
	s_andn2_b64 exec, exec, s[2:3]
	s_cbranch_execz .LBB28_58
.LBB28_55:                              ;   Parent Loop BB28_8 Depth=1
                                        ; =>  This Inner Loop Header: Depth=2
	v_mov_b32_e32 v3, s75
	v_add_co_u32_e32 v32, vcc, s61, v32
	v_addc_co_u32_e32 v33, vcc, v33, v3, vcc
	v_cmp_gt_i64_e64 s[6:7], s[56:57], v[32:33]
	v_cmp_le_i64_e32 vcc, s[56:57], v[32:33]
	v_pk_mov_b32 v[36:37], 0, 0
	s_and_saveexec_b64 s[8:9], s[6:7]
	s_cbranch_execz .LBB28_54
; %bb.56:                               ;   in Loop: Header=BB28_55 Depth=2
	global_load_dwordx2 v[36:37], v[4:5], off
	s_branch .LBB28_54
.LBB28_57:                              ;   in Loop: Header=BB28_8 Depth=1
                                        ; implicit-def: $vgpr14_vgpr15
                                        ; implicit-def: $vgpr10_vgpr11
	s_cbranch_execnz .LBB28_60
	s_branch .LBB28_69
.LBB28_58:                              ;   in Loop: Header=BB28_8 Depth=1
	s_or_b64 exec, exec, s[2:3]
.LBB28_59:                              ;   in Loop: Header=BB28_8 Depth=1
	s_or_b64 exec, exec, s[0:1]
	s_branch .LBB28_69
.LBB28_60:                              ;   in Loop: Header=BB28_8 Depth=1
	global_load_ushort v3, v19, s[50:51]
	v_pk_mov_b32 v[8:9], 0, 0
	v_pk_mov_b32 v[10:11], v[8:9], v[8:9] op_sel:[0,1]
	v_pk_mov_b32 v[12:13], v[8:9], v[8:9] op_sel:[0,1]
	;; [unrolled: 1-line block ×3, first 2 shown]
	s_waitcnt vmcnt(0)
	v_readfirstlane_b32 s0, v3
	s_and_b32 s0, 0xffff, s0
	s_lshl_b32 s61, s0, 2
	v_cvt_f32_u32_e32 v4, s61
	s_sub_i32 s2, 0, s61
	s_mov_b64 s[0:1], 0
	v_and_b32_e32 v3, 0xffff, v3
	v_rcp_iflag_f32_e32 v4, v4
	v_mul_f32_e32 v4, 0x4f7ffffe, v4
	v_cvt_u32_f32_e32 v4, v4
	v_readfirstlane_b32 s3, v4
	s_mul_i32 s2, s2, s3
	s_mul_hi_u32 s2, s3, s2
	s_add_i32 s3, s3, s2
	s_mul_hi_u32 s2, s60, s3
	s_mul_i32 s2, s2, s61
	s_sub_i32 s2, s60, s2
	s_sub_i32 s3, s2, s61
	s_cmp_ge_u32 s2, s61
	s_cselect_b32 s2, s3, s2
	s_sub_i32 s3, s2, s61
	s_cmp_ge_u32 s2, s61
	s_cselect_b32 s2, s3, s2
	s_sub_i32 s74, s60, s2
	v_cmp_gt_u32_e32 vcc, s74, v20
	s_and_saveexec_b64 s[2:3], vcc
	s_cbranch_execz .LBB28_64
; %bb.61:                               ;   in Loop: Header=BB28_8 Depth=1
	s_mov_b64 s[94:95], s[66:67]
	s_mov_b64 s[66:67], s[64:65]
	s_mov_b64 s[64:65], s[54:55]
	s_mov_b64 s[54:55], s[10:11]
	s_mov_b64 s[10:11], s[72:73]
	s_mov_b64 s[88:89], s[68:69]
	s_mov_b32 s69, s47
	s_mov_b32 s68, s52
	s_and_b32 s79, s52, 0xfe
	v_lshlrev_b32_e32 v38, 5, v3
	v_mov_b32_e32 v39, v45
	s_mov_b64 s[8:9], 0
	s_mov_b64 s[28:29], 0
	;; [unrolled: 1-line block ×4, first 2 shown]
	v_pk_mov_b32 v[4:5], v[20:21], v[20:21] op_sel:[0,1]
.LBB28_62:                              ;   Parent Loop BB28_8 Depth=1
                                        ; =>  This Inner Loop Header: Depth=2
	ds_read_b128 v[12:15], v39
	ds_read_b128 v[8:11], v39 offset:16
	v_mov_b32_e32 v33, v19
	v_mov_b32_e32 v35, v19
	;; [unrolled: 1-line block ×3, first 2 shown]
	s_waitcnt lgkmcnt(1)
	v_xor_b32_e32 v13, 0x80000000, v13
	v_xor_b32_e32 v15, 0x80000000, v15
	v_and_b32_e32 v50, s84, v12
	v_and_b32_e32 v51, s85, v13
	v_lshrrev_b64 v[12:13], s79, v[12:13]
	s_waitcnt lgkmcnt(0)
	v_xor_b32_e32 v9, 0x80000000, v9
	v_and_b32_e32 v52, s84, v14
	v_and_b32_e32 v53, s85, v15
	v_lshrrev_b64 v[14:15], s79, v[14:15]
	v_and_b32_e32 v18, 3, v12
	v_xor_b32_e32 v11, 0x80000000, v11
	v_and_b32_e32 v54, s84, v8
	v_and_b32_e32 v55, s85, v9
	v_lshrrev_b64 v[8:9], s79, v[8:9]
	v_cmp_eq_u64_e64 s[18:19], s[86:87], v[50:51]
	v_and_b32_e32 v32, 3, v14
	v_cmp_eq_u64_e64 s[6:7], 0, v[18:19]
	v_and_b32_e32 v56, s84, v10
	v_and_b32_e32 v57, s85, v11
	v_lshrrev_b64 v[10:11], s79, v[10:11]
	v_cmp_eq_u64_e64 s[16:17], s[86:87], v[52:53]
	v_and_b32_e32 v34, 3, v8
	v_cmp_eq_u64_e64 s[30:31], 0, v[32:33]
	s_and_b64 s[6:7], s[18:19], s[6:7]
	v_cmp_eq_u64_e64 s[14:15], s[86:87], v[54:55]
	v_and_b32_e32 v36, 3, v10
	v_cmp_eq_u64_e64 s[34:35], 0, v[34:35]
	v_cndmask_b32_e64 v8, 0, 1, s[6:7]
	s_and_b64 s[6:7], s[16:17], s[30:31]
	v_cmp_eq_u64_e64 s[12:13], s[86:87], v[56:57]
	v_cmp_eq_u64_e64 s[36:37], 0, v[36:37]
	v_cndmask_b32_e64 v9, 0, 1, s[6:7]
	s_and_b64 s[6:7], s[14:15], s[34:35]
	v_cndmask_b32_e64 v10, 0, 1, s[6:7]
	s_and_b64 s[6:7], s[12:13], s[36:37]
	v_cndmask_b32_e64 v11, 0, 1, s[6:7]
	v_cmp_ne_u32_e64 s[6:7], 0, v8
	v_cmp_ne_u32_e64 s[30:31], 0, v9
	v_cmp_ne_u32_e64 s[34:35], 0, v10
	v_cmp_ne_u32_e64 s[36:37], 0, v11
	s_bcnt1_i32_b64 s6, s[6:7]
	s_bcnt1_i32_b64 s7, s[30:31]
	s_bcnt1_i32_b64 s30, s[34:35]
	s_bcnt1_i32_b64 s31, s[36:37]
	s_add_u32 s6, s6, s76
	s_addc_u32 s34, 0, s77
	s_add_u32 s6, s6, s7
	s_addc_u32 s7, s34, 0
	s_add_u32 s6, s6, s30
	s_addc_u32 s7, s7, 0
	v_cmp_eq_u64_e64 s[38:39], 1, v[18:19]
	s_add_u32 s76, s6, s31
	v_cmp_eq_u64_e64 s[40:41], 1, v[32:33]
	s_addc_u32 s77, s7, 0
	s_and_b64 s[6:7], s[18:19], s[38:39]
	v_cmp_eq_u64_e64 s[42:43], 1, v[34:35]
	v_cndmask_b32_e64 v10, 0, 1, s[6:7]
	s_and_b64 s[6:7], s[16:17], s[40:41]
	v_cmp_eq_u64_e64 s[44:45], 1, v[36:37]
	v_cndmask_b32_e64 v11, 0, 1, s[6:7]
	s_and_b64 s[6:7], s[14:15], s[42:43]
	v_cndmask_b32_e64 v12, 0, 1, s[6:7]
	s_and_b64 s[6:7], s[12:13], s[44:45]
	v_cndmask_b32_e64 v13, 0, 1, s[6:7]
	v_cmp_ne_u32_e64 s[6:7], 0, v10
	v_cmp_ne_u32_e64 s[30:31], 0, v11
	v_cmp_ne_u32_e64 s[34:35], 0, v12
	v_cmp_ne_u32_e64 s[36:37], 0, v13
	s_bcnt1_i32_b64 s6, s[6:7]
	s_bcnt1_i32_b64 s7, s[30:31]
	s_bcnt1_i32_b64 s30, s[34:35]
	s_bcnt1_i32_b64 s31, s[36:37]
	s_add_u32 s6, s6, s72
	s_addc_u32 s34, 0, s73
	s_add_u32 s6, s6, s7
	s_addc_u32 s7, s34, 0
	s_add_u32 s6, s6, s30
	s_addc_u32 s7, s7, 0
	v_cmp_eq_u64_e64 s[46:47], 2, v[18:19]
	s_add_u32 s72, s6, s31
	v_cmp_eq_u64_e64 s[48:49], 2, v[32:33]
	s_addc_u32 s73, s7, 0
	s_and_b64 s[6:7], s[18:19], s[46:47]
	v_cmp_eq_u64_e64 s[50:51], 2, v[34:35]
	v_cndmask_b32_e64 v12, 0, 1, s[6:7]
	s_and_b64 s[6:7], s[16:17], s[48:49]
	;; [unrolled: 28-line block ×3, first 2 shown]
	v_cmp_eq_u64_e64 s[20:21], 3, v[36:37]
	v_cndmask_b32_e64 v15, 0, 1, s[6:7]
	s_and_b64 s[6:7], s[14:15], s[22:23]
	v_cndmask_b32_e64 v18, 0, 1, s[6:7]
	s_and_b64 s[6:7], s[12:13], s[20:21]
	v_cndmask_b32_e64 v32, 0, 1, s[6:7]
	v_cmp_ne_u32_e64 s[6:7], 0, v14
	v_cmp_ne_u32_e64 s[12:13], 0, v15
	;; [unrolled: 1-line block ×4, first 2 shown]
	s_bcnt1_i32_b64 s6, s[6:7]
	s_bcnt1_i32_b64 s7, s[12:13]
	;; [unrolled: 1-line block ×4, first 2 shown]
	s_add_u32 s6, s6, s8
	s_addc_u32 s8, 0, s9
	s_add_u32 s6, s6, s7
	s_addc_u32 s7, s8, 0
	s_add_u32 s6, s6, s12
	v_add_co_u32_e32 v4, vcc, s61, v4
	s_addc_u32 s7, s7, 0
	v_addc_co_u32_e32 v5, vcc, 0, v5, vcc
	s_add_u32 s8, s6, s13
	v_cmp_le_u64_e32 vcc, s[74:75], v[4:5]
	s_addc_u32 s9, s7, 0
	v_add_u32_e32 v39, v39, v38
	v_pk_mov_b32 v[8:9], s[76:77], s[76:77] op_sel:[0,1]
	v_pk_mov_b32 v[10:11], s[72:73], s[72:73] op_sel:[0,1]
	;; [unrolled: 1-line block ×3, first 2 shown]
	s_or_b64 s[0:1], vcc, s[0:1]
	v_pk_mov_b32 v[14:15], s[8:9], s[8:9] op_sel:[0,1]
	s_andn2_b64 exec, exec, s[0:1]
	s_cbranch_execnz .LBB28_62
; %bb.63:                               ;   in Loop: Header=BB28_8 Depth=1
	s_or_b64 exec, exec, s[0:1]
	v_readlane_b32 s4, v60, 32
	v_readlane_b32 s48, v60, 34
	;; [unrolled: 1-line block ×5, first 2 shown]
	s_mov_b32 s47, s69
	v_readlane_b32 s51, v60, 37
	s_mov_b32 s52, s68
	s_mov_b64 s[68:69], s[88:89]
	s_mov_b64 s[72:73], s[10:11]
	s_mov_b64 s[10:11], s[54:55]
	s_mov_b64 s[54:55], s[64:65]
	s_mov_b64 s[64:65], s[66:67]
	s_mov_b64 s[66:67], s[94:95]
	v_readlane_b32 s76, v60, 38
.LBB28_64:                              ;   in Loop: Header=BB28_8 Depth=1
	s_or_b64 exec, exec, s[2:3]
	v_add_u32_e32 v18, s74, v0
	v_cmp_gt_u32_e32 vcc, s60, v18
	s_and_saveexec_b64 s[0:1], vcc
	s_cbranch_execz .LBB28_68
; %bb.65:                               ;   in Loop: Header=BB28_8 Depth=1
	s_and_b32 s74, s60, 0x7fffffff
	s_and_b32 s8, s52, 0xfe
	v_lshlrev_b32_e32 v32, 3, v18
	v_lshlrev_b32_e32 v33, 3, v3
	s_mov_b64 s[2:3], 0
	v_pk_mov_b32 v[4:5], v[18:19], v[18:19] op_sel:[0,1]
.LBB28_66:                              ;   Parent Loop BB28_8 Depth=1
                                        ; =>  This Inner Loop Header: Depth=2
	ds_read_b64 v[34:35], v32
	v_add_co_u32_e32 v4, vcc, v4, v3
	v_addc_co_u32_e32 v5, vcc, 0, v5, vcc
	s_waitcnt lgkmcnt(0)
	v_xor_b32_e32 v35, 0x80000000, v35
	v_and_b32_e32 v36, s84, v34
	v_and_b32_e32 v37, s85, v35
	v_lshrrev_b64 v[34:35], s8, v[34:35]
	v_and_b32_e32 v18, 3, v34
	v_cmp_eq_u64_e64 s[6:7], s[86:87], v[36:37]
	v_cmp_eq_u64_e64 s[12:13], 0, v[18:19]
	;; [unrolled: 1-line block ×3, first 2 shown]
	s_and_b64 s[12:13], s[6:7], s[12:13]
	v_cmp_eq_u64_e64 s[16:17], 2, v[18:19]
	v_cmp_eq_u64_e64 s[18:19], 3, v[18:19]
	v_cndmask_b32_e64 v18, 0, 1, s[12:13]
	s_and_b64 s[12:13], s[6:7], s[14:15]
	v_cndmask_b32_e64 v34, 0, 1, s[12:13]
	s_and_b64 s[12:13], s[6:7], s[16:17]
	s_and_b64 s[6:7], s[6:7], s[18:19]
	v_cndmask_b32_e64 v36, 0, 1, s[6:7]
	v_cmp_ne_u32_e64 s[6:7], 0, v18
	s_bcnt1_i32_b64 s6, s[6:7]
	v_cndmask_b32_e64 v35, 0, 1, s[12:13]
	v_cmp_ne_u32_e64 s[12:13], 0, v34
	v_add_co_u32_e64 v8, s[6:7], s6, v8
	s_bcnt1_i32_b64 s9, s[12:13]
	v_addc_co_u32_e64 v9, s[6:7], 0, v9, s[6:7]
	v_cmp_ne_u32_e64 s[14:15], 0, v35
	v_cmp_ne_u32_e64 s[16:17], 0, v36
	v_add_co_u32_e64 v10, s[6:7], s9, v10
	v_cmp_le_u64_e32 vcc, s[74:75], v[4:5]
	s_bcnt1_i32_b64 s12, s[14:15]
	s_bcnt1_i32_b64 s13, s[16:17]
	v_addc_co_u32_e64 v11, s[6:7], 0, v11, s[6:7]
	v_add_co_u32_e64 v12, s[6:7], s12, v12
	s_or_b64 s[2:3], vcc, s[2:3]
	v_add_co_u32_e32 v14, vcc, s13, v14
	v_add_u32_e32 v32, v32, v33
	v_addc_co_u32_e64 v13, s[6:7], 0, v13, s[6:7]
	v_addc_co_u32_e32 v15, vcc, 0, v15, vcc
	s_andn2_b64 exec, exec, s[2:3]
	s_cbranch_execnz .LBB28_66
; %bb.67:                               ;   in Loop: Header=BB28_8 Depth=1
	s_or_b64 exec, exec, s[2:3]
.LBB28_68:                              ;   in Loop: Header=BB28_8 Depth=1
	s_or_b64 exec, exec, s[0:1]
.LBB28_69:                              ;   in Loop: Header=BB28_8 Depth=1
	s_lshl_b32 s2, s83, 6
	s_and_saveexec_b64 s[0:1], s[4:5]
	s_cbranch_execz .LBB28_71
; %bb.70:                               ;   in Loop: Header=BB28_8 Depth=1
	v_or_b32_e32 v3, s2, v43
	v_lshlrev_b32_e32 v3, 3, v3
	ds_write_b128 v3, v[8:11] offset:3072
	ds_write_b128 v3, v[12:15] offset:3088
.LBB28_71:                              ;   in Loop: Header=BB28_8 Depth=1
	s_or_b64 exec, exec, s[0:1]
	s_waitcnt lgkmcnt(0)
	s_barrier
	s_and_saveexec_b64 s[0:1], s[48:49]
	s_cbranch_execz .LBB28_83
; %bb.72:                               ;   in Loop: Header=BB28_8 Depth=1
	v_readlane_b32 s6, v60, 18
	v_readlane_b32 s7, v60, 19
	s_andn2_b64 vcc, exec, s[6:7]
	s_waitcnt vmcnt(0)
	v_pk_mov_b32 v[4:5], 0, 0
	s_cbranch_vccnz .LBB28_82
; %bb.73:                               ;   in Loop: Header=BB28_8 Depth=1
	v_readlane_b32 s6, v60, 23
	v_readlane_b32 s7, v60, 24
	s_andn2_b64 vcc, exec, s[6:7]
	s_cbranch_vccnz .LBB28_78
; %bb.74:                               ;   in Loop: Header=BB28_8 Depth=1
	v_lshl_add_u32 v3, s83, 9, v48
	s_mov_b32 s3, 0
	v_pk_mov_b32 v[4:5], 0, 0
.LBB28_75:                              ;   Parent Loop BB28_8 Depth=1
                                        ; =>  This Inner Loop Header: Depth=2
	ds_read2_b64 v[8:11], v3 offset1:4
	ds_read2_b64 v[12:15], v3 offset0:8 offset1:12
	ds_read2_b64 v[32:35], v3 offset0:16 offset1:20
	;; [unrolled: 1-line block ×3, first 2 shown]
	s_add_i32 s3, s3, 8
	s_waitcnt lgkmcnt(3)
	v_add_co_u32_e32 v4, vcc, v8, v4
	v_addc_co_u32_e32 v5, vcc, v9, v5, vcc
	v_add_co_u32_e32 v4, vcc, v10, v4
	v_addc_co_u32_e32 v5, vcc, v11, v5, vcc
	s_waitcnt lgkmcnt(2)
	v_add_co_u32_e32 v4, vcc, v12, v4
	v_addc_co_u32_e32 v5, vcc, v13, v5, vcc
	v_add_co_u32_e32 v4, vcc, v14, v4
	v_addc_co_u32_e32 v5, vcc, v15, v5, vcc
	;; [unrolled: 5-line block ×3, first 2 shown]
	s_waitcnt lgkmcnt(0)
	v_add_co_u32_e32 v4, vcc, v36, v4
	v_addc_co_u32_e32 v5, vcc, v37, v5, vcc
	v_add_co_u32_e32 v4, vcc, v38, v4
	v_add_u32_e32 v3, 0x100, v3
	s_cmp_eq_u32 s76, s3
	v_addc_co_u32_e32 v5, vcc, v39, v5, vcc
	s_cbranch_scc0 .LBB28_75
; %bb.76:                               ;   in Loop: Header=BB28_8 Depth=1
	s_mov_b32 s3, s76
	s_branch .LBB28_79
.LBB28_77:                              ;   in Loop: Header=BB28_8 Depth=1
                                        ; implicit-def: $vgpr4_vgpr5
	s_branch .LBB28_45
.LBB28_78:                              ;   in Loop: Header=BB28_8 Depth=1
	s_mov_b32 s3, 0
	v_pk_mov_b32 v[4:5], 0, 0
.LBB28_79:                              ;   in Loop: Header=BB28_8 Depth=1
	v_readlane_b32 s6, v60, 26
	v_readlane_b32 s7, v60, 27
	s_andn2_b64 vcc, exec, s[6:7]
	s_cbranch_vccnz .LBB28_82
; %bb.80:                               ;   in Loop: Header=BB28_8 Depth=1
	s_lshl_b32 s6, s83, 9
	s_lshl_b32 s3, s3, 5
	s_add_i32 s6, s6, s3
	v_add_u32_e32 v3, s6, v48
	v_readlane_b32 s3, v60, 25
.LBB28_81:                              ;   Parent Loop BB28_8 Depth=1
                                        ; =>  This Inner Loop Header: Depth=2
	ds_read_b64 v[8:9], v3
	s_add_i32 s3, s3, -1
	v_add_u32_e32 v3, 32, v3
	s_cmp_lg_u32 s3, 0
	s_waitcnt lgkmcnt(0)
	v_add_co_u32_e32 v4, vcc, v8, v4
	v_addc_co_u32_e32 v5, vcc, v9, v5, vcc
	s_cbranch_scc1 .LBB28_81
.LBB28_82:                              ;   in Loop: Header=BB28_8 Depth=1
	v_add_lshl_u32 v3, s2, v40, 3
	ds_write_b64 v3, v[4:5] offset:3072
.LBB28_83:                              ;   in Loop: Header=BB28_8 Depth=1
	s_or_b64 exec, exec, s[0:1]
	s_lshl_b32 s0, s2, 3
	v_mov_b32_e32 v3, s0
	s_waitcnt lgkmcnt(0)
	s_barrier
	ds_read_b128 v[8:11], v3 offset:3072
	ds_read_b128 v[12:15], v3 offset:3088
	s_and_b32 s44, s52, 0xfe
	s_lshl_b64 s[12:13], 3, s44
	s_not_b64 s[20:21], s[12:13]
	s_waitcnt lgkmcnt(1)
	v_readfirstlane_b32 s17, v9
	v_readfirstlane_b32 s16, v8
	s_cmp_eq_u64 s[16:17], 1
	s_cselect_b64 s[0:1], -1, 0
	s_cmp_eq_u64 s[58:59], 1
	s_cselect_b64 s[2:3], -1, 0
	s_and_b64 s[24:25], s[0:1], s[2:3]
	v_readfirstlane_b32 s34, v10
	v_readfirstlane_b32 s35, v11
	s_waitcnt lgkmcnt(0)
	v_readfirstlane_b32 s18, v12
	v_readfirstlane_b32 s19, v13
	;; [unrolled: 1-line block ×4, first 2 shown]
	s_mov_b64 s[22:23], -1
	s_and_b64 vcc, exec, s[24:25]
	s_cbranch_vccz .LBB28_98
; %bb.84:                               ;   in Loop: Header=BB28_8 Depth=1
	s_waitcnt vmcnt(0)
	ds_read_b64 v[4:5], v19 offset:5120
	s_waitcnt lgkmcnt(0)
	s_barrier
	v_readfirstlane_b32 s14, v4
	v_readfirstlane_b32 s15, v5
	s_mov_b64 s[0:1], exec
	v_readlane_b32 s2, v60, 12
	v_readlane_b32 s3, v60, 13
	s_and_b64 s[2:3], s[0:1], s[2:3]
	s_mov_b64 exec, s[2:3]
	s_cbranch_execz .LBB28_86
; %bb.85:                               ;   in Loop: Header=BB28_8 Depth=1
	v_mov_b32_e32 v18, v19
	ds_write_b64 v42, v[18:19]
.LBB28_86:                              ;   in Loop: Header=BB28_8 Depth=1
	s_or_b64 exec, exec, s[0:1]
	v_cmp_lt_i64_e64 s[0:1], s[14:15], 1
	s_and_b64 s[86:87], s[86:87], s[20:21]
	s_or_b64 s[84:85], s[84:85], s[12:13]
	s_and_b64 vcc, exec, s[0:1]
	s_waitcnt lgkmcnt(0)
	s_barrier
	s_cbranch_vccz .LBB28_99
; %bb.87:                               ;   in Loop: Header=BB28_8 Depth=1
	s_mov_b32 s46, s75
	s_cmp_lg_u64 s[46:47], 0
	s_cbranch_scc0 .LBB28_144
; %bb.88:                               ;   in Loop: Header=BB28_8 Depth=1
	v_cvt_f32_u32_e32 v3, s33
	s_sub_u32 s0, 0, s33
	s_subb_u32 s1, 0, 0
	v_mac_f32_e32 v3, 0x4f800000, v49
	v_rcp_f32_e32 v3, v3
	v_mul_f32_e32 v3, 0x5f7ffffc, v3
	v_mul_f32_e32 v4, 0x2f800000, v3
	v_trunc_f32_e32 v4, v4
	v_mac_f32_e32 v3, 0xcf800000, v4
	v_cvt_u32_f32_e32 v4, v4
	v_cvt_u32_f32_e32 v3, v3
	v_readfirstlane_b32 s2, v4
	v_readfirstlane_b32 s3, v3
	s_mul_i32 s8, s0, s2
	s_mul_hi_u32 s26, s0, s3
	s_mul_i32 s9, s1, s3
	s_add_i32 s8, s26, s8
	s_mul_i32 s27, s0, s3
	s_add_i32 s8, s8, s9
	s_mul_hi_u32 s26, s3, s27
	s_mul_hi_u32 s9, s3, s8
	s_mul_i32 s3, s3, s8
	s_add_u32 s3, s26, s3
	s_addc_u32 s9, 0, s9
	s_mul_hi_u32 s28, s2, s27
	s_mul_i32 s27, s2, s27
	s_add_u32 s3, s3, s27
	s_mul_hi_u32 s26, s2, s8
	s_addc_u32 s3, s9, s28
	s_addc_u32 s9, s26, 0
	s_mul_i32 s8, s2, s8
	s_add_u32 s3, s3, s8
	s_addc_u32 s8, 0, s9
	v_add_co_u32_e32 v3, vcc, s3, v3
	s_cmp_lg_u64 vcc, 0
	s_addc_u32 s2, s2, s8
	v_readfirstlane_b32 s8, v3
	s_mul_i32 s3, s0, s2
	s_mul_hi_u32 s9, s0, s8
	s_add_i32 s3, s9, s3
	s_mul_i32 s1, s1, s8
	s_add_i32 s3, s3, s1
	s_mul_i32 s0, s0, s8
	s_mul_hi_u32 s9, s2, s0
	s_mul_i32 s26, s2, s0
	s_mul_i32 s28, s8, s3
	s_mul_hi_u32 s0, s8, s0
	s_mul_hi_u32 s27, s8, s3
	s_add_u32 s0, s0, s28
	s_addc_u32 s8, 0, s27
	s_add_u32 s0, s0, s26
	s_mul_hi_u32 s1, s2, s3
	s_addc_u32 s0, s8, s9
	s_addc_u32 s1, s1, 0
	s_mul_i32 s3, s2, s3
	s_add_u32 s0, s0, s3
	s_addc_u32 s1, 0, s1
	v_add_co_u32_e32 v3, vcc, s0, v3
	s_cmp_lg_u64 vcc, 0
	s_addc_u32 s8, s2, s1
	s_ashr_i32 s0, s47, 31
	v_readlane_b32 s2, v60, 21
	s_add_u32 s2, s2, s0
	s_mov_b32 s1, s0
	s_addc_u32 s3, s47, s0
	s_xor_b64 s[2:3], s[2:3], s[0:1]
	v_readfirstlane_b32 s26, v3
	s_mul_i32 s9, s2, s8
	s_mul_hi_u32 s27, s2, s26
	s_mul_hi_u32 s1, s2, s8
	s_add_u32 s9, s27, s9
	s_addc_u32 s1, 0, s1
	s_mul_hi_u32 s28, s3, s26
	s_mul_i32 s26, s3, s26
	s_add_u32 s9, s9, s26
	s_mul_hi_u32 s27, s3, s8
	s_addc_u32 s1, s1, s28
	s_addc_u32 s9, s27, 0
	s_mul_i32 s8, s3, s8
	s_add_u32 s1, s1, s8
	s_addc_u32 s8, 0, s9
	s_mul_hi_u32 s9, s33, s1
	s_mul_i32 s1, s33, s1
	s_mul_i32 s8, s33, s8
	v_mov_b32_e32 v3, s1
	s_add_i32 s9, s9, s8
	v_sub_co_u32_e32 v3, vcc, s2, v3
	s_cmp_lg_u64 vcc, 0
	s_subb_u32 s1, s3, s9
	v_subrev_co_u32_e32 v4, vcc, s33, v3
	s_cmp_lg_u64 vcc, 0
	s_subb_u32 s2, s1, 0
	v_subrev_co_u32_e32 v5, vcc, s33, v4
	s_cmp_lg_u64 vcc, 0
	s_subb_u32 s3, s2, 0
	v_cmp_le_u32_e32 vcc, s33, v4
	s_cmp_eq_u32 s2, 0
	v_cndmask_b32_e64 v6, 0, -1, vcc
	s_cselect_b64 vcc, -1, 0
	v_cndmask_b32_e32 v6, -1, v6, vcc
	v_mov_b32_e32 v7, s2
	v_mov_b32_e32 v8, s3
	v_cmp_ne_u32_e32 vcc, 0, v6
	v_cndmask_b32_e32 v6, v7, v8, vcc
	v_cndmask_b32_e32 v4, v4, v5, vcc
	v_cmp_le_u32_e32 vcc, s33, v3
	s_cmp_eq_u32 s1, 0
	v_cndmask_b32_e64 v5, 0, -1, vcc
	s_cselect_b64 vcc, -1, 0
	v_cndmask_b32_e32 v5, -1, v5, vcc
	v_cmp_ne_u32_e32 vcc, 0, v5
	v_mov_b32_e32 v7, s1
	v_cndmask_b32_e32 v3, v3, v4, vcc
	v_cndmask_b32_e32 v5, v7, v6, vcc
	v_xor_b32_e32 v3, s0, v3
	v_xor_b32_e32 v5, s0, v5
	v_mov_b32_e32 v6, s0
	v_subrev_co_u32_e32 v4, vcc, s0, v3
	v_subb_co_u32_e32 v5, vcc, v5, v6, vcc
	s_cbranch_execnz .LBB28_90
.LBB28_89:                              ;   in Loop: Header=BB28_8 Depth=1
	v_cvt_f32_u32_e32 v3, s33
	s_sub_i32 s0, 0, s33
	v_rcp_iflag_f32_e32 v3, v3
	v_mul_f32_e32 v3, 0x4f7ffffe, v3
	v_cvt_u32_f32_e32 v3, v3
	v_mul_lo_u32 v4, s0, v3
	v_mul_hi_u32 v4, v3, v4
	v_add_u32_e32 v3, v3, v4
	v_readlane_b32 s0, v60, 21
	v_mul_hi_u32 v3, s0, v3
	v_mul_lo_u32 v3, v3, s33
	v_sub_u32_e32 v3, s0, v3
	v_subrev_u32_e32 v4, s33, v3
	v_cmp_le_u32_e32 vcc, s33, v3
	v_cndmask_b32_e32 v3, v3, v4, vcc
	v_subrev_u32_e32 v4, s33, v3
	v_cmp_le_u32_e32 vcc, s33, v3
	v_cndmask_b32_e32 v18, v3, v4, vcc
	v_pk_mov_b32 v[4:5], v[18:19], v[18:19] op_sel:[0,1]
.LBB28_90:                              ;   in Loop: Header=BB28_8 Depth=1
	v_readlane_b32 s0, v60, 21
	v_mov_b32_e32 v3, s47
	v_sub_co_u32_e32 v8, vcc, s0, v4
	v_subb_co_u32_e32 v9, vcc, v3, v5, vcc
	v_cmp_gt_i64_e32 vcc, v[8:9], v[0:1]
	s_mov_b64 s[0:1], 0
                                        ; implicit-def: $vgpr6_vgpr7
	s_and_saveexec_b64 s[2:3], vcc
	s_cbranch_execz .LBB28_101
; %bb.91:                               ;   in Loop: Header=BB28_8 Depth=1
	s_mov_b64 s[8:9], 0
	v_pk_mov_b32 v[10:11], v[16:17], v[16:17] op_sel:[0,1]
	v_pk_mov_b32 v[12:13], v[0:1], v[0:1] op_sel:[0,1]
                                        ; implicit-def: $sgpr0_sgpr1
	s_branch .LBB28_93
.LBB28_92:                              ;   in Loop: Header=BB28_93 Depth=2
	s_or_b64 exec, exec, s[26:27]
	s_waitcnt lgkmcnt(0)
	s_barrier
	s_waitcnt vmcnt(0)
	ds_read_b128 v[4:7], v19 offset:3072
	v_mov_b32_e32 v3, s82
	v_add_co_u32_e32 v12, vcc, s33, v12
	v_addc_co_u32_e32 v13, vcc, v13, v3, vcc
	s_waitcnt lgkmcnt(0)
	v_readfirstlane_b32 s27, v5
	v_readfirstlane_b32 s26, v4
	s_cmp_lg_u64 s[26:27], 0
	s_cselect_b64 s[26:27], -1, 0
	v_cmp_ge_i64_e32 vcc, v[12:13], v[8:9]
	s_or_b64 s[28:29], s[26:27], vcc
	s_and_b64 s[28:29], exec, s[28:29]
	s_or_b64 s[8:9], s[28:29], s[8:9]
	v_mov_b32_e32 v3, s71
	v_add_co_u32_e32 v10, vcc, s70, v10
	s_andn2_b64 s[0:1], s[0:1], exec
	s_and_b64 s[26:27], s[26:27], exec
	v_addc_co_u32_e32 v11, vcc, v11, v3, vcc
	s_or_b64 s[0:1], s[0:1], s[26:27]
	s_barrier
	s_andn2_b64 exec, exec, s[8:9]
	s_cbranch_execz .LBB28_100
.LBB28_93:                              ;   Parent Loop BB28_8 Depth=1
                                        ; =>  This Inner Loop Header: Depth=2
	v_cmp_gt_i64_e32 vcc, s[56:57], v[12:13]
	v_pk_mov_b32 v[4:5], 0, 0
	s_and_saveexec_b64 s[26:27], vcc
	s_cbranch_execz .LBB28_95
; %bb.94:                               ;   in Loop: Header=BB28_93 Depth=2
	global_load_dwordx2 v[4:5], v[10:11], off
.LBB28_95:                              ;   in Loop: Header=BB28_93 Depth=2
	s_or_b64 exec, exec, s[26:27]
	s_and_saveexec_b64 s[26:27], vcc
	s_cbranch_execz .LBB28_92
; %bb.96:                               ;   in Loop: Header=BB28_93 Depth=2
	s_waitcnt vmcnt(0)
	v_xor_b32_e32 v3, 0x80000000, v5
	v_and_b32_e32 v7, s85, v3
	v_and_b32_e32 v6, s84, v4
	v_cmp_eq_u64_e32 vcc, s[86:87], v[6:7]
	s_and_b64 exec, exec, vcc
	s_cbranch_execz .LBB28_92
; %bb.97:                               ;   in Loop: Header=BB28_93 Depth=2
	v_mov_b32_e32 v3, v19
	ds_write_b128 v19, v[2:5] offset:3072
	s_branch .LBB28_92
.LBB28_98:                              ;   in Loop: Header=BB28_8 Depth=1
	s_mov_b64 s[0:1], -1
                                        ; implicit-def: $sgpr2_sgpr3
                                        ; implicit-def: $sgpr26_sgpr27
                                        ; implicit-def: $sgpr8_sgpr9
	s_branch .LBB28_115
.LBB28_99:                              ;   in Loop: Header=BB28_8 Depth=1
	s_mov_b64 s[2:3], -1
	s_mov_b64 s[0:1], 0
                                        ; implicit-def: $sgpr8_sgpr9
                                        ; implicit-def: $vgpr6_vgpr7
	s_mov_b64 s[26:27], s[2:3]
	s_cbranch_execnz .LBB28_102
	s_branch .LBB28_115
.LBB28_100:                             ;   in Loop: Header=BB28_8 Depth=1
	s_or_b64 exec, exec, s[8:9]
	s_and_b64 s[0:1], s[0:1], exec
.LBB28_101:                             ;   in Loop: Header=BB28_8 Depth=1
	s_or_b64 exec, exec, s[2:3]
	s_mov_b64 s[8:9], -1
	s_mov_b64 s[2:3], 0
	s_mov_b64 s[26:27], s[2:3]
	s_branch .LBB28_115
.LBB28_102:                             ;   in Loop: Header=BB28_8 Depth=1
	v_readlane_b32 s0, v60, 20
	s_add_u32 s8, s0, s14
	v_readlane_b32 s0, v60, 22
	s_addc_u32 s1, s0, s15
	s_mov_b32 s0, s75
	s_cmp_lg_u64 s[0:1], 0
	s_cbranch_scc0 .LBB28_145
; %bb.103:                              ;   in Loop: Header=BB28_8 Depth=1
	v_cvt_f32_u32_e32 v3, s33
	s_sub_u32 s0, 0, s33
	s_subb_u32 s2, 0, 0
	v_mac_f32_e32 v3, 0x4f800000, v49
	v_rcp_f32_e32 v3, v3
	v_mul_f32_e32 v3, 0x5f7ffffc, v3
	v_mul_f32_e32 v4, 0x2f800000, v3
	v_trunc_f32_e32 v4, v4
	v_mac_f32_e32 v3, 0xcf800000, v4
	v_cvt_u32_f32_e32 v4, v4
	v_cvt_u32_f32_e32 v3, v3
	v_readfirstlane_b32 s3, v4
	v_readfirstlane_b32 s9, v3
	s_mul_i32 s26, s0, s3
	s_mul_hi_u32 s28, s0, s9
	s_mul_i32 s27, s2, s9
	s_add_i32 s26, s28, s26
	s_mul_i32 s29, s0, s9
	s_add_i32 s26, s26, s27
	s_mul_hi_u32 s28, s9, s29
	s_mul_hi_u32 s27, s9, s26
	s_mul_i32 s9, s9, s26
	s_add_u32 s9, s28, s9
	s_addc_u32 s27, 0, s27
	s_mul_hi_u32 s30, s3, s29
	s_mul_i32 s29, s3, s29
	s_add_u32 s9, s9, s29
	s_mul_hi_u32 s28, s3, s26
	s_addc_u32 s9, s27, s30
	s_addc_u32 s27, s28, 0
	s_mul_i32 s26, s3, s26
	s_add_u32 s9, s9, s26
	s_addc_u32 s26, 0, s27
	v_add_co_u32_e32 v3, vcc, s9, v3
	s_cmp_lg_u64 vcc, 0
	s_addc_u32 s3, s3, s26
	v_readfirstlane_b32 s26, v3
	s_mul_i32 s9, s0, s3
	s_mul_hi_u32 s27, s0, s26
	s_add_i32 s9, s27, s9
	s_mul_i32 s2, s2, s26
	s_add_i32 s9, s9, s2
	s_mul_i32 s0, s0, s26
	s_mul_hi_u32 s27, s3, s0
	s_mul_i32 s28, s3, s0
	s_mul_i32 s30, s26, s9
	s_mul_hi_u32 s0, s26, s0
	s_mul_hi_u32 s29, s26, s9
	s_add_u32 s0, s0, s30
	s_addc_u32 s26, 0, s29
	s_add_u32 s0, s0, s28
	s_mul_hi_u32 s2, s3, s9
	s_addc_u32 s0, s26, s27
	s_addc_u32 s2, s2, 0
	s_mul_i32 s9, s3, s9
	s_add_u32 s0, s0, s9
	s_addc_u32 s2, 0, s2
	v_add_co_u32_e32 v3, vcc, s0, v3
	s_cmp_lg_u64 vcc, 0
	s_addc_u32 s0, s3, s2
	s_ashr_i32 s2, s1, 31
	s_add_u32 s26, s8, s2
	s_mov_b32 s3, s2
	s_addc_u32 s27, s1, s2
	s_xor_b64 s[26:27], s[26:27], s[2:3]
	v_readfirstlane_b32 s28, v3
	s_mul_i32 s9, s26, s0
	s_mul_hi_u32 s29, s26, s28
	s_mul_hi_u32 s3, s26, s0
	s_add_u32 s9, s29, s9
	s_addc_u32 s3, 0, s3
	s_mul_hi_u32 s30, s27, s28
	s_mul_i32 s28, s27, s28
	s_add_u32 s9, s9, s28
	s_mul_hi_u32 s29, s27, s0
	s_addc_u32 s3, s3, s30
	s_addc_u32 s9, s29, 0
	s_mul_i32 s0, s27, s0
	s_add_u32 s0, s3, s0
	s_addc_u32 s3, 0, s9
	s_mul_hi_u32 s9, s33, s0
	s_mul_i32 s0, s33, s0
	s_mul_i32 s3, s33, s3
	v_mov_b32_e32 v3, s0
	s_add_i32 s9, s9, s3
	v_sub_co_u32_e32 v3, vcc, s26, v3
	s_cmp_lg_u64 vcc, 0
	s_subb_u32 s0, s27, s9
	v_subrev_co_u32_e32 v4, vcc, s33, v3
	s_cmp_lg_u64 vcc, 0
	s_subb_u32 s3, s0, 0
	v_subrev_co_u32_e32 v5, vcc, s33, v4
	s_cmp_lg_u64 vcc, 0
	s_subb_u32 s9, s3, 0
	v_cmp_le_u32_e32 vcc, s33, v4
	s_cmp_eq_u32 s3, 0
	v_cndmask_b32_e64 v6, 0, -1, vcc
	s_cselect_b64 vcc, -1, 0
	v_cndmask_b32_e32 v6, -1, v6, vcc
	v_mov_b32_e32 v7, s3
	v_mov_b32_e32 v8, s9
	v_cmp_ne_u32_e32 vcc, 0, v6
	v_cndmask_b32_e32 v6, v7, v8, vcc
	v_cndmask_b32_e32 v4, v4, v5, vcc
	v_cmp_le_u32_e32 vcc, s33, v3
	s_cmp_eq_u32 s0, 0
	v_cndmask_b32_e64 v5, 0, -1, vcc
	s_cselect_b64 vcc, -1, 0
	v_cndmask_b32_e32 v5, -1, v5, vcc
	v_cmp_ne_u32_e32 vcc, 0, v5
	v_mov_b32_e32 v7, s0
	v_cndmask_b32_e32 v3, v3, v4, vcc
	v_cndmask_b32_e32 v5, v7, v6, vcc
	v_xor_b32_e32 v3, s2, v3
	v_xor_b32_e32 v5, s2, v5
	v_mov_b32_e32 v6, s2
	v_subrev_co_u32_e32 v4, vcc, s2, v3
	v_subb_co_u32_e32 v5, vcc, v5, v6, vcc
	s_cbranch_execnz .LBB28_105
.LBB28_104:                             ;   in Loop: Header=BB28_8 Depth=1
	v_cvt_f32_u32_e32 v3, s33
	s_sub_i32 s0, 0, s33
	v_rcp_iflag_f32_e32 v3, v3
	v_mul_f32_e32 v3, 0x4f7ffffe, v3
	v_cvt_u32_f32_e32 v3, v3
	v_mul_lo_u32 v4, s0, v3
	v_mul_hi_u32 v4, v3, v4
	v_add_u32_e32 v3, v3, v4
	v_mul_hi_u32 v3, s8, v3
	v_mul_lo_u32 v3, v3, s33
	v_sub_u32_e32 v3, s8, v3
	v_subrev_u32_e32 v4, s33, v3
	v_cmp_le_u32_e32 vcc, s33, v3
	v_cndmask_b32_e32 v3, v3, v4, vcc
	v_subrev_u32_e32 v4, s33, v3
	v_cmp_le_u32_e32 vcc, s33, v3
	v_cndmask_b32_e32 v18, v3, v4, vcc
	v_pk_mov_b32 v[4:5], v[18:19], v[18:19] op_sel:[0,1]
.LBB28_105:                             ;   in Loop: Header=BB28_8 Depth=1
	v_mov_b32_e32 v3, s1
	v_sub_co_u32_e32 v8, vcc, s8, v4
	v_subb_co_u32_e32 v9, vcc, v3, v5, vcc
	v_cmp_gt_i64_e32 vcc, v[8:9], v[0:1]
	s_mov_b64 s[0:1], 0
                                        ; implicit-def: $vgpr6_vgpr7
	s_and_saveexec_b64 s[2:3], vcc
	s_cbranch_execz .LBB28_114
; %bb.106:                              ;   in Loop: Header=BB28_8 Depth=1
	s_mov_b64 s[8:9], 0
	v_mov_b32_e32 v12, v41
	v_pk_mov_b32 v[10:11], v[0:1], v[0:1] op_sel:[0,1]
                                        ; implicit-def: $sgpr0_sgpr1
	s_branch .LBB28_108
.LBB28_107:                             ;   in Loop: Header=BB28_108 Depth=2
	s_or_b64 exec, exec, s[26:27]
	s_waitcnt lgkmcnt(0)
	s_barrier
	ds_read_b128 v[4:7], v19 offset:3072
	v_mov_b32_e32 v3, s82
	v_add_co_u32_e32 v10, vcc, s33, v10
	v_addc_co_u32_e32 v11, vcc, v11, v3, vcc
	s_waitcnt lgkmcnt(0)
	v_readfirstlane_b32 s27, v5
	v_readfirstlane_b32 s26, v4
	s_cmp_lg_u64 s[26:27], 0
	s_cselect_b64 s[26:27], -1, 0
	v_cmp_ge_i64_e32 vcc, v[10:11], v[8:9]
	s_or_b64 s[28:29], s[26:27], vcc
	s_and_b64 s[28:29], exec, s[28:29]
	s_or_b64 s[8:9], s[28:29], s[8:9]
	s_andn2_b64 s[0:1], s[0:1], exec
	s_and_b64 s[26:27], s[26:27], exec
	v_add_u32_e32 v12, s78, v12
	s_or_b64 s[0:1], s[0:1], s[26:27]
	s_barrier
	s_andn2_b64 exec, exec, s[8:9]
	s_cbranch_execz .LBB28_113
.LBB28_108:                             ;   Parent Loop BB28_8 Depth=1
                                        ; =>  This Inner Loop Header: Depth=2
	v_cmp_gt_i64_e32 vcc, s[14:15], v[10:11]
	v_pk_mov_b32 v[4:5], 0, 0
	s_and_saveexec_b64 s[26:27], vcc
	s_cbranch_execz .LBB28_110
; %bb.109:                              ;   in Loop: Header=BB28_108 Depth=2
	ds_read_b64 v[4:5], v12
.LBB28_110:                             ;   in Loop: Header=BB28_108 Depth=2
	s_or_b64 exec, exec, s[26:27]
	s_and_saveexec_b64 s[26:27], vcc
	s_cbranch_execz .LBB28_107
; %bb.111:                              ;   in Loop: Header=BB28_108 Depth=2
	s_waitcnt lgkmcnt(0)
	v_xor_b32_e32 v3, 0x80000000, v5
	v_and_b32_e32 v7, s85, v3
	v_and_b32_e32 v6, s84, v4
	v_cmp_eq_u64_e32 vcc, s[86:87], v[6:7]
	s_and_b64 exec, exec, vcc
	s_cbranch_execz .LBB28_107
; %bb.112:                              ;   in Loop: Header=BB28_108 Depth=2
	v_mov_b32_e32 v3, v19
	ds_write_b128 v19, v[2:5] offset:3072
	s_branch .LBB28_107
.LBB28_113:                             ;   in Loop: Header=BB28_8 Depth=1
	s_or_b64 exec, exec, s[8:9]
	s_and_b64 s[0:1], s[0:1], exec
.LBB28_114:                             ;   in Loop: Header=BB28_8 Depth=1
	s_or_b64 exec, exec, s[2:3]
	s_mov_b64 s[26:27], -1
	s_mov_b64 s[2:3], 0
	s_mov_b64 s[8:9], 0
.LBB28_115:                             ;   in Loop: Header=BB28_8 Depth=1
	s_andn2_b64 s[10:11], s[10:11], exec
	s_and_b64 s[2:3], s[2:3], exec
	s_or_b64 s[10:11], s[10:11], s[2:3]
	s_andn2_b64 s[2:3], s[72:73], exec
	s_and_b64 s[14:15], s[26:27], exec
	s_or_b64 s[72:73], s[2:3], s[14:15]
	;; [unrolled: 3-line block ×3, first 2 shown]
	s_and_saveexec_b64 s[14:15], s[0:1]
	s_cbranch_execz .LBB28_7
; %bb.116:                              ;   in Loop: Header=BB28_8 Depth=1
	s_xor_b64 s[0:1], s[24:25], -1
	s_andn2_b64 vcc, exec, s[0:1]
	s_mov_b32 s46, 1
	s_cbranch_vccnz .LBB28_127
; %bb.117:                              ;   in Loop: Header=BB28_8 Depth=1
	s_waitcnt vmcnt(0)
	v_pk_mov_b32 v[4:5], s[16:17], s[16:17] op_sel:[0,1]
	v_cmp_gt_i64_e32 vcc, s[58:59], v[4:5]
	s_mov_b64 s[0:1], -1
                                        ; implicit-def: $sgpr46
                                        ; implicit-def: $sgpr2_sgpr3
                                        ; implicit-def: $sgpr8_sgpr9
	s_cbranch_vccnz .LBB28_123
; %bb.118:                              ;   in Loop: Header=BB28_8 Depth=1
	ds_read_b64 v[4:5], v19 offset:5120
	s_waitcnt lgkmcnt(0)
	v_cmp_ne_u64_e32 vcc, 0, v[4:5]
	s_cbranch_vccnz .LBB28_122
; %bb.119:                              ;   in Loop: Header=BB28_8 Depth=1
	s_mov_b64 s[0:1], exec
	v_readlane_b32 s2, v60, 8
	v_readlane_b32 s3, v60, 9
	s_and_b64 s[2:3], s[0:1], s[2:3]
	s_mov_b64 exec, s[2:3]
	s_cbranch_execz .LBB28_121
; %bb.120:                              ;   in Loop: Header=BB28_8 Depth=1
	v_pk_mov_b32 v[4:5], s[16:17], s[16:17] op_sel:[0,1]
	ds_write_b64 v19, v[4:5] offset:5128
.LBB28_121:                             ;   in Loop: Header=BB28_8 Depth=1
	s_or_b64 exec, exec, s[0:1]
	s_waitcnt lgkmcnt(0)
	s_barrier
.LBB28_122:                             ;   in Loop: Header=BB28_8 Depth=1
	s_and_b64 s[2:3], s[86:87], s[20:21]
	s_or_b64 s[8:9], s[84:85], s[12:13]
	s_mov_b64 s[0:1], 0
	s_mov_b32 s46, 8
.LBB28_123:                             ;   in Loop: Header=BB28_8 Depth=1
	s_andn2_b64 vcc, exec, s[0:1]
	s_cbranch_vccnz .LBB28_125
; %bb.124:                              ;   in Loop: Header=BB28_8 Depth=1
	s_sub_u32 s58, s58, s16
	s_subb_u32 s59, s59, s17
	s_mov_b64 s[0:1], -1
	s_mov_b32 s46, 0
	s_mov_b64 s[2:3], s[86:87]
	s_mov_b64 s[8:9], s[84:85]
.LBB28_125:                             ;   in Loop: Header=BB28_8 Depth=1
	s_mov_b64 s[84:85], s[8:9]
	s_mov_b64 s[86:87], s[2:3]
	s_mov_b64 s[16:17], -1
	s_and_b64 vcc, exec, s[0:1]
	s_cbranch_vccnz .LBB28_128
.LBB28_126:                             ;   in Loop: Header=BB28_8 Depth=1
	s_mov_b64 s[2:3], -1
                                        ; implicit-def: $sgpr22_sgpr23
                                        ; implicit-def: $sgpr26_sgpr27
                                        ; implicit-def: $sgpr24_sgpr25
	s_and_saveexec_b64 s[0:1], s[2:3]
	s_xor_b64 s[0:1], exec, s[0:1]
	s_cbranch_execz .LBB28_6
	s_branch .LBB28_274
.LBB28_127:                             ;   in Loop: Header=BB28_8 Depth=1
	s_mov_b64 s[58:59], 1
	s_mov_b64 s[16:17], -1
	s_branch .LBB28_126
.LBB28_128:                             ;   in Loop: Header=BB28_8 Depth=1
	s_cmp_eq_u64 s[34:35], 1
	s_cselect_b64 s[0:1], -1, 0
	s_cmp_eq_u64 s[58:59], 1
	s_cselect_b64 s[2:3], -1, 0
	s_and_b64 s[36:37], s[0:1], s[2:3]
	s_mov_b64 s[0:1], -1
	s_and_b64 vcc, exec, s[36:37]
	s_cbranch_vccz .LBB28_143
; %bb.129:                              ;   in Loop: Header=BB28_8 Depth=1
	s_waitcnt vmcnt(0)
	ds_read_b64 v[4:5], v19 offset:5120
	s_waitcnt lgkmcnt(0)
	s_barrier
	v_readfirstlane_b32 s30, v4
	v_readfirstlane_b32 s31, v5
	s_mov_b64 s[0:1], exec
	v_readlane_b32 s2, v60, 12
	v_readlane_b32 s3, v60, 13
	s_and_b64 s[2:3], s[0:1], s[2:3]
	s_mov_b64 exec, s[2:3]
	s_cbranch_execz .LBB28_131
; %bb.130:                              ;   in Loop: Header=BB28_8 Depth=1
	v_mov_b32_e32 v18, v19
	ds_write_b64 v42, v[18:19]
.LBB28_131:                             ;   in Loop: Header=BB28_8 Depth=1
	s_or_b64 exec, exec, s[0:1]
	s_lshl_b64 s[0:1], 1, s44
	s_and_b64 s[2:3], s[86:87], s[20:21]
	s_or_b64 s[86:87], s[2:3], s[0:1]
	v_cmp_gt_i64_e64 s[0:1], s[30:31], 0
	s_or_b64 s[84:85], s[84:85], s[12:13]
	s_and_b64 vcc, exec, s[0:1]
	s_waitcnt lgkmcnt(0)
	s_barrier
	s_cbranch_vccnz .LBB28_146
; %bb.132:                              ;   in Loop: Header=BB28_8 Depth=1
	s_mov_b32 s46, s75
	s_cmp_lg_u64 s[46:47], 0
	s_cbranch_scc0 .LBB28_191
; %bb.133:                              ;   in Loop: Header=BB28_8 Depth=1
	v_cvt_f32_u32_e32 v3, s33
	s_sub_u32 s0, 0, s33
	s_subb_u32 s1, 0, 0
	v_mac_f32_e32 v3, 0x4f800000, v49
	v_rcp_f32_e32 v3, v3
	v_mul_f32_e32 v3, 0x5f7ffffc, v3
	v_mul_f32_e32 v4, 0x2f800000, v3
	v_trunc_f32_e32 v4, v4
	v_mac_f32_e32 v3, 0xcf800000, v4
	v_cvt_u32_f32_e32 v4, v4
	v_cvt_u32_f32_e32 v3, v3
	v_readfirstlane_b32 s2, v4
	v_readfirstlane_b32 s3, v3
	s_mul_i32 s8, s0, s2
	s_mul_hi_u32 s22, s0, s3
	s_mul_i32 s9, s1, s3
	s_add_i32 s8, s22, s8
	s_mul_i32 s23, s0, s3
	s_add_i32 s8, s8, s9
	s_mul_hi_u32 s22, s3, s23
	s_mul_hi_u32 s9, s3, s8
	s_mul_i32 s3, s3, s8
	s_add_u32 s3, s22, s3
	s_addc_u32 s9, 0, s9
	s_mul_hi_u32 s24, s2, s23
	s_mul_i32 s23, s2, s23
	s_add_u32 s3, s3, s23
	s_mul_hi_u32 s22, s2, s8
	s_addc_u32 s3, s9, s24
	s_addc_u32 s9, s22, 0
	s_mul_i32 s8, s2, s8
	s_add_u32 s3, s3, s8
	s_addc_u32 s8, 0, s9
	v_add_co_u32_e32 v3, vcc, s3, v3
	s_cmp_lg_u64 vcc, 0
	s_addc_u32 s2, s2, s8
	v_readfirstlane_b32 s8, v3
	s_mul_i32 s3, s0, s2
	s_mul_hi_u32 s9, s0, s8
	s_add_i32 s3, s9, s3
	s_mul_i32 s1, s1, s8
	s_add_i32 s3, s3, s1
	s_mul_i32 s0, s0, s8
	s_mul_hi_u32 s9, s2, s0
	s_mul_i32 s22, s2, s0
	s_mul_i32 s24, s8, s3
	s_mul_hi_u32 s0, s8, s0
	s_mul_hi_u32 s23, s8, s3
	s_add_u32 s0, s0, s24
	s_addc_u32 s8, 0, s23
	s_add_u32 s0, s0, s22
	s_mul_hi_u32 s1, s2, s3
	s_addc_u32 s0, s8, s9
	s_addc_u32 s1, s1, 0
	s_mul_i32 s3, s2, s3
	s_add_u32 s0, s0, s3
	s_addc_u32 s1, 0, s1
	v_add_co_u32_e32 v3, vcc, s0, v3
	s_cmp_lg_u64 vcc, 0
	s_addc_u32 s8, s2, s1
	s_ashr_i32 s0, s47, 31
	v_readlane_b32 s2, v60, 21
	s_add_u32 s2, s2, s0
	s_mov_b32 s1, s0
	s_addc_u32 s3, s47, s0
	s_xor_b64 s[2:3], s[2:3], s[0:1]
	v_readfirstlane_b32 s22, v3
	s_mul_i32 s9, s2, s8
	s_mul_hi_u32 s23, s2, s22
	s_mul_hi_u32 s1, s2, s8
	s_add_u32 s9, s23, s9
	s_addc_u32 s1, 0, s1
	s_mul_hi_u32 s24, s3, s22
	s_mul_i32 s22, s3, s22
	s_add_u32 s9, s9, s22
	s_mul_hi_u32 s23, s3, s8
	s_addc_u32 s1, s1, s24
	s_addc_u32 s9, s23, 0
	s_mul_i32 s8, s3, s8
	s_add_u32 s1, s1, s8
	s_addc_u32 s8, 0, s9
	s_mul_hi_u32 s9, s33, s1
	s_mul_i32 s1, s33, s1
	s_mul_i32 s8, s33, s8
	v_mov_b32_e32 v3, s1
	s_add_i32 s9, s9, s8
	v_sub_co_u32_e32 v3, vcc, s2, v3
	s_cmp_lg_u64 vcc, 0
	s_subb_u32 s1, s3, s9
	v_subrev_co_u32_e32 v4, vcc, s33, v3
	s_cmp_lg_u64 vcc, 0
	s_subb_u32 s2, s1, 0
	v_subrev_co_u32_e32 v5, vcc, s33, v4
	s_cmp_lg_u64 vcc, 0
	s_subb_u32 s3, s2, 0
	v_cmp_le_u32_e32 vcc, s33, v4
	s_cmp_eq_u32 s2, 0
	v_cndmask_b32_e64 v6, 0, -1, vcc
	s_cselect_b64 vcc, -1, 0
	v_cndmask_b32_e32 v6, -1, v6, vcc
	v_mov_b32_e32 v7, s2
	v_mov_b32_e32 v8, s3
	v_cmp_ne_u32_e32 vcc, 0, v6
	v_cndmask_b32_e32 v6, v7, v8, vcc
	v_cndmask_b32_e32 v4, v4, v5, vcc
	v_cmp_le_u32_e32 vcc, s33, v3
	s_cmp_eq_u32 s1, 0
	v_cndmask_b32_e64 v5, 0, -1, vcc
	s_cselect_b64 vcc, -1, 0
	v_cndmask_b32_e32 v5, -1, v5, vcc
	v_cmp_ne_u32_e32 vcc, 0, v5
	v_mov_b32_e32 v7, s1
	v_cndmask_b32_e32 v3, v3, v4, vcc
	v_cndmask_b32_e32 v5, v7, v6, vcc
	v_xor_b32_e32 v3, s0, v3
	v_xor_b32_e32 v5, s0, v5
	v_mov_b32_e32 v6, s0
	v_subrev_co_u32_e32 v4, vcc, s0, v3
	v_subb_co_u32_e32 v5, vcc, v5, v6, vcc
	s_cbranch_execnz .LBB28_135
.LBB28_134:                             ;   in Loop: Header=BB28_8 Depth=1
	v_cvt_f32_u32_e32 v3, s33
	s_sub_i32 s0, 0, s33
	v_rcp_iflag_f32_e32 v3, v3
	v_mul_f32_e32 v3, 0x4f7ffffe, v3
	v_cvt_u32_f32_e32 v3, v3
	v_mul_lo_u32 v4, s0, v3
	v_mul_hi_u32 v4, v3, v4
	v_add_u32_e32 v3, v3, v4
	v_readlane_b32 s0, v60, 21
	v_mul_hi_u32 v3, s0, v3
	v_mul_lo_u32 v3, v3, s33
	v_sub_u32_e32 v3, s0, v3
	v_subrev_u32_e32 v4, s33, v3
	v_cmp_le_u32_e32 vcc, s33, v3
	v_cndmask_b32_e32 v3, v3, v4, vcc
	v_subrev_u32_e32 v4, s33, v3
	v_cmp_le_u32_e32 vcc, s33, v3
	v_cndmask_b32_e32 v18, v3, v4, vcc
	v_pk_mov_b32 v[4:5], v[18:19], v[18:19] op_sel:[0,1]
.LBB28_135:                             ;   in Loop: Header=BB28_8 Depth=1
	v_readlane_b32 s0, v60, 21
	v_mov_b32_e32 v3, s47
	v_sub_co_u32_e32 v8, vcc, s0, v4
	v_subb_co_u32_e32 v9, vcc, v3, v5, vcc
	v_cmp_gt_i64_e32 vcc, v[8:9], v[0:1]
	s_mov_b64 s[0:1], 0
                                        ; implicit-def: $vgpr6_vgpr7
	s_and_saveexec_b64 s[2:3], vcc
	s_cbranch_execz .LBB28_148
; %bb.136:                              ;   in Loop: Header=BB28_8 Depth=1
	s_mov_b64 s[8:9], 0
	v_pk_mov_b32 v[10:11], v[16:17], v[16:17] op_sel:[0,1]
	v_pk_mov_b32 v[12:13], v[0:1], v[0:1] op_sel:[0,1]
                                        ; implicit-def: $sgpr0_sgpr1
	s_branch .LBB28_138
.LBB28_137:                             ;   in Loop: Header=BB28_138 Depth=2
	s_or_b64 exec, exec, s[22:23]
	s_waitcnt lgkmcnt(0)
	s_barrier
	s_waitcnt vmcnt(0)
	ds_read_b128 v[4:7], v19 offset:3072
	v_mov_b32_e32 v3, s82
	v_add_co_u32_e32 v12, vcc, s33, v12
	v_addc_co_u32_e32 v13, vcc, v13, v3, vcc
	s_waitcnt lgkmcnt(0)
	v_readfirstlane_b32 s23, v5
	v_readfirstlane_b32 s22, v4
	s_cmp_lg_u64 s[22:23], 0
	s_cselect_b64 s[22:23], -1, 0
	v_cmp_ge_i64_e32 vcc, v[12:13], v[8:9]
	s_or_b64 s[24:25], s[22:23], vcc
	s_and_b64 s[24:25], exec, s[24:25]
	s_or_b64 s[8:9], s[24:25], s[8:9]
	v_mov_b32_e32 v3, s71
	v_add_co_u32_e32 v10, vcc, s70, v10
	s_andn2_b64 s[0:1], s[0:1], exec
	s_and_b64 s[22:23], s[22:23], exec
	v_addc_co_u32_e32 v11, vcc, v11, v3, vcc
	s_or_b64 s[0:1], s[0:1], s[22:23]
	s_barrier
	s_andn2_b64 exec, exec, s[8:9]
	s_cbranch_execz .LBB28_147
.LBB28_138:                             ;   Parent Loop BB28_8 Depth=1
                                        ; =>  This Inner Loop Header: Depth=2
	v_cmp_gt_i64_e32 vcc, s[56:57], v[12:13]
	v_pk_mov_b32 v[4:5], 0, 0
	s_and_saveexec_b64 s[22:23], vcc
	s_cbranch_execz .LBB28_140
; %bb.139:                              ;   in Loop: Header=BB28_138 Depth=2
	global_load_dwordx2 v[4:5], v[10:11], off
.LBB28_140:                             ;   in Loop: Header=BB28_138 Depth=2
	s_or_b64 exec, exec, s[22:23]
	s_and_saveexec_b64 s[22:23], vcc
	s_cbranch_execz .LBB28_137
; %bb.141:                              ;   in Loop: Header=BB28_138 Depth=2
	s_waitcnt vmcnt(0)
	v_xor_b32_e32 v3, 0x80000000, v5
	v_and_b32_e32 v7, s85, v3
	v_and_b32_e32 v6, s84, v4
	v_cmp_eq_u64_e32 vcc, s[86:87], v[6:7]
	s_and_b64 exec, exec, vcc
	s_cbranch_execz .LBB28_137
; %bb.142:                              ;   in Loop: Header=BB28_138 Depth=2
	v_mov_b32_e32 v3, v19
	ds_write_b128 v19, v[2:5] offset:3072
	s_branch .LBB28_137
.LBB28_143:                             ;   in Loop: Header=BB28_8 Depth=1
                                        ; implicit-def: $sgpr24_sgpr25
                                        ; implicit-def: $sgpr26_sgpr27
                                        ; implicit-def: $sgpr22_sgpr23
	s_branch .LBB28_162
.LBB28_144:                             ;   in Loop: Header=BB28_8 Depth=1
                                        ; implicit-def: $vgpr4_vgpr5
	s_branch .LBB28_89
.LBB28_145:                             ;   in Loop: Header=BB28_8 Depth=1
                                        ; implicit-def: $vgpr4_vgpr5
	s_branch .LBB28_104
.LBB28_146:                             ;   in Loop: Header=BB28_8 Depth=1
	s_mov_b64 s[24:25], -1
	s_mov_b64 s[0:1], 0
                                        ; implicit-def: $sgpr22_sgpr23
                                        ; implicit-def: $vgpr6_vgpr7
	s_mov_b64 s[26:27], s[24:25]
	s_cbranch_execnz .LBB28_149
	s_branch .LBB28_162
.LBB28_147:                             ;   in Loop: Header=BB28_8 Depth=1
	s_or_b64 exec, exec, s[8:9]
	s_and_b64 s[0:1], s[0:1], exec
.LBB28_148:                             ;   in Loop: Header=BB28_8 Depth=1
	s_or_b64 exec, exec, s[2:3]
	s_mov_b64 s[22:23], -1
	s_mov_b64 s[24:25], 0
	s_mov_b64 s[26:27], s[24:25]
	s_branch .LBB28_162
.LBB28_149:                             ;   in Loop: Header=BB28_8 Depth=1
	v_readlane_b32 s0, v60, 20
	s_add_u32 s8, s0, s30
	v_readlane_b32 s0, v60, 22
	s_addc_u32 s1, s0, s31
	s_mov_b32 s0, s75
	s_cmp_lg_u64 s[0:1], 0
	s_cbranch_scc0 .LBB28_192
; %bb.150:                              ;   in Loop: Header=BB28_8 Depth=1
	v_cvt_f32_u32_e32 v3, s33
	s_sub_u32 s0, 0, s33
	s_subb_u32 s2, 0, 0
	v_mac_f32_e32 v3, 0x4f800000, v49
	v_rcp_f32_e32 v3, v3
	v_mul_f32_e32 v3, 0x5f7ffffc, v3
	v_mul_f32_e32 v4, 0x2f800000, v3
	v_trunc_f32_e32 v4, v4
	v_mac_f32_e32 v3, 0xcf800000, v4
	v_cvt_u32_f32_e32 v4, v4
	v_cvt_u32_f32_e32 v3, v3
	v_readfirstlane_b32 s3, v4
	v_readfirstlane_b32 s9, v3
	s_mul_i32 s22, s0, s3
	s_mul_hi_u32 s24, s0, s9
	s_mul_i32 s23, s2, s9
	s_add_i32 s22, s24, s22
	s_mul_i32 s25, s0, s9
	s_add_i32 s22, s22, s23
	s_mul_hi_u32 s24, s9, s25
	s_mul_hi_u32 s23, s9, s22
	s_mul_i32 s9, s9, s22
	s_add_u32 s9, s24, s9
	s_addc_u32 s23, 0, s23
	s_mul_hi_u32 s26, s3, s25
	s_mul_i32 s25, s3, s25
	s_add_u32 s9, s9, s25
	s_mul_hi_u32 s24, s3, s22
	s_addc_u32 s9, s23, s26
	s_addc_u32 s23, s24, 0
	s_mul_i32 s22, s3, s22
	s_add_u32 s9, s9, s22
	s_addc_u32 s22, 0, s23
	v_add_co_u32_e32 v3, vcc, s9, v3
	s_cmp_lg_u64 vcc, 0
	s_addc_u32 s3, s3, s22
	v_readfirstlane_b32 s22, v3
	s_mul_i32 s9, s0, s3
	s_mul_hi_u32 s23, s0, s22
	s_add_i32 s9, s23, s9
	s_mul_i32 s2, s2, s22
	s_add_i32 s9, s9, s2
	s_mul_i32 s0, s0, s22
	s_mul_hi_u32 s23, s3, s0
	s_mul_i32 s24, s3, s0
	s_mul_i32 s26, s22, s9
	s_mul_hi_u32 s0, s22, s0
	s_mul_hi_u32 s25, s22, s9
	s_add_u32 s0, s0, s26
	s_addc_u32 s22, 0, s25
	s_add_u32 s0, s0, s24
	s_mul_hi_u32 s2, s3, s9
	s_addc_u32 s0, s22, s23
	s_addc_u32 s2, s2, 0
	s_mul_i32 s9, s3, s9
	s_add_u32 s0, s0, s9
	s_addc_u32 s2, 0, s2
	v_add_co_u32_e32 v3, vcc, s0, v3
	s_cmp_lg_u64 vcc, 0
	s_addc_u32 s0, s3, s2
	s_ashr_i32 s2, s1, 31
	s_add_u32 s22, s8, s2
	s_mov_b32 s3, s2
	s_addc_u32 s23, s1, s2
	s_xor_b64 s[22:23], s[22:23], s[2:3]
	v_readfirstlane_b32 s24, v3
	s_mul_i32 s9, s22, s0
	s_mul_hi_u32 s25, s22, s24
	s_mul_hi_u32 s3, s22, s0
	s_add_u32 s9, s25, s9
	s_addc_u32 s3, 0, s3
	s_mul_hi_u32 s26, s23, s24
	s_mul_i32 s24, s23, s24
	s_add_u32 s9, s9, s24
	s_mul_hi_u32 s25, s23, s0
	s_addc_u32 s3, s3, s26
	s_addc_u32 s9, s25, 0
	s_mul_i32 s0, s23, s0
	s_add_u32 s0, s3, s0
	s_addc_u32 s3, 0, s9
	s_mul_hi_u32 s9, s33, s0
	s_mul_i32 s0, s33, s0
	s_mul_i32 s3, s33, s3
	v_mov_b32_e32 v3, s0
	s_add_i32 s9, s9, s3
	v_sub_co_u32_e32 v3, vcc, s22, v3
	s_cmp_lg_u64 vcc, 0
	s_subb_u32 s0, s23, s9
	v_subrev_co_u32_e32 v4, vcc, s33, v3
	s_cmp_lg_u64 vcc, 0
	s_subb_u32 s3, s0, 0
	v_subrev_co_u32_e32 v5, vcc, s33, v4
	s_cmp_lg_u64 vcc, 0
	s_subb_u32 s9, s3, 0
	v_cmp_le_u32_e32 vcc, s33, v4
	s_cmp_eq_u32 s3, 0
	v_cndmask_b32_e64 v6, 0, -1, vcc
	s_cselect_b64 vcc, -1, 0
	v_cndmask_b32_e32 v6, -1, v6, vcc
	v_mov_b32_e32 v7, s3
	v_mov_b32_e32 v8, s9
	v_cmp_ne_u32_e32 vcc, 0, v6
	v_cndmask_b32_e32 v6, v7, v8, vcc
	v_cndmask_b32_e32 v4, v4, v5, vcc
	v_cmp_le_u32_e32 vcc, s33, v3
	s_cmp_eq_u32 s0, 0
	v_cndmask_b32_e64 v5, 0, -1, vcc
	s_cselect_b64 vcc, -1, 0
	v_cndmask_b32_e32 v5, -1, v5, vcc
	v_cmp_ne_u32_e32 vcc, 0, v5
	v_mov_b32_e32 v7, s0
	v_cndmask_b32_e32 v3, v3, v4, vcc
	v_cndmask_b32_e32 v5, v7, v6, vcc
	v_xor_b32_e32 v3, s2, v3
	v_xor_b32_e32 v5, s2, v5
	v_mov_b32_e32 v6, s2
	v_subrev_co_u32_e32 v4, vcc, s2, v3
	v_subb_co_u32_e32 v5, vcc, v5, v6, vcc
	s_cbranch_execnz .LBB28_152
.LBB28_151:                             ;   in Loop: Header=BB28_8 Depth=1
	v_cvt_f32_u32_e32 v3, s33
	s_sub_i32 s0, 0, s33
	v_rcp_iflag_f32_e32 v3, v3
	v_mul_f32_e32 v3, 0x4f7ffffe, v3
	v_cvt_u32_f32_e32 v3, v3
	v_mul_lo_u32 v4, s0, v3
	v_mul_hi_u32 v4, v3, v4
	v_add_u32_e32 v3, v3, v4
	v_mul_hi_u32 v3, s8, v3
	v_mul_lo_u32 v3, v3, s33
	v_sub_u32_e32 v3, s8, v3
	v_subrev_u32_e32 v4, s33, v3
	v_cmp_le_u32_e32 vcc, s33, v3
	v_cndmask_b32_e32 v3, v3, v4, vcc
	v_subrev_u32_e32 v4, s33, v3
	v_cmp_le_u32_e32 vcc, s33, v3
	v_cndmask_b32_e32 v18, v3, v4, vcc
	v_pk_mov_b32 v[4:5], v[18:19], v[18:19] op_sel:[0,1]
.LBB28_152:                             ;   in Loop: Header=BB28_8 Depth=1
	v_mov_b32_e32 v3, s1
	v_sub_co_u32_e32 v8, vcc, s8, v4
	v_subb_co_u32_e32 v9, vcc, v3, v5, vcc
	v_cmp_gt_i64_e32 vcc, v[8:9], v[0:1]
	s_mov_b64 s[0:1], 0
                                        ; implicit-def: $vgpr6_vgpr7
	s_and_saveexec_b64 s[2:3], vcc
	s_cbranch_execz .LBB28_161
; %bb.153:                              ;   in Loop: Header=BB28_8 Depth=1
	s_mov_b64 s[8:9], 0
	v_mov_b32_e32 v12, v41
	v_pk_mov_b32 v[10:11], v[0:1], v[0:1] op_sel:[0,1]
                                        ; implicit-def: $sgpr0_sgpr1
	s_branch .LBB28_155
.LBB28_154:                             ;   in Loop: Header=BB28_155 Depth=2
	s_or_b64 exec, exec, s[22:23]
	s_waitcnt lgkmcnt(0)
	s_barrier
	ds_read_b128 v[4:7], v19 offset:3072
	v_mov_b32_e32 v3, s82
	v_add_co_u32_e32 v10, vcc, s33, v10
	v_addc_co_u32_e32 v11, vcc, v11, v3, vcc
	s_waitcnt lgkmcnt(0)
	v_readfirstlane_b32 s23, v5
	v_readfirstlane_b32 s22, v4
	s_cmp_lg_u64 s[22:23], 0
	s_cselect_b64 s[22:23], -1, 0
	v_cmp_ge_i64_e32 vcc, v[10:11], v[8:9]
	s_or_b64 s[24:25], s[22:23], vcc
	s_and_b64 s[24:25], exec, s[24:25]
	s_or_b64 s[8:9], s[24:25], s[8:9]
	s_andn2_b64 s[0:1], s[0:1], exec
	s_and_b64 s[22:23], s[22:23], exec
	v_add_u32_e32 v12, s78, v12
	s_or_b64 s[0:1], s[0:1], s[22:23]
	s_barrier
	s_andn2_b64 exec, exec, s[8:9]
	s_cbranch_execz .LBB28_160
.LBB28_155:                             ;   Parent Loop BB28_8 Depth=1
                                        ; =>  This Inner Loop Header: Depth=2
	v_cmp_gt_i64_e32 vcc, s[30:31], v[10:11]
	v_pk_mov_b32 v[4:5], 0, 0
	s_and_saveexec_b64 s[22:23], vcc
	s_cbranch_execz .LBB28_157
; %bb.156:                              ;   in Loop: Header=BB28_155 Depth=2
	ds_read_b64 v[4:5], v12
.LBB28_157:                             ;   in Loop: Header=BB28_155 Depth=2
	s_or_b64 exec, exec, s[22:23]
	s_and_saveexec_b64 s[22:23], vcc
	s_cbranch_execz .LBB28_154
; %bb.158:                              ;   in Loop: Header=BB28_155 Depth=2
	s_waitcnt lgkmcnt(0)
	v_xor_b32_e32 v3, 0x80000000, v5
	v_and_b32_e32 v7, s85, v3
	v_and_b32_e32 v6, s84, v4
	v_cmp_eq_u64_e32 vcc, s[86:87], v[6:7]
	s_and_b64 exec, exec, vcc
	s_cbranch_execz .LBB28_154
; %bb.159:                              ;   in Loop: Header=BB28_155 Depth=2
	v_mov_b32_e32 v3, v19
	ds_write_b128 v19, v[2:5] offset:3072
	s_branch .LBB28_154
.LBB28_160:                             ;   in Loop: Header=BB28_8 Depth=1
	s_or_b64 exec, exec, s[8:9]
	s_and_b64 s[0:1], s[0:1], exec
.LBB28_161:                             ;   in Loop: Header=BB28_8 Depth=1
	s_or_b64 exec, exec, s[2:3]
	s_mov_b64 s[26:27], -1
	s_mov_b64 s[24:25], 0
	s_mov_b64 s[22:23], 0
.LBB28_162:                             ;   in Loop: Header=BB28_8 Depth=1
	s_mov_b64 s[2:3], 0
                                        ; implicit-def: $sgpr46
	s_and_saveexec_b64 s[30:31], s[0:1]
	s_cbranch_execz .LBB28_273
; %bb.163:                              ;   in Loop: Header=BB28_8 Depth=1
	s_xor_b64 s[0:1], s[36:37], -1
	s_andn2_b64 vcc, exec, s[0:1]
	s_mov_b32 s46, 1
	s_cbranch_vccnz .LBB28_174
; %bb.164:                              ;   in Loop: Header=BB28_8 Depth=1
	s_waitcnt vmcnt(0)
	v_pk_mov_b32 v[4:5], s[34:35], s[34:35] op_sel:[0,1]
	v_cmp_gt_i64_e32 vcc, s[58:59], v[4:5]
	s_mov_b64 s[0:1], -1
                                        ; implicit-def: $sgpr46
                                        ; implicit-def: $sgpr2_sgpr3
                                        ; implicit-def: $sgpr8_sgpr9
	s_cbranch_vccnz .LBB28_170
; %bb.165:                              ;   in Loop: Header=BB28_8 Depth=1
	ds_read_b64 v[4:5], v19 offset:5120
	s_waitcnt lgkmcnt(0)
	v_cmp_ne_u64_e32 vcc, 0, v[4:5]
	s_cbranch_vccnz .LBB28_169
; %bb.166:                              ;   in Loop: Header=BB28_8 Depth=1
	s_mov_b64 s[0:1], exec
	v_readlane_b32 s2, v60, 8
	v_readlane_b32 s3, v60, 9
	s_and_b64 s[2:3], s[0:1], s[2:3]
	s_mov_b64 exec, s[2:3]
	s_cbranch_execz .LBB28_168
; %bb.167:                              ;   in Loop: Header=BB28_8 Depth=1
	v_pk_mov_b32 v[4:5], s[34:35], s[34:35] op_sel:[0,1]
	ds_write_b64 v19, v[4:5] offset:5128
.LBB28_168:                             ;   in Loop: Header=BB28_8 Depth=1
	s_or_b64 exec, exec, s[0:1]
	s_waitcnt lgkmcnt(0)
	s_barrier
.LBB28_169:                             ;   in Loop: Header=BB28_8 Depth=1
	s_lshl_b64 s[0:1], 1, s44
	s_and_b64 s[2:3], s[86:87], s[20:21]
	s_or_b64 s[2:3], s[2:3], s[0:1]
	s_or_b64 s[8:9], s[84:85], s[12:13]
	s_mov_b64 s[0:1], 0
	s_mov_b32 s46, 8
.LBB28_170:                             ;   in Loop: Header=BB28_8 Depth=1
	s_andn2_b64 vcc, exec, s[0:1]
	s_cbranch_vccnz .LBB28_172
; %bb.171:                              ;   in Loop: Header=BB28_8 Depth=1
	s_sub_u32 s58, s58, s34
	s_subb_u32 s59, s59, s35
	s_mov_b64 s[0:1], -1
	s_mov_b32 s46, 0
	s_mov_b64 s[2:3], s[86:87]
	s_mov_b64 s[8:9], s[84:85]
.LBB28_172:                             ;   in Loop: Header=BB28_8 Depth=1
	s_mov_b64 s[84:85], s[8:9]
	s_mov_b64 s[86:87], s[2:3]
	s_andn2_b64 vcc, exec, s[0:1]
	s_mov_b64 s[2:3], -1
	s_cbranch_vccz .LBB28_175
.LBB28_173:                             ;   in Loop: Header=BB28_8 Depth=1
                                        ; implicit-def: $sgpr36_sgpr37
                                        ; implicit-def: $sgpr38_sgpr39
                                        ; implicit-def: $sgpr34_sgpr35
	s_branch .LBB28_272
.LBB28_174:                             ;   in Loop: Header=BB28_8 Depth=1
	s_mov_b64 s[58:59], 1
	s_mov_b64 s[2:3], -1
	s_cbranch_execnz .LBB28_173
.LBB28_175:                             ;   in Loop: Header=BB28_8 Depth=1
	s_cmp_eq_u64 s[18:19], 1
	s_cselect_b64 s[0:1], -1, 0
	s_cmp_eq_u64 s[58:59], 1
	s_cselect_b64 s[2:3], -1, 0
	s_and_b64 s[42:43], s[0:1], s[2:3]
	s_mov_b64 s[0:1], -1
	s_and_b64 vcc, exec, s[42:43]
	s_cbranch_vccz .LBB28_190
; %bb.176:                              ;   in Loop: Header=BB28_8 Depth=1
	s_waitcnt vmcnt(0)
	ds_read_b64 v[4:5], v19 offset:5120
	s_waitcnt lgkmcnt(0)
	s_barrier
	v_readfirstlane_b32 s40, v4
	v_readfirstlane_b32 s41, v5
	s_mov_b64 s[0:1], exec
	v_readlane_b32 s2, v60, 12
	v_readlane_b32 s3, v60, 13
	s_and_b64 s[2:3], s[0:1], s[2:3]
	s_mov_b64 exec, s[2:3]
	s_cbranch_execz .LBB28_178
; %bb.177:                              ;   in Loop: Header=BB28_8 Depth=1
	v_mov_b32_e32 v18, v19
	ds_write_b64 v42, v[18:19]
.LBB28_178:                             ;   in Loop: Header=BB28_8 Depth=1
	s_or_b64 exec, exec, s[0:1]
	s_lshl_b64 s[0:1], 2, s44
	s_and_b64 s[2:3], s[86:87], s[20:21]
	s_or_b64 s[86:87], s[2:3], s[0:1]
	v_cmp_gt_i64_e64 s[0:1], s[40:41], 0
	s_or_b64 s[84:85], s[84:85], s[12:13]
	s_and_b64 vcc, exec, s[0:1]
	s_waitcnt lgkmcnt(0)
	s_barrier
	s_cbranch_vccnz .LBB28_193
; %bb.179:                              ;   in Loop: Header=BB28_8 Depth=1
	s_mov_b32 s46, s75
	s_cmp_lg_u64 s[46:47], 0
	s_cbranch_scc0 .LBB28_238
; %bb.180:                              ;   in Loop: Header=BB28_8 Depth=1
	v_cvt_f32_u32_e32 v3, s33
	s_sub_u32 s0, 0, s33
	s_subb_u32 s1, 0, 0
	v_mac_f32_e32 v3, 0x4f800000, v49
	v_rcp_f32_e32 v3, v3
	v_mul_f32_e32 v3, 0x5f7ffffc, v3
	v_mul_f32_e32 v4, 0x2f800000, v3
	v_trunc_f32_e32 v4, v4
	v_mac_f32_e32 v3, 0xcf800000, v4
	v_cvt_u32_f32_e32 v4, v4
	v_cvt_u32_f32_e32 v3, v3
	v_readfirstlane_b32 s2, v4
	v_readfirstlane_b32 s3, v3
	s_mul_i32 s8, s0, s2
	s_mul_hi_u32 s28, s0, s3
	s_mul_i32 s9, s1, s3
	s_add_i32 s8, s28, s8
	s_mul_i32 s29, s0, s3
	s_add_i32 s8, s8, s9
	s_mul_hi_u32 s28, s3, s29
	s_mul_hi_u32 s9, s3, s8
	s_mul_i32 s3, s3, s8
	s_add_u32 s3, s28, s3
	s_addc_u32 s9, 0, s9
	s_mul_hi_u32 s34, s2, s29
	s_mul_i32 s29, s2, s29
	s_add_u32 s3, s3, s29
	s_mul_hi_u32 s28, s2, s8
	s_addc_u32 s3, s9, s34
	s_addc_u32 s9, s28, 0
	s_mul_i32 s8, s2, s8
	s_add_u32 s3, s3, s8
	s_addc_u32 s8, 0, s9
	v_add_co_u32_e32 v3, vcc, s3, v3
	s_cmp_lg_u64 vcc, 0
	s_addc_u32 s2, s2, s8
	v_readfirstlane_b32 s8, v3
	s_mul_i32 s3, s0, s2
	s_mul_hi_u32 s9, s0, s8
	s_add_i32 s3, s9, s3
	s_mul_i32 s1, s1, s8
	s_add_i32 s3, s3, s1
	s_mul_i32 s0, s0, s8
	s_mul_hi_u32 s9, s2, s0
	s_mul_i32 s28, s2, s0
	s_mul_i32 s34, s8, s3
	s_mul_hi_u32 s0, s8, s0
	s_mul_hi_u32 s29, s8, s3
	s_add_u32 s0, s0, s34
	s_addc_u32 s8, 0, s29
	s_add_u32 s0, s0, s28
	s_mul_hi_u32 s1, s2, s3
	s_addc_u32 s0, s8, s9
	s_addc_u32 s1, s1, 0
	s_mul_i32 s3, s2, s3
	s_add_u32 s0, s0, s3
	s_addc_u32 s1, 0, s1
	v_add_co_u32_e32 v3, vcc, s0, v3
	s_cmp_lg_u64 vcc, 0
	s_addc_u32 s8, s2, s1
	s_ashr_i32 s0, s47, 31
	v_readlane_b32 s2, v60, 21
	s_add_u32 s2, s2, s0
	s_mov_b32 s1, s0
	s_addc_u32 s3, s47, s0
	s_xor_b64 s[2:3], s[2:3], s[0:1]
	v_readfirstlane_b32 s28, v3
	s_mul_i32 s9, s2, s8
	s_mul_hi_u32 s29, s2, s28
	s_mul_hi_u32 s1, s2, s8
	s_add_u32 s9, s29, s9
	s_addc_u32 s1, 0, s1
	s_mul_hi_u32 s34, s3, s28
	s_mul_i32 s28, s3, s28
	s_add_u32 s9, s9, s28
	s_mul_hi_u32 s29, s3, s8
	s_addc_u32 s1, s1, s34
	s_addc_u32 s9, s29, 0
	s_mul_i32 s8, s3, s8
	s_add_u32 s1, s1, s8
	s_addc_u32 s8, 0, s9
	s_mul_hi_u32 s9, s33, s1
	s_mul_i32 s1, s33, s1
	s_mul_i32 s8, s33, s8
	v_mov_b32_e32 v3, s1
	s_add_i32 s9, s9, s8
	v_sub_co_u32_e32 v3, vcc, s2, v3
	s_cmp_lg_u64 vcc, 0
	s_subb_u32 s1, s3, s9
	v_subrev_co_u32_e32 v4, vcc, s33, v3
	s_cmp_lg_u64 vcc, 0
	s_subb_u32 s2, s1, 0
	v_subrev_co_u32_e32 v5, vcc, s33, v4
	s_cmp_lg_u64 vcc, 0
	s_subb_u32 s3, s2, 0
	v_cmp_le_u32_e32 vcc, s33, v4
	s_cmp_eq_u32 s2, 0
	v_cndmask_b32_e64 v6, 0, -1, vcc
	s_cselect_b64 vcc, -1, 0
	v_cndmask_b32_e32 v6, -1, v6, vcc
	v_mov_b32_e32 v7, s2
	v_mov_b32_e32 v8, s3
	v_cmp_ne_u32_e32 vcc, 0, v6
	v_cndmask_b32_e32 v6, v7, v8, vcc
	v_cndmask_b32_e32 v4, v4, v5, vcc
	v_cmp_le_u32_e32 vcc, s33, v3
	s_cmp_eq_u32 s1, 0
	v_cndmask_b32_e64 v5, 0, -1, vcc
	s_cselect_b64 vcc, -1, 0
	v_cndmask_b32_e32 v5, -1, v5, vcc
	v_cmp_ne_u32_e32 vcc, 0, v5
	v_mov_b32_e32 v7, s1
	v_cndmask_b32_e32 v3, v3, v4, vcc
	v_cndmask_b32_e32 v5, v7, v6, vcc
	v_xor_b32_e32 v3, s0, v3
	v_xor_b32_e32 v5, s0, v5
	v_mov_b32_e32 v6, s0
	v_subrev_co_u32_e32 v4, vcc, s0, v3
	v_subb_co_u32_e32 v5, vcc, v5, v6, vcc
	s_cbranch_execnz .LBB28_182
.LBB28_181:                             ;   in Loop: Header=BB28_8 Depth=1
	v_cvt_f32_u32_e32 v3, s33
	s_sub_i32 s0, 0, s33
	v_rcp_iflag_f32_e32 v3, v3
	v_mul_f32_e32 v3, 0x4f7ffffe, v3
	v_cvt_u32_f32_e32 v3, v3
	v_mul_lo_u32 v4, s0, v3
	v_mul_hi_u32 v4, v3, v4
	v_add_u32_e32 v3, v3, v4
	v_readlane_b32 s0, v60, 21
	v_mul_hi_u32 v3, s0, v3
	v_mul_lo_u32 v3, v3, s33
	v_sub_u32_e32 v3, s0, v3
	v_subrev_u32_e32 v4, s33, v3
	v_cmp_le_u32_e32 vcc, s33, v3
	v_cndmask_b32_e32 v3, v3, v4, vcc
	v_subrev_u32_e32 v4, s33, v3
	v_cmp_le_u32_e32 vcc, s33, v3
	v_cndmask_b32_e32 v18, v3, v4, vcc
	v_pk_mov_b32 v[4:5], v[18:19], v[18:19] op_sel:[0,1]
.LBB28_182:                             ;   in Loop: Header=BB28_8 Depth=1
	v_readlane_b32 s0, v60, 21
	v_mov_b32_e32 v3, s47
	v_sub_co_u32_e32 v8, vcc, s0, v4
	v_subb_co_u32_e32 v9, vcc, v3, v5, vcc
	v_cmp_gt_i64_e32 vcc, v[8:9], v[0:1]
	s_mov_b64 s[0:1], 0
                                        ; implicit-def: $vgpr6_vgpr7
	s_and_saveexec_b64 s[2:3], vcc
	s_cbranch_execz .LBB28_195
; %bb.183:                              ;   in Loop: Header=BB28_8 Depth=1
	s_mov_b64 s[8:9], 0
	v_pk_mov_b32 v[10:11], v[16:17], v[16:17] op_sel:[0,1]
	v_pk_mov_b32 v[12:13], v[0:1], v[0:1] op_sel:[0,1]
                                        ; implicit-def: $sgpr0_sgpr1
	s_branch .LBB28_185
.LBB28_184:                             ;   in Loop: Header=BB28_185 Depth=2
	s_or_b64 exec, exec, s[28:29]
	s_waitcnt lgkmcnt(0)
	s_barrier
	s_waitcnt vmcnt(0)
	ds_read_b128 v[4:7], v19 offset:3072
	v_mov_b32_e32 v3, s82
	v_add_co_u32_e32 v12, vcc, s33, v12
	v_addc_co_u32_e32 v13, vcc, v13, v3, vcc
	s_waitcnt lgkmcnt(0)
	v_readfirstlane_b32 s29, v5
	v_readfirstlane_b32 s28, v4
	s_cmp_lg_u64 s[28:29], 0
	s_cselect_b64 s[28:29], -1, 0
	v_cmp_ge_i64_e32 vcc, v[12:13], v[8:9]
	s_or_b64 s[34:35], s[28:29], vcc
	s_and_b64 s[34:35], exec, s[34:35]
	s_or_b64 s[8:9], s[34:35], s[8:9]
	v_mov_b32_e32 v3, s71
	v_add_co_u32_e32 v10, vcc, s70, v10
	s_andn2_b64 s[0:1], s[0:1], exec
	s_and_b64 s[28:29], s[28:29], exec
	v_addc_co_u32_e32 v11, vcc, v11, v3, vcc
	s_or_b64 s[0:1], s[0:1], s[28:29]
	s_barrier
	s_andn2_b64 exec, exec, s[8:9]
	s_cbranch_execz .LBB28_194
.LBB28_185:                             ;   Parent Loop BB28_8 Depth=1
                                        ; =>  This Inner Loop Header: Depth=2
	v_cmp_gt_i64_e32 vcc, s[56:57], v[12:13]
	v_pk_mov_b32 v[4:5], 0, 0
	s_and_saveexec_b64 s[28:29], vcc
	s_cbranch_execz .LBB28_187
; %bb.186:                              ;   in Loop: Header=BB28_185 Depth=2
	global_load_dwordx2 v[4:5], v[10:11], off
.LBB28_187:                             ;   in Loop: Header=BB28_185 Depth=2
	s_or_b64 exec, exec, s[28:29]
	s_and_saveexec_b64 s[28:29], vcc
	s_cbranch_execz .LBB28_184
; %bb.188:                              ;   in Loop: Header=BB28_185 Depth=2
	s_waitcnt vmcnt(0)
	v_xor_b32_e32 v3, 0x80000000, v5
	v_and_b32_e32 v7, s85, v3
	v_and_b32_e32 v6, s84, v4
	v_cmp_eq_u64_e32 vcc, s[86:87], v[6:7]
	s_and_b64 exec, exec, vcc
	s_cbranch_execz .LBB28_184
; %bb.189:                              ;   in Loop: Header=BB28_185 Depth=2
	v_mov_b32_e32 v3, v19
	ds_write_b128 v19, v[2:5] offset:3072
	s_branch .LBB28_184
.LBB28_190:                             ;   in Loop: Header=BB28_8 Depth=1
                                        ; implicit-def: $sgpr34_sgpr35
                                        ; implicit-def: $sgpr38_sgpr39
                                        ; implicit-def: $sgpr36_sgpr37
	s_branch .LBB28_209
.LBB28_191:                             ;   in Loop: Header=BB28_8 Depth=1
                                        ; implicit-def: $vgpr4_vgpr5
	s_branch .LBB28_134
.LBB28_192:                             ;   in Loop: Header=BB28_8 Depth=1
                                        ; implicit-def: $vgpr4_vgpr5
	s_branch .LBB28_151
.LBB28_193:                             ;   in Loop: Header=BB28_8 Depth=1
	s_mov_b64 s[34:35], -1
	s_mov_b64 s[0:1], 0
                                        ; implicit-def: $sgpr36_sgpr37
                                        ; implicit-def: $vgpr6_vgpr7
	s_mov_b64 s[38:39], s[34:35]
	s_cbranch_execnz .LBB28_196
	s_branch .LBB28_209
.LBB28_194:                             ;   in Loop: Header=BB28_8 Depth=1
	s_or_b64 exec, exec, s[8:9]
	s_and_b64 s[0:1], s[0:1], exec
.LBB28_195:                             ;   in Loop: Header=BB28_8 Depth=1
	s_or_b64 exec, exec, s[2:3]
	s_mov_b64 s[36:37], -1
	s_mov_b64 s[34:35], 0
	s_mov_b64 s[38:39], s[34:35]
	s_branch .LBB28_209
.LBB28_196:                             ;   in Loop: Header=BB28_8 Depth=1
	v_readlane_b32 s0, v60, 20
	s_add_u32 s8, s0, s40
	v_readlane_b32 s0, v60, 22
	s_addc_u32 s1, s0, s41
	s_mov_b32 s0, s75
	s_cmp_lg_u64 s[0:1], 0
	s_cbranch_scc0 .LBB28_239
; %bb.197:                              ;   in Loop: Header=BB28_8 Depth=1
	v_cvt_f32_u32_e32 v3, s33
	s_sub_u32 s0, 0, s33
	s_subb_u32 s2, 0, 0
	v_mac_f32_e32 v3, 0x4f800000, v49
	v_rcp_f32_e32 v3, v3
	v_mul_f32_e32 v3, 0x5f7ffffc, v3
	v_mul_f32_e32 v4, 0x2f800000, v3
	v_trunc_f32_e32 v4, v4
	v_mac_f32_e32 v3, 0xcf800000, v4
	v_cvt_u32_f32_e32 v4, v4
	v_cvt_u32_f32_e32 v3, v3
	v_readfirstlane_b32 s3, v4
	v_readfirstlane_b32 s9, v3
	s_mul_i32 s28, s0, s3
	s_mul_hi_u32 s34, s0, s9
	s_mul_i32 s29, s2, s9
	s_add_i32 s28, s34, s28
	s_mul_i32 s35, s0, s9
	s_add_i32 s28, s28, s29
	s_mul_hi_u32 s34, s9, s35
	s_mul_hi_u32 s29, s9, s28
	s_mul_i32 s9, s9, s28
	s_add_u32 s9, s34, s9
	s_addc_u32 s29, 0, s29
	s_mul_hi_u32 s36, s3, s35
	s_mul_i32 s35, s3, s35
	s_add_u32 s9, s9, s35
	s_mul_hi_u32 s34, s3, s28
	s_addc_u32 s9, s29, s36
	s_addc_u32 s29, s34, 0
	s_mul_i32 s28, s3, s28
	s_add_u32 s9, s9, s28
	s_addc_u32 s28, 0, s29
	v_add_co_u32_e32 v3, vcc, s9, v3
	s_cmp_lg_u64 vcc, 0
	s_addc_u32 s3, s3, s28
	v_readfirstlane_b32 s28, v3
	s_mul_i32 s9, s0, s3
	s_mul_hi_u32 s29, s0, s28
	s_add_i32 s9, s29, s9
	s_mul_i32 s2, s2, s28
	s_add_i32 s9, s9, s2
	s_mul_i32 s0, s0, s28
	s_mul_hi_u32 s29, s3, s0
	s_mul_i32 s34, s3, s0
	s_mul_i32 s36, s28, s9
	s_mul_hi_u32 s0, s28, s0
	s_mul_hi_u32 s35, s28, s9
	s_add_u32 s0, s0, s36
	s_addc_u32 s28, 0, s35
	s_add_u32 s0, s0, s34
	s_mul_hi_u32 s2, s3, s9
	s_addc_u32 s0, s28, s29
	s_addc_u32 s2, s2, 0
	s_mul_i32 s9, s3, s9
	s_add_u32 s0, s0, s9
	s_addc_u32 s2, 0, s2
	v_add_co_u32_e32 v3, vcc, s0, v3
	s_cmp_lg_u64 vcc, 0
	s_addc_u32 s0, s3, s2
	s_ashr_i32 s2, s1, 31
	s_add_u32 s28, s8, s2
	s_mov_b32 s3, s2
	s_addc_u32 s29, s1, s2
	s_xor_b64 s[28:29], s[28:29], s[2:3]
	v_readfirstlane_b32 s34, v3
	s_mul_i32 s9, s28, s0
	s_mul_hi_u32 s35, s28, s34
	s_mul_hi_u32 s3, s28, s0
	s_add_u32 s9, s35, s9
	s_addc_u32 s3, 0, s3
	s_mul_hi_u32 s36, s29, s34
	s_mul_i32 s34, s29, s34
	s_add_u32 s9, s9, s34
	s_mul_hi_u32 s35, s29, s0
	s_addc_u32 s3, s3, s36
	s_addc_u32 s9, s35, 0
	s_mul_i32 s0, s29, s0
	s_add_u32 s0, s3, s0
	s_addc_u32 s3, 0, s9
	s_mul_hi_u32 s9, s33, s0
	s_mul_i32 s0, s33, s0
	s_mul_i32 s3, s33, s3
	v_mov_b32_e32 v3, s0
	s_add_i32 s9, s9, s3
	v_sub_co_u32_e32 v3, vcc, s28, v3
	s_cmp_lg_u64 vcc, 0
	s_subb_u32 s0, s29, s9
	v_subrev_co_u32_e32 v4, vcc, s33, v3
	s_cmp_lg_u64 vcc, 0
	s_subb_u32 s3, s0, 0
	v_subrev_co_u32_e32 v5, vcc, s33, v4
	s_cmp_lg_u64 vcc, 0
	s_subb_u32 s9, s3, 0
	v_cmp_le_u32_e32 vcc, s33, v4
	s_cmp_eq_u32 s3, 0
	v_cndmask_b32_e64 v6, 0, -1, vcc
	s_cselect_b64 vcc, -1, 0
	v_cndmask_b32_e32 v6, -1, v6, vcc
	v_mov_b32_e32 v7, s3
	v_mov_b32_e32 v8, s9
	v_cmp_ne_u32_e32 vcc, 0, v6
	v_cndmask_b32_e32 v6, v7, v8, vcc
	v_cndmask_b32_e32 v4, v4, v5, vcc
	v_cmp_le_u32_e32 vcc, s33, v3
	s_cmp_eq_u32 s0, 0
	v_cndmask_b32_e64 v5, 0, -1, vcc
	s_cselect_b64 vcc, -1, 0
	v_cndmask_b32_e32 v5, -1, v5, vcc
	v_cmp_ne_u32_e32 vcc, 0, v5
	v_mov_b32_e32 v7, s0
	v_cndmask_b32_e32 v3, v3, v4, vcc
	v_cndmask_b32_e32 v5, v7, v6, vcc
	v_xor_b32_e32 v3, s2, v3
	v_xor_b32_e32 v5, s2, v5
	v_mov_b32_e32 v6, s2
	v_subrev_co_u32_e32 v4, vcc, s2, v3
	v_subb_co_u32_e32 v5, vcc, v5, v6, vcc
	s_cbranch_execnz .LBB28_199
.LBB28_198:                             ;   in Loop: Header=BB28_8 Depth=1
	v_cvt_f32_u32_e32 v3, s33
	s_sub_i32 s0, 0, s33
	v_rcp_iflag_f32_e32 v3, v3
	v_mul_f32_e32 v3, 0x4f7ffffe, v3
	v_cvt_u32_f32_e32 v3, v3
	v_mul_lo_u32 v4, s0, v3
	v_mul_hi_u32 v4, v3, v4
	v_add_u32_e32 v3, v3, v4
	v_mul_hi_u32 v3, s8, v3
	v_mul_lo_u32 v3, v3, s33
	v_sub_u32_e32 v3, s8, v3
	v_subrev_u32_e32 v4, s33, v3
	v_cmp_le_u32_e32 vcc, s33, v3
	v_cndmask_b32_e32 v3, v3, v4, vcc
	v_subrev_u32_e32 v4, s33, v3
	v_cmp_le_u32_e32 vcc, s33, v3
	v_cndmask_b32_e32 v18, v3, v4, vcc
	v_pk_mov_b32 v[4:5], v[18:19], v[18:19] op_sel:[0,1]
.LBB28_199:                             ;   in Loop: Header=BB28_8 Depth=1
	v_mov_b32_e32 v3, s1
	v_sub_co_u32_e32 v8, vcc, s8, v4
	v_subb_co_u32_e32 v9, vcc, v3, v5, vcc
	v_cmp_gt_i64_e32 vcc, v[8:9], v[0:1]
	s_mov_b64 s[0:1], 0
                                        ; implicit-def: $vgpr6_vgpr7
	s_and_saveexec_b64 s[2:3], vcc
	s_cbranch_execz .LBB28_208
; %bb.200:                              ;   in Loop: Header=BB28_8 Depth=1
	s_mov_b64 s[8:9], 0
	v_mov_b32_e32 v12, v41
	v_pk_mov_b32 v[10:11], v[0:1], v[0:1] op_sel:[0,1]
                                        ; implicit-def: $sgpr0_sgpr1
	s_branch .LBB28_202
.LBB28_201:                             ;   in Loop: Header=BB28_202 Depth=2
	s_or_b64 exec, exec, s[28:29]
	s_waitcnt lgkmcnt(0)
	s_barrier
	ds_read_b128 v[4:7], v19 offset:3072
	v_mov_b32_e32 v3, s82
	v_add_co_u32_e32 v10, vcc, s33, v10
	v_addc_co_u32_e32 v11, vcc, v11, v3, vcc
	s_waitcnt lgkmcnt(0)
	v_readfirstlane_b32 s29, v5
	v_readfirstlane_b32 s28, v4
	s_cmp_lg_u64 s[28:29], 0
	s_cselect_b64 s[28:29], -1, 0
	v_cmp_ge_i64_e32 vcc, v[10:11], v[8:9]
	s_or_b64 s[34:35], s[28:29], vcc
	s_and_b64 s[34:35], exec, s[34:35]
	s_or_b64 s[8:9], s[34:35], s[8:9]
	s_andn2_b64 s[0:1], s[0:1], exec
	s_and_b64 s[28:29], s[28:29], exec
	v_add_u32_e32 v12, s78, v12
	s_or_b64 s[0:1], s[0:1], s[28:29]
	s_barrier
	s_andn2_b64 exec, exec, s[8:9]
	s_cbranch_execz .LBB28_207
.LBB28_202:                             ;   Parent Loop BB28_8 Depth=1
                                        ; =>  This Inner Loop Header: Depth=2
	v_cmp_gt_i64_e32 vcc, s[40:41], v[10:11]
	v_pk_mov_b32 v[4:5], 0, 0
	s_and_saveexec_b64 s[28:29], vcc
	s_cbranch_execz .LBB28_204
; %bb.203:                              ;   in Loop: Header=BB28_202 Depth=2
	ds_read_b64 v[4:5], v12
.LBB28_204:                             ;   in Loop: Header=BB28_202 Depth=2
	s_or_b64 exec, exec, s[28:29]
	s_and_saveexec_b64 s[28:29], vcc
	s_cbranch_execz .LBB28_201
; %bb.205:                              ;   in Loop: Header=BB28_202 Depth=2
	s_waitcnt lgkmcnt(0)
	v_xor_b32_e32 v3, 0x80000000, v5
	v_and_b32_e32 v7, s85, v3
	v_and_b32_e32 v6, s84, v4
	v_cmp_eq_u64_e32 vcc, s[86:87], v[6:7]
	s_and_b64 exec, exec, vcc
	s_cbranch_execz .LBB28_201
; %bb.206:                              ;   in Loop: Header=BB28_202 Depth=2
	v_mov_b32_e32 v3, v19
	ds_write_b128 v19, v[2:5] offset:3072
	s_branch .LBB28_201
.LBB28_207:                             ;   in Loop: Header=BB28_8 Depth=1
	s_or_b64 exec, exec, s[8:9]
	s_and_b64 s[0:1], s[0:1], exec
.LBB28_208:                             ;   in Loop: Header=BB28_8 Depth=1
	s_or_b64 exec, exec, s[2:3]
	s_mov_b64 s[38:39], -1
	s_mov_b64 s[34:35], 0
	s_mov_b64 s[36:37], 0
.LBB28_209:                             ;   in Loop: Header=BB28_8 Depth=1
	s_mov_b64 s[2:3], 0
                                        ; implicit-def: $sgpr46
	s_and_saveexec_b64 s[40:41], s[0:1]
	s_cbranch_execz .LBB28_271
; %bb.210:                              ;   in Loop: Header=BB28_8 Depth=1
	s_xor_b64 s[0:1], s[42:43], -1
	s_andn2_b64 vcc, exec, s[0:1]
	s_mov_b32 s46, 1
	s_cbranch_vccnz .LBB28_221
; %bb.211:                              ;   in Loop: Header=BB28_8 Depth=1
	s_waitcnt vmcnt(0)
	v_pk_mov_b32 v[4:5], s[18:19], s[18:19] op_sel:[0,1]
	v_cmp_gt_i64_e32 vcc, s[58:59], v[4:5]
	s_mov_b64 s[0:1], -1
                                        ; implicit-def: $sgpr46
                                        ; implicit-def: $sgpr2_sgpr3
                                        ; implicit-def: $sgpr8_sgpr9
	s_cbranch_vccnz .LBB28_217
; %bb.212:                              ;   in Loop: Header=BB28_8 Depth=1
	ds_read_b64 v[4:5], v19 offset:5120
	s_waitcnt lgkmcnt(0)
	v_cmp_ne_u64_e32 vcc, 0, v[4:5]
	s_cbranch_vccnz .LBB28_216
; %bb.213:                              ;   in Loop: Header=BB28_8 Depth=1
	s_mov_b64 s[0:1], exec
	v_readlane_b32 s2, v60, 8
	v_readlane_b32 s3, v60, 9
	s_and_b64 s[2:3], s[0:1], s[2:3]
	s_mov_b64 exec, s[2:3]
	s_cbranch_execz .LBB28_215
; %bb.214:                              ;   in Loop: Header=BB28_8 Depth=1
	v_pk_mov_b32 v[4:5], s[18:19], s[18:19] op_sel:[0,1]
	ds_write_b64 v19, v[4:5] offset:5128
.LBB28_215:                             ;   in Loop: Header=BB28_8 Depth=1
	s_or_b64 exec, exec, s[0:1]
	s_waitcnt lgkmcnt(0)
	s_barrier
.LBB28_216:                             ;   in Loop: Header=BB28_8 Depth=1
	s_lshl_b64 s[0:1], 2, s44
	s_and_b64 s[2:3], s[86:87], s[20:21]
	s_or_b64 s[2:3], s[2:3], s[0:1]
	s_or_b64 s[8:9], s[84:85], s[12:13]
	s_mov_b64 s[0:1], 0
	s_mov_b32 s46, 8
.LBB28_217:                             ;   in Loop: Header=BB28_8 Depth=1
	s_andn2_b64 vcc, exec, s[0:1]
	s_cbranch_vccnz .LBB28_219
; %bb.218:                              ;   in Loop: Header=BB28_8 Depth=1
	s_sub_u32 s58, s58, s18
	s_subb_u32 s59, s59, s19
	s_mov_b64 s[0:1], -1
	s_mov_b32 s46, 0
	s_mov_b64 s[2:3], s[86:87]
	s_mov_b64 s[8:9], s[84:85]
.LBB28_219:                             ;   in Loop: Header=BB28_8 Depth=1
	s_mov_b64 s[84:85], s[8:9]
	s_mov_b64 s[86:87], s[2:3]
	s_andn2_b64 vcc, exec, s[0:1]
	s_mov_b64 s[42:43], -1
	s_cbranch_vccz .LBB28_222
.LBB28_220:                             ;   in Loop: Header=BB28_8 Depth=1
                                        ; implicit-def: $sgpr0_sgpr1
                                        ; implicit-def: $sgpr8_sgpr9
                                        ; implicit-def: $sgpr2_sgpr3
	s_branch .LBB28_270
.LBB28_221:                             ;   in Loop: Header=BB28_8 Depth=1
	s_mov_b64 s[58:59], 1
	s_mov_b64 s[42:43], -1
	s_cbranch_execnz .LBB28_220
.LBB28_222:                             ;   in Loop: Header=BB28_8 Depth=1
	s_cmp_eq_u64 s[6:7], 1
	s_cselect_b64 s[0:1], -1, 0
	s_cmp_eq_u64 s[58:59], 1
	s_cselect_b64 s[2:3], -1, 0
	s_and_b64 s[18:19], s[0:1], s[2:3]
	s_mov_b64 s[28:29], -1
	s_and_b64 vcc, exec, s[18:19]
	s_cbranch_vccz .LBB28_237
; %bb.223:                              ;   in Loop: Header=BB28_8 Depth=1
	s_waitcnt vmcnt(0)
	ds_read_b64 v[4:5], v19 offset:5120
	s_waitcnt lgkmcnt(0)
	s_barrier
	v_readfirstlane_b32 s20, v4
	v_readfirstlane_b32 s21, v5
	s_mov_b64 s[0:1], exec
	v_readlane_b32 s2, v60, 12
	v_readlane_b32 s3, v60, 13
	s_and_b64 s[2:3], s[0:1], s[2:3]
	s_mov_b64 exec, s[2:3]
	s_cbranch_execz .LBB28_225
; %bb.224:                              ;   in Loop: Header=BB28_8 Depth=1
	v_mov_b32_e32 v18, v19
	ds_write_b64 v42, v[18:19]
.LBB28_225:                             ;   in Loop: Header=BB28_8 Depth=1
	s_or_b64 exec, exec, s[0:1]
	v_cmp_gt_i64_e64 s[0:1], s[20:21], 0
	s_or_b64 s[86:87], s[86:87], s[12:13]
	s_or_b64 s[84:85], s[84:85], s[12:13]
	s_and_b64 vcc, exec, s[0:1]
	s_waitcnt lgkmcnt(0)
	s_barrier
	s_cbranch_vccnz .LBB28_240
; %bb.226:                              ;   in Loop: Header=BB28_8 Depth=1
	s_mov_b32 s46, s75
	s_cmp_lg_u64 s[46:47], 0
	s_cbranch_scc0 .LBB28_276
; %bb.227:                              ;   in Loop: Header=BB28_8 Depth=1
	v_cvt_f32_u32_e32 v3, s33
	s_sub_u32 s0, 0, s33
	s_subb_u32 s1, 0, 0
	v_mac_f32_e32 v3, 0x4f800000, v49
	v_rcp_f32_e32 v3, v3
	v_mul_f32_e32 v3, 0x5f7ffffc, v3
	v_mul_f32_e32 v4, 0x2f800000, v3
	v_trunc_f32_e32 v4, v4
	v_mac_f32_e32 v3, 0xcf800000, v4
	v_cvt_u32_f32_e32 v4, v4
	v_cvt_u32_f32_e32 v3, v3
	v_readfirstlane_b32 s2, v4
	v_readfirstlane_b32 s3, v3
	s_mul_i32 s8, s0, s2
	s_mul_hi_u32 s28, s0, s3
	s_mul_i32 s9, s1, s3
	s_add_i32 s8, s28, s8
	s_mul_i32 s29, s0, s3
	s_add_i32 s8, s8, s9
	s_mul_hi_u32 s28, s3, s29
	s_mul_hi_u32 s9, s3, s8
	s_mul_i32 s3, s3, s8
	s_add_u32 s3, s28, s3
	s_addc_u32 s9, 0, s9
	s_mul_hi_u32 s42, s2, s29
	s_mul_i32 s29, s2, s29
	s_add_u32 s3, s3, s29
	s_mul_hi_u32 s28, s2, s8
	s_addc_u32 s3, s9, s42
	s_addc_u32 s9, s28, 0
	s_mul_i32 s8, s2, s8
	s_add_u32 s3, s3, s8
	s_addc_u32 s8, 0, s9
	v_add_co_u32_e32 v3, vcc, s3, v3
	s_cmp_lg_u64 vcc, 0
	s_addc_u32 s2, s2, s8
	v_readfirstlane_b32 s8, v3
	s_mul_i32 s3, s0, s2
	s_mul_hi_u32 s9, s0, s8
	s_add_i32 s3, s9, s3
	s_mul_i32 s1, s1, s8
	s_add_i32 s3, s3, s1
	s_mul_i32 s0, s0, s8
	s_mul_hi_u32 s9, s2, s0
	s_mul_i32 s28, s2, s0
	s_mul_i32 s42, s8, s3
	s_mul_hi_u32 s0, s8, s0
	s_mul_hi_u32 s29, s8, s3
	s_add_u32 s0, s0, s42
	s_addc_u32 s8, 0, s29
	s_add_u32 s0, s0, s28
	s_mul_hi_u32 s1, s2, s3
	s_addc_u32 s0, s8, s9
	s_addc_u32 s1, s1, 0
	s_mul_i32 s3, s2, s3
	s_add_u32 s0, s0, s3
	s_addc_u32 s1, 0, s1
	v_add_co_u32_e32 v3, vcc, s0, v3
	s_cmp_lg_u64 vcc, 0
	s_addc_u32 s8, s2, s1
	s_ashr_i32 s0, s47, 31
	v_readlane_b32 s2, v60, 21
	s_add_u32 s2, s2, s0
	s_mov_b32 s1, s0
	s_addc_u32 s3, s47, s0
	s_xor_b64 s[2:3], s[2:3], s[0:1]
	v_readfirstlane_b32 s28, v3
	s_mul_i32 s9, s2, s8
	s_mul_hi_u32 s29, s2, s28
	s_mul_hi_u32 s1, s2, s8
	s_add_u32 s9, s29, s9
	s_addc_u32 s1, 0, s1
	s_mul_hi_u32 s42, s3, s28
	s_mul_i32 s28, s3, s28
	s_add_u32 s9, s9, s28
	s_mul_hi_u32 s29, s3, s8
	s_addc_u32 s1, s1, s42
	s_addc_u32 s9, s29, 0
	s_mul_i32 s8, s3, s8
	s_add_u32 s1, s1, s8
	s_addc_u32 s8, 0, s9
	s_mul_hi_u32 s9, s33, s1
	s_mul_i32 s1, s33, s1
	s_mul_i32 s8, s33, s8
	v_mov_b32_e32 v3, s1
	s_add_i32 s9, s9, s8
	v_sub_co_u32_e32 v3, vcc, s2, v3
	s_cmp_lg_u64 vcc, 0
	s_subb_u32 s1, s3, s9
	v_subrev_co_u32_e32 v4, vcc, s33, v3
	s_cmp_lg_u64 vcc, 0
	s_subb_u32 s2, s1, 0
	v_subrev_co_u32_e32 v5, vcc, s33, v4
	s_cmp_lg_u64 vcc, 0
	s_subb_u32 s3, s2, 0
	v_cmp_le_u32_e32 vcc, s33, v4
	s_cmp_eq_u32 s2, 0
	v_cndmask_b32_e64 v6, 0, -1, vcc
	s_cselect_b64 vcc, -1, 0
	v_cndmask_b32_e32 v6, -1, v6, vcc
	v_mov_b32_e32 v7, s2
	v_mov_b32_e32 v8, s3
	v_cmp_ne_u32_e32 vcc, 0, v6
	v_cndmask_b32_e32 v6, v7, v8, vcc
	v_cndmask_b32_e32 v4, v4, v5, vcc
	v_cmp_le_u32_e32 vcc, s33, v3
	s_cmp_eq_u32 s1, 0
	v_cndmask_b32_e64 v5, 0, -1, vcc
	s_cselect_b64 vcc, -1, 0
	v_cndmask_b32_e32 v5, -1, v5, vcc
	v_cmp_ne_u32_e32 vcc, 0, v5
	v_mov_b32_e32 v7, s1
	v_cndmask_b32_e32 v3, v3, v4, vcc
	v_cndmask_b32_e32 v5, v7, v6, vcc
	v_xor_b32_e32 v3, s0, v3
	v_xor_b32_e32 v5, s0, v5
	v_mov_b32_e32 v6, s0
	v_subrev_co_u32_e32 v4, vcc, s0, v3
	v_subb_co_u32_e32 v5, vcc, v5, v6, vcc
	s_cbranch_execnz .LBB28_229
.LBB28_228:                             ;   in Loop: Header=BB28_8 Depth=1
	v_cvt_f32_u32_e32 v3, s33
	s_sub_i32 s0, 0, s33
	v_rcp_iflag_f32_e32 v3, v3
	v_mul_f32_e32 v3, 0x4f7ffffe, v3
	v_cvt_u32_f32_e32 v3, v3
	v_mul_lo_u32 v4, s0, v3
	v_mul_hi_u32 v4, v3, v4
	v_add_u32_e32 v3, v3, v4
	v_readlane_b32 s0, v60, 21
	v_mul_hi_u32 v3, s0, v3
	v_mul_lo_u32 v3, v3, s33
	v_sub_u32_e32 v3, s0, v3
	v_subrev_u32_e32 v4, s33, v3
	v_cmp_le_u32_e32 vcc, s33, v3
	v_cndmask_b32_e32 v3, v3, v4, vcc
	v_subrev_u32_e32 v4, s33, v3
	v_cmp_le_u32_e32 vcc, s33, v3
	v_cndmask_b32_e32 v18, v3, v4, vcc
	v_pk_mov_b32 v[4:5], v[18:19], v[18:19] op_sel:[0,1]
.LBB28_229:                             ;   in Loop: Header=BB28_8 Depth=1
	v_readlane_b32 s0, v60, 21
	v_mov_b32_e32 v3, s47
	v_sub_co_u32_e32 v8, vcc, s0, v4
	v_subb_co_u32_e32 v9, vcc, v3, v5, vcc
	v_cmp_gt_i64_e32 vcc, v[8:9], v[0:1]
	s_mov_b64 s[28:29], 0
                                        ; implicit-def: $vgpr6_vgpr7
	s_and_saveexec_b64 s[0:1], vcc
	s_cbranch_execz .LBB28_242
; %bb.230:                              ;   in Loop: Header=BB28_8 Depth=1
	s_mov_b64 s[8:9], 0
	v_pk_mov_b32 v[10:11], v[16:17], v[16:17] op_sel:[0,1]
	v_pk_mov_b32 v[12:13], v[0:1], v[0:1] op_sel:[0,1]
                                        ; implicit-def: $sgpr2_sgpr3
	s_branch .LBB28_232
.LBB28_231:                             ;   in Loop: Header=BB28_232 Depth=2
	s_or_b64 exec, exec, s[28:29]
	s_waitcnt lgkmcnt(0)
	s_barrier
	s_waitcnt vmcnt(0)
	ds_read_b128 v[4:7], v19 offset:3072
	v_mov_b32_e32 v3, s82
	v_add_co_u32_e32 v12, vcc, s33, v12
	v_addc_co_u32_e32 v13, vcc, v13, v3, vcc
	s_waitcnt lgkmcnt(0)
	v_readfirstlane_b32 s29, v5
	v_readfirstlane_b32 s28, v4
	s_cmp_lg_u64 s[28:29], 0
	s_cselect_b64 s[28:29], -1, 0
	v_cmp_ge_i64_e32 vcc, v[12:13], v[8:9]
	s_or_b64 s[42:43], s[28:29], vcc
	s_and_b64 s[42:43], exec, s[42:43]
	s_or_b64 s[8:9], s[42:43], s[8:9]
	v_mov_b32_e32 v3, s71
	v_add_co_u32_e32 v10, vcc, s70, v10
	s_andn2_b64 s[2:3], s[2:3], exec
	s_and_b64 s[28:29], s[28:29], exec
	v_addc_co_u32_e32 v11, vcc, v11, v3, vcc
	s_or_b64 s[2:3], s[2:3], s[28:29]
	s_barrier
	s_andn2_b64 exec, exec, s[8:9]
	s_cbranch_execz .LBB28_241
.LBB28_232:                             ;   Parent Loop BB28_8 Depth=1
                                        ; =>  This Inner Loop Header: Depth=2
	v_cmp_gt_i64_e32 vcc, s[56:57], v[12:13]
	v_pk_mov_b32 v[4:5], 0, 0
	s_and_saveexec_b64 s[28:29], vcc
	s_cbranch_execz .LBB28_234
; %bb.233:                              ;   in Loop: Header=BB28_232 Depth=2
	global_load_dwordx2 v[4:5], v[10:11], off
.LBB28_234:                             ;   in Loop: Header=BB28_232 Depth=2
	s_or_b64 exec, exec, s[28:29]
	s_and_saveexec_b64 s[28:29], vcc
	s_cbranch_execz .LBB28_231
; %bb.235:                              ;   in Loop: Header=BB28_232 Depth=2
	s_waitcnt vmcnt(0)
	v_xor_b32_e32 v3, 0x80000000, v5
	v_and_b32_e32 v7, s85, v3
	v_and_b32_e32 v6, s84, v4
	v_cmp_eq_u64_e32 vcc, s[86:87], v[6:7]
	s_and_b64 exec, exec, vcc
	s_cbranch_execz .LBB28_231
; %bb.236:                              ;   in Loop: Header=BB28_232 Depth=2
	v_mov_b32_e32 v3, v19
	ds_write_b128 v19, v[2:5] offset:3072
	s_branch .LBB28_231
.LBB28_237:                             ;   in Loop: Header=BB28_8 Depth=1
                                        ; implicit-def: $sgpr0_sgpr1
                                        ; implicit-def: $sgpr8_sgpr9
                                        ; implicit-def: $sgpr2_sgpr3
	s_branch .LBB28_256
.LBB28_238:                             ;   in Loop: Header=BB28_8 Depth=1
                                        ; implicit-def: $vgpr4_vgpr5
	s_branch .LBB28_181
.LBB28_239:                             ;   in Loop: Header=BB28_8 Depth=1
                                        ; implicit-def: $vgpr4_vgpr5
	s_branch .LBB28_198
.LBB28_240:                             ;   in Loop: Header=BB28_8 Depth=1
	s_mov_b64 s[0:1], -1
	s_mov_b64 s[28:29], 0
                                        ; implicit-def: $sgpr2_sgpr3
                                        ; implicit-def: $vgpr6_vgpr7
	s_mov_b64 s[8:9], s[0:1]
	s_cbranch_execnz .LBB28_243
	s_branch .LBB28_256
.LBB28_241:                             ;   in Loop: Header=BB28_8 Depth=1
	s_or_b64 exec, exec, s[8:9]
	s_and_b64 s[28:29], s[2:3], exec
.LBB28_242:                             ;   in Loop: Header=BB28_8 Depth=1
	s_or_b64 exec, exec, s[0:1]
	s_mov_b64 s[2:3], -1
	s_mov_b64 s[0:1], 0
	s_mov_b64 s[8:9], s[0:1]
	s_branch .LBB28_256
.LBB28_243:                             ;   in Loop: Header=BB28_8 Depth=1
	v_readlane_b32 s0, v60, 20
	s_add_u32 s8, s0, s20
	v_readlane_b32 s0, v60, 22
	s_addc_u32 s1, s0, s21
	s_mov_b32 s0, s75
	s_cmp_lg_u64 s[0:1], 0
	s_cbranch_scc0 .LBB28_277
; %bb.244:                              ;   in Loop: Header=BB28_8 Depth=1
	v_cvt_f32_u32_e32 v3, s33
	s_sub_u32 s0, 0, s33
	s_subb_u32 s2, 0, 0
	v_mac_f32_e32 v3, 0x4f800000, v49
	v_rcp_f32_e32 v3, v3
	v_mul_f32_e32 v3, 0x5f7ffffc, v3
	v_mul_f32_e32 v4, 0x2f800000, v3
	v_trunc_f32_e32 v4, v4
	v_mac_f32_e32 v3, 0xcf800000, v4
	v_cvt_u32_f32_e32 v4, v4
	v_cvt_u32_f32_e32 v3, v3
	v_readfirstlane_b32 s3, v4
	v_readfirstlane_b32 s9, v3
	s_mul_i32 s28, s0, s3
	s_mul_hi_u32 s42, s0, s9
	s_mul_i32 s29, s2, s9
	s_add_i32 s28, s42, s28
	s_mul_i32 s43, s0, s9
	s_add_i32 s28, s28, s29
	s_mul_hi_u32 s42, s9, s43
	s_mul_hi_u32 s29, s9, s28
	s_mul_i32 s9, s9, s28
	s_add_u32 s9, s42, s9
	s_addc_u32 s29, 0, s29
	s_mul_hi_u32 s44, s3, s43
	s_mul_i32 s43, s3, s43
	s_add_u32 s9, s9, s43
	s_mul_hi_u32 s42, s3, s28
	s_addc_u32 s9, s29, s44
	s_addc_u32 s29, s42, 0
	s_mul_i32 s28, s3, s28
	s_add_u32 s9, s9, s28
	s_addc_u32 s28, 0, s29
	v_add_co_u32_e32 v3, vcc, s9, v3
	s_cmp_lg_u64 vcc, 0
	s_addc_u32 s3, s3, s28
	v_readfirstlane_b32 s28, v3
	s_mul_i32 s9, s0, s3
	s_mul_hi_u32 s29, s0, s28
	s_add_i32 s9, s29, s9
	s_mul_i32 s2, s2, s28
	s_add_i32 s9, s9, s2
	s_mul_i32 s0, s0, s28
	s_mul_hi_u32 s29, s3, s0
	s_mul_i32 s42, s3, s0
	s_mul_i32 s44, s28, s9
	s_mul_hi_u32 s0, s28, s0
	s_mul_hi_u32 s43, s28, s9
	s_add_u32 s0, s0, s44
	s_addc_u32 s28, 0, s43
	s_add_u32 s0, s0, s42
	s_mul_hi_u32 s2, s3, s9
	s_addc_u32 s0, s28, s29
	s_addc_u32 s2, s2, 0
	s_mul_i32 s9, s3, s9
	s_add_u32 s0, s0, s9
	s_addc_u32 s2, 0, s2
	v_add_co_u32_e32 v3, vcc, s0, v3
	s_cmp_lg_u64 vcc, 0
	s_addc_u32 s0, s3, s2
	s_ashr_i32 s2, s1, 31
	s_add_u32 s28, s8, s2
	s_mov_b32 s3, s2
	s_addc_u32 s29, s1, s2
	s_xor_b64 s[28:29], s[28:29], s[2:3]
	v_readfirstlane_b32 s42, v3
	s_mul_i32 s9, s28, s0
	s_mul_hi_u32 s43, s28, s42
	s_mul_hi_u32 s3, s28, s0
	s_add_u32 s9, s43, s9
	s_addc_u32 s3, 0, s3
	s_mul_hi_u32 s44, s29, s42
	s_mul_i32 s42, s29, s42
	s_add_u32 s9, s9, s42
	s_mul_hi_u32 s43, s29, s0
	s_addc_u32 s3, s3, s44
	s_addc_u32 s9, s43, 0
	s_mul_i32 s0, s29, s0
	s_add_u32 s0, s3, s0
	s_addc_u32 s3, 0, s9
	s_mul_hi_u32 s9, s33, s0
	s_mul_i32 s0, s33, s0
	s_mul_i32 s3, s33, s3
	v_mov_b32_e32 v3, s0
	s_add_i32 s9, s9, s3
	v_sub_co_u32_e32 v3, vcc, s28, v3
	s_cmp_lg_u64 vcc, 0
	s_subb_u32 s0, s29, s9
	v_subrev_co_u32_e32 v4, vcc, s33, v3
	s_cmp_lg_u64 vcc, 0
	s_subb_u32 s3, s0, 0
	v_subrev_co_u32_e32 v5, vcc, s33, v4
	s_cmp_lg_u64 vcc, 0
	s_subb_u32 s9, s3, 0
	v_cmp_le_u32_e32 vcc, s33, v4
	s_cmp_eq_u32 s3, 0
	v_cndmask_b32_e64 v6, 0, -1, vcc
	s_cselect_b64 vcc, -1, 0
	v_cndmask_b32_e32 v6, -1, v6, vcc
	v_mov_b32_e32 v7, s3
	v_mov_b32_e32 v8, s9
	v_cmp_ne_u32_e32 vcc, 0, v6
	v_cndmask_b32_e32 v6, v7, v8, vcc
	v_cndmask_b32_e32 v4, v4, v5, vcc
	v_cmp_le_u32_e32 vcc, s33, v3
	s_cmp_eq_u32 s0, 0
	v_cndmask_b32_e64 v5, 0, -1, vcc
	s_cselect_b64 vcc, -1, 0
	v_cndmask_b32_e32 v5, -1, v5, vcc
	v_cmp_ne_u32_e32 vcc, 0, v5
	v_mov_b32_e32 v7, s0
	v_cndmask_b32_e32 v3, v3, v4, vcc
	v_cndmask_b32_e32 v5, v7, v6, vcc
	v_xor_b32_e32 v3, s2, v3
	v_xor_b32_e32 v5, s2, v5
	v_mov_b32_e32 v6, s2
	v_subrev_co_u32_e32 v4, vcc, s2, v3
	v_subb_co_u32_e32 v5, vcc, v5, v6, vcc
	s_cbranch_execnz .LBB28_246
.LBB28_245:                             ;   in Loop: Header=BB28_8 Depth=1
	v_cvt_f32_u32_e32 v3, s33
	s_sub_i32 s0, 0, s33
	v_rcp_iflag_f32_e32 v3, v3
	v_mul_f32_e32 v3, 0x4f7ffffe, v3
	v_cvt_u32_f32_e32 v3, v3
	v_mul_lo_u32 v4, s0, v3
	v_mul_hi_u32 v4, v3, v4
	v_add_u32_e32 v3, v3, v4
	v_mul_hi_u32 v3, s8, v3
	v_mul_lo_u32 v3, v3, s33
	v_sub_u32_e32 v3, s8, v3
	v_subrev_u32_e32 v4, s33, v3
	v_cmp_le_u32_e32 vcc, s33, v3
	v_cndmask_b32_e32 v3, v3, v4, vcc
	v_subrev_u32_e32 v4, s33, v3
	v_cmp_le_u32_e32 vcc, s33, v3
	v_cndmask_b32_e32 v18, v3, v4, vcc
	v_pk_mov_b32 v[4:5], v[18:19], v[18:19] op_sel:[0,1]
.LBB28_246:                             ;   in Loop: Header=BB28_8 Depth=1
	v_mov_b32_e32 v3, s1
	v_sub_co_u32_e32 v8, vcc, s8, v4
	v_subb_co_u32_e32 v9, vcc, v3, v5, vcc
	v_cmp_gt_i64_e32 vcc, v[8:9], v[0:1]
	s_mov_b64 s[28:29], 0
                                        ; implicit-def: $vgpr6_vgpr7
	s_and_saveexec_b64 s[0:1], vcc
	s_cbranch_execz .LBB28_255
; %bb.247:                              ;   in Loop: Header=BB28_8 Depth=1
	s_mov_b64 s[8:9], 0
	v_mov_b32_e32 v12, v41
	v_pk_mov_b32 v[10:11], v[0:1], v[0:1] op_sel:[0,1]
                                        ; implicit-def: $sgpr2_sgpr3
	s_branch .LBB28_249
.LBB28_248:                             ;   in Loop: Header=BB28_249 Depth=2
	s_or_b64 exec, exec, s[28:29]
	s_waitcnt lgkmcnt(0)
	s_barrier
	ds_read_b128 v[4:7], v19 offset:3072
	v_mov_b32_e32 v3, s82
	v_add_co_u32_e32 v10, vcc, s33, v10
	v_addc_co_u32_e32 v11, vcc, v11, v3, vcc
	s_waitcnt lgkmcnt(0)
	v_readfirstlane_b32 s29, v5
	v_readfirstlane_b32 s28, v4
	s_cmp_lg_u64 s[28:29], 0
	s_cselect_b64 s[28:29], -1, 0
	v_cmp_ge_i64_e32 vcc, v[10:11], v[8:9]
	s_or_b64 s[42:43], s[28:29], vcc
	s_and_b64 s[42:43], exec, s[42:43]
	s_or_b64 s[8:9], s[42:43], s[8:9]
	s_andn2_b64 s[2:3], s[2:3], exec
	s_and_b64 s[28:29], s[28:29], exec
	v_add_u32_e32 v12, s78, v12
	s_or_b64 s[2:3], s[2:3], s[28:29]
	s_barrier
	s_andn2_b64 exec, exec, s[8:9]
	s_cbranch_execz .LBB28_254
.LBB28_249:                             ;   Parent Loop BB28_8 Depth=1
                                        ; =>  This Inner Loop Header: Depth=2
	v_cmp_gt_i64_e32 vcc, s[20:21], v[10:11]
	v_pk_mov_b32 v[4:5], 0, 0
	s_and_saveexec_b64 s[28:29], vcc
	s_cbranch_execz .LBB28_251
; %bb.250:                              ;   in Loop: Header=BB28_249 Depth=2
	ds_read_b64 v[4:5], v12
.LBB28_251:                             ;   in Loop: Header=BB28_249 Depth=2
	s_or_b64 exec, exec, s[28:29]
	s_and_saveexec_b64 s[28:29], vcc
	s_cbranch_execz .LBB28_248
; %bb.252:                              ;   in Loop: Header=BB28_249 Depth=2
	s_waitcnt lgkmcnt(0)
	v_xor_b32_e32 v3, 0x80000000, v5
	v_and_b32_e32 v7, s85, v3
	v_and_b32_e32 v6, s84, v4
	v_cmp_eq_u64_e32 vcc, s[86:87], v[6:7]
	s_and_b64 exec, exec, vcc
	s_cbranch_execz .LBB28_248
; %bb.253:                              ;   in Loop: Header=BB28_249 Depth=2
	v_mov_b32_e32 v3, v19
	ds_write_b128 v19, v[2:5] offset:3072
	s_branch .LBB28_248
.LBB28_254:                             ;   in Loop: Header=BB28_8 Depth=1
	s_or_b64 exec, exec, s[8:9]
	s_and_b64 s[28:29], s[2:3], exec
.LBB28_255:                             ;   in Loop: Header=BB28_8 Depth=1
	s_or_b64 exec, exec, s[0:1]
	s_mov_b64 s[8:9], -1
	s_mov_b64 s[0:1], 0
	s_mov_b64 s[2:3], 0
.LBB28_256:                             ;   in Loop: Header=BB28_8 Depth=1
	s_mov_b64 s[42:43], 0
                                        ; implicit-def: $sgpr46
                                        ; implicit-def: $sgpr44_sgpr45
	s_and_saveexec_b64 s[20:21], s[28:29]
	s_cbranch_execz .LBB28_269
; %bb.257:                              ;   in Loop: Header=BB28_8 Depth=1
	s_xor_b64 s[18:19], s[18:19], -1
	s_mov_b64 s[44:45], 1
	s_andn2_b64 vcc, exec, s[18:19]
	s_mov_b32 s46, 1
	s_cbranch_vccnz .LBB28_268
; %bb.258:                              ;   in Loop: Header=BB28_8 Depth=1
	s_waitcnt vmcnt(0)
	v_pk_mov_b32 v[4:5], s[6:7], s[6:7] op_sel:[0,1]
	v_cmp_gt_i64_e32 vcc, s[58:59], v[4:5]
	s_cbranch_vccnz .LBB28_264
; %bb.259:                              ;   in Loop: Header=BB28_8 Depth=1
	ds_read_b64 v[4:5], v19 offset:5120
	s_waitcnt lgkmcnt(0)
	v_cmp_ne_u64_e32 vcc, 0, v[4:5]
	s_cbranch_vccnz .LBB28_263
; %bb.260:                              ;   in Loop: Header=BB28_8 Depth=1
	s_mov_b64 s[18:19], exec
	v_readlane_b32 s28, v60, 8
	v_readlane_b32 s29, v60, 9
	s_and_b64 s[28:29], s[18:19], s[28:29]
	s_mov_b64 exec, s[28:29]
	s_cbranch_execz .LBB28_262
; %bb.261:                              ;   in Loop: Header=BB28_8 Depth=1
	v_pk_mov_b32 v[4:5], s[6:7], s[6:7] op_sel:[0,1]
	ds_write_b64 v19, v[4:5] offset:5128
.LBB28_262:                             ;   in Loop: Header=BB28_8 Depth=1
	s_or_b64 exec, exec, s[18:19]
	s_waitcnt lgkmcnt(0)
	s_barrier
.LBB28_263:                             ;   in Loop: Header=BB28_8 Depth=1
	s_or_b64 s[18:19], s[86:87], s[12:13]
	s_or_b64 s[12:13], s[84:85], s[12:13]
	s_mov_b64 s[28:29], 0
	s_mov_b32 s46, 8
	s_branch .LBB28_265
.LBB28_264:                             ;   in Loop: Header=BB28_8 Depth=1
	s_mov_b64 s[28:29], -1
                                        ; implicit-def: $sgpr46
                                        ; implicit-def: $sgpr18_sgpr19
                                        ; implicit-def: $sgpr12_sgpr13
.LBB28_265:                             ;   in Loop: Header=BB28_8 Depth=1
	s_andn2_b64 vcc, exec, s[28:29]
	s_cbranch_vccnz .LBB28_267
; %bb.266:                              ;   in Loop: Header=BB28_8 Depth=1
	s_sub_u32 s58, s58, s6
	s_subb_u32 s59, s59, s7
	s_mov_b32 s46, 8
	s_mov_b64 s[18:19], s[86:87]
	s_mov_b64 s[12:13], s[84:85]
.LBB28_267:                             ;   in Loop: Header=BB28_8 Depth=1
	s_mov_b64 s[44:45], s[58:59]
	s_mov_b64 s[86:87], s[18:19]
	s_mov_b64 s[84:85], s[12:13]
.LBB28_268:                             ;   in Loop: Header=BB28_8 Depth=1
	s_mov_b64 s[42:43], exec
.LBB28_269:                             ;   in Loop: Header=BB28_8 Depth=1
	s_or_b64 exec, exec, s[20:21]
	s_mov_b64 s[58:59], s[44:45]
.LBB28_270:                             ;   in Loop: Header=BB28_8 Depth=1
	s_andn2_b64 s[6:7], s[34:35], exec
	s_and_b64 s[0:1], s[0:1], exec
	s_or_b64 s[34:35], s[6:7], s[0:1]
	s_andn2_b64 s[0:1], s[38:39], exec
	s_and_b64 s[6:7], s[8:9], exec
	s_or_b64 s[38:39], s[0:1], s[6:7]
	;; [unrolled: 3-line block ×3, first 2 shown]
	s_and_b64 s[2:3], s[42:43], exec
.LBB28_271:                             ;   in Loop: Header=BB28_8 Depth=1
	s_or_b64 exec, exec, s[40:41]
.LBB28_272:                             ;   in Loop: Header=BB28_8 Depth=1
	s_andn2_b64 s[0:1], s[24:25], exec
	s_and_b64 s[6:7], s[34:35], exec
	s_or_b64 s[24:25], s[0:1], s[6:7]
	s_andn2_b64 s[0:1], s[26:27], exec
	s_and_b64 s[6:7], s[38:39], exec
	s_or_b64 s[26:27], s[0:1], s[6:7]
	s_andn2_b64 s[0:1], s[22:23], exec
	s_and_b64 s[6:7], s[36:37], exec
	s_or_b64 s[22:23], s[0:1], s[6:7]
	s_and_b64 s[2:3], s[2:3], exec
.LBB28_273:                             ;   in Loop: Header=BB28_8 Depth=1
	s_or_b64 exec, exec, s[30:31]
	s_and_saveexec_b64 s[0:1], s[2:3]
	s_xor_b64 s[0:1], exec, s[0:1]
	s_cbranch_execz .LBB28_6
.LBB28_274:                             ;   in Loop: Header=BB28_8 Depth=1
	s_and_b32 s2, s46, -9
	s_cmp_eq_u32 s2, 0
	s_cbranch_scc1 .LBB28_4
; %bb.275:                              ;   in Loop: Header=BB28_8 Depth=1
	s_mov_b64 s[2:3], -1
                                        ; implicit-def: $sgpr84_sgpr85
                                        ; implicit-def: $sgpr52
                                        ; implicit-def: $sgpr83
	s_mov_b64 s[6:7], -1
	s_branch .LBB28_5
.LBB28_276:                             ;   in Loop: Header=BB28_8 Depth=1
                                        ; implicit-def: $vgpr4_vgpr5
	s_branch .LBB28_228
.LBB28_277:                             ;   in Loop: Header=BB28_8 Depth=1
                                        ; implicit-def: $vgpr4_vgpr5
	s_branch .LBB28_245
.LBB28_278:
	s_or_b64 exec, exec, s[92:93]
	s_xor_b64 s[6:7], s[66:67], -1
	s_xor_b64 s[0:1], s[54:55], -1
	s_xor_b64 s[4:5], s[64:65], -1
	s_mov_b64 s[2:3], 0
	s_and_saveexec_b64 s[8:9], s[0:1]
	s_xor_b64 s[0:1], exec, s[8:9]
	s_cbranch_execnz .LBB28_283
; %bb.279:
	s_andn2_saveexec_b64 s[0:1], s[0:1]
	s_cbranch_execnz .LBB28_305
.LBB28_280:
	s_or_b64 exec, exec, s[0:1]
	s_and_saveexec_b64 s[0:1], s[2:3]
.LBB28_281:
	; divergent unreachable
.LBB28_282:
	s_endpgm
.LBB28_283:
	s_and_saveexec_b64 s[2:3], s[6:7]
	s_xor_b64 s[2:3], exec, s[2:3]
	s_cbranch_execz .LBB28_303
; %bb.284:
	s_and_saveexec_b64 s[6:7], s[4:5]
	s_xor_b64 s[4:5], exec, s[6:7]
; %bb.285:
	v_xor_b32_e32 v5, 0x80000000, v5
	v_pk_mov_b32 v[6:7], v[4:5], v[4:5] op_sel:[0,1]
; %bb.286:
	s_or_b64 exec, exec, s[4:5]
	s_mov_b64 s[4:5], exec
	v_readlane_b32 s6, v60, 8
	v_readlane_b32 s7, v60, 9
	s_and_b64 s[6:7], s[4:5], s[6:7]
	v_readlane_b32 s24, v60, 10
	v_readlane_b32 s25, v60, 11
	s_mov_b64 exec, s[6:7]
	s_cbranch_execz .LBB28_288
; %bb.287:
	v_mov_b32_e32 v2, 0
	v_mov_b32_e32 v3, s56
	ds_write_b32 v2, v3 offset:5140
.LBB28_288:
	s_or_b64 exec, exec, s[4:5]
	s_waitcnt lgkmcnt(0)
	s_barrier
	s_and_saveexec_b64 s[4:5], s[80:81]
	s_cbranch_execz .LBB28_300
; %bb.289:
	v_mov_b32_e32 v2, 0
	ds_read_b32 v4, v2 offset:5140
	s_mov_b64 s[6:7], 0
                                        ; implicit-def: $sgpr8_sgpr9
                                        ; implicit-def: $sgpr10_sgpr11
                                        ; implicit-def: $sgpr12_sgpr13
	s_waitcnt lgkmcnt(0)
	v_ashrrev_i32_e32 v5, 31, v4
	s_branch .LBB28_292
.LBB28_290:                             ;   in Loop: Header=BB28_292 Depth=1
	s_or_b64 exec, exec, s[18:19]
	s_andn2_b64 s[12:13], s[12:13], exec
	s_and_b64 s[16:17], s[16:17], exec
	s_or_b64 s[12:13], s[12:13], s[16:17]
	s_andn2_b64 s[10:11], s[10:11], exec
	s_and_b64 s[16:17], s[20:21], exec
	s_or_b64 s[10:11], s[10:11], s[16:17]
.LBB28_291:                             ;   in Loop: Header=BB28_292 Depth=1
	s_or_b64 exec, exec, s[14:15]
	s_and_b64 s[14:15], exec, s[10:11]
	s_or_b64 s[6:7], s[14:15], s[6:7]
	s_andn2_b64 s[8:9], s[8:9], exec
	s_and_b64 s[14:15], s[12:13], exec
	s_or_b64 s[8:9], s[8:9], s[14:15]
	s_andn2_b64 exec, exec, s[6:7]
	s_cbranch_execz .LBB28_295
.LBB28_292:                             ; =>This Inner Loop Header: Depth=1
	v_pk_mov_b32 v[2:3], v[0:1], v[0:1] op_sel:[0,1]
	v_cmp_lt_i64_e32 vcc, v[2:3], v[4:5]
	s_or_b64 s[12:13], s[12:13], exec
	s_or_b64 s[10:11], s[10:11], exec
                                        ; implicit-def: $vgpr0_vgpr1
	s_and_saveexec_b64 s[14:15], vcc
	s_cbranch_execz .LBB28_291
; %bb.293:                              ;   in Loop: Header=BB28_292 Depth=1
	global_load_dwordx2 v[0:1], v[16:17], off
	s_mov_b64 s[20:21], -1
	s_mov_b64 s[16:17], 0
	s_waitcnt vmcnt(0)
	v_cmp_ne_u64_e32 vcc, v[0:1], v[6:7]
                                        ; implicit-def: $vgpr0_vgpr1
	s_and_saveexec_b64 s[18:19], vcc
	s_cbranch_execz .LBB28_290
; %bb.294:                              ;   in Loop: Header=BB28_292 Depth=1
	v_mov_b32_e32 v1, s82
	v_add_co_u32_e32 v0, vcc, s33, v2
	v_addc_co_u32_e32 v1, vcc, v3, v1, vcc
	v_mov_b32_e32 v3, s71
	v_add_co_u32_e32 v16, vcc, s70, v16
	v_addc_co_u32_e32 v17, vcc, v17, v3, vcc
	v_cmp_le_i64_e32 vcc, s[56:57], v[0:1]
	s_mov_b64 s[16:17], exec
	s_orn2_b64 s[20:21], vcc, exec
	s_branch .LBB28_290
.LBB28_295:
	s_or_b64 exec, exec, s[6:7]
	s_xor_b64 s[6:7], s[8:9], -1
	s_and_saveexec_b64 s[8:9], s[6:7]
	s_xor_b64 s[8:9], exec, s[8:9]
	s_cbranch_execz .LBB28_300
; %bb.296:
	s_mov_b64 s[6:7], exec
	s_brev_b32 s8, -2
.LBB28_297:                             ; =>This Inner Loop Header: Depth=1
	s_ff1_i32_b64 s9, s[6:7]
	v_readlane_b32 s12, v2, s9
	s_lshl_b64 s[10:11], 1, s9
	s_min_i32 s8, s8, s12
	s_andn2_b64 s[6:7], s[6:7], s[10:11]
	s_cmp_lg_u64 s[6:7], 0
	s_cbranch_scc1 .LBB28_297
; %bb.298:
	v_mbcnt_lo_u32_b32 v0, exec_lo, 0
	v_mbcnt_hi_u32_b32 v0, exec_hi, v0
	v_cmp_eq_u32_e32 vcc, 0, v0
	s_and_saveexec_b64 s[6:7], vcc
	s_xor_b64 s[6:7], exec, s[6:7]
	s_cbranch_execz .LBB28_300
; %bb.299:
	v_mov_b32_e32 v0, 0
	v_mov_b32_e32 v1, s8
	ds_min_i32 v0, v1 offset:5140
.LBB28_300:
	s_or_b64 exec, exec, s[4:5]
	s_waitcnt lgkmcnt(0)
	s_barrier
	s_mov_b64 s[4:5], exec
	v_readlane_b32 s6, v60, 8
	v_readlane_b32 s7, v60, 9
	s_and_b64 s[6:7], s[4:5], s[6:7]
	s_mov_b64 exec, s[6:7]
	s_cbranch_execz .LBB28_302
; %bb.301:
	v_readlane_b32 s8, v60, 4
	v_readlane_b32 s9, v60, 5
	v_readlane_b32 s10, v60, 0
	s_mul_i32 s6, s9, s24
	s_mul_hi_u32 s7, s8, s24
	v_readlane_b32 s11, v60, 1
	v_mov_b32_e32 v2, 0
	s_add_i32 s7, s7, s6
	s_mul_i32 s6, s8, s24
	s_mul_i32 s8, s11, s24
	s_mul_hi_u32 s9, s10, s24
	ds_read_b32 v0, v2 offset:5140
	s_add_i32 s9, s9, s8
	s_mul_i32 s8, s10, s24
	s_lshl_b64 s[6:7], s[6:7], 3
	v_readlane_b32 s10, v60, 6
	v_readlane_b32 s11, v60, 7
	s_add_u32 s6, s10, s6
	s_addc_u32 s7, s11, s7
	s_lshl_b64 s[8:9], s[8:9], 3
	v_readlane_b32 s10, v60, 2
	v_readlane_b32 s11, v60, 3
	s_add_u32 s8, s10, s8
	s_addc_u32 s9, s11, s9
	s_waitcnt lgkmcnt(0)
	v_ashrrev_i32_e32 v1, 31, v0
	global_store_dwordx2 v2, v[0:1], s[8:9]
	global_store_dwordx2 v2, v[6:7], s[6:7]
.LBB28_302:
	s_or_b64 exec, exec, s[4:5]
.LBB28_303:
	s_or_saveexec_b64 s[2:3], s[2:3]
	s_mov_b64 s[4:5], 0
	s_xor_b64 exec, exec, s[2:3]
	s_cbranch_execnz .LBB28_306
.LBB28_304:
	s_or_b64 exec, exec, s[2:3]
	s_and_b64 s[2:3], s[4:5], exec
	s_andn2_saveexec_b64 s[0:1], s[0:1]
	s_cbranch_execz .LBB28_280
.LBB28_305:
	s_or_b64 s[2:3], s[2:3], exec
	s_trap 2
	s_or_b64 exec, exec, s[0:1]
	s_and_saveexec_b64 s[0:1], s[2:3]
	s_cbranch_execnz .LBB28_281
	s_branch .LBB28_282
.LBB28_306:
	s_mov_b64 s[4:5], exec
	s_trap 2
	s_branch .LBB28_304
	.section	.rodata,"a",@progbits
	.p2align	6, 0x0
	.amdhsa_kernel _ZN2at6native12_GLOBAL__N_114gatherKthValueIllLi1EEEvNS_4cuda6detail10TensorInfoIKT_T0_EES8_S8_S8_S8_NS5_IS6_S8_EENS5_IlS8_EE
		.amdhsa_group_segment_fixed_size 5144
		.amdhsa_private_segment_fixed_size 0
		.amdhsa_kernarg_size 1536
		.amdhsa_user_sgpr_count 6
		.amdhsa_user_sgpr_private_segment_buffer 1
		.amdhsa_user_sgpr_dispatch_ptr 0
		.amdhsa_user_sgpr_queue_ptr 0
		.amdhsa_user_sgpr_kernarg_segment_ptr 1
		.amdhsa_user_sgpr_dispatch_id 0
		.amdhsa_user_sgpr_flat_scratch_init 0
		.amdhsa_user_sgpr_kernarg_preload_length 0
		.amdhsa_user_sgpr_kernarg_preload_offset 0
		.amdhsa_user_sgpr_private_segment_size 0
		.amdhsa_uses_dynamic_stack 0
		.amdhsa_system_sgpr_private_segment_wavefront_offset 0
		.amdhsa_system_sgpr_workgroup_id_x 1
		.amdhsa_system_sgpr_workgroup_id_y 1
		.amdhsa_system_sgpr_workgroup_id_z 1
		.amdhsa_system_sgpr_workgroup_info 0
		.amdhsa_system_vgpr_workitem_id 0
		.amdhsa_next_free_vgpr 61
		.amdhsa_next_free_sgpr 96
		.amdhsa_accum_offset 64
		.amdhsa_reserve_vcc 1
		.amdhsa_reserve_flat_scratch 0
		.amdhsa_float_round_mode_32 0
		.amdhsa_float_round_mode_16_64 0
		.amdhsa_float_denorm_mode_32 3
		.amdhsa_float_denorm_mode_16_64 3
		.amdhsa_dx10_clamp 1
		.amdhsa_ieee_mode 1
		.amdhsa_fp16_overflow 0
		.amdhsa_tg_split 0
		.amdhsa_exception_fp_ieee_invalid_op 0
		.amdhsa_exception_fp_denorm_src 0
		.amdhsa_exception_fp_ieee_div_zero 0
		.amdhsa_exception_fp_ieee_overflow 0
		.amdhsa_exception_fp_ieee_underflow 0
		.amdhsa_exception_fp_ieee_inexact 0
		.amdhsa_exception_int_div_zero 0
	.end_amdhsa_kernel
	.section	.text._ZN2at6native12_GLOBAL__N_114gatherKthValueIllLi1EEEvNS_4cuda6detail10TensorInfoIKT_T0_EES8_S8_S8_S8_NS5_IS6_S8_EENS5_IlS8_EE,"axG",@progbits,_ZN2at6native12_GLOBAL__N_114gatherKthValueIllLi1EEEvNS_4cuda6detail10TensorInfoIKT_T0_EES8_S8_S8_S8_NS5_IS6_S8_EENS5_IlS8_EE,comdat
.Lfunc_end28:
	.size	_ZN2at6native12_GLOBAL__N_114gatherKthValueIllLi1EEEvNS_4cuda6detail10TensorInfoIKT_T0_EES8_S8_S8_S8_NS5_IS6_S8_EENS5_IlS8_EE, .Lfunc_end28-_ZN2at6native12_GLOBAL__N_114gatherKthValueIllLi1EEEvNS_4cuda6detail10TensorInfoIKT_T0_EES8_S8_S8_S8_NS5_IS6_S8_EENS5_IlS8_EE
                                        ; -- End function
	.section	.AMDGPU.csdata,"",@progbits
; Kernel info:
; codeLenInByte = 16436
; NumSgprs: 100
; NumVgprs: 61
; NumAgprs: 0
; TotalNumVgprs: 61
; ScratchSize: 0
; MemoryBound: 0
; FloatMode: 240
; IeeeMode: 1
; LDSByteSize: 5144 bytes/workgroup (compile time only)
; SGPRBlocks: 12
; VGPRBlocks: 7
; NumSGPRsForWavesPerEU: 100
; NumVGPRsForWavesPerEU: 61
; AccumOffset: 64
; Occupancy: 8
; WaveLimiterHint : 1
; COMPUTE_PGM_RSRC2:SCRATCH_EN: 0
; COMPUTE_PGM_RSRC2:USER_SGPR: 6
; COMPUTE_PGM_RSRC2:TRAP_HANDLER: 0
; COMPUTE_PGM_RSRC2:TGID_X_EN: 1
; COMPUTE_PGM_RSRC2:TGID_Y_EN: 1
; COMPUTE_PGM_RSRC2:TGID_Z_EN: 1
; COMPUTE_PGM_RSRC2:TIDIG_COMP_CNT: 0
; COMPUTE_PGM_RSRC3_GFX90A:ACCUM_OFFSET: 15
; COMPUTE_PGM_RSRC3_GFX90A:TG_SPLIT: 0
	.section	.text._ZN2at6native12_GLOBAL__N_114gatherKthValueIllLi2EEEvNS_4cuda6detail10TensorInfoIKT_T0_EES8_S8_S8_S8_NS5_IS6_S8_EENS5_IlS8_EE,"axG",@progbits,_ZN2at6native12_GLOBAL__N_114gatherKthValueIllLi2EEEvNS_4cuda6detail10TensorInfoIKT_T0_EES8_S8_S8_S8_NS5_IS6_S8_EENS5_IlS8_EE,comdat
	.globl	_ZN2at6native12_GLOBAL__N_114gatherKthValueIllLi2EEEvNS_4cuda6detail10TensorInfoIKT_T0_EES8_S8_S8_S8_NS5_IS6_S8_EENS5_IlS8_EE ; -- Begin function _ZN2at6native12_GLOBAL__N_114gatherKthValueIllLi2EEEvNS_4cuda6detail10TensorInfoIKT_T0_EES8_S8_S8_S8_NS5_IS6_S8_EENS5_IlS8_EE
	.p2align	8
	.type	_ZN2at6native12_GLOBAL__N_114gatherKthValueIllLi2EEEvNS_4cuda6detail10TensorInfoIKT_T0_EES8_S8_S8_S8_NS5_IS6_S8_EENS5_IlS8_EE,@function
_ZN2at6native12_GLOBAL__N_114gatherKthValueIllLi2EEEvNS_4cuda6detail10TensorInfoIKT_T0_EES8_S8_S8_S8_NS5_IS6_S8_EENS5_IlS8_EE: ; @_ZN2at6native12_GLOBAL__N_114gatherKthValueIllLi2EEEvNS_4cuda6detail10TensorInfoIKT_T0_EES8_S8_S8_S8_NS5_IS6_S8_EENS5_IlS8_EE
; %bb.0:
	s_load_dwordx8 s[56:63], s[4:5], 0x1a0
	s_load_dwordx2 s[14:15], s[4:5], 0x500
	s_add_u32 s12, s4, 0x500
	s_addc_u32 s13, s5, 0
	s_mov_b32 s29, 0
	s_waitcnt lgkmcnt(0)
	v_mov_b32_e32 v2, s60
	s_mul_i32 s0, s15, s8
	s_add_i32 s0, s0, s7
	s_mul_i32 s0, s0, s14
	v_mov_b32_e32 v3, s61
	s_add_i32 s28, s0, s6
	v_cmp_ge_i64_e32 vcc, s[28:29], v[2:3]
	s_cbranch_vccnz .LBB29_291
; %bb.1:
	s_load_dwordx2 s[2:3], s[4:5], 0x10
	s_load_dwordx2 s[24:25], s[4:5], 0x1d0
	s_mov_b32 s0, s29
                                        ; implicit-def: $vgpr64 : SGPR spill to VGPR lane
	s_waitcnt lgkmcnt(0)
	s_mov_b32 s1, s3
	s_cmp_lg_u64 s[0:1], 0
	v_writelane_b32 v64, s24, 0
	v_writelane_b32 v64, s25, 1
	s_cbranch_scc0 .LBB29_304
; %bb.2:
	s_ashr_i32 s8, s3, 31
	s_add_u32 s0, s2, s8
	s_mov_b32 s9, s8
	s_addc_u32 s1, s3, s8
	s_xor_b64 s[16:17], s[0:1], s[8:9]
	v_cvt_f32_u32_e32 v1, s16
	v_cvt_f32_u32_e32 v2, s17
	s_sub_u32 s0, 0, s16
	s_subb_u32 s1, 0, s17
	v_madmk_f32 v1, v2, 0x4f800000, v1
	v_rcp_f32_e32 v1, v1
	v_mul_f32_e32 v1, 0x5f7ffffc, v1
	v_mul_f32_e32 v2, 0x2f800000, v1
	v_trunc_f32_e32 v2, v2
	v_madmk_f32 v1, v2, 0xcf800000, v1
	v_cvt_u32_f32_e32 v2, v2
	v_cvt_u32_f32_e32 v1, v1
	v_readfirstlane_b32 s7, v2
	v_readfirstlane_b32 s15, v1
	s_mul_i32 s18, s0, s7
	s_mul_hi_u32 s20, s0, s15
	s_mul_i32 s19, s1, s15
	s_add_i32 s18, s20, s18
	s_add_i32 s18, s18, s19
	s_mul_i32 s21, s0, s15
	s_mul_hi_u32 s19, s15, s18
	s_mul_i32 s20, s15, s18
	s_mul_hi_u32 s15, s15, s21
	s_add_u32 s15, s15, s20
	s_addc_u32 s19, 0, s19
	s_mul_hi_u32 s22, s7, s21
	s_mul_i32 s21, s7, s21
	s_add_u32 s15, s15, s21
	s_mul_hi_u32 s20, s7, s18
	s_addc_u32 s15, s19, s22
	s_addc_u32 s19, s20, 0
	s_mul_i32 s18, s7, s18
	s_add_u32 s15, s15, s18
	s_addc_u32 s18, 0, s19
	v_add_co_u32_e32 v1, vcc, s15, v1
	s_cmp_lg_u64 vcc, 0
	s_addc_u32 s7, s7, s18
	v_readfirstlane_b32 s18, v1
	s_mul_i32 s15, s0, s7
	s_mul_hi_u32 s19, s0, s18
	s_add_i32 s15, s19, s15
	s_mul_i32 s1, s1, s18
	s_add_i32 s15, s15, s1
	s_mul_i32 s0, s0, s18
	s_mul_hi_u32 s19, s7, s0
	s_mul_i32 s20, s7, s0
	s_mul_i32 s22, s18, s15
	s_mul_hi_u32 s0, s18, s0
	s_mul_hi_u32 s21, s18, s15
	s_add_u32 s0, s0, s22
	s_addc_u32 s18, 0, s21
	s_add_u32 s0, s0, s20
	s_mul_hi_u32 s1, s7, s15
	s_addc_u32 s0, s18, s19
	s_addc_u32 s1, s1, 0
	s_mul_i32 s15, s7, s15
	s_add_u32 s0, s0, s15
	s_addc_u32 s1, 0, s1
	v_add_co_u32_e32 v1, vcc, s0, v1
	s_cmp_lg_u64 vcc, 0
	s_addc_u32 s7, s7, s1
	s_ashr_i32 s18, 0, 31
	s_add_u32 s0, s28, s18
	s_mov_b32 s19, s18
	s_addc_u32 s1, 0, s18
	s_xor_b64 s[20:21], s[0:1], s[18:19]
	v_readfirstlane_b32 s15, v1
	s_mul_i32 s1, s20, s7
	s_mul_hi_u32 s22, s20, s15
	s_mul_hi_u32 s0, s20, s7
	s_add_u32 s1, s22, s1
	s_addc_u32 s0, 0, s0
	s_mul_hi_u32 s23, s21, s15
	s_mul_i32 s15, s21, s15
	s_add_u32 s1, s1, s15
	s_mul_hi_u32 s22, s21, s7
	s_addc_u32 s0, s0, s23
	s_addc_u32 s1, s22, 0
	s_mul_i32 s7, s21, s7
	s_add_u32 s7, s0, s7
	s_addc_u32 s15, 0, s1
	s_mul_i32 s0, s16, s15
	s_mul_hi_u32 s1, s16, s7
	s_add_i32 s0, s1, s0
	s_mul_i32 s1, s17, s7
	s_add_i32 s22, s0, s1
	s_mul_i32 s1, s16, s7
	v_mov_b32_e32 v1, s1
	s_sub_i32 s0, s21, s22
	v_sub_co_u32_e32 v1, vcc, s20, v1
	s_cmp_lg_u64 vcc, 0
	s_subb_u32 s20, s0, s17
	v_subrev_co_u32_e64 v2, s[0:1], s16, v1
	s_cmp_lg_u64 s[0:1], 0
	s_subb_u32 s0, s20, 0
	s_cmp_ge_u32 s0, s17
	v_readfirstlane_b32 s20, v2
	s_cselect_b32 s1, -1, 0
	s_cmp_ge_u32 s20, s16
	s_cselect_b32 s20, -1, 0
	s_cmp_eq_u32 s0, s17
	s_cselect_b32 s0, s20, s1
	s_add_u32 s1, s7, 1
	s_addc_u32 s20, s15, 0
	s_add_u32 s23, s7, 2
	s_addc_u32 s24, s15, 0
	s_cmp_lg_u32 s0, 0
	s_cselect_b32 s0, s23, s1
	s_cselect_b32 s1, s24, s20
	s_cmp_lg_u64 vcc, 0
	s_subb_u32 s20, s21, s22
	s_cmp_ge_u32 s20, s17
	v_readfirstlane_b32 s22, v1
	s_cselect_b32 s21, -1, 0
	s_cmp_ge_u32 s22, s16
	s_cselect_b32 s16, -1, 0
	s_cmp_eq_u32 s20, s17
	s_cselect_b32 s16, s16, s21
	s_load_dwordx2 s[24:25], s[4:5], 0x1d0
	s_cmp_lg_u32 s16, 0
	s_cselect_b32 s1, s1, s15
	s_cselect_b32 s0, s0, s7
	s_xor_b64 s[8:9], s[18:19], s[8:9]
	s_xor_b64 s[0:1], s[0:1], s[8:9]
	s_sub_u32 s16, s0, s8
	s_subb_u32 s17, s1, s9
	s_cbranch_execnz .LBB29_4
.LBB29_3:
	v_cvt_f32_u32_e32 v1, s2
	s_sub_i32 s0, 0, s2
	s_mov_b32 s17, 0
	v_rcp_iflag_f32_e32 v1, v1
	v_mul_f32_e32 v1, 0x4f7ffffe, v1
	v_cvt_u32_f32_e32 v1, v1
	v_readfirstlane_b32 s1, v1
	s_mul_i32 s0, s0, s1
	s_mul_hi_u32 s0, s1, s0
	s_add_i32 s1, s1, s0
	s_mul_hi_u32 s0, s28, s1
	s_mul_i32 s7, s0, s2
	s_sub_i32 s7, s28, s7
	s_add_i32 s1, s0, 1
	s_sub_i32 s8, s7, s2
	s_cmp_ge_u32 s7, s2
	s_cselect_b32 s0, s1, s0
	s_cselect_b32 s7, s8, s7
	s_add_i32 s1, s0, 1
	s_cmp_ge_u32 s7, s2
	s_cselect_b32 s16, s1, s0
.LBB29_4:
	s_load_dwordx2 s[30:31], s[4:5], 0x370
	s_mov_b32 s0, 0
	s_waitcnt lgkmcnt(0)
	s_mov_b32 s1, s25
	s_cmp_lg_u64 s[0:1], 0
	s_cbranch_scc0 .LBB29_305
; %bb.5:
	s_ashr_i32 s8, s25, 31
	s_add_u32 s0, s24, s8
	s_mov_b32 s9, s8
	s_addc_u32 s1, s25, s8
	s_xor_b64 s[18:19], s[0:1], s[8:9]
	v_cvt_f32_u32_e32 v1, s18
	v_cvt_f32_u32_e32 v2, s19
	s_sub_u32 s0, 0, s18
	s_subb_u32 s1, 0, s19
	v_madmk_f32 v1, v2, 0x4f800000, v1
	v_rcp_f32_e32 v1, v1
	v_mul_f32_e32 v1, 0x5f7ffffc, v1
	v_mul_f32_e32 v2, 0x2f800000, v1
	v_trunc_f32_e32 v2, v2
	v_madmk_f32 v1, v2, 0xcf800000, v1
	v_cvt_u32_f32_e32 v2, v2
	v_cvt_u32_f32_e32 v1, v1
	v_readfirstlane_b32 s7, v2
	v_readfirstlane_b32 s15, v1
	s_mul_i32 s20, s0, s7
	s_mul_hi_u32 s22, s0, s15
	s_mul_i32 s21, s1, s15
	s_add_i32 s20, s22, s20
	s_add_i32 s20, s20, s21
	s_mul_i32 s23, s0, s15
	s_mul_hi_u32 s21, s15, s20
	s_mul_i32 s22, s15, s20
	s_mul_hi_u32 s15, s15, s23
	s_add_u32 s15, s15, s22
	s_addc_u32 s21, 0, s21
	s_mul_hi_u32 s24, s7, s23
	s_mul_i32 s23, s7, s23
	s_add_u32 s15, s15, s23
	s_mul_hi_u32 s22, s7, s20
	s_addc_u32 s15, s21, s24
	s_addc_u32 s21, s22, 0
	s_mul_i32 s20, s7, s20
	s_add_u32 s15, s15, s20
	s_addc_u32 s20, 0, s21
	v_add_co_u32_e32 v1, vcc, s15, v1
	s_cmp_lg_u64 vcc, 0
	s_addc_u32 s7, s7, s20
	v_readfirstlane_b32 s20, v1
	s_mul_i32 s15, s0, s7
	s_mul_hi_u32 s21, s0, s20
	s_add_i32 s15, s21, s15
	s_mul_i32 s1, s1, s20
	s_add_i32 s15, s15, s1
	s_mul_i32 s0, s0, s20
	s_mul_hi_u32 s21, s7, s0
	s_mul_i32 s22, s7, s0
	s_mul_i32 s24, s20, s15
	s_mul_hi_u32 s0, s20, s0
	s_mul_hi_u32 s23, s20, s15
	s_add_u32 s0, s0, s24
	s_addc_u32 s20, 0, s23
	s_add_u32 s0, s0, s22
	s_mul_hi_u32 s1, s7, s15
	s_addc_u32 s0, s20, s21
	s_addc_u32 s1, s1, 0
	s_mul_i32 s15, s7, s15
	s_add_u32 s0, s0, s15
	s_addc_u32 s1, 0, s1
	v_add_co_u32_e32 v1, vcc, s0, v1
	s_cmp_lg_u64 vcc, 0
	s_addc_u32 s7, s7, s1
	s_ashr_i32 s20, 0, 31
	s_add_u32 s0, s28, s20
	s_mov_b32 s21, s20
	s_addc_u32 s1, 0, s20
	s_xor_b64 s[22:23], s[0:1], s[20:21]
	v_readfirstlane_b32 s15, v1
	s_mul_i32 s1, s22, s7
	s_mul_hi_u32 s24, s22, s15
	s_mul_hi_u32 s0, s22, s7
	s_add_u32 s1, s24, s1
	s_addc_u32 s0, 0, s0
	s_mul_hi_u32 s25, s23, s15
	s_mul_i32 s15, s23, s15
	s_add_u32 s1, s1, s15
	s_mul_hi_u32 s24, s23, s7
	s_addc_u32 s0, s0, s25
	s_addc_u32 s1, s24, 0
	s_mul_i32 s7, s23, s7
	s_add_u32 s7, s0, s7
	s_addc_u32 s15, 0, s1
	s_mul_i32 s0, s18, s15
	s_mul_hi_u32 s1, s18, s7
	s_add_i32 s0, s1, s0
	s_mul_i32 s1, s19, s7
	s_add_i32 s24, s0, s1
	s_mul_i32 s1, s18, s7
	v_mov_b32_e32 v1, s1
	s_sub_i32 s0, s23, s24
	v_sub_co_u32_e32 v1, vcc, s22, v1
	s_cmp_lg_u64 vcc, 0
	s_subb_u32 s22, s0, s19
	v_subrev_co_u32_e64 v2, s[0:1], s18, v1
	s_cmp_lg_u64 s[0:1], 0
	s_subb_u32 s0, s22, 0
	s_cmp_ge_u32 s0, s19
	v_readfirstlane_b32 s22, v2
	s_cselect_b32 s1, -1, 0
	s_cmp_ge_u32 s22, s18
	s_cselect_b32 s22, -1, 0
	s_cmp_eq_u32 s0, s19
	s_cselect_b32 s0, s22, s1
	s_add_u32 s1, s7, 1
	s_addc_u32 s22, s15, 0
	s_add_u32 s25, s7, 2
	s_addc_u32 s26, s15, 0
	s_cmp_lg_u32 s0, 0
	s_cselect_b32 s0, s25, s1
	s_cselect_b32 s1, s26, s22
	s_cmp_lg_u64 vcc, 0
	s_subb_u32 s22, s23, s24
	s_cmp_ge_u32 s22, s19
	v_readfirstlane_b32 s24, v1
	s_cselect_b32 s23, -1, 0
	s_cmp_ge_u32 s24, s18
	s_cselect_b32 s18, -1, 0
	s_cmp_eq_u32 s22, s19
	s_cselect_b32 s18, s18, s23
	s_load_dwordx2 s[24:25], s[4:5], 0x1d0
	s_cmp_lg_u32 s18, 0
	s_cselect_b32 s1, s1, s15
	s_cselect_b32 s0, s0, s7
	s_xor_b64 s[8:9], s[20:21], s[8:9]
	s_xor_b64 s[0:1], s[0:1], s[8:9]
	s_sub_u32 s8, s0, s8
	s_subb_u32 s9, s1, s9
	s_cbranch_execnz .LBB29_7
.LBB29_6:
	s_waitcnt lgkmcnt(0)
	v_cvt_f32_u32_e32 v1, s24
	s_sub_i32 s0, 0, s24
	s_mov_b32 s9, 0
	v_rcp_iflag_f32_e32 v1, v1
	v_mul_f32_e32 v1, 0x4f7ffffe, v1
	v_cvt_u32_f32_e32 v1, v1
	v_readfirstlane_b32 s1, v1
	s_mul_i32 s0, s0, s1
	s_mul_hi_u32 s0, s1, s0
	s_add_i32 s1, s1, s0
	s_mul_hi_u32 s0, s28, s1
	s_mul_i32 s7, s0, s24
	s_sub_i32 s7, s28, s7
	s_add_i32 s1, s0, 1
	s_sub_i32 s8, s7, s24
	s_cmp_ge_u32 s7, s24
	s_cselect_b32 s0, s1, s0
	s_cselect_b32 s7, s8, s7
	s_add_i32 s1, s0, 1
	s_cmp_ge_u32 s7, s24
	s_cselect_b32 s8, s1, s0
.LBB29_7:
	s_mov_b32 s0, 0
	s_mov_b32 s1, s31
	v_writelane_b32 v64, s8, 2
	s_cmp_lg_u64 s[0:1], 0
	v_writelane_b32 v64, s9, 3
	s_cbranch_scc0 .LBB29_306
; %bb.8:
	s_ashr_i32 s10, s31, 31
	s_add_u32 s0, s30, s10
	s_mov_b32 s11, s10
	s_addc_u32 s1, s31, s10
	s_xor_b64 s[18:19], s[0:1], s[10:11]
	v_cvt_f32_u32_e32 v1, s18
	v_cvt_f32_u32_e32 v2, s19
	s_sub_u32 s0, 0, s18
	s_subb_u32 s1, 0, s19
	v_madmk_f32 v1, v2, 0x4f800000, v1
	v_rcp_f32_e32 v1, v1
	v_mul_f32_e32 v1, 0x5f7ffffc, v1
	v_mul_f32_e32 v2, 0x2f800000, v1
	v_trunc_f32_e32 v2, v2
	v_madmk_f32 v1, v2, 0xcf800000, v1
	v_cvt_u32_f32_e32 v2, v2
	v_cvt_u32_f32_e32 v1, v1
	v_readfirstlane_b32 s7, v2
	v_readfirstlane_b32 s15, v1
	s_mul_i32 s20, s0, s7
	s_mul_hi_u32 s22, s0, s15
	s_mul_i32 s21, s1, s15
	s_add_i32 s20, s22, s20
	s_add_i32 s20, s20, s21
	s_mul_i32 s23, s0, s15
	s_mul_hi_u32 s21, s15, s20
	s_mul_i32 s22, s15, s20
	s_mul_hi_u32 s15, s15, s23
	s_add_u32 s15, s15, s22
	s_addc_u32 s21, 0, s21
	s_waitcnt lgkmcnt(0)
	s_mul_hi_u32 s24, s7, s23
	s_mul_i32 s23, s7, s23
	s_add_u32 s15, s15, s23
	s_mul_hi_u32 s22, s7, s20
	s_addc_u32 s15, s21, s24
	s_addc_u32 s21, s22, 0
	s_mul_i32 s20, s7, s20
	s_add_u32 s15, s15, s20
	s_addc_u32 s20, 0, s21
	v_add_co_u32_e32 v1, vcc, s15, v1
	s_cmp_lg_u64 vcc, 0
	s_addc_u32 s7, s7, s20
	v_readfirstlane_b32 s20, v1
	s_mul_i32 s15, s0, s7
	s_mul_hi_u32 s21, s0, s20
	s_add_i32 s15, s21, s15
	s_mul_i32 s1, s1, s20
	s_add_i32 s15, s15, s1
	s_mul_i32 s0, s0, s20
	s_mul_hi_u32 s21, s7, s0
	s_mul_i32 s22, s7, s0
	s_mul_i32 s24, s20, s15
	s_mul_hi_u32 s0, s20, s0
	s_mul_hi_u32 s23, s20, s15
	s_add_u32 s0, s0, s24
	s_addc_u32 s20, 0, s23
	s_add_u32 s0, s0, s22
	s_mul_hi_u32 s1, s7, s15
	s_addc_u32 s0, s20, s21
	s_addc_u32 s1, s1, 0
	s_mul_i32 s15, s7, s15
	s_add_u32 s0, s0, s15
	s_addc_u32 s1, 0, s1
	v_add_co_u32_e32 v1, vcc, s0, v1
	s_cmp_lg_u64 vcc, 0
	s_addc_u32 s7, s7, s1
	s_ashr_i32 s20, 0, 31
	s_add_u32 s0, s28, s20
	s_mov_b32 s21, s20
	s_addc_u32 s1, 0, s20
	s_xor_b64 s[22:23], s[0:1], s[20:21]
	v_readfirstlane_b32 s15, v1
	s_mul_i32 s1, s22, s7
	s_mul_hi_u32 s24, s22, s15
	s_mul_hi_u32 s0, s22, s7
	s_add_u32 s1, s24, s1
	s_addc_u32 s0, 0, s0
	s_mul_hi_u32 s25, s23, s15
	s_mul_i32 s15, s23, s15
	s_add_u32 s1, s1, s15
	s_mul_hi_u32 s24, s23, s7
	s_addc_u32 s0, s0, s25
	s_addc_u32 s1, s24, 0
	s_mul_i32 s7, s23, s7
	s_add_u32 s7, s0, s7
	s_addc_u32 s15, 0, s1
	s_mul_i32 s0, s18, s15
	s_mul_hi_u32 s1, s18, s7
	s_add_i32 s0, s1, s0
	s_mul_i32 s1, s19, s7
	s_add_i32 s24, s0, s1
	s_mul_i32 s1, s18, s7
	v_mov_b32_e32 v1, s1
	s_sub_i32 s0, s23, s24
	v_sub_co_u32_e32 v1, vcc, s22, v1
	s_cmp_lg_u64 vcc, 0
	s_subb_u32 s22, s0, s19
	v_subrev_co_u32_e64 v2, s[0:1], s18, v1
	s_cmp_lg_u64 s[0:1], 0
	s_subb_u32 s0, s22, 0
	s_cmp_ge_u32 s0, s19
	v_readfirstlane_b32 s22, v2
	s_cselect_b32 s1, -1, 0
	s_cmp_ge_u32 s22, s18
	s_cselect_b32 s22, -1, 0
	s_cmp_eq_u32 s0, s19
	s_cselect_b32 s0, s22, s1
	s_add_u32 s1, s7, 1
	s_addc_u32 s22, s15, 0
	s_add_u32 s25, s7, 2
	s_addc_u32 s26, s15, 0
	s_cmp_lg_u32 s0, 0
	s_cselect_b32 s0, s25, s1
	s_cselect_b32 s1, s26, s22
	s_cmp_lg_u64 vcc, 0
	s_subb_u32 s22, s23, s24
	s_cmp_ge_u32 s22, s19
	v_readfirstlane_b32 s24, v1
	s_cselect_b32 s23, -1, 0
	s_cmp_ge_u32 s24, s18
	s_cselect_b32 s18, -1, 0
	s_cmp_eq_u32 s22, s19
	s_cselect_b32 s18, s18, s23
	s_cmp_lg_u32 s18, 0
	s_cselect_b32 s1, s1, s15
	s_cselect_b32 s0, s0, s7
	s_xor_b64 s[10:11], s[20:21], s[10:11]
	s_xor_b64 s[0:1], s[0:1], s[10:11]
	s_sub_u32 s0, s0, s10
	s_subb_u32 s1, s1, s11
	v_writelane_b32 v64, s0, 4
	v_writelane_b32 v64, s1, 5
	s_load_dwordx2 s[0:1], s[4:5], 0x0
	s_cbranch_execnz .LBB29_10
.LBB29_9:
	v_cvt_f32_u32_e32 v1, s30
	s_sub_i32 s7, 0, s30
	s_mov_b32 s11, 0
	v_rcp_iflag_f32_e32 v1, v1
	v_mul_f32_e32 v1, 0x4f7ffffe, v1
	v_cvt_u32_f32_e32 v1, v1
	v_readfirstlane_b32 s8, v1
	s_mul_i32 s7, s7, s8
	s_mul_hi_u32 s7, s8, s7
	s_add_i32 s8, s8, s7
	s_mul_hi_u32 s7, s28, s8
	s_mul_i32 s9, s7, s30
	s_sub_i32 s9, s28, s9
	s_add_i32 s8, s7, 1
	s_sub_i32 s10, s9, s30
	s_cmp_ge_u32 s9, s30
	s_cselect_b32 s7, s8, s7
	s_cselect_b32 s9, s10, s9
	s_add_i32 s8, s7, 1
	s_cmp_ge_u32 s9, s30
	s_cselect_b32 s10, s8, s7
	v_writelane_b32 v64, s10, 4
	v_writelane_b32 v64, s11, 5
.LBB29_10:
	s_load_dwordx2 s[8:9], s[4:5], 0x360
	v_writelane_b32 v64, s30, 6
	v_writelane_b32 v64, s31, 7
	s_mov_b32 s83, 0
	v_cmp_eq_u32_e64 s[20:21], 0, v0
	s_waitcnt lgkmcnt(0)
	v_writelane_b32 v64, s8, 8
	v_writelane_b32 v64, s9, 9
	s_load_dwordx2 s[8:9], s[4:5], 0x1c0
	s_waitcnt lgkmcnt(0)
	v_writelane_b32 v64, s8, 10
	v_writelane_b32 v64, s9, 11
	s_load_dwordx4 s[8:11], s[4:5], 0xd0
	s_mov_b64 s[18:19], exec
	v_writelane_b32 v64, s20, 12
	v_writelane_b32 v64, s21, 13
	s_and_b64 s[20:21], s[18:19], s[20:21]
	s_mov_b64 exec, s[20:21]
	s_cbranch_execz .LBB29_12
; %bb.11:
	v_mov_b32_e32 v2, 0
	v_mov_b32_e32 v4, s56
	;; [unrolled: 1-line block ×4, first 2 shown]
	ds_write_b32 v2, v2 offset:5136
	ds_write_b128 v2, v[2:5] offset:5120
.LBB29_12:
	s_or_b64 exec, exec, s[18:19]
	s_load_dwordx4 s[20:23], s[4:5], 0x430
                                        ; kill: killed $sgpr4 killed $sgpr5
	s_mul_i32 s3, s16, s3
	v_mov_b32_e32 v2, 0x180
	v_mov_b32_e32 v3, 0
	;; [unrolled: 1-line block ×3, first 2 shown]
	s_waitcnt lgkmcnt(0)
	v_writelane_b32 v64, s20, 14
	v_writelane_b32 v64, s21, 15
	;; [unrolled: 1-line block ×4, first 2 shown]
	s_load_dwordx4 s[20:23], s[4:5], 0x290
	s_mul_hi_u32 s4, s16, s2
	s_add_i32 s3, s4, s3
	s_mul_i32 s4, s17, s2
	s_add_i32 s3, s3, s4
	s_waitcnt lgkmcnt(0)
	v_writelane_b32 v64, s20, 18
	v_writelane_b32 v64, s21, 19
	;; [unrolled: 1-line block ×4, first 2 shown]
	s_mul_i32 s2, s16, s2
	s_mov_b32 s4, s28
	v_writelane_b32 v64, s4, 22
	s_sub_u32 s2, s28, s2
	v_writelane_b32 v64, s5, 23
	s_subb_u32 s3, 0, s3
	s_mul_i32 s4, s2, s11
	s_mul_hi_u32 s5, s2, s10
	s_add_i32 s4, s5, s4
	s_mul_i32 s3, s3, s10
	s_add_i32 s3, s4, s3
	s_mul_i32 s4, s16, s9
	s_mul_hi_u32 s5, s16, s8
	s_add_i32 s4, s5, s4
	s_mul_i32 s5, s17, s8
	s_mul_i32 s2, s2, s10
	s_add_i32 s5, s4, s5
	s_mul_i32 s4, s16, s8
	s_lshl_b64 s[4:5], s[4:5], 3
	s_lshl_b64 s[2:3], s[2:3], 3
	s_add_u32 s2, s4, s2
	s_addc_u32 s3, s5, s3
	s_add_u32 s8, s0, s2
	s_addc_u32 s9, s1, s3
	v_cmp_gt_u32_e64 s[0:1], 2, v0
	v_writelane_b32 v64, s0, 24
	v_mbcnt_lo_u32_b32 v1, -1, 0
	v_writelane_b32 v64, s1, 25
	v_cmp_gt_i64_e64 s[0:1], s[56:57], v[2:3]
	v_mbcnt_hi_u32_b32 v38, -1, v1
	v_mov_b32_e32 v1, v19
	v_writelane_b32 v64, s0, 26
	v_writelane_b32 v64, s1, 27
	v_cmp_gt_u64_e64 s[0:1], s[56:57], v[0:1]
	v_writelane_b32 v64, s0, 28
	v_writelane_b32 v64, s1, 29
	v_mad_u64_u32 v[2:3], s[0:1], v0, s62, 0
	v_mov_b32_e32 v4, v3
	v_mad_u64_u32 v[4:5], s[0:1], v0, s63, v[4:5]
	v_mov_b32_e32 v6, s9
	v_writelane_b32 v64, s8, 30
	v_writelane_b32 v64, s9, 31
	v_cmp_gt_i64_e64 s[0:1], s[56:57], v[0:1]
	v_writelane_b32 v64, s0, 32
	s_barrier
	v_writelane_b32 v64, s1, 33
	s_load_dword s0, s[12:13], 0xc
	v_cmp_gt_u32_e32 vcc, 64, v0
	v_cmp_gt_i32_e64 s[2:3], 4, v38
	s_and_b64 s[48:49], vcc, s[2:3]
	v_mov_b32_e32 v3, v4
	s_waitcnt lgkmcnt(0)
	s_and_b32 s33, s0, 0xffff
	s_bfe_u32 s1, s0, 0xa0006
	v_cmp_gt_u16_e64 s[2:3], s0, 63
	v_writelane_b32 v64, s2, 34
	s_add_u32 s0, s33, -1
	v_writelane_b32 v64, s3, 35
	s_addc_u32 s2, 0, -1
	s_add_u32 s87, s0, s56
	s_addc_u32 s93, s2, s57
	s_cmp_lt_u32 s6, s14
	v_writelane_b32 v64, s0, 36
	s_cselect_b32 s0, 12, 18
	s_add_u32 s50, s12, s0
	v_writelane_b32 v64, s2, 37
	s_addc_u32 s51, s13, 0
	s_add_i32 s0, s1, -1
	s_bfe_u32 s2, s33, 0x30006
	s_cmp_gt_u32 s0, 6
	v_lshlrev_b64 v[4:5], 3, v[2:3]
	s_cselect_b64 s[6:7], -1, 0
	v_add_co_u32_e32 v16, vcc, s8, v4
	v_lshrrev_b32_e32 v4, 4, v0
	v_writelane_b32 v64, s6, 38
	s_and_b32 s89, s1, 0x3f8
	v_and_b32_e32 v41, 60, v4
	v_lshlrev_b32_e32 v4, 2, v38
	v_writelane_b32 v64, s7, 39
	s_cmp_lg_u32 s2, 0
	v_addc_co_u32_e32 v17, vcc, v6, v5, vcc
	v_and_b32_e32 v42, 0x100, v4
	v_lshlrev_b64 v[4:5], v38, -1
	v_writelane_b32 v64, s2, 40
	s_cselect_b64 s[0:1], -1, 0
	v_lshlrev_b32_e32 v43, 5, v0
	v_not_b32_e32 v23, v5
	v_writelane_b32 v64, s0, 41
	v_or_b32_e32 v5, 24, v43
	v_writelane_b32 v64, s1, 42
	v_mad_u64_u32 v[24:25], s[0:1], s62, v5, 0
	v_not_b32_e32 v22, v4
	v_mov_b32_e32 v4, v25
	v_mad_u64_u32 v[4:5], s[0:1], s63, v5, v[4:5]
	s_lshl_b64 s[0:1], s[62:63], 5
	v_writelane_b32 v64, s0, 43
	v_or_b32_e32 v5, 16, v43
	v_writelane_b32 v64, s1, 44
	v_mad_u64_u32 v[26:27], s[0:1], s62, v5, 0
	v_mov_b32_e32 v25, v4
	v_mov_b32_e32 v4, v27
	v_mad_u64_u32 v[4:5], s[0:1], s63, v5, v[4:5]
	v_or_b32_e32 v5, 8, v43
	v_mad_u64_u32 v[28:29], s[0:1], s62, v5, 0
	v_mov_b32_e32 v27, v4
	v_mov_b32_e32 v4, v29
	v_mad_u64_u32 v[4:5], s[0:1], s63, v5, v[4:5]
	v_lshlrev_b64 v[30:31], 5, v[2:3]
	v_mov_b32_e32 v2, s57
	v_add_co_u32_e32 v44, vcc, s56, v0
	s_mul_i32 s0, s63, s33
	s_mul_hi_u32 s1, s62, s33
	v_writelane_b32 v64, s48, 45
	v_lshlrev_b32_e32 v39, 3, v0
	v_addc_co_u32_e32 v45, vcc, 0, v2, vcc
	v_mov_b32_e32 v2, 0xc00
	s_add_i32 s1, s1, s0
	s_mul_i32 s0, s62, s33
	v_writelane_b32 v64, s49, 46
	v_cmp_eq_u32_e64 s[4:5], 0, v38
	v_add_u32_e32 v40, 0xc00, v39
	v_lshlrev_b32_e32 v20, 2, v0
	v_mov_b32_e32 v21, v19
	s_mov_b32 s88, s83
	s_lshl_b64 s[64:65], s[62:63], 3
	v_mov_b32_e32 v29, v4
	v_lshl_or_b32 v46, v38, 3, v2
	s_lshl_b64 s[84:85], s[0:1], 3
	s_lshl_b32 s94, s33, 3
	s_mov_b32 s95, 62
	s_mov_b64 s[68:69], 0
	v_pk_mov_b32 v[6:7], 0, 0
	v_mov_b32_e32 v2, 1
	v_cvt_f32_ubyte0_e32 v47, 0
	s_mov_b32 s86, 0
	s_mov_b64 s[80:81], 0
	s_mov_b64 s[78:79], 0
	v_writelane_b32 v64, s50, 47
                                        ; implicit-def: $sgpr60_sgpr61
                                        ; implicit-def: $sgpr74_sgpr75
                                        ; implicit-def: $sgpr72_sgpr73
                                        ; implicit-def: $sgpr76_sgpr77
                                        ; implicit-def: $sgpr70_sgpr71
                                        ; implicit-def: $sgpr10_sgpr11
	v_writelane_b32 v64, s51, 48
	s_branch .LBB29_17
.LBB29_13:                              ;   in Loop: Header=BB29_17 Depth=1
	s_xor_b32 s86, s86, 1
	s_add_i32 s8, s95, -2
	s_cmp_eq_u32 s95, 0
	s_mov_b64 s[2:3], 0
	s_cselect_b64 s[6:7], -1, 0
	s_mov_b32 s95, s8
.LBB29_14:                              ;   in Loop: Header=BB29_17 Depth=1
	s_andn2_b64 s[8:9], s[24:25], exec
	s_and_b64 s[2:3], s[2:3], exec
	s_or_b64 s[24:25], s[8:9], s[2:3]
	s_andn2_b64 s[26:27], s[26:27], exec
	s_andn2_b64 s[22:23], s[22:23], exec
	s_orn2_b64 s[16:17], s[6:7], exec
.LBB29_15:                              ;   in Loop: Header=BB29_17 Depth=1
	s_or_b64 exec, exec, s[0:1]
	s_andn2_b64 s[0:1], s[10:11], exec
	s_and_b64 s[2:3], s[24:25], exec
	s_or_b64 s[10:11], s[0:1], s[2:3]
	s_andn2_b64 s[0:1], s[70:71], exec
	s_and_b64 s[2:3], s[26:27], exec
	s_or_b64 s[70:71], s[0:1], s[2:3]
	;; [unrolled: 3-line block ×3, first 2 shown]
	s_orn2_b64 s[22:23], s[16:17], exec
.LBB29_16:                              ;   in Loop: Header=BB29_17 Depth=1
	s_or_b64 exec, exec, s[14:15]
	s_and_b64 s[0:1], exec, s[22:23]
	s_or_b64 s[68:69], s[0:1], s[68:69]
	s_andn2_b64 s[0:1], s[72:73], exec
	s_and_b64 s[2:3], s[10:11], exec
	s_or_b64 s[72:73], s[0:1], s[2:3]
	s_andn2_b64 s[0:1], s[74:75], exec
	s_and_b64 s[2:3], s[70:71], exec
	;; [unrolled: 3-line block ×3, first 2 shown]
	s_waitcnt vmcnt(0)
	v_pk_mov_b32 v[4:5], s[80:81], s[80:81] op_sel:[0,1]
	s_or_b64 s[60:61], s[0:1], s[2:3]
	s_andn2_b64 exec, exec, s[68:69]
	s_cbranch_execz .LBB29_287
.LBB29_17:                              ; =>This Loop Header: Depth=1
                                        ;     Child Loop BB29_25 Depth 2
                                        ;     Child Loop BB29_44 Depth 2
	;; [unrolled: 1-line block ×16, first 2 shown]
	ds_read_b128 v[8:11], v19 offset:5120
	s_waitcnt lgkmcnt(0)
	v_readfirstlane_b32 s55, v9
	v_readfirstlane_b32 s54, v8
	v_cmp_gt_i64_e64 s[0:1], s[54:55], 0
	s_and_b64 vcc, exec, s[0:1]
	s_cbranch_vccnz .LBB29_51
; %bb.18:                               ;   in Loop: Header=BB29_17 Depth=1
	v_readlane_b32 s0, v64, 26
	v_readlane_b32 s1, v64, 27
	s_and_b64 vcc, exec, s[0:1]
	s_cbranch_vccz .LBB29_33
; %bb.19:                               ;   in Loop: Header=BB29_17 Depth=1
	s_mov_b64 s[0:1], 0x181
	v_cmp_gt_i64_e32 vcc, s[0:1], v[10:11]
	s_mov_b64 s[0:1], 0
	s_mov_b64 s[2:3], 0
	s_cbranch_vccz .LBB29_38
; %bb.20:                               ;   in Loop: Header=BB29_17 Depth=1
	v_pk_mov_b32 v[4:5], 0, 0
	s_mov_b64 s[2:3], exec
	v_readlane_b32 s6, v64, 28
	v_readlane_b32 s7, v64, 29
	s_and_b64 s[6:7], s[2:3], s[6:7]
	s_mov_b64 exec, s[6:7]
	s_cbranch_execz .LBB29_22
; %bb.21:                               ;   in Loop: Header=BB29_17 Depth=1
	global_load_dwordx2 v[4:5], v[16:17], off
.LBB29_22:                              ;   in Loop: Header=BB29_17 Depth=1
	s_or_b64 exec, exec, s[2:3]
	s_mov_b64 s[2:3], exec
	v_readlane_b32 s6, v64, 28
	v_readlane_b32 s7, v64, 29
	s_and_b64 s[6:7], s[2:3], s[6:7]
	s_mov_b64 exec, s[6:7]
	s_cbranch_execz .LBB29_34
; %bb.23:                               ;   in Loop: Header=BB29_17 Depth=1
	global_load_ushort v3, v19, s[50:51]
	v_readlane_b32 s6, v64, 30
	v_readlane_b32 s7, v64, 31
	v_pk_mov_b32 v[8:9], s[6:7], s[6:7] op_sel:[0,1]
	s_mov_b64 s[8:9], 0
	s_waitcnt vmcnt(0)
	v_readfirstlane_b32 s6, v3
	s_and_b32 s6, 0xffff, s6
	v_add_u32_e32 v11, s6, v0
	s_mul_i32 s12, s65, s6
	s_mul_hi_u32 s13, s64, s6
	s_mul_i32 s20, s64, s6
	v_mad_u64_u32 v[8:9], s[6:7], s64, v11, v[8:9]
	v_mov_b32_e32 v10, v9
	v_mad_u64_u32 v[10:11], s[6:7], s65, v11, v[10:11]
	s_add_i32 s21, s13, s12
	v_mov_b32_e32 v9, v10
	v_pk_mov_b32 v[10:11], v[0:1], v[0:1] op_sel:[0,1]
	s_branch .LBB29_25
.LBB29_24:                              ;   in Loop: Header=BB29_25 Depth=2
	s_or_b64 exec, exec, s[6:7]
	v_mov_b32_e32 v4, s21
	v_add_co_u32_e32 v8, vcc, s20, v8
	v_addc_co_u32_e32 v9, vcc, v9, v4, vcc
	s_waitcnt vmcnt(0)
	v_pk_mov_b32 v[4:5], v[12:13], v[12:13] op_sel:[0,1]
	s_andn2_b64 exec, exec, s[8:9]
	s_cbranch_execz .LBB29_34
.LBB29_25:                              ;   Parent Loop BB29_17 Depth=1
                                        ; =>  This Inner Loop Header: Depth=2
	v_add_co_u32_sdwa v10, vcc, v10, v3 dst_sel:DWORD dst_unused:UNUSED_PAD src0_sel:DWORD src1_sel:WORD_0
	v_addc_co_u32_e32 v11, vcc, 0, v11, vcc
	v_cmp_gt_i64_e64 s[6:7], s[56:57], v[10:11]
	v_cmp_le_i64_e32 vcc, s[56:57], v[10:11]
	v_pk_mov_b32 v[12:13], 0, 0
	s_and_saveexec_b64 s[12:13], s[6:7]
	s_cbranch_execz .LBB29_27
; %bb.26:                               ;   in Loop: Header=BB29_25 Depth=2
	global_load_dwordx2 v[12:13], v[8:9], off
.LBB29_27:                              ;   in Loop: Header=BB29_25 Depth=2
	s_or_b64 exec, exec, s[12:13]
	s_waitcnt lgkmcnt(0)
	v_xor_b32_e32 v14, 0x80000000, v5
	v_and_b32_e32 v15, s79, v14
	v_and_b32_e32 v14, s78, v4
	v_cmp_eq_u64_e64 s[12:13], s[80:81], v[14:15]
	s_cmp_lg_u64 s[12:13], 0
	s_cselect_b64 s[6:7], -1, 0
	s_and_b64 s[6:7], s[4:5], s[6:7]
	v_mov_b32_e32 v14, 0
	s_and_saveexec_b64 s[14:15], s[6:7]
	s_cbranch_execz .LBB29_31
; %bb.28:                               ;   in Loop: Header=BB29_25 Depth=2
	s_mov_b64 s[18:19], exec
	v_mbcnt_lo_u32_b32 v14, s18, 0
	v_mbcnt_hi_u32_b32 v14, s19, v14
	s_bcnt1_i32_b64 s22, s[12:13]
	v_cmp_eq_u32_e64 s[6:7], 0, v14
                                        ; implicit-def: $vgpr15
	s_and_saveexec_b64 s[16:17], s[6:7]
	s_cbranch_execz .LBB29_30
; %bb.29:                               ;   in Loop: Header=BB29_25 Depth=2
	s_bcnt1_i32_b64 s6, s[18:19]
	s_mul_i32 s6, s22, s6
	v_mov_b32_e32 v15, s6
	ds_add_rtn_u32 v15, v19, v15 offset:5136
.LBB29_30:                              ;   in Loop: Header=BB29_25 Depth=2
	s_or_b64 exec, exec, s[16:17]
	s_waitcnt lgkmcnt(0)
	v_readfirstlane_b32 s6, v15
	v_mov_b32_e32 v15, s6
	v_mad_u32_u24 v14, s22, v14, v15
.LBB29_31:                              ;   in Loop: Header=BB29_25 Depth=2
	s_or_b64 exec, exec, s[14:15]
	ds_bpermute_b32 v14, v42, v14
	s_and_b64 s[6:7], exec, vcc
	s_or_b64 s[8:9], s[6:7], s[8:9]
	s_and_saveexec_b64 s[6:7], s[12:13]
	s_cbranch_execz .LBB29_24
; %bb.32:                               ;   in Loop: Header=BB29_25 Depth=2
	v_and_b32_e32 v18, s12, v22
	v_and_b32_e32 v15, s13, v23
	v_bcnt_u32_b32 v18, v18, 0
	v_bcnt_u32_b32 v15, v15, v18
	v_lshlrev_b32_e32 v15, 3, v15
	s_waitcnt lgkmcnt(0)
	v_lshl_add_u32 v14, v14, 3, v15
	ds_write_b64 v14, v[4:5]
	s_branch .LBB29_24
.LBB29_33:                              ;   in Loop: Header=BB29_17 Depth=1
	s_mov_b64 s[0:1], -1
	s_mov_b64 s[2:3], 0
	s_branch .LBB29_37
.LBB29_34:                              ;   in Loop: Header=BB29_17 Depth=1
	s_or_b64 exec, exec, s[2:3]
	s_waitcnt lgkmcnt(0)
	s_barrier
	s_mov_b64 s[2:3], exec
	v_readlane_b32 s6, v64, 12
	v_readlane_b32 s7, v64, 13
	s_and_b64 s[6:7], s[2:3], s[6:7]
	s_mov_b64 exec, s[6:7]
	s_cbranch_execz .LBB29_36
; %bb.35:                               ;   in Loop: Header=BB29_17 Depth=1
	s_waitcnt vmcnt(0)
	ds_read_b32 v4, v19 offset:5136
	s_waitcnt lgkmcnt(0)
	v_ashrrev_i32_e32 v5, 31, v4
	ds_write_b64 v19, v[4:5] offset:5120
.LBB29_36:                              ;   in Loop: Header=BB29_17 Depth=1
	s_or_b64 exec, exec, s[2:3]
	s_waitcnt lgkmcnt(0)
	s_barrier
	s_mov_b64 s[2:3], -1
.LBB29_37:                              ;   in Loop: Header=BB29_17 Depth=1
                                        ; implicit-def: $sgpr54_sgpr55
.LBB29_38:                              ;   in Loop: Header=BB29_17 Depth=1
	s_and_b64 vcc, exec, s[0:1]
	s_cbranch_vccz .LBB29_49
; %bb.39:                               ;   in Loop: Header=BB29_17 Depth=1
	s_waitcnt vmcnt(0)
	v_pk_mov_b32 v[4:5], 0, 0
	s_mov_b64 s[0:1], exec
	v_readlane_b32 s2, v64, 32
	v_readlane_b32 s3, v64, 33
	s_and_b64 s[2:3], s[0:1], s[2:3]
	s_mov_b64 exec, s[2:3]
	s_cbranch_execz .LBB29_41
; %bb.40:                               ;   in Loop: Header=BB29_17 Depth=1
	global_load_dwordx2 v[4:5], v[16:17], off
.LBB29_41:                              ;   in Loop: Header=BB29_17 Depth=1
	s_or_b64 exec, exec, s[0:1]
	s_mov_b64 s[0:1], exec
	v_readlane_b32 s2, v64, 32
	v_readlane_b32 s3, v64, 33
	s_and_b64 s[2:3], s[0:1], s[2:3]
	s_mov_b64 exec, s[2:3]
	s_cbranch_execz .LBB29_46
; %bb.42:                               ;   in Loop: Header=BB29_17 Depth=1
	global_load_ushort v3, v19, s[50:51]
	v_readlane_b32 s2, v64, 30
	v_readlane_b32 s3, v64, 31
	v_pk_mov_b32 v[8:9], s[2:3], s[2:3] op_sel:[0,1]
	s_mov_b64 s[2:3], 0
	v_mov_b32_e32 v14, v39
	s_waitcnt vmcnt(0)
	v_readfirstlane_b32 s6, v3
	s_and_b32 s6, 0xffff, s6
	v_add_u32_e32 v11, s6, v0
	s_lshl_b32 s12, s6, 3
	s_mul_i32 s8, s65, s6
	s_mul_hi_u32 s9, s64, s6
	s_mul_i32 s13, s64, s6
	v_mad_u64_u32 v[8:9], s[6:7], s64, v11, v[8:9]
	v_mov_b32_e32 v10, v9
	v_mad_u64_u32 v[10:11], s[6:7], s65, v11, v[10:11]
	s_add_i32 s14, s9, s8
	v_mov_b32_e32 v9, v10
	v_pk_mov_b32 v[10:11], v[0:1], v[0:1] op_sel:[0,1]
	s_branch .LBB29_44
.LBB29_43:                              ;   in Loop: Header=BB29_44 Depth=2
	s_or_b64 exec, exec, s[8:9]
	s_and_b64 s[6:7], exec, vcc
	ds_write_b64 v14, v[4:5]
	v_mov_b32_e32 v4, s14
	v_add_co_u32_e32 v8, vcc, s13, v8
	s_or_b64 s[2:3], s[6:7], s[2:3]
	v_add_u32_e32 v14, s12, v14
	v_addc_co_u32_e32 v9, vcc, v9, v4, vcc
	s_waitcnt vmcnt(0)
	v_pk_mov_b32 v[4:5], v[12:13], v[12:13] op_sel:[0,1]
	s_andn2_b64 exec, exec, s[2:3]
	s_cbranch_execz .LBB29_46
.LBB29_44:                              ;   Parent Loop BB29_17 Depth=1
                                        ; =>  This Inner Loop Header: Depth=2
	v_add_co_u32_sdwa v10, vcc, v10, v3 dst_sel:DWORD dst_unused:UNUSED_PAD src0_sel:DWORD src1_sel:WORD_0
	v_addc_co_u32_e32 v11, vcc, 0, v11, vcc
	v_cmp_gt_i64_e64 s[6:7], s[56:57], v[10:11]
	v_cmp_le_i64_e32 vcc, s[56:57], v[10:11]
	v_pk_mov_b32 v[12:13], 0, 0
	s_and_saveexec_b64 s[8:9], s[6:7]
	s_cbranch_execz .LBB29_43
; %bb.45:                               ;   in Loop: Header=BB29_44 Depth=2
	global_load_dwordx2 v[12:13], v[8:9], off
	s_branch .LBB29_43
.LBB29_46:                              ;   in Loop: Header=BB29_17 Depth=1
	s_or_b64 exec, exec, s[0:1]
	s_waitcnt lgkmcnt(0)
	s_barrier
	s_mov_b64 s[0:1], exec
	v_readlane_b32 s2, v64, 12
	v_readlane_b32 s3, v64, 13
	s_and_b64 s[2:3], s[0:1], s[2:3]
	s_mov_b64 exec, s[2:3]
	s_cbranch_execz .LBB29_48
; %bb.47:                               ;   in Loop: Header=BB29_17 Depth=1
	s_waitcnt vmcnt(0)
	v_pk_mov_b32 v[4:5], s[56:57], s[56:57] op_sel:[0,1]
	ds_write_b64 v19, v[4:5] offset:5120
.LBB29_48:                              ;   in Loop: Header=BB29_17 Depth=1
	s_or_b64 exec, exec, s[0:1]
	s_mov_b64 s[2:3], -1
	s_waitcnt lgkmcnt(0)
	s_barrier
                                        ; implicit-def: $sgpr54_sgpr55
.LBB29_49:                              ;   in Loop: Header=BB29_17 Depth=1
	s_and_b64 vcc, exec, s[2:3]
	s_cbranch_vccz .LBB29_51
; %bb.50:                               ;   in Loop: Header=BB29_17 Depth=1
	s_waitcnt vmcnt(0)
	ds_read_b64 v[4:5], v19 offset:5120
	s_waitcnt lgkmcnt(0)
	v_readfirstlane_b32 s54, v4
.LBB29_51:                              ;   in Loop: Header=BB29_17 Depth=1
	s_cmp_lt_i32 s54, 1
	s_cbranch_scc0 .LBB29_66
; %bb.52:                               ;   in Loop: Header=BB29_17 Depth=1
	global_load_ushort v3, v19, s[50:51]
	s_mov_b32 s0, s83
	s_waitcnt vmcnt(0)
	v_readfirstlane_b32 s1, v3
	s_and_b32 s1, 0xffff, s1
	s_lshl_b32 s55, s1, 2
	s_mov_b32 s1, s57
	s_cmp_lg_u64 s[0:1], 0
	s_cbranch_scc0 .LBB29_86
; %bb.53:                               ;   in Loop: Header=BB29_17 Depth=1
	v_cvt_f32_u32_e32 v4, s55
	s_sub_u32 s0, 0, s55
	s_subb_u32 s1, 0, 0
	v_mac_f32_e32 v4, 0x4f800000, v47
	v_rcp_f32_e32 v4, v4
	v_mul_f32_e32 v4, 0x5f7ffffc, v4
	v_mul_f32_e32 v5, 0x2f800000, v4
	v_trunc_f32_e32 v5, v5
	v_mac_f32_e32 v4, 0xcf800000, v5
	v_cvt_u32_f32_e32 v5, v5
	v_cvt_u32_f32_e32 v4, v4
	v_readfirstlane_b32 s2, v5
	v_readfirstlane_b32 s3, v4
	s_mul_i32 s6, s0, s2
	s_mul_hi_u32 s8, s0, s3
	s_mul_i32 s7, s1, s3
	s_add_i32 s6, s8, s6
	s_mul_i32 s9, s0, s3
	s_add_i32 s6, s6, s7
	s_mul_hi_u32 s8, s3, s9
	s_mul_hi_u32 s7, s3, s6
	s_mul_i32 s3, s3, s6
	s_add_u32 s3, s8, s3
	s_addc_u32 s7, 0, s7
	s_mul_hi_u32 s12, s2, s9
	s_mul_i32 s9, s2, s9
	s_add_u32 s3, s3, s9
	s_mul_hi_u32 s8, s2, s6
	s_addc_u32 s3, s7, s12
	s_addc_u32 s7, s8, 0
	s_mul_i32 s6, s2, s6
	s_add_u32 s3, s3, s6
	s_addc_u32 s6, 0, s7
	v_add_co_u32_e32 v4, vcc, s3, v4
	s_cmp_lg_u64 vcc, 0
	s_addc_u32 s2, s2, s6
	v_readfirstlane_b32 s6, v4
	s_mul_i32 s3, s0, s2
	s_mul_hi_u32 s7, s0, s6
	s_add_i32 s3, s7, s3
	s_mul_i32 s1, s1, s6
	s_add_i32 s3, s3, s1
	s_mul_i32 s0, s0, s6
	s_mul_hi_u32 s7, s2, s0
	s_mul_i32 s8, s2, s0
	s_mul_i32 s12, s6, s3
	s_mul_hi_u32 s0, s6, s0
	s_mul_hi_u32 s9, s6, s3
	s_add_u32 s0, s0, s12
	s_addc_u32 s6, 0, s9
	s_add_u32 s0, s0, s8
	s_mul_hi_u32 s1, s2, s3
	s_addc_u32 s0, s6, s7
	s_addc_u32 s1, s1, 0
	s_mul_i32 s3, s2, s3
	s_add_u32 s0, s0, s3
	s_addc_u32 s1, 0, s1
	v_add_co_u32_e32 v4, vcc, s0, v4
	s_cmp_lg_u64 vcc, 0
	s_addc_u32 s6, s2, s1
	s_ashr_i32 s0, s57, 31
	s_add_u32 s2, s56, s0
	s_mov_b32 s1, s0
	s_addc_u32 s3, s57, s0
	s_xor_b64 s[2:3], s[2:3], s[0:1]
	v_readfirstlane_b32 s8, v4
	s_mul_i32 s7, s2, s6
	s_mul_hi_u32 s9, s2, s8
	s_mul_hi_u32 s1, s2, s6
	s_add_u32 s7, s9, s7
	s_addc_u32 s1, 0, s1
	s_mul_hi_u32 s12, s3, s8
	s_mul_i32 s8, s3, s8
	s_add_u32 s7, s7, s8
	s_mul_hi_u32 s9, s3, s6
	s_addc_u32 s1, s1, s12
	s_addc_u32 s7, s9, 0
	s_mul_i32 s6, s3, s6
	s_add_u32 s1, s1, s6
	s_addc_u32 s6, 0, s7
	s_mul_hi_u32 s7, s55, s1
	s_mul_i32 s1, s55, s1
	s_mul_i32 s6, s55, s6
	v_mov_b32_e32 v4, s1
	s_add_i32 s7, s7, s6
	v_sub_co_u32_e32 v4, vcc, s2, v4
	s_cmp_lg_u64 vcc, 0
	s_subb_u32 s1, s3, s7
	v_subrev_co_u32_e32 v5, vcc, s55, v4
	s_cmp_lg_u64 vcc, 0
	s_subb_u32 s2, s1, 0
	v_subrev_co_u32_e32 v8, vcc, s55, v5
	s_cmp_lg_u64 vcc, 0
	s_subb_u32 s3, s2, 0
	v_cmp_le_u32_e32 vcc, s55, v5
	s_cmp_eq_u32 s2, 0
	v_cndmask_b32_e64 v9, 0, -1, vcc
	s_cselect_b64 vcc, -1, 0
	v_cndmask_b32_e32 v9, -1, v9, vcc
	v_mov_b32_e32 v10, s2
	v_mov_b32_e32 v11, s3
	v_cmp_ne_u32_e32 vcc, 0, v9
	v_cndmask_b32_e32 v9, v10, v11, vcc
	v_cndmask_b32_e32 v5, v5, v8, vcc
	v_cmp_le_u32_e32 vcc, s55, v4
	s_cmp_eq_u32 s1, 0
	v_cndmask_b32_e64 v8, 0, -1, vcc
	s_cselect_b64 vcc, -1, 0
	v_cndmask_b32_e32 v8, -1, v8, vcc
	v_cmp_ne_u32_e32 vcc, 0, v8
	v_mov_b32_e32 v10, s1
	v_cndmask_b32_e32 v4, v4, v5, vcc
	v_cndmask_b32_e32 v8, v10, v9, vcc
	v_xor_b32_e32 v4, s0, v4
	v_xor_b32_e32 v5, s0, v8
	v_mov_b32_e32 v8, s0
	v_subrev_co_u32_e32 v4, vcc, s0, v4
	v_subb_co_u32_e32 v5, vcc, v5, v8, vcc
	s_cbranch_execnz .LBB29_55
.LBB29_54:                              ;   in Loop: Header=BB29_17 Depth=1
	v_cvt_f32_u32_e32 v4, s55
	s_sub_i32 s0, 0, s55
	v_rcp_iflag_f32_e32 v4, v4
	v_mul_f32_e32 v4, 0x4f7ffffe, v4
	v_cvt_u32_f32_e32 v4, v4
	v_mul_lo_u32 v5, s0, v4
	v_mul_hi_u32 v5, v4, v5
	v_add_u32_e32 v4, v4, v5
	v_mul_hi_u32 v4, s56, v4
	v_mul_lo_u32 v4, v4, s55
	v_sub_u32_e32 v4, s56, v4
	v_subrev_u32_e32 v5, s55, v4
	v_cmp_le_u32_e32 vcc, s55, v4
	v_cndmask_b32_e32 v4, v4, v5, vcc
	v_subrev_u32_e32 v5, s55, v4
	v_cmp_le_u32_e32 vcc, s55, v4
	v_cndmask_b32_e32 v18, v4, v5, vcc
	v_pk_mov_b32 v[4:5], v[18:19], v[18:19] op_sel:[0,1]
.LBB29_55:                              ;   in Loop: Header=BB29_17 Depth=1
	v_mov_b32_e32 v8, s57
	v_sub_co_u32_e32 v32, vcc, s56, v4
	v_subb_co_u32_e32 v33, vcc, v8, v5, vcc
	v_pk_mov_b32 v[8:9], 0, 0
	v_and_b32_e32 v3, 0xffff, v3
	v_cmp_gt_i64_e32 vcc, v[32:33], v[20:21]
	s_mov_b64 s[8:9], 0
	v_pk_mov_b32 v[10:11], v[8:9], v[8:9] op_sel:[0,1]
	v_pk_mov_b32 v[12:13], v[8:9], v[8:9] op_sel:[0,1]
	;; [unrolled: 1-line block ×3, first 2 shown]
	s_and_saveexec_b64 s[0:1], vcc
	s_cbranch_execz .LBB29_59
; %bb.56:                               ;   in Loop: Header=BB29_17 Depth=1
	v_readlane_b32 s2, v64, 43
	v_readlane_b32 s3, v64, 44
	v_mul_lo_u32 v8, s3, v3
	v_mul_hi_u32 v9, s2, v3
	v_mul_lo_u32 v49, s2, v3
	v_readlane_b32 s2, v64, 30
	v_readlane_b32 s3, v64, 31
	s_and_b32 s82, s95, 0xfe
	v_add_u32_e32 v48, v9, v8
	v_pk_mov_b32 v[34:35], s[2:3], s[2:3] op_sel:[0,1]
	s_mov_b64 s[90:91], 0
	s_mov_b64 s[2:3], 0
	;; [unrolled: 1-line block ×4, first 2 shown]
	v_pk_mov_b32 v[36:37], v[20:21], v[20:21] op_sel:[0,1]
.LBB29_57:                              ;   Parent Loop BB29_17 Depth=1
                                        ; =>  This Inner Loop Header: Depth=2
	v_add_co_u32_e32 v14, vcc, v34, v30
	v_addc_co_u32_e32 v15, vcc, v35, v31, vcc
	v_add_co_u32_e32 v50, vcc, v34, v28
	v_addc_co_u32_e32 v51, vcc, v35, v29, vcc
	;; [unrolled: 2-line block ×4, first 2 shown]
	global_load_dwordx2 v[14:15], v[14:15], off
	s_nop 0
	global_load_dwordx2 v[50:51], v[50:51], off
	s_nop 0
	;; [unrolled: 2-line block ×3, first 2 shown]
	global_load_dwordx2 v[54:55], v[54:55], off
	v_mov_b32_e32 v9, v19
	v_mov_b32_e32 v11, v19
	;; [unrolled: 1-line block ×3, first 2 shown]
	v_add_co_u32_e32 v36, vcc, s55, v36
	v_addc_co_u32_e32 v37, vcc, 0, v37, vcc
	v_add_co_u32_e32 v34, vcc, v34, v49
	v_addc_co_u32_e32 v35, vcc, v35, v48, vcc
	v_cmp_ge_i64_e32 vcc, v[36:37], v[32:33]
	s_waitcnt vmcnt(3)
	v_xor_b32_e32 v15, 0x80000000, v15
	s_waitcnt vmcnt(2)
	v_xor_b32_e32 v51, 0x80000000, v51
	v_and_b32_e32 v56, s78, v14
	v_and_b32_e32 v57, s79, v15
	v_lshrrev_b64 v[14:15], s82, v[14:15]
	s_waitcnt vmcnt(1)
	v_xor_b32_e32 v53, 0x80000000, v53
	v_and_b32_e32 v58, s78, v50
	v_and_b32_e32 v59, s79, v51
	v_lshrrev_b64 v[50:51], s82, v[50:51]
	v_and_b32_e32 v18, 3, v14
	s_waitcnt vmcnt(0)
	v_xor_b32_e32 v55, 0x80000000, v55
	v_and_b32_e32 v60, s78, v52
	v_and_b32_e32 v61, s79, v53
	v_lshrrev_b64 v[52:53], s82, v[52:53]
	v_cmp_eq_u64_e64 s[18:19], s[80:81], v[56:57]
	v_and_b32_e32 v8, 3, v50
	v_cmp_eq_u64_e64 s[6:7], 0, v[18:19]
	v_and_b32_e32 v62, s78, v54
	v_and_b32_e32 v63, s79, v55
	v_lshrrev_b64 v[54:55], s82, v[54:55]
	v_cmp_eq_u64_e64 s[16:17], s[80:81], v[58:59]
	v_and_b32_e32 v10, 3, v52
	v_cmp_eq_u64_e64 s[30:31], 0, v[8:9]
	s_and_b64 s[6:7], s[18:19], s[6:7]
	v_cmp_eq_u64_e64 s[14:15], s[80:81], v[60:61]
	v_and_b32_e32 v12, 3, v54
	v_cmp_eq_u64_e64 s[34:35], 0, v[10:11]
	v_cmp_eq_u64_e64 s[40:41], 1, v[8:9]
	;; [unrolled: 1-line block ×4, first 2 shown]
	v_cndmask_b32_e64 v8, 0, 1, s[6:7]
	s_and_b64 s[6:7], s[16:17], s[30:31]
	v_cmp_eq_u64_e64 s[12:13], s[80:81], v[62:63]
	v_cmp_eq_u64_e64 s[36:37], 0, v[12:13]
	v_cndmask_b32_e64 v9, 0, 1, s[6:7]
	s_and_b64 s[6:7], s[14:15], s[34:35]
	v_cmp_eq_u64_e64 s[42:43], 1, v[10:11]
	v_cmp_eq_u64_e64 s[50:51], 2, v[10:11]
	;; [unrolled: 1-line block ×3, first 2 shown]
	v_cndmask_b32_e64 v10, 0, 1, s[6:7]
	s_and_b64 s[6:7], s[12:13], s[36:37]
	v_cndmask_b32_e64 v11, 0, 1, s[6:7]
	v_cmp_ne_u32_e64 s[6:7], 0, v8
	v_cmp_ne_u32_e64 s[30:31], 0, v9
	;; [unrolled: 1-line block ×4, first 2 shown]
	s_bcnt1_i32_b64 s6, s[6:7]
	s_bcnt1_i32_b64 s7, s[30:31]
	;; [unrolled: 1-line block ×4, first 2 shown]
	s_add_u32 s6, s6, s66
	s_addc_u32 s34, 0, s67
	s_add_u32 s6, s6, s7
	s_addc_u32 s7, s34, 0
	;; [unrolled: 2-line block ×3, first 2 shown]
	v_cmp_eq_u64_e64 s[38:39], 1, v[18:19]
	s_add_u32 s66, s6, s31
	s_addc_u32 s67, s7, 0
	s_and_b64 s[6:7], s[18:19], s[38:39]
	v_cndmask_b32_e64 v10, 0, 1, s[6:7]
	s_and_b64 s[6:7], s[16:17], s[40:41]
	v_cmp_eq_u64_e64 s[44:45], 1, v[12:13]
	v_cndmask_b32_e64 v11, 0, 1, s[6:7]
	s_and_b64 s[6:7], s[14:15], s[42:43]
	v_cmp_eq_u64_e64 s[52:53], 2, v[12:13]
	v_cmp_eq_u64_e64 s[20:21], 3, v[12:13]
	v_cndmask_b32_e64 v12, 0, 1, s[6:7]
	s_and_b64 s[6:7], s[12:13], s[44:45]
	v_cndmask_b32_e64 v13, 0, 1, s[6:7]
	v_cmp_ne_u32_e64 s[6:7], 0, v10
	v_cmp_ne_u32_e64 s[30:31], 0, v11
	;; [unrolled: 1-line block ×4, first 2 shown]
	s_bcnt1_i32_b64 s6, s[6:7]
	s_bcnt1_i32_b64 s7, s[30:31]
	;; [unrolled: 1-line block ×4, first 2 shown]
	s_add_u32 s6, s6, s28
	s_addc_u32 s28, 0, s29
	s_add_u32 s6, s6, s7
	s_addc_u32 s7, s28, 0
	;; [unrolled: 2-line block ×3, first 2 shown]
	v_cmp_eq_u64_e64 s[46:47], 2, v[18:19]
	s_add_u32 s28, s6, s31
	s_addc_u32 s29, s7, 0
	s_and_b64 s[6:7], s[18:19], s[46:47]
	v_cndmask_b32_e64 v12, 0, 1, s[6:7]
	s_and_b64 s[6:7], s[16:17], s[48:49]
	v_cndmask_b32_e64 v13, 0, 1, s[6:7]
	;; [unrolled: 2-line block ×4, first 2 shown]
	v_cmp_ne_u32_e64 s[6:7], 0, v12
	v_cmp_ne_u32_e64 s[30:31], 0, v13
	;; [unrolled: 1-line block ×4, first 2 shown]
	s_bcnt1_i32_b64 s6, s[6:7]
	s_bcnt1_i32_b64 s7, s[30:31]
	;; [unrolled: 1-line block ×4, first 2 shown]
	s_add_u32 s2, s6, s2
	s_addc_u32 s3, 0, s3
	s_add_u32 s2, s2, s7
	s_addc_u32 s3, s3, 0
	;; [unrolled: 2-line block ×3, first 2 shown]
	v_cmp_eq_u64_e64 s[26:27], 3, v[18:19]
	s_add_u32 s2, s2, s31
	s_addc_u32 s3, s3, 0
	s_and_b64 s[6:7], s[18:19], s[26:27]
	v_cndmask_b32_e64 v14, 0, 1, s[6:7]
	s_and_b64 s[6:7], s[16:17], s[24:25]
	v_cndmask_b32_e64 v15, 0, 1, s[6:7]
	;; [unrolled: 2-line block ×4, first 2 shown]
	v_cmp_ne_u32_e64 s[6:7], 0, v14
	v_cmp_ne_u32_e64 s[12:13], 0, v15
	;; [unrolled: 1-line block ×4, first 2 shown]
	s_bcnt1_i32_b64 s6, s[6:7]
	s_bcnt1_i32_b64 s7, s[12:13]
	;; [unrolled: 1-line block ×4, first 2 shown]
	s_add_u32 s6, s6, s90
	s_addc_u32 s14, 0, s91
	s_add_u32 s6, s6, s7
	s_addc_u32 s7, s14, 0
	;; [unrolled: 2-line block ×4, first 2 shown]
	v_pk_mov_b32 v[8:9], s[66:67], s[66:67] op_sel:[0,1]
	v_pk_mov_b32 v[10:11], s[28:29], s[28:29] op_sel:[0,1]
	;; [unrolled: 1-line block ×3, first 2 shown]
	s_or_b64 s[8:9], vcc, s[8:9]
	v_pk_mov_b32 v[14:15], s[90:91], s[90:91] op_sel:[0,1]
	s_andn2_b64 exec, exec, s[8:9]
	s_cbranch_execnz .LBB29_57
; %bb.58:                               ;   in Loop: Header=BB29_17 Depth=1
	s_or_b64 exec, exec, s[8:9]
	v_readlane_b32 s48, v64, 45
	v_readlane_b32 s50, v64, 47
	;; [unrolled: 1-line block ×4, first 2 shown]
.LBB29_59:                              ;   in Loop: Header=BB29_17 Depth=1
	s_or_b64 exec, exec, s[0:1]
	v_add_co_u32_e32 v32, vcc, v32, v0
	v_addc_co_u32_e32 v33, vcc, 0, v33, vcc
	v_cmp_gt_i64_e32 vcc, s[56:57], v[32:33]
	v_pk_mov_b32 v[34:35], 0, 0
	s_and_saveexec_b64 s[0:1], vcc
	s_cbranch_execz .LBB29_61
; %bb.60:                               ;   in Loop: Header=BB29_17 Depth=1
	v_mul_lo_u32 v18, v33, s62
	v_mul_lo_u32 v36, v32, s63
	v_mad_u64_u32 v[34:35], s[2:3], v32, s62, 0
	v_add3_u32 v35, v35, v36, v18
	v_readlane_b32 s2, v64, 30
	v_lshlrev_b64 v[34:35], 3, v[34:35]
	v_readlane_b32 s3, v64, 31
	v_mov_b32_e32 v18, s3
	v_add_co_u32_e64 v34, s[6:7], s2, v34
	v_addc_co_u32_e64 v35, s[6:7], v18, v35, s[6:7]
	global_load_dwordx2 v[34:35], v[34:35], off
.LBB29_61:                              ;   in Loop: Header=BB29_17 Depth=1
	s_or_b64 exec, exec, s[0:1]
	s_and_saveexec_b64 s[0:1], vcc
	s_cbranch_execz .LBB29_68
; %bb.62:                               ;   in Loop: Header=BB29_17 Depth=1
	v_add_co_u32_e32 v18, vcc, v44, v3
	v_addc_co_u32_e32 v36, vcc, 0, v45, vcc
	v_sub_co_u32_e32 v18, vcc, v18, v4
	v_readlane_b32 s2, v64, 30
	v_subb_co_u32_e32 v4, vcc, v36, v5, vcc
	v_readlane_b32 s3, v64, 31
	v_mul_lo_u32 v36, s64, v4
	v_pk_mov_b32 v[4:5], s[2:3], s[2:3] op_sel:[0,1]
	v_mul_lo_u32 v37, s65, v18
	v_mad_u64_u32 v[4:5], s[2:3], s64, v18, v[4:5]
	v_add3_u32 v5, v37, v5, v36
	v_mul_lo_u32 v18, s65, v3
	v_mul_hi_u32 v36, s64, v3
	s_and_b32 s12, s95, 0xfe
	v_add_u32_e32 v48, v36, v18
	v_mul_lo_u32 v49, s64, v3
	s_mov_b64 s[2:3], 0
	s_branch .LBB29_64
.LBB29_63:                              ;   in Loop: Header=BB29_64 Depth=2
	s_or_b64 exec, exec, s[8:9]
	s_waitcnt vmcnt(0)
	v_xor_b32_e32 v35, 0x80000000, v35
	v_and_b32_e32 v51, s79, v35
	v_and_b32_e32 v50, s78, v34
	v_lshrrev_b64 v[34:35], s12, v[34:35]
	s_and_b64 s[6:7], exec, vcc
	v_and_b32_e32 v18, 3, v34
	s_or_b64 s[2:3], s[6:7], s[2:3]
	v_cmp_eq_u64_e32 vcc, s[80:81], v[50:51]
	v_cmp_eq_u64_e64 s[6:7], 0, v[18:19]
	s_and_b64 s[6:7], vcc, s[6:7]
	v_cndmask_b32_e64 v34, 0, 1, s[6:7]
	v_cmp_ne_u32_e64 s[6:7], 0, v34
	s_bcnt1_i32_b64 s6, s[6:7]
	v_add_co_u32_e64 v8, s[6:7], s6, v8
	v_addc_co_u32_e64 v9, s[6:7], 0, v9, s[6:7]
	v_cmp_eq_u64_e64 s[6:7], 1, v[18:19]
	s_and_b64 s[6:7], vcc, s[6:7]
	v_cndmask_b32_e64 v34, 0, 1, s[6:7]
	v_cmp_ne_u32_e64 s[6:7], 0, v34
	s_bcnt1_i32_b64 s6, s[6:7]
	v_add_co_u32_e64 v10, s[6:7], s6, v10
	v_addc_co_u32_e64 v11, s[6:7], 0, v11, s[6:7]
	;; [unrolled: 7-line block ×3, first 2 shown]
	v_cmp_eq_u64_e64 s[6:7], 3, v[18:19]
	s_and_b64 s[6:7], vcc, s[6:7]
	v_cndmask_b32_e64 v18, 0, 1, s[6:7]
	v_cmp_ne_u32_e32 vcc, 0, v18
	s_bcnt1_i32_b64 s6, vcc
	v_add_co_u32_e32 v14, vcc, s6, v14
	v_addc_co_u32_e32 v15, vcc, 0, v15, vcc
	v_add_co_u32_e32 v4, vcc, v4, v49
	v_addc_co_u32_e32 v5, vcc, v5, v48, vcc
	v_pk_mov_b32 v[34:35], v[36:37], v[36:37] op_sel:[0,1]
	s_andn2_b64 exec, exec, s[2:3]
	s_cbranch_execz .LBB29_67
.LBB29_64:                              ;   Parent Loop BB29_17 Depth=1
                                        ; =>  This Inner Loop Header: Depth=2
	v_add_co_u32_e32 v32, vcc, v32, v3
	v_addc_co_u32_e32 v33, vcc, 0, v33, vcc
	v_cmp_gt_i64_e64 s[6:7], s[56:57], v[32:33]
	v_cmp_le_i64_e32 vcc, s[56:57], v[32:33]
	v_pk_mov_b32 v[36:37], 0, 0
	s_and_saveexec_b64 s[8:9], s[6:7]
	s_cbranch_execz .LBB29_63
; %bb.65:                               ;   in Loop: Header=BB29_64 Depth=2
	global_load_dwordx2 v[36:37], v[4:5], off
	s_branch .LBB29_63
.LBB29_66:                              ;   in Loop: Header=BB29_17 Depth=1
                                        ; implicit-def: $vgpr14_vgpr15
                                        ; implicit-def: $vgpr10_vgpr11
	s_cbranch_execnz .LBB29_69
	s_branch .LBB29_78
.LBB29_67:                              ;   in Loop: Header=BB29_17 Depth=1
	s_or_b64 exec, exec, s[2:3]
.LBB29_68:                              ;   in Loop: Header=BB29_17 Depth=1
	s_or_b64 exec, exec, s[0:1]
	s_branch .LBB29_78
.LBB29_69:                              ;   in Loop: Header=BB29_17 Depth=1
	global_load_ushort v3, v19, s[50:51]
	v_pk_mov_b32 v[8:9], 0, 0
	v_pk_mov_b32 v[10:11], v[8:9], v[8:9] op_sel:[0,1]
	v_pk_mov_b32 v[12:13], v[8:9], v[8:9] op_sel:[0,1]
	v_pk_mov_b32 v[14:15], v[8:9], v[8:9] op_sel:[0,1]
	s_waitcnt vmcnt(0)
	v_readfirstlane_b32 s0, v3
	s_and_b32 s0, 0xffff, s0
	s_lshl_b32 s55, s0, 2
	v_cvt_f32_u32_e32 v4, s55
	s_sub_i32 s2, 0, s55
	s_mov_b64 s[0:1], 0
	v_and_b32_e32 v3, 0xffff, v3
	v_rcp_iflag_f32_e32 v4, v4
	v_mul_f32_e32 v4, 0x4f7ffffe, v4
	v_cvt_u32_f32_e32 v4, v4
	v_readfirstlane_b32 s3, v4
	s_mul_i32 s2, s2, s3
	s_mul_hi_u32 s2, s3, s2
	s_add_i32 s3, s3, s2
	s_mul_hi_u32 s2, s54, s3
	s_mul_i32 s2, s2, s55
	s_sub_i32 s2, s54, s2
	s_sub_i32 s3, s2, s55
	s_cmp_ge_u32 s2, s55
	s_cselect_b32 s2, s3, s2
	s_sub_i32 s3, s2, s55
	s_cmp_ge_u32 s2, s55
	s_cselect_b32 s2, s3, s2
	s_sub_i32 s82, s54, s2
	v_cmp_gt_u32_e32 vcc, s82, v20
	s_and_saveexec_b64 s[2:3], vcc
	s_cbranch_execz .LBB29_73
; %bb.70:                               ;   in Loop: Header=BB29_17 Depth=1
	s_mov_b32 s92, s87
	s_and_b32 s87, s95, 0xfe
	v_lshlrev_b32_e32 v48, 5, v3
	v_mov_b32_e32 v49, v43
	s_mov_b64 s[8:9], 0
	s_mov_b64 s[28:29], 0
	;; [unrolled: 1-line block ×4, first 2 shown]
	v_pk_mov_b32 v[4:5], v[20:21], v[20:21] op_sel:[0,1]
.LBB29_71:                              ;   Parent Loop BB29_17 Depth=1
                                        ; =>  This Inner Loop Header: Depth=2
	ds_read_b128 v[12:15], v49
	ds_read_b128 v[8:11], v49 offset:16
	v_mov_b32_e32 v33, v19
	v_mov_b32_e32 v35, v19
	;; [unrolled: 1-line block ×3, first 2 shown]
	s_waitcnt lgkmcnt(1)
	v_xor_b32_e32 v13, 0x80000000, v13
	v_xor_b32_e32 v15, 0x80000000, v15
	v_and_b32_e32 v50, s78, v12
	v_and_b32_e32 v51, s79, v13
	v_lshrrev_b64 v[12:13], s87, v[12:13]
	s_waitcnt lgkmcnt(0)
	v_xor_b32_e32 v9, 0x80000000, v9
	v_and_b32_e32 v52, s78, v14
	v_and_b32_e32 v53, s79, v15
	v_lshrrev_b64 v[14:15], s87, v[14:15]
	v_and_b32_e32 v18, 3, v12
	v_xor_b32_e32 v11, 0x80000000, v11
	v_and_b32_e32 v54, s78, v8
	v_and_b32_e32 v55, s79, v9
	v_lshrrev_b64 v[8:9], s87, v[8:9]
	v_cmp_eq_u64_e64 s[18:19], s[80:81], v[50:51]
	v_and_b32_e32 v32, 3, v14
	v_cmp_eq_u64_e64 s[6:7], 0, v[18:19]
	v_and_b32_e32 v56, s78, v10
	v_and_b32_e32 v57, s79, v11
	v_lshrrev_b64 v[10:11], s87, v[10:11]
	v_cmp_eq_u64_e64 s[16:17], s[80:81], v[52:53]
	v_and_b32_e32 v34, 3, v8
	v_cmp_eq_u64_e64 s[30:31], 0, v[32:33]
	s_and_b64 s[6:7], s[18:19], s[6:7]
	v_cmp_eq_u64_e64 s[14:15], s[80:81], v[54:55]
	v_and_b32_e32 v36, 3, v10
	v_cmp_eq_u64_e64 s[34:35], 0, v[34:35]
	v_cndmask_b32_e64 v8, 0, 1, s[6:7]
	s_and_b64 s[6:7], s[16:17], s[30:31]
	v_cmp_eq_u64_e64 s[12:13], s[80:81], v[56:57]
	v_cmp_eq_u64_e64 s[36:37], 0, v[36:37]
	v_cndmask_b32_e64 v9, 0, 1, s[6:7]
	s_and_b64 s[6:7], s[14:15], s[34:35]
	v_cndmask_b32_e64 v10, 0, 1, s[6:7]
	s_and_b64 s[6:7], s[12:13], s[36:37]
	v_cndmask_b32_e64 v11, 0, 1, s[6:7]
	v_cmp_ne_u32_e64 s[6:7], 0, v8
	v_cmp_ne_u32_e64 s[30:31], 0, v9
	v_cmp_ne_u32_e64 s[34:35], 0, v10
	v_cmp_ne_u32_e64 s[36:37], 0, v11
	s_bcnt1_i32_b64 s6, s[6:7]
	s_bcnt1_i32_b64 s7, s[30:31]
	s_bcnt1_i32_b64 s30, s[34:35]
	s_bcnt1_i32_b64 s31, s[36:37]
	s_add_u32 s6, s6, s90
	s_addc_u32 s34, 0, s91
	s_add_u32 s6, s6, s7
	s_addc_u32 s7, s34, 0
	s_add_u32 s6, s6, s30
	s_addc_u32 s7, s7, 0
	v_cmp_eq_u64_e64 s[38:39], 1, v[18:19]
	s_add_u32 s90, s6, s31
	v_cmp_eq_u64_e64 s[40:41], 1, v[32:33]
	s_addc_u32 s91, s7, 0
	s_and_b64 s[6:7], s[18:19], s[38:39]
	v_cmp_eq_u64_e64 s[42:43], 1, v[34:35]
	v_cndmask_b32_e64 v10, 0, 1, s[6:7]
	s_and_b64 s[6:7], s[16:17], s[40:41]
	v_cmp_eq_u64_e64 s[44:45], 1, v[36:37]
	v_cndmask_b32_e64 v11, 0, 1, s[6:7]
	s_and_b64 s[6:7], s[14:15], s[42:43]
	v_cndmask_b32_e64 v12, 0, 1, s[6:7]
	s_and_b64 s[6:7], s[12:13], s[44:45]
	v_cndmask_b32_e64 v13, 0, 1, s[6:7]
	v_cmp_ne_u32_e64 s[6:7], 0, v10
	v_cmp_ne_u32_e64 s[30:31], 0, v11
	v_cmp_ne_u32_e64 s[34:35], 0, v12
	v_cmp_ne_u32_e64 s[36:37], 0, v13
	s_bcnt1_i32_b64 s6, s[6:7]
	s_bcnt1_i32_b64 s7, s[30:31]
	s_bcnt1_i32_b64 s30, s[34:35]
	s_bcnt1_i32_b64 s31, s[36:37]
	s_add_u32 s6, s6, s66
	s_addc_u32 s34, 0, s67
	s_add_u32 s6, s6, s7
	s_addc_u32 s7, s34, 0
	s_add_u32 s6, s6, s30
	s_addc_u32 s7, s7, 0
	v_cmp_eq_u64_e64 s[46:47], 2, v[18:19]
	s_add_u32 s66, s6, s31
	v_cmp_eq_u64_e64 s[48:49], 2, v[32:33]
	s_addc_u32 s67, s7, 0
	s_and_b64 s[6:7], s[18:19], s[46:47]
	v_cmp_eq_u64_e64 s[50:51], 2, v[34:35]
	v_cndmask_b32_e64 v12, 0, 1, s[6:7]
	s_and_b64 s[6:7], s[16:17], s[48:49]
	;; [unrolled: 28-line block ×3, first 2 shown]
	v_cmp_eq_u64_e64 s[20:21], 3, v[36:37]
	v_cndmask_b32_e64 v15, 0, 1, s[6:7]
	s_and_b64 s[6:7], s[14:15], s[22:23]
	v_cndmask_b32_e64 v18, 0, 1, s[6:7]
	s_and_b64 s[6:7], s[12:13], s[20:21]
	v_cndmask_b32_e64 v32, 0, 1, s[6:7]
	v_cmp_ne_u32_e64 s[6:7], 0, v14
	v_cmp_ne_u32_e64 s[12:13], 0, v15
	;; [unrolled: 1-line block ×4, first 2 shown]
	s_bcnt1_i32_b64 s6, s[6:7]
	s_bcnt1_i32_b64 s7, s[12:13]
	;; [unrolled: 1-line block ×4, first 2 shown]
	s_add_u32 s6, s6, s8
	s_addc_u32 s8, 0, s9
	s_add_u32 s6, s6, s7
	s_addc_u32 s7, s8, 0
	s_add_u32 s6, s6, s12
	v_add_co_u32_e32 v4, vcc, s55, v4
	s_addc_u32 s7, s7, 0
	v_addc_co_u32_e32 v5, vcc, 0, v5, vcc
	s_add_u32 s8, s6, s13
	v_cmp_le_u64_e32 vcc, s[82:83], v[4:5]
	s_addc_u32 s9, s7, 0
	v_add_u32_e32 v49, v49, v48
	v_pk_mov_b32 v[8:9], s[90:91], s[90:91] op_sel:[0,1]
	v_pk_mov_b32 v[10:11], s[66:67], s[66:67] op_sel:[0,1]
	;; [unrolled: 1-line block ×3, first 2 shown]
	s_or_b64 s[0:1], vcc, s[0:1]
	v_pk_mov_b32 v[14:15], s[8:9], s[8:9] op_sel:[0,1]
	s_andn2_b64 exec, exec, s[0:1]
	s_cbranch_execnz .LBB29_71
; %bb.72:                               ;   in Loop: Header=BB29_17 Depth=1
	s_or_b64 exec, exec, s[0:1]
	v_readlane_b32 s48, v64, 45
	v_readlane_b32 s50, v64, 47
	v_readlane_b32 s49, v64, 46
	s_mov_b32 s87, s92
	v_readlane_b32 s51, v64, 48
.LBB29_73:                              ;   in Loop: Header=BB29_17 Depth=1
	s_or_b64 exec, exec, s[2:3]
	v_add_u32_e32 v18, s82, v0
	v_cmp_gt_u32_e32 vcc, s54, v18
	s_and_saveexec_b64 s[0:1], vcc
	s_cbranch_execz .LBB29_77
; %bb.74:                               ;   in Loop: Header=BB29_17 Depth=1
	s_and_b32 s82, s54, 0x7fffffff
	s_and_b32 s8, s95, 0xfe
	v_lshlrev_b32_e32 v32, 3, v18
	v_lshlrev_b32_e32 v33, 3, v3
	s_mov_b64 s[2:3], 0
	v_pk_mov_b32 v[4:5], v[18:19], v[18:19] op_sel:[0,1]
.LBB29_75:                              ;   Parent Loop BB29_17 Depth=1
                                        ; =>  This Inner Loop Header: Depth=2
	ds_read_b64 v[34:35], v32
	v_add_co_u32_e32 v4, vcc, v4, v3
	v_addc_co_u32_e32 v5, vcc, 0, v5, vcc
	s_waitcnt lgkmcnt(0)
	v_xor_b32_e32 v35, 0x80000000, v35
	v_and_b32_e32 v36, s78, v34
	v_and_b32_e32 v37, s79, v35
	v_lshrrev_b64 v[34:35], s8, v[34:35]
	v_and_b32_e32 v18, 3, v34
	v_cmp_eq_u64_e64 s[6:7], s[80:81], v[36:37]
	v_cmp_eq_u64_e64 s[12:13], 0, v[18:19]
	;; [unrolled: 1-line block ×3, first 2 shown]
	s_and_b64 s[12:13], s[6:7], s[12:13]
	v_cmp_eq_u64_e64 s[16:17], 2, v[18:19]
	v_cmp_eq_u64_e64 s[18:19], 3, v[18:19]
	v_cndmask_b32_e64 v18, 0, 1, s[12:13]
	s_and_b64 s[12:13], s[6:7], s[14:15]
	v_cndmask_b32_e64 v34, 0, 1, s[12:13]
	s_and_b64 s[12:13], s[6:7], s[16:17]
	s_and_b64 s[6:7], s[6:7], s[18:19]
	v_cndmask_b32_e64 v35, 0, 1, s[12:13]
	v_cndmask_b32_e64 v36, 0, 1, s[6:7]
	v_cmp_ne_u32_e64 s[6:7], 0, v18
	v_cmp_ne_u32_e64 s[12:13], 0, v34
	;; [unrolled: 1-line block ×4, first 2 shown]
	v_cmp_le_u64_e32 vcc, s[82:83], v[4:5]
	s_bcnt1_i32_b64 s6, s[6:7]
	s_bcnt1_i32_b64 s7, s[12:13]
	;; [unrolled: 1-line block ×4, first 2 shown]
	s_or_b64 s[2:3], vcc, s[2:3]
	v_add_co_u32_e32 v8, vcc, s6, v8
	v_addc_co_u32_e32 v9, vcc, 0, v9, vcc
	v_add_co_u32_e32 v10, vcc, s7, v10
	v_addc_co_u32_e32 v11, vcc, 0, v11, vcc
	;; [unrolled: 2-line block ×3, first 2 shown]
	v_add_co_u32_e32 v14, vcc, s12, v14
	v_add_u32_e32 v32, v32, v33
	v_addc_co_u32_e32 v15, vcc, 0, v15, vcc
	s_andn2_b64 exec, exec, s[2:3]
	s_cbranch_execnz .LBB29_75
; %bb.76:                               ;   in Loop: Header=BB29_17 Depth=1
	s_or_b64 exec, exec, s[2:3]
.LBB29_77:                              ;   in Loop: Header=BB29_17 Depth=1
	s_or_b64 exec, exec, s[0:1]
.LBB29_78:                              ;   in Loop: Header=BB29_17 Depth=1
	s_lshl_b32 s2, s86, 6
	s_and_saveexec_b64 s[0:1], s[4:5]
	s_cbranch_execz .LBB29_80
; %bb.79:                               ;   in Loop: Header=BB29_17 Depth=1
	v_or_b32_e32 v3, s2, v41
	v_lshlrev_b32_e32 v3, 3, v3
	ds_write_b128 v3, v[8:11] offset:3072
	ds_write_b128 v3, v[12:15] offset:3088
.LBB29_80:                              ;   in Loop: Header=BB29_17 Depth=1
	s_or_b64 exec, exec, s[0:1]
	s_waitcnt lgkmcnt(0)
	s_barrier
	s_and_saveexec_b64 s[0:1], s[48:49]
	s_cbranch_execz .LBB29_92
; %bb.81:                               ;   in Loop: Header=BB29_17 Depth=1
	v_readlane_b32 s6, v64, 34
	v_readlane_b32 s7, v64, 35
	s_andn2_b64 vcc, exec, s[6:7]
	s_waitcnt vmcnt(0)
	v_pk_mov_b32 v[4:5], 0, 0
	s_cbranch_vccnz .LBB29_91
; %bb.82:                               ;   in Loop: Header=BB29_17 Depth=1
	v_readlane_b32 s6, v64, 38
	v_readlane_b32 s7, v64, 39
	s_andn2_b64 vcc, exec, s[6:7]
	s_cbranch_vccnz .LBB29_87
; %bb.83:                               ;   in Loop: Header=BB29_17 Depth=1
	v_lshl_add_u32 v3, s86, 9, v46
	s_mov_b32 s3, 0
	v_pk_mov_b32 v[4:5], 0, 0
.LBB29_84:                              ;   Parent Loop BB29_17 Depth=1
                                        ; =>  This Inner Loop Header: Depth=2
	ds_read2_b64 v[8:11], v3 offset1:4
	ds_read2_b64 v[12:15], v3 offset0:8 offset1:12
	ds_read2_b64 v[32:35], v3 offset0:16 offset1:20
	ds_read2_b64 v[48:51], v3 offset0:24 offset1:28
	s_add_i32 s3, s3, 8
	s_waitcnt lgkmcnt(3)
	v_add_co_u32_e32 v4, vcc, v8, v4
	v_addc_co_u32_e32 v5, vcc, v9, v5, vcc
	v_add_co_u32_e32 v4, vcc, v10, v4
	v_addc_co_u32_e32 v5, vcc, v11, v5, vcc
	s_waitcnt lgkmcnt(2)
	v_add_co_u32_e32 v4, vcc, v12, v4
	v_addc_co_u32_e32 v5, vcc, v13, v5, vcc
	v_add_co_u32_e32 v4, vcc, v14, v4
	v_addc_co_u32_e32 v5, vcc, v15, v5, vcc
	;; [unrolled: 5-line block ×3, first 2 shown]
	s_waitcnt lgkmcnt(0)
	v_add_co_u32_e32 v4, vcc, v48, v4
	v_addc_co_u32_e32 v5, vcc, v49, v5, vcc
	v_add_co_u32_e32 v4, vcc, v50, v4
	v_add_u32_e32 v3, 0x100, v3
	s_cmp_eq_u32 s89, s3
	v_addc_co_u32_e32 v5, vcc, v51, v5, vcc
	s_cbranch_scc0 .LBB29_84
; %bb.85:                               ;   in Loop: Header=BB29_17 Depth=1
	s_mov_b32 s3, s89
	s_branch .LBB29_88
.LBB29_86:                              ;   in Loop: Header=BB29_17 Depth=1
                                        ; implicit-def: $vgpr4_vgpr5
	s_branch .LBB29_54
.LBB29_87:                              ;   in Loop: Header=BB29_17 Depth=1
	s_mov_b32 s3, 0
	v_pk_mov_b32 v[4:5], 0, 0
.LBB29_88:                              ;   in Loop: Header=BB29_17 Depth=1
	v_readlane_b32 s6, v64, 41
	v_readlane_b32 s7, v64, 42
	s_andn2_b64 vcc, exec, s[6:7]
	s_cbranch_vccnz .LBB29_91
; %bb.89:                               ;   in Loop: Header=BB29_17 Depth=1
	s_lshl_b32 s6, s86, 9
	s_lshl_b32 s3, s3, 5
	s_add_i32 s6, s6, s3
	v_add_u32_e32 v3, s6, v46
	v_readlane_b32 s3, v64, 40
.LBB29_90:                              ;   Parent Loop BB29_17 Depth=1
                                        ; =>  This Inner Loop Header: Depth=2
	ds_read_b64 v[8:9], v3
	s_add_i32 s3, s3, -1
	v_add_u32_e32 v3, 32, v3
	s_cmp_lg_u32 s3, 0
	s_waitcnt lgkmcnt(0)
	v_add_co_u32_e32 v4, vcc, v8, v4
	v_addc_co_u32_e32 v5, vcc, v9, v5, vcc
	s_cbranch_scc1 .LBB29_90
.LBB29_91:                              ;   in Loop: Header=BB29_17 Depth=1
	v_add_lshl_u32 v3, s2, v38, 3
	ds_write_b64 v3, v[4:5] offset:3072
.LBB29_92:                              ;   in Loop: Header=BB29_17 Depth=1
	s_or_b64 exec, exec, s[0:1]
	s_lshl_b32 s0, s2, 3
	v_mov_b32_e32 v3, s0
	s_waitcnt lgkmcnt(0)
	s_barrier
	ds_read_b128 v[8:11], v3 offset:3072
	ds_read_b128 v[12:15], v3 offset:3088
	s_and_b32 s44, s95, 0xfe
	s_lshl_b64 s[12:13], 3, s44
	s_not_b64 s[20:21], s[12:13]
	s_waitcnt lgkmcnt(1)
	v_readfirstlane_b32 s17, v9
	v_readfirstlane_b32 s16, v8
	s_cmp_eq_u64 s[16:17], 1
	s_cselect_b64 s[0:1], -1, 0
	s_cmp_eq_u64 s[58:59], 1
	s_cselect_b64 s[2:3], -1, 0
	s_and_b64 s[24:25], s[0:1], s[2:3]
	v_readfirstlane_b32 s34, v10
	v_readfirstlane_b32 s35, v11
	s_waitcnt lgkmcnt(0)
	v_readfirstlane_b32 s18, v12
	v_readfirstlane_b32 s19, v13
	;; [unrolled: 1-line block ×4, first 2 shown]
	s_mov_b64 s[22:23], -1
	s_and_b64 vcc, exec, s[24:25]
	s_cbranch_vccz .LBB29_107
; %bb.93:                               ;   in Loop: Header=BB29_17 Depth=1
	s_waitcnt vmcnt(0)
	ds_read_b64 v[4:5], v19 offset:5120
	s_waitcnt lgkmcnt(0)
	s_barrier
	v_readfirstlane_b32 s14, v4
	v_readfirstlane_b32 s15, v5
	s_mov_b64 s[0:1], exec
	v_readlane_b32 s2, v64, 24
	v_readlane_b32 s3, v64, 25
	s_and_b64 s[2:3], s[0:1], s[2:3]
	s_mov_b64 exec, s[2:3]
	s_cbranch_execz .LBB29_95
; %bb.94:                               ;   in Loop: Header=BB29_17 Depth=1
	v_mov_b32_e32 v18, v19
	ds_write_b64 v40, v[18:19]
.LBB29_95:                              ;   in Loop: Header=BB29_17 Depth=1
	s_or_b64 exec, exec, s[0:1]
	v_cmp_lt_i64_e64 s[0:1], s[14:15], 1
	s_and_b64 s[80:81], s[80:81], s[20:21]
	s_or_b64 s[78:79], s[78:79], s[12:13]
	s_and_b64 vcc, exec, s[0:1]
	s_waitcnt lgkmcnt(0)
	s_barrier
	s_cbranch_vccz .LBB29_108
; %bb.96:                               ;   in Loop: Header=BB29_17 Depth=1
	s_mov_b32 s92, s83
	s_cmp_lg_u64 s[92:93], 0
	s_cbranch_scc0 .LBB29_153
; %bb.97:                               ;   in Loop: Header=BB29_17 Depth=1
	v_cvt_f32_u32_e32 v3, s33
	s_sub_u32 s0, 0, s33
	s_subb_u32 s1, 0, 0
	v_mac_f32_e32 v3, 0x4f800000, v47
	v_rcp_f32_e32 v3, v3
	v_mul_f32_e32 v3, 0x5f7ffffc, v3
	v_mul_f32_e32 v4, 0x2f800000, v3
	v_trunc_f32_e32 v4, v4
	v_mac_f32_e32 v3, 0xcf800000, v4
	v_cvt_u32_f32_e32 v4, v4
	v_cvt_u32_f32_e32 v3, v3
	v_readfirstlane_b32 s2, v4
	v_readfirstlane_b32 s3, v3
	s_mul_i32 s8, s0, s2
	s_mul_hi_u32 s26, s0, s3
	s_mul_i32 s9, s1, s3
	s_add_i32 s8, s26, s8
	s_mul_i32 s27, s0, s3
	s_add_i32 s8, s8, s9
	s_mul_hi_u32 s26, s3, s27
	s_mul_hi_u32 s9, s3, s8
	s_mul_i32 s3, s3, s8
	s_add_u32 s3, s26, s3
	s_addc_u32 s9, 0, s9
	s_mul_hi_u32 s28, s2, s27
	s_mul_i32 s27, s2, s27
	s_add_u32 s3, s3, s27
	s_mul_hi_u32 s26, s2, s8
	s_addc_u32 s3, s9, s28
	s_addc_u32 s9, s26, 0
	s_mul_i32 s8, s2, s8
	s_add_u32 s3, s3, s8
	s_addc_u32 s8, 0, s9
	v_add_co_u32_e32 v3, vcc, s3, v3
	s_cmp_lg_u64 vcc, 0
	s_addc_u32 s2, s2, s8
	v_readfirstlane_b32 s8, v3
	s_mul_i32 s3, s0, s2
	s_mul_hi_u32 s9, s0, s8
	s_add_i32 s3, s9, s3
	s_mul_i32 s1, s1, s8
	s_add_i32 s3, s3, s1
	s_mul_i32 s0, s0, s8
	s_mul_hi_u32 s9, s2, s0
	s_mul_i32 s26, s2, s0
	s_mul_i32 s28, s8, s3
	s_mul_hi_u32 s0, s8, s0
	s_mul_hi_u32 s27, s8, s3
	s_add_u32 s0, s0, s28
	s_addc_u32 s8, 0, s27
	s_add_u32 s0, s0, s26
	s_mul_hi_u32 s1, s2, s3
	s_addc_u32 s0, s8, s9
	s_addc_u32 s1, s1, 0
	s_mul_i32 s3, s2, s3
	s_add_u32 s0, s0, s3
	s_addc_u32 s1, 0, s1
	v_add_co_u32_e32 v3, vcc, s0, v3
	s_cmp_lg_u64 vcc, 0
	s_addc_u32 s8, s2, s1
	s_ashr_i32 s0, s93, 31
	s_add_u32 s2, s87, s0
	s_mov_b32 s1, s0
	s_addc_u32 s3, s93, s0
	s_xor_b64 s[2:3], s[2:3], s[0:1]
	v_readfirstlane_b32 s26, v3
	s_mul_i32 s9, s2, s8
	s_mul_hi_u32 s27, s2, s26
	s_mul_hi_u32 s1, s2, s8
	s_add_u32 s9, s27, s9
	s_addc_u32 s1, 0, s1
	s_mul_hi_u32 s28, s3, s26
	s_mul_i32 s26, s3, s26
	s_add_u32 s9, s9, s26
	s_mul_hi_u32 s27, s3, s8
	s_addc_u32 s1, s1, s28
	s_addc_u32 s9, s27, 0
	s_mul_i32 s8, s3, s8
	s_add_u32 s1, s1, s8
	s_addc_u32 s8, 0, s9
	s_mul_hi_u32 s9, s33, s1
	s_mul_i32 s1, s33, s1
	s_mul_i32 s8, s33, s8
	v_mov_b32_e32 v3, s1
	s_add_i32 s9, s9, s8
	v_sub_co_u32_e32 v3, vcc, s2, v3
	s_cmp_lg_u64 vcc, 0
	s_subb_u32 s1, s3, s9
	v_subrev_co_u32_e32 v4, vcc, s33, v3
	s_cmp_lg_u64 vcc, 0
	s_subb_u32 s2, s1, 0
	v_subrev_co_u32_e32 v5, vcc, s33, v4
	s_cmp_lg_u64 vcc, 0
	s_subb_u32 s3, s2, 0
	v_cmp_le_u32_e32 vcc, s33, v4
	s_cmp_eq_u32 s2, 0
	v_cndmask_b32_e64 v6, 0, -1, vcc
	s_cselect_b64 vcc, -1, 0
	v_cndmask_b32_e32 v6, -1, v6, vcc
	v_mov_b32_e32 v7, s2
	v_mov_b32_e32 v8, s3
	v_cmp_ne_u32_e32 vcc, 0, v6
	v_cndmask_b32_e32 v6, v7, v8, vcc
	v_cndmask_b32_e32 v4, v4, v5, vcc
	v_cmp_le_u32_e32 vcc, s33, v3
	s_cmp_eq_u32 s1, 0
	v_cndmask_b32_e64 v5, 0, -1, vcc
	s_cselect_b64 vcc, -1, 0
	v_cndmask_b32_e32 v5, -1, v5, vcc
	v_cmp_ne_u32_e32 vcc, 0, v5
	v_mov_b32_e32 v7, s1
	v_cndmask_b32_e32 v3, v3, v4, vcc
	v_cndmask_b32_e32 v5, v7, v6, vcc
	v_xor_b32_e32 v3, s0, v3
	v_xor_b32_e32 v5, s0, v5
	v_mov_b32_e32 v6, s0
	v_subrev_co_u32_e32 v4, vcc, s0, v3
	v_subb_co_u32_e32 v5, vcc, v5, v6, vcc
	s_cbranch_execnz .LBB29_99
.LBB29_98:                              ;   in Loop: Header=BB29_17 Depth=1
	v_cvt_f32_u32_e32 v3, s33
	s_sub_i32 s0, 0, s33
	v_rcp_iflag_f32_e32 v3, v3
	v_mul_f32_e32 v3, 0x4f7ffffe, v3
	v_cvt_u32_f32_e32 v3, v3
	v_mul_lo_u32 v4, s0, v3
	v_mul_hi_u32 v4, v3, v4
	v_add_u32_e32 v3, v3, v4
	v_mul_hi_u32 v3, s87, v3
	v_mul_lo_u32 v3, v3, s33
	v_sub_u32_e32 v3, s87, v3
	v_subrev_u32_e32 v4, s33, v3
	v_cmp_le_u32_e32 vcc, s33, v3
	v_cndmask_b32_e32 v3, v3, v4, vcc
	v_subrev_u32_e32 v4, s33, v3
	v_cmp_le_u32_e32 vcc, s33, v3
	v_cndmask_b32_e32 v18, v3, v4, vcc
	v_pk_mov_b32 v[4:5], v[18:19], v[18:19] op_sel:[0,1]
.LBB29_99:                              ;   in Loop: Header=BB29_17 Depth=1
	v_mov_b32_e32 v3, s93
	v_sub_co_u32_e32 v8, vcc, s87, v4
	v_subb_co_u32_e32 v9, vcc, v3, v5, vcc
	v_cmp_gt_i64_e32 vcc, v[8:9], v[0:1]
	s_mov_b64 s[0:1], 0
                                        ; implicit-def: $vgpr6_vgpr7
	s_and_saveexec_b64 s[2:3], vcc
	s_cbranch_execz .LBB29_110
; %bb.100:                              ;   in Loop: Header=BB29_17 Depth=1
	s_mov_b64 s[8:9], 0
	v_pk_mov_b32 v[10:11], v[16:17], v[16:17] op_sel:[0,1]
	v_pk_mov_b32 v[12:13], v[0:1], v[0:1] op_sel:[0,1]
                                        ; implicit-def: $sgpr0_sgpr1
	s_branch .LBB29_102
.LBB29_101:                             ;   in Loop: Header=BB29_102 Depth=2
	s_or_b64 exec, exec, s[26:27]
	s_waitcnt lgkmcnt(0)
	s_barrier
	s_waitcnt vmcnt(0)
	ds_read_b128 v[4:7], v19 offset:3072
	v_mov_b32_e32 v3, s88
	v_add_co_u32_e32 v12, vcc, s33, v12
	v_addc_co_u32_e32 v13, vcc, v13, v3, vcc
	s_waitcnt lgkmcnt(0)
	v_readfirstlane_b32 s27, v5
	v_readfirstlane_b32 s26, v4
	s_cmp_lg_u64 s[26:27], 0
	s_cselect_b64 s[26:27], -1, 0
	v_cmp_ge_i64_e32 vcc, v[12:13], v[8:9]
	s_or_b64 s[28:29], s[26:27], vcc
	s_and_b64 s[28:29], exec, s[28:29]
	s_or_b64 s[8:9], s[28:29], s[8:9]
	v_mov_b32_e32 v3, s85
	v_add_co_u32_e32 v10, vcc, s84, v10
	s_andn2_b64 s[0:1], s[0:1], exec
	s_and_b64 s[26:27], s[26:27], exec
	v_addc_co_u32_e32 v11, vcc, v11, v3, vcc
	s_or_b64 s[0:1], s[0:1], s[26:27]
	s_barrier
	s_andn2_b64 exec, exec, s[8:9]
	s_cbranch_execz .LBB29_109
.LBB29_102:                             ;   Parent Loop BB29_17 Depth=1
                                        ; =>  This Inner Loop Header: Depth=2
	v_cmp_gt_i64_e32 vcc, s[56:57], v[12:13]
	v_pk_mov_b32 v[4:5], 0, 0
	s_and_saveexec_b64 s[26:27], vcc
	s_cbranch_execz .LBB29_104
; %bb.103:                              ;   in Loop: Header=BB29_102 Depth=2
	global_load_dwordx2 v[4:5], v[10:11], off
.LBB29_104:                             ;   in Loop: Header=BB29_102 Depth=2
	s_or_b64 exec, exec, s[26:27]
	s_and_saveexec_b64 s[26:27], vcc
	s_cbranch_execz .LBB29_101
; %bb.105:                              ;   in Loop: Header=BB29_102 Depth=2
	s_waitcnt vmcnt(0)
	v_xor_b32_e32 v3, 0x80000000, v5
	v_and_b32_e32 v7, s79, v3
	v_and_b32_e32 v6, s78, v4
	v_cmp_eq_u64_e32 vcc, s[80:81], v[6:7]
	s_and_b64 exec, exec, vcc
	s_cbranch_execz .LBB29_101
; %bb.106:                              ;   in Loop: Header=BB29_102 Depth=2
	v_mov_b32_e32 v3, v19
	ds_write_b128 v19, v[2:5] offset:3072
	s_branch .LBB29_101
.LBB29_107:                             ;   in Loop: Header=BB29_17 Depth=1
	s_mov_b64 s[0:1], -1
                                        ; implicit-def: $sgpr2_sgpr3
                                        ; implicit-def: $sgpr26_sgpr27
                                        ; implicit-def: $sgpr8_sgpr9
	s_branch .LBB29_124
.LBB29_108:                             ;   in Loop: Header=BB29_17 Depth=1
	s_mov_b64 s[2:3], -1
	s_mov_b64 s[0:1], 0
                                        ; implicit-def: $sgpr8_sgpr9
                                        ; implicit-def: $vgpr6_vgpr7
	s_mov_b64 s[26:27], s[2:3]
	s_cbranch_execnz .LBB29_111
	s_branch .LBB29_124
.LBB29_109:                             ;   in Loop: Header=BB29_17 Depth=1
	s_or_b64 exec, exec, s[8:9]
	s_and_b64 s[0:1], s[0:1], exec
.LBB29_110:                             ;   in Loop: Header=BB29_17 Depth=1
	s_or_b64 exec, exec, s[2:3]
	s_mov_b64 s[8:9], -1
	s_mov_b64 s[2:3], 0
	s_mov_b64 s[26:27], s[2:3]
	s_branch .LBB29_124
.LBB29_111:                             ;   in Loop: Header=BB29_17 Depth=1
	v_readlane_b32 s0, v64, 36
	s_add_u32 s8, s0, s14
	v_readlane_b32 s0, v64, 37
	s_addc_u32 s1, s0, s15
	s_mov_b32 s0, s83
	s_cmp_lg_u64 s[0:1], 0
	s_cbranch_scc0 .LBB29_154
; %bb.112:                              ;   in Loop: Header=BB29_17 Depth=1
	v_cvt_f32_u32_e32 v3, s33
	s_sub_u32 s0, 0, s33
	s_subb_u32 s2, 0, 0
	v_mac_f32_e32 v3, 0x4f800000, v47
	v_rcp_f32_e32 v3, v3
	v_mul_f32_e32 v3, 0x5f7ffffc, v3
	v_mul_f32_e32 v4, 0x2f800000, v3
	v_trunc_f32_e32 v4, v4
	v_mac_f32_e32 v3, 0xcf800000, v4
	v_cvt_u32_f32_e32 v4, v4
	v_cvt_u32_f32_e32 v3, v3
	v_readfirstlane_b32 s3, v4
	v_readfirstlane_b32 s9, v3
	s_mul_i32 s26, s0, s3
	s_mul_hi_u32 s28, s0, s9
	s_mul_i32 s27, s2, s9
	s_add_i32 s26, s28, s26
	s_mul_i32 s29, s0, s9
	s_add_i32 s26, s26, s27
	s_mul_hi_u32 s28, s9, s29
	s_mul_hi_u32 s27, s9, s26
	s_mul_i32 s9, s9, s26
	s_add_u32 s9, s28, s9
	s_addc_u32 s27, 0, s27
	s_mul_hi_u32 s30, s3, s29
	s_mul_i32 s29, s3, s29
	s_add_u32 s9, s9, s29
	s_mul_hi_u32 s28, s3, s26
	s_addc_u32 s9, s27, s30
	s_addc_u32 s27, s28, 0
	s_mul_i32 s26, s3, s26
	s_add_u32 s9, s9, s26
	s_addc_u32 s26, 0, s27
	v_add_co_u32_e32 v3, vcc, s9, v3
	s_cmp_lg_u64 vcc, 0
	s_addc_u32 s3, s3, s26
	v_readfirstlane_b32 s26, v3
	s_mul_i32 s9, s0, s3
	s_mul_hi_u32 s27, s0, s26
	s_add_i32 s9, s27, s9
	s_mul_i32 s2, s2, s26
	s_add_i32 s9, s9, s2
	s_mul_i32 s0, s0, s26
	s_mul_hi_u32 s27, s3, s0
	s_mul_i32 s28, s3, s0
	s_mul_i32 s30, s26, s9
	s_mul_hi_u32 s0, s26, s0
	s_mul_hi_u32 s29, s26, s9
	s_add_u32 s0, s0, s30
	s_addc_u32 s26, 0, s29
	s_add_u32 s0, s0, s28
	s_mul_hi_u32 s2, s3, s9
	s_addc_u32 s0, s26, s27
	s_addc_u32 s2, s2, 0
	s_mul_i32 s9, s3, s9
	s_add_u32 s0, s0, s9
	s_addc_u32 s2, 0, s2
	v_add_co_u32_e32 v3, vcc, s0, v3
	s_cmp_lg_u64 vcc, 0
	s_addc_u32 s0, s3, s2
	s_ashr_i32 s2, s1, 31
	s_add_u32 s26, s8, s2
	s_mov_b32 s3, s2
	s_addc_u32 s27, s1, s2
	s_xor_b64 s[26:27], s[26:27], s[2:3]
	v_readfirstlane_b32 s28, v3
	s_mul_i32 s9, s26, s0
	s_mul_hi_u32 s29, s26, s28
	s_mul_hi_u32 s3, s26, s0
	s_add_u32 s9, s29, s9
	s_addc_u32 s3, 0, s3
	s_mul_hi_u32 s30, s27, s28
	s_mul_i32 s28, s27, s28
	s_add_u32 s9, s9, s28
	s_mul_hi_u32 s29, s27, s0
	s_addc_u32 s3, s3, s30
	s_addc_u32 s9, s29, 0
	s_mul_i32 s0, s27, s0
	s_add_u32 s0, s3, s0
	s_addc_u32 s3, 0, s9
	s_mul_hi_u32 s9, s33, s0
	s_mul_i32 s0, s33, s0
	s_mul_i32 s3, s33, s3
	v_mov_b32_e32 v3, s0
	s_add_i32 s9, s9, s3
	v_sub_co_u32_e32 v3, vcc, s26, v3
	s_cmp_lg_u64 vcc, 0
	s_subb_u32 s0, s27, s9
	v_subrev_co_u32_e32 v4, vcc, s33, v3
	s_cmp_lg_u64 vcc, 0
	s_subb_u32 s3, s0, 0
	v_subrev_co_u32_e32 v5, vcc, s33, v4
	s_cmp_lg_u64 vcc, 0
	s_subb_u32 s9, s3, 0
	v_cmp_le_u32_e32 vcc, s33, v4
	s_cmp_eq_u32 s3, 0
	v_cndmask_b32_e64 v6, 0, -1, vcc
	s_cselect_b64 vcc, -1, 0
	v_cndmask_b32_e32 v6, -1, v6, vcc
	v_mov_b32_e32 v7, s3
	v_mov_b32_e32 v8, s9
	v_cmp_ne_u32_e32 vcc, 0, v6
	v_cndmask_b32_e32 v6, v7, v8, vcc
	v_cndmask_b32_e32 v4, v4, v5, vcc
	v_cmp_le_u32_e32 vcc, s33, v3
	s_cmp_eq_u32 s0, 0
	v_cndmask_b32_e64 v5, 0, -1, vcc
	s_cselect_b64 vcc, -1, 0
	v_cndmask_b32_e32 v5, -1, v5, vcc
	v_cmp_ne_u32_e32 vcc, 0, v5
	v_mov_b32_e32 v7, s0
	v_cndmask_b32_e32 v3, v3, v4, vcc
	v_cndmask_b32_e32 v5, v7, v6, vcc
	v_xor_b32_e32 v3, s2, v3
	v_xor_b32_e32 v5, s2, v5
	v_mov_b32_e32 v6, s2
	v_subrev_co_u32_e32 v4, vcc, s2, v3
	v_subb_co_u32_e32 v5, vcc, v5, v6, vcc
	s_cbranch_execnz .LBB29_114
.LBB29_113:                             ;   in Loop: Header=BB29_17 Depth=1
	v_cvt_f32_u32_e32 v3, s33
	s_sub_i32 s0, 0, s33
	v_rcp_iflag_f32_e32 v3, v3
	v_mul_f32_e32 v3, 0x4f7ffffe, v3
	v_cvt_u32_f32_e32 v3, v3
	v_mul_lo_u32 v4, s0, v3
	v_mul_hi_u32 v4, v3, v4
	v_add_u32_e32 v3, v3, v4
	v_mul_hi_u32 v3, s8, v3
	v_mul_lo_u32 v3, v3, s33
	v_sub_u32_e32 v3, s8, v3
	v_subrev_u32_e32 v4, s33, v3
	v_cmp_le_u32_e32 vcc, s33, v3
	v_cndmask_b32_e32 v3, v3, v4, vcc
	v_subrev_u32_e32 v4, s33, v3
	v_cmp_le_u32_e32 vcc, s33, v3
	v_cndmask_b32_e32 v18, v3, v4, vcc
	v_pk_mov_b32 v[4:5], v[18:19], v[18:19] op_sel:[0,1]
.LBB29_114:                             ;   in Loop: Header=BB29_17 Depth=1
	v_mov_b32_e32 v3, s1
	v_sub_co_u32_e32 v8, vcc, s8, v4
	v_subb_co_u32_e32 v9, vcc, v3, v5, vcc
	v_cmp_gt_i64_e32 vcc, v[8:9], v[0:1]
	s_mov_b64 s[0:1], 0
                                        ; implicit-def: $vgpr6_vgpr7
	s_and_saveexec_b64 s[2:3], vcc
	s_cbranch_execz .LBB29_123
; %bb.115:                              ;   in Loop: Header=BB29_17 Depth=1
	s_mov_b64 s[8:9], 0
	v_mov_b32_e32 v12, v39
	v_pk_mov_b32 v[10:11], v[0:1], v[0:1] op_sel:[0,1]
                                        ; implicit-def: $sgpr0_sgpr1
	s_branch .LBB29_117
.LBB29_116:                             ;   in Loop: Header=BB29_117 Depth=2
	s_or_b64 exec, exec, s[26:27]
	s_waitcnt lgkmcnt(0)
	s_barrier
	ds_read_b128 v[4:7], v19 offset:3072
	v_mov_b32_e32 v3, s88
	v_add_co_u32_e32 v10, vcc, s33, v10
	v_addc_co_u32_e32 v11, vcc, v11, v3, vcc
	s_waitcnt lgkmcnt(0)
	v_readfirstlane_b32 s27, v5
	v_readfirstlane_b32 s26, v4
	s_cmp_lg_u64 s[26:27], 0
	s_cselect_b64 s[26:27], -1, 0
	v_cmp_ge_i64_e32 vcc, v[10:11], v[8:9]
	s_or_b64 s[28:29], s[26:27], vcc
	s_and_b64 s[28:29], exec, s[28:29]
	s_or_b64 s[8:9], s[28:29], s[8:9]
	s_andn2_b64 s[0:1], s[0:1], exec
	s_and_b64 s[26:27], s[26:27], exec
	v_add_u32_e32 v12, s94, v12
	s_or_b64 s[0:1], s[0:1], s[26:27]
	s_barrier
	s_andn2_b64 exec, exec, s[8:9]
	s_cbranch_execz .LBB29_122
.LBB29_117:                             ;   Parent Loop BB29_17 Depth=1
                                        ; =>  This Inner Loop Header: Depth=2
	v_cmp_gt_i64_e32 vcc, s[14:15], v[10:11]
	v_pk_mov_b32 v[4:5], 0, 0
	s_and_saveexec_b64 s[26:27], vcc
	s_cbranch_execz .LBB29_119
; %bb.118:                              ;   in Loop: Header=BB29_117 Depth=2
	ds_read_b64 v[4:5], v12
.LBB29_119:                             ;   in Loop: Header=BB29_117 Depth=2
	s_or_b64 exec, exec, s[26:27]
	s_and_saveexec_b64 s[26:27], vcc
	s_cbranch_execz .LBB29_116
; %bb.120:                              ;   in Loop: Header=BB29_117 Depth=2
	s_waitcnt lgkmcnt(0)
	v_xor_b32_e32 v3, 0x80000000, v5
	v_and_b32_e32 v7, s79, v3
	v_and_b32_e32 v6, s78, v4
	v_cmp_eq_u64_e32 vcc, s[80:81], v[6:7]
	s_and_b64 exec, exec, vcc
	s_cbranch_execz .LBB29_116
; %bb.121:                              ;   in Loop: Header=BB29_117 Depth=2
	v_mov_b32_e32 v3, v19
	ds_write_b128 v19, v[2:5] offset:3072
	s_branch .LBB29_116
.LBB29_122:                             ;   in Loop: Header=BB29_17 Depth=1
	s_or_b64 exec, exec, s[8:9]
	s_and_b64 s[0:1], s[0:1], exec
.LBB29_123:                             ;   in Loop: Header=BB29_17 Depth=1
	s_or_b64 exec, exec, s[2:3]
	s_mov_b64 s[26:27], -1
	s_mov_b64 s[2:3], 0
	s_mov_b64 s[8:9], 0
.LBB29_124:                             ;   in Loop: Header=BB29_17 Depth=1
	s_andn2_b64 s[10:11], s[10:11], exec
	s_and_b64 s[2:3], s[2:3], exec
	s_or_b64 s[10:11], s[10:11], s[2:3]
	s_andn2_b64 s[2:3], s[70:71], exec
	s_and_b64 s[14:15], s[26:27], exec
	s_or_b64 s[70:71], s[2:3], s[14:15]
	;; [unrolled: 3-line block ×3, first 2 shown]
	s_and_saveexec_b64 s[14:15], s[0:1]
	s_cbranch_execz .LBB29_16
; %bb.125:                              ;   in Loop: Header=BB29_17 Depth=1
	s_xor_b64 s[0:1], s[24:25], -1
	s_andn2_b64 vcc, exec, s[0:1]
	s_mov_b32 s46, 1
	s_cbranch_vccnz .LBB29_136
; %bb.126:                              ;   in Loop: Header=BB29_17 Depth=1
	s_waitcnt vmcnt(0)
	v_pk_mov_b32 v[4:5], s[16:17], s[16:17] op_sel:[0,1]
	v_cmp_gt_i64_e32 vcc, s[58:59], v[4:5]
	s_mov_b64 s[0:1], -1
                                        ; implicit-def: $sgpr46
                                        ; implicit-def: $sgpr2_sgpr3
                                        ; implicit-def: $sgpr8_sgpr9
	s_cbranch_vccnz .LBB29_132
; %bb.127:                              ;   in Loop: Header=BB29_17 Depth=1
	ds_read_b64 v[4:5], v19 offset:5120
	s_waitcnt lgkmcnt(0)
	v_cmp_ne_u64_e32 vcc, 0, v[4:5]
	s_cbranch_vccnz .LBB29_131
; %bb.128:                              ;   in Loop: Header=BB29_17 Depth=1
	s_mov_b64 s[0:1], exec
	v_readlane_b32 s2, v64, 12
	v_readlane_b32 s3, v64, 13
	s_and_b64 s[2:3], s[0:1], s[2:3]
	s_mov_b64 exec, s[2:3]
	s_cbranch_execz .LBB29_130
; %bb.129:                              ;   in Loop: Header=BB29_17 Depth=1
	v_pk_mov_b32 v[4:5], s[16:17], s[16:17] op_sel:[0,1]
	ds_write_b64 v19, v[4:5] offset:5128
.LBB29_130:                             ;   in Loop: Header=BB29_17 Depth=1
	s_or_b64 exec, exec, s[0:1]
	s_waitcnt lgkmcnt(0)
	s_barrier
.LBB29_131:                             ;   in Loop: Header=BB29_17 Depth=1
	s_and_b64 s[2:3], s[80:81], s[20:21]
	s_or_b64 s[8:9], s[78:79], s[12:13]
	s_mov_b64 s[0:1], 0
	s_mov_b32 s46, 8
.LBB29_132:                             ;   in Loop: Header=BB29_17 Depth=1
	s_andn2_b64 vcc, exec, s[0:1]
	s_cbranch_vccnz .LBB29_134
; %bb.133:                              ;   in Loop: Header=BB29_17 Depth=1
	s_sub_u32 s58, s58, s16
	s_subb_u32 s59, s59, s17
	s_mov_b64 s[0:1], -1
	s_mov_b32 s46, 0
	s_mov_b64 s[2:3], s[80:81]
	s_mov_b64 s[8:9], s[78:79]
.LBB29_134:                             ;   in Loop: Header=BB29_17 Depth=1
	s_mov_b64 s[78:79], s[8:9]
	s_mov_b64 s[80:81], s[2:3]
	s_mov_b64 s[16:17], -1
	s_and_b64 vcc, exec, s[0:1]
	s_cbranch_vccnz .LBB29_137
.LBB29_135:                             ;   in Loop: Header=BB29_17 Depth=1
	s_mov_b64 s[2:3], -1
                                        ; implicit-def: $sgpr22_sgpr23
                                        ; implicit-def: $sgpr26_sgpr27
                                        ; implicit-def: $sgpr24_sgpr25
	s_and_saveexec_b64 s[0:1], s[2:3]
	s_xor_b64 s[0:1], exec, s[0:1]
	s_cbranch_execz .LBB29_15
	s_branch .LBB29_283
.LBB29_136:                             ;   in Loop: Header=BB29_17 Depth=1
	s_mov_b64 s[58:59], 1
	s_mov_b64 s[16:17], -1
	s_branch .LBB29_135
.LBB29_137:                             ;   in Loop: Header=BB29_17 Depth=1
	s_cmp_eq_u64 s[34:35], 1
	s_cselect_b64 s[0:1], -1, 0
	s_cmp_eq_u64 s[58:59], 1
	s_cselect_b64 s[2:3], -1, 0
	s_and_b64 s[36:37], s[0:1], s[2:3]
	s_mov_b64 s[0:1], -1
	s_and_b64 vcc, exec, s[36:37]
	s_cbranch_vccz .LBB29_152
; %bb.138:                              ;   in Loop: Header=BB29_17 Depth=1
	s_waitcnt vmcnt(0)
	ds_read_b64 v[4:5], v19 offset:5120
	s_waitcnt lgkmcnt(0)
	s_barrier
	v_readfirstlane_b32 s30, v4
	v_readfirstlane_b32 s31, v5
	s_mov_b64 s[0:1], exec
	v_readlane_b32 s2, v64, 24
	v_readlane_b32 s3, v64, 25
	s_and_b64 s[2:3], s[0:1], s[2:3]
	s_mov_b64 exec, s[2:3]
	s_cbranch_execz .LBB29_140
; %bb.139:                              ;   in Loop: Header=BB29_17 Depth=1
	v_mov_b32_e32 v18, v19
	ds_write_b64 v40, v[18:19]
.LBB29_140:                             ;   in Loop: Header=BB29_17 Depth=1
	s_or_b64 exec, exec, s[0:1]
	s_lshl_b64 s[0:1], 1, s44
	s_and_b64 s[2:3], s[80:81], s[20:21]
	s_or_b64 s[80:81], s[2:3], s[0:1]
	v_cmp_gt_i64_e64 s[0:1], s[30:31], 0
	s_or_b64 s[78:79], s[78:79], s[12:13]
	s_and_b64 vcc, exec, s[0:1]
	s_waitcnt lgkmcnt(0)
	s_barrier
	s_cbranch_vccnz .LBB29_155
; %bb.141:                              ;   in Loop: Header=BB29_17 Depth=1
	s_mov_b32 s92, s83
	s_cmp_lg_u64 s[92:93], 0
	s_cbranch_scc0 .LBB29_200
; %bb.142:                              ;   in Loop: Header=BB29_17 Depth=1
	v_cvt_f32_u32_e32 v3, s33
	s_sub_u32 s0, 0, s33
	s_subb_u32 s1, 0, 0
	v_mac_f32_e32 v3, 0x4f800000, v47
	v_rcp_f32_e32 v3, v3
	v_mul_f32_e32 v3, 0x5f7ffffc, v3
	v_mul_f32_e32 v4, 0x2f800000, v3
	v_trunc_f32_e32 v4, v4
	v_mac_f32_e32 v3, 0xcf800000, v4
	v_cvt_u32_f32_e32 v4, v4
	v_cvt_u32_f32_e32 v3, v3
	v_readfirstlane_b32 s2, v4
	v_readfirstlane_b32 s3, v3
	s_mul_i32 s8, s0, s2
	s_mul_hi_u32 s22, s0, s3
	s_mul_i32 s9, s1, s3
	s_add_i32 s8, s22, s8
	s_mul_i32 s23, s0, s3
	s_add_i32 s8, s8, s9
	s_mul_hi_u32 s22, s3, s23
	s_mul_hi_u32 s9, s3, s8
	s_mul_i32 s3, s3, s8
	s_add_u32 s3, s22, s3
	s_addc_u32 s9, 0, s9
	s_mul_hi_u32 s24, s2, s23
	s_mul_i32 s23, s2, s23
	s_add_u32 s3, s3, s23
	s_mul_hi_u32 s22, s2, s8
	s_addc_u32 s3, s9, s24
	s_addc_u32 s9, s22, 0
	s_mul_i32 s8, s2, s8
	s_add_u32 s3, s3, s8
	s_addc_u32 s8, 0, s9
	v_add_co_u32_e32 v3, vcc, s3, v3
	s_cmp_lg_u64 vcc, 0
	s_addc_u32 s2, s2, s8
	v_readfirstlane_b32 s8, v3
	s_mul_i32 s3, s0, s2
	s_mul_hi_u32 s9, s0, s8
	s_add_i32 s3, s9, s3
	s_mul_i32 s1, s1, s8
	s_add_i32 s3, s3, s1
	s_mul_i32 s0, s0, s8
	s_mul_hi_u32 s9, s2, s0
	s_mul_i32 s22, s2, s0
	s_mul_i32 s24, s8, s3
	s_mul_hi_u32 s0, s8, s0
	s_mul_hi_u32 s23, s8, s3
	s_add_u32 s0, s0, s24
	s_addc_u32 s8, 0, s23
	s_add_u32 s0, s0, s22
	s_mul_hi_u32 s1, s2, s3
	s_addc_u32 s0, s8, s9
	s_addc_u32 s1, s1, 0
	s_mul_i32 s3, s2, s3
	s_add_u32 s0, s0, s3
	s_addc_u32 s1, 0, s1
	v_add_co_u32_e32 v3, vcc, s0, v3
	s_cmp_lg_u64 vcc, 0
	s_addc_u32 s8, s2, s1
	s_ashr_i32 s0, s93, 31
	s_add_u32 s2, s87, s0
	s_mov_b32 s1, s0
	s_addc_u32 s3, s93, s0
	s_xor_b64 s[2:3], s[2:3], s[0:1]
	v_readfirstlane_b32 s22, v3
	s_mul_i32 s9, s2, s8
	s_mul_hi_u32 s23, s2, s22
	s_mul_hi_u32 s1, s2, s8
	s_add_u32 s9, s23, s9
	s_addc_u32 s1, 0, s1
	s_mul_hi_u32 s24, s3, s22
	s_mul_i32 s22, s3, s22
	s_add_u32 s9, s9, s22
	s_mul_hi_u32 s23, s3, s8
	s_addc_u32 s1, s1, s24
	s_addc_u32 s9, s23, 0
	s_mul_i32 s8, s3, s8
	s_add_u32 s1, s1, s8
	s_addc_u32 s8, 0, s9
	s_mul_hi_u32 s9, s33, s1
	s_mul_i32 s1, s33, s1
	s_mul_i32 s8, s33, s8
	v_mov_b32_e32 v3, s1
	s_add_i32 s9, s9, s8
	v_sub_co_u32_e32 v3, vcc, s2, v3
	s_cmp_lg_u64 vcc, 0
	s_subb_u32 s1, s3, s9
	v_subrev_co_u32_e32 v4, vcc, s33, v3
	s_cmp_lg_u64 vcc, 0
	s_subb_u32 s2, s1, 0
	v_subrev_co_u32_e32 v5, vcc, s33, v4
	s_cmp_lg_u64 vcc, 0
	s_subb_u32 s3, s2, 0
	v_cmp_le_u32_e32 vcc, s33, v4
	s_cmp_eq_u32 s2, 0
	v_cndmask_b32_e64 v6, 0, -1, vcc
	s_cselect_b64 vcc, -1, 0
	v_cndmask_b32_e32 v6, -1, v6, vcc
	v_mov_b32_e32 v7, s2
	v_mov_b32_e32 v8, s3
	v_cmp_ne_u32_e32 vcc, 0, v6
	v_cndmask_b32_e32 v6, v7, v8, vcc
	v_cndmask_b32_e32 v4, v4, v5, vcc
	v_cmp_le_u32_e32 vcc, s33, v3
	s_cmp_eq_u32 s1, 0
	v_cndmask_b32_e64 v5, 0, -1, vcc
	s_cselect_b64 vcc, -1, 0
	v_cndmask_b32_e32 v5, -1, v5, vcc
	v_cmp_ne_u32_e32 vcc, 0, v5
	v_mov_b32_e32 v7, s1
	v_cndmask_b32_e32 v3, v3, v4, vcc
	v_cndmask_b32_e32 v5, v7, v6, vcc
	v_xor_b32_e32 v3, s0, v3
	v_xor_b32_e32 v5, s0, v5
	v_mov_b32_e32 v6, s0
	v_subrev_co_u32_e32 v4, vcc, s0, v3
	v_subb_co_u32_e32 v5, vcc, v5, v6, vcc
	s_cbranch_execnz .LBB29_144
.LBB29_143:                             ;   in Loop: Header=BB29_17 Depth=1
	v_cvt_f32_u32_e32 v3, s33
	s_sub_i32 s0, 0, s33
	v_rcp_iflag_f32_e32 v3, v3
	v_mul_f32_e32 v3, 0x4f7ffffe, v3
	v_cvt_u32_f32_e32 v3, v3
	v_mul_lo_u32 v4, s0, v3
	v_mul_hi_u32 v4, v3, v4
	v_add_u32_e32 v3, v3, v4
	v_mul_hi_u32 v3, s87, v3
	v_mul_lo_u32 v3, v3, s33
	v_sub_u32_e32 v3, s87, v3
	v_subrev_u32_e32 v4, s33, v3
	v_cmp_le_u32_e32 vcc, s33, v3
	v_cndmask_b32_e32 v3, v3, v4, vcc
	v_subrev_u32_e32 v4, s33, v3
	v_cmp_le_u32_e32 vcc, s33, v3
	v_cndmask_b32_e32 v18, v3, v4, vcc
	v_pk_mov_b32 v[4:5], v[18:19], v[18:19] op_sel:[0,1]
.LBB29_144:                             ;   in Loop: Header=BB29_17 Depth=1
	v_mov_b32_e32 v3, s93
	v_sub_co_u32_e32 v8, vcc, s87, v4
	v_subb_co_u32_e32 v9, vcc, v3, v5, vcc
	v_cmp_gt_i64_e32 vcc, v[8:9], v[0:1]
	s_mov_b64 s[0:1], 0
                                        ; implicit-def: $vgpr6_vgpr7
	s_and_saveexec_b64 s[2:3], vcc
	s_cbranch_execz .LBB29_157
; %bb.145:                              ;   in Loop: Header=BB29_17 Depth=1
	s_mov_b64 s[8:9], 0
	v_pk_mov_b32 v[10:11], v[16:17], v[16:17] op_sel:[0,1]
	v_pk_mov_b32 v[12:13], v[0:1], v[0:1] op_sel:[0,1]
                                        ; implicit-def: $sgpr0_sgpr1
	s_branch .LBB29_147
.LBB29_146:                             ;   in Loop: Header=BB29_147 Depth=2
	s_or_b64 exec, exec, s[22:23]
	s_waitcnt lgkmcnt(0)
	s_barrier
	s_waitcnt vmcnt(0)
	ds_read_b128 v[4:7], v19 offset:3072
	v_mov_b32_e32 v3, s88
	v_add_co_u32_e32 v12, vcc, s33, v12
	v_addc_co_u32_e32 v13, vcc, v13, v3, vcc
	s_waitcnt lgkmcnt(0)
	v_readfirstlane_b32 s23, v5
	v_readfirstlane_b32 s22, v4
	s_cmp_lg_u64 s[22:23], 0
	s_cselect_b64 s[22:23], -1, 0
	v_cmp_ge_i64_e32 vcc, v[12:13], v[8:9]
	s_or_b64 s[24:25], s[22:23], vcc
	s_and_b64 s[24:25], exec, s[24:25]
	s_or_b64 s[8:9], s[24:25], s[8:9]
	v_mov_b32_e32 v3, s85
	v_add_co_u32_e32 v10, vcc, s84, v10
	s_andn2_b64 s[0:1], s[0:1], exec
	s_and_b64 s[22:23], s[22:23], exec
	v_addc_co_u32_e32 v11, vcc, v11, v3, vcc
	s_or_b64 s[0:1], s[0:1], s[22:23]
	s_barrier
	s_andn2_b64 exec, exec, s[8:9]
	s_cbranch_execz .LBB29_156
.LBB29_147:                             ;   Parent Loop BB29_17 Depth=1
                                        ; =>  This Inner Loop Header: Depth=2
	v_cmp_gt_i64_e32 vcc, s[56:57], v[12:13]
	v_pk_mov_b32 v[4:5], 0, 0
	s_and_saveexec_b64 s[22:23], vcc
	s_cbranch_execz .LBB29_149
; %bb.148:                              ;   in Loop: Header=BB29_147 Depth=2
	global_load_dwordx2 v[4:5], v[10:11], off
.LBB29_149:                             ;   in Loop: Header=BB29_147 Depth=2
	s_or_b64 exec, exec, s[22:23]
	s_and_saveexec_b64 s[22:23], vcc
	s_cbranch_execz .LBB29_146
; %bb.150:                              ;   in Loop: Header=BB29_147 Depth=2
	s_waitcnt vmcnt(0)
	v_xor_b32_e32 v3, 0x80000000, v5
	v_and_b32_e32 v7, s79, v3
	v_and_b32_e32 v6, s78, v4
	v_cmp_eq_u64_e32 vcc, s[80:81], v[6:7]
	s_and_b64 exec, exec, vcc
	s_cbranch_execz .LBB29_146
; %bb.151:                              ;   in Loop: Header=BB29_147 Depth=2
	v_mov_b32_e32 v3, v19
	ds_write_b128 v19, v[2:5] offset:3072
	s_branch .LBB29_146
.LBB29_152:                             ;   in Loop: Header=BB29_17 Depth=1
                                        ; implicit-def: $sgpr24_sgpr25
                                        ; implicit-def: $sgpr26_sgpr27
                                        ; implicit-def: $sgpr22_sgpr23
	s_branch .LBB29_171
.LBB29_153:                             ;   in Loop: Header=BB29_17 Depth=1
                                        ; implicit-def: $vgpr4_vgpr5
	s_branch .LBB29_98
.LBB29_154:                             ;   in Loop: Header=BB29_17 Depth=1
                                        ; implicit-def: $vgpr4_vgpr5
	s_branch .LBB29_113
.LBB29_155:                             ;   in Loop: Header=BB29_17 Depth=1
	s_mov_b64 s[24:25], -1
	s_mov_b64 s[0:1], 0
                                        ; implicit-def: $sgpr22_sgpr23
                                        ; implicit-def: $vgpr6_vgpr7
	s_mov_b64 s[26:27], s[24:25]
	s_cbranch_execnz .LBB29_158
	s_branch .LBB29_171
.LBB29_156:                             ;   in Loop: Header=BB29_17 Depth=1
	s_or_b64 exec, exec, s[8:9]
	s_and_b64 s[0:1], s[0:1], exec
.LBB29_157:                             ;   in Loop: Header=BB29_17 Depth=1
	s_or_b64 exec, exec, s[2:3]
	s_mov_b64 s[22:23], -1
	s_mov_b64 s[24:25], 0
	s_mov_b64 s[26:27], s[24:25]
	s_branch .LBB29_171
.LBB29_158:                             ;   in Loop: Header=BB29_17 Depth=1
	v_readlane_b32 s0, v64, 36
	s_add_u32 s8, s0, s30
	v_readlane_b32 s0, v64, 37
	s_addc_u32 s1, s0, s31
	s_mov_b32 s0, s83
	s_cmp_lg_u64 s[0:1], 0
	s_cbranch_scc0 .LBB29_201
; %bb.159:                              ;   in Loop: Header=BB29_17 Depth=1
	v_cvt_f32_u32_e32 v3, s33
	s_sub_u32 s0, 0, s33
	s_subb_u32 s2, 0, 0
	v_mac_f32_e32 v3, 0x4f800000, v47
	v_rcp_f32_e32 v3, v3
	v_mul_f32_e32 v3, 0x5f7ffffc, v3
	v_mul_f32_e32 v4, 0x2f800000, v3
	v_trunc_f32_e32 v4, v4
	v_mac_f32_e32 v3, 0xcf800000, v4
	v_cvt_u32_f32_e32 v4, v4
	v_cvt_u32_f32_e32 v3, v3
	v_readfirstlane_b32 s3, v4
	v_readfirstlane_b32 s9, v3
	s_mul_i32 s22, s0, s3
	s_mul_hi_u32 s24, s0, s9
	s_mul_i32 s23, s2, s9
	s_add_i32 s22, s24, s22
	s_mul_i32 s25, s0, s9
	s_add_i32 s22, s22, s23
	s_mul_hi_u32 s24, s9, s25
	s_mul_hi_u32 s23, s9, s22
	s_mul_i32 s9, s9, s22
	s_add_u32 s9, s24, s9
	s_addc_u32 s23, 0, s23
	s_mul_hi_u32 s26, s3, s25
	s_mul_i32 s25, s3, s25
	s_add_u32 s9, s9, s25
	s_mul_hi_u32 s24, s3, s22
	s_addc_u32 s9, s23, s26
	s_addc_u32 s23, s24, 0
	s_mul_i32 s22, s3, s22
	s_add_u32 s9, s9, s22
	s_addc_u32 s22, 0, s23
	v_add_co_u32_e32 v3, vcc, s9, v3
	s_cmp_lg_u64 vcc, 0
	s_addc_u32 s3, s3, s22
	v_readfirstlane_b32 s22, v3
	s_mul_i32 s9, s0, s3
	s_mul_hi_u32 s23, s0, s22
	s_add_i32 s9, s23, s9
	s_mul_i32 s2, s2, s22
	s_add_i32 s9, s9, s2
	s_mul_i32 s0, s0, s22
	s_mul_hi_u32 s23, s3, s0
	s_mul_i32 s24, s3, s0
	s_mul_i32 s26, s22, s9
	s_mul_hi_u32 s0, s22, s0
	s_mul_hi_u32 s25, s22, s9
	s_add_u32 s0, s0, s26
	s_addc_u32 s22, 0, s25
	s_add_u32 s0, s0, s24
	s_mul_hi_u32 s2, s3, s9
	s_addc_u32 s0, s22, s23
	s_addc_u32 s2, s2, 0
	s_mul_i32 s9, s3, s9
	s_add_u32 s0, s0, s9
	s_addc_u32 s2, 0, s2
	v_add_co_u32_e32 v3, vcc, s0, v3
	s_cmp_lg_u64 vcc, 0
	s_addc_u32 s0, s3, s2
	s_ashr_i32 s2, s1, 31
	s_add_u32 s22, s8, s2
	s_mov_b32 s3, s2
	s_addc_u32 s23, s1, s2
	s_xor_b64 s[22:23], s[22:23], s[2:3]
	v_readfirstlane_b32 s24, v3
	s_mul_i32 s9, s22, s0
	s_mul_hi_u32 s25, s22, s24
	s_mul_hi_u32 s3, s22, s0
	s_add_u32 s9, s25, s9
	s_addc_u32 s3, 0, s3
	s_mul_hi_u32 s26, s23, s24
	s_mul_i32 s24, s23, s24
	s_add_u32 s9, s9, s24
	s_mul_hi_u32 s25, s23, s0
	s_addc_u32 s3, s3, s26
	s_addc_u32 s9, s25, 0
	s_mul_i32 s0, s23, s0
	s_add_u32 s0, s3, s0
	s_addc_u32 s3, 0, s9
	s_mul_hi_u32 s9, s33, s0
	s_mul_i32 s0, s33, s0
	s_mul_i32 s3, s33, s3
	v_mov_b32_e32 v3, s0
	s_add_i32 s9, s9, s3
	v_sub_co_u32_e32 v3, vcc, s22, v3
	s_cmp_lg_u64 vcc, 0
	s_subb_u32 s0, s23, s9
	v_subrev_co_u32_e32 v4, vcc, s33, v3
	s_cmp_lg_u64 vcc, 0
	s_subb_u32 s3, s0, 0
	v_subrev_co_u32_e32 v5, vcc, s33, v4
	s_cmp_lg_u64 vcc, 0
	s_subb_u32 s9, s3, 0
	v_cmp_le_u32_e32 vcc, s33, v4
	s_cmp_eq_u32 s3, 0
	v_cndmask_b32_e64 v6, 0, -1, vcc
	s_cselect_b64 vcc, -1, 0
	v_cndmask_b32_e32 v6, -1, v6, vcc
	v_mov_b32_e32 v7, s3
	v_mov_b32_e32 v8, s9
	v_cmp_ne_u32_e32 vcc, 0, v6
	v_cndmask_b32_e32 v6, v7, v8, vcc
	v_cndmask_b32_e32 v4, v4, v5, vcc
	v_cmp_le_u32_e32 vcc, s33, v3
	s_cmp_eq_u32 s0, 0
	v_cndmask_b32_e64 v5, 0, -1, vcc
	s_cselect_b64 vcc, -1, 0
	v_cndmask_b32_e32 v5, -1, v5, vcc
	v_cmp_ne_u32_e32 vcc, 0, v5
	v_mov_b32_e32 v7, s0
	v_cndmask_b32_e32 v3, v3, v4, vcc
	v_cndmask_b32_e32 v5, v7, v6, vcc
	v_xor_b32_e32 v3, s2, v3
	v_xor_b32_e32 v5, s2, v5
	v_mov_b32_e32 v6, s2
	v_subrev_co_u32_e32 v4, vcc, s2, v3
	v_subb_co_u32_e32 v5, vcc, v5, v6, vcc
	s_cbranch_execnz .LBB29_161
.LBB29_160:                             ;   in Loop: Header=BB29_17 Depth=1
	v_cvt_f32_u32_e32 v3, s33
	s_sub_i32 s0, 0, s33
	v_rcp_iflag_f32_e32 v3, v3
	v_mul_f32_e32 v3, 0x4f7ffffe, v3
	v_cvt_u32_f32_e32 v3, v3
	v_mul_lo_u32 v4, s0, v3
	v_mul_hi_u32 v4, v3, v4
	v_add_u32_e32 v3, v3, v4
	v_mul_hi_u32 v3, s8, v3
	v_mul_lo_u32 v3, v3, s33
	v_sub_u32_e32 v3, s8, v3
	v_subrev_u32_e32 v4, s33, v3
	v_cmp_le_u32_e32 vcc, s33, v3
	v_cndmask_b32_e32 v3, v3, v4, vcc
	v_subrev_u32_e32 v4, s33, v3
	v_cmp_le_u32_e32 vcc, s33, v3
	v_cndmask_b32_e32 v18, v3, v4, vcc
	v_pk_mov_b32 v[4:5], v[18:19], v[18:19] op_sel:[0,1]
.LBB29_161:                             ;   in Loop: Header=BB29_17 Depth=1
	v_mov_b32_e32 v3, s1
	v_sub_co_u32_e32 v8, vcc, s8, v4
	v_subb_co_u32_e32 v9, vcc, v3, v5, vcc
	v_cmp_gt_i64_e32 vcc, v[8:9], v[0:1]
	s_mov_b64 s[0:1], 0
                                        ; implicit-def: $vgpr6_vgpr7
	s_and_saveexec_b64 s[2:3], vcc
	s_cbranch_execz .LBB29_170
; %bb.162:                              ;   in Loop: Header=BB29_17 Depth=1
	s_mov_b64 s[8:9], 0
	v_mov_b32_e32 v12, v39
	v_pk_mov_b32 v[10:11], v[0:1], v[0:1] op_sel:[0,1]
                                        ; implicit-def: $sgpr0_sgpr1
	s_branch .LBB29_164
.LBB29_163:                             ;   in Loop: Header=BB29_164 Depth=2
	s_or_b64 exec, exec, s[22:23]
	s_waitcnt lgkmcnt(0)
	s_barrier
	ds_read_b128 v[4:7], v19 offset:3072
	v_mov_b32_e32 v3, s88
	v_add_co_u32_e32 v10, vcc, s33, v10
	v_addc_co_u32_e32 v11, vcc, v11, v3, vcc
	s_waitcnt lgkmcnt(0)
	v_readfirstlane_b32 s23, v5
	v_readfirstlane_b32 s22, v4
	s_cmp_lg_u64 s[22:23], 0
	s_cselect_b64 s[22:23], -1, 0
	v_cmp_ge_i64_e32 vcc, v[10:11], v[8:9]
	s_or_b64 s[24:25], s[22:23], vcc
	s_and_b64 s[24:25], exec, s[24:25]
	s_or_b64 s[8:9], s[24:25], s[8:9]
	s_andn2_b64 s[0:1], s[0:1], exec
	s_and_b64 s[22:23], s[22:23], exec
	v_add_u32_e32 v12, s94, v12
	s_or_b64 s[0:1], s[0:1], s[22:23]
	s_barrier
	s_andn2_b64 exec, exec, s[8:9]
	s_cbranch_execz .LBB29_169
.LBB29_164:                             ;   Parent Loop BB29_17 Depth=1
                                        ; =>  This Inner Loop Header: Depth=2
	v_cmp_gt_i64_e32 vcc, s[30:31], v[10:11]
	v_pk_mov_b32 v[4:5], 0, 0
	s_and_saveexec_b64 s[22:23], vcc
	s_cbranch_execz .LBB29_166
; %bb.165:                              ;   in Loop: Header=BB29_164 Depth=2
	ds_read_b64 v[4:5], v12
.LBB29_166:                             ;   in Loop: Header=BB29_164 Depth=2
	s_or_b64 exec, exec, s[22:23]
	s_and_saveexec_b64 s[22:23], vcc
	s_cbranch_execz .LBB29_163
; %bb.167:                              ;   in Loop: Header=BB29_164 Depth=2
	s_waitcnt lgkmcnt(0)
	v_xor_b32_e32 v3, 0x80000000, v5
	v_and_b32_e32 v7, s79, v3
	v_and_b32_e32 v6, s78, v4
	v_cmp_eq_u64_e32 vcc, s[80:81], v[6:7]
	s_and_b64 exec, exec, vcc
	s_cbranch_execz .LBB29_163
; %bb.168:                              ;   in Loop: Header=BB29_164 Depth=2
	v_mov_b32_e32 v3, v19
	ds_write_b128 v19, v[2:5] offset:3072
	s_branch .LBB29_163
.LBB29_169:                             ;   in Loop: Header=BB29_17 Depth=1
	s_or_b64 exec, exec, s[8:9]
	s_and_b64 s[0:1], s[0:1], exec
.LBB29_170:                             ;   in Loop: Header=BB29_17 Depth=1
	s_or_b64 exec, exec, s[2:3]
	s_mov_b64 s[26:27], -1
	s_mov_b64 s[24:25], 0
	s_mov_b64 s[22:23], 0
.LBB29_171:                             ;   in Loop: Header=BB29_17 Depth=1
	s_mov_b64 s[2:3], 0
                                        ; implicit-def: $sgpr46
	s_and_saveexec_b64 s[30:31], s[0:1]
	s_cbranch_execz .LBB29_282
; %bb.172:                              ;   in Loop: Header=BB29_17 Depth=1
	s_xor_b64 s[0:1], s[36:37], -1
	s_andn2_b64 vcc, exec, s[0:1]
	s_mov_b32 s46, 1
	s_cbranch_vccnz .LBB29_183
; %bb.173:                              ;   in Loop: Header=BB29_17 Depth=1
	s_waitcnt vmcnt(0)
	v_pk_mov_b32 v[4:5], s[34:35], s[34:35] op_sel:[0,1]
	v_cmp_gt_i64_e32 vcc, s[58:59], v[4:5]
	s_mov_b64 s[0:1], -1
                                        ; implicit-def: $sgpr46
                                        ; implicit-def: $sgpr2_sgpr3
                                        ; implicit-def: $sgpr8_sgpr9
	s_cbranch_vccnz .LBB29_179
; %bb.174:                              ;   in Loop: Header=BB29_17 Depth=1
	ds_read_b64 v[4:5], v19 offset:5120
	s_waitcnt lgkmcnt(0)
	v_cmp_ne_u64_e32 vcc, 0, v[4:5]
	s_cbranch_vccnz .LBB29_178
; %bb.175:                              ;   in Loop: Header=BB29_17 Depth=1
	s_mov_b64 s[0:1], exec
	v_readlane_b32 s2, v64, 12
	v_readlane_b32 s3, v64, 13
	s_and_b64 s[2:3], s[0:1], s[2:3]
	s_mov_b64 exec, s[2:3]
	s_cbranch_execz .LBB29_177
; %bb.176:                              ;   in Loop: Header=BB29_17 Depth=1
	v_pk_mov_b32 v[4:5], s[34:35], s[34:35] op_sel:[0,1]
	ds_write_b64 v19, v[4:5] offset:5128
.LBB29_177:                             ;   in Loop: Header=BB29_17 Depth=1
	s_or_b64 exec, exec, s[0:1]
	s_waitcnt lgkmcnt(0)
	s_barrier
.LBB29_178:                             ;   in Loop: Header=BB29_17 Depth=1
	s_lshl_b64 s[0:1], 1, s44
	s_and_b64 s[2:3], s[80:81], s[20:21]
	s_or_b64 s[2:3], s[2:3], s[0:1]
	s_or_b64 s[8:9], s[78:79], s[12:13]
	s_mov_b64 s[0:1], 0
	s_mov_b32 s46, 8
.LBB29_179:                             ;   in Loop: Header=BB29_17 Depth=1
	s_andn2_b64 vcc, exec, s[0:1]
	s_cbranch_vccnz .LBB29_181
; %bb.180:                              ;   in Loop: Header=BB29_17 Depth=1
	s_sub_u32 s58, s58, s34
	s_subb_u32 s59, s59, s35
	s_mov_b64 s[0:1], -1
	s_mov_b32 s46, 0
	s_mov_b64 s[2:3], s[80:81]
	s_mov_b64 s[8:9], s[78:79]
.LBB29_181:                             ;   in Loop: Header=BB29_17 Depth=1
	s_mov_b64 s[78:79], s[8:9]
	s_mov_b64 s[80:81], s[2:3]
	s_andn2_b64 vcc, exec, s[0:1]
	s_mov_b64 s[2:3], -1
	s_cbranch_vccz .LBB29_184
.LBB29_182:                             ;   in Loop: Header=BB29_17 Depth=1
                                        ; implicit-def: $sgpr36_sgpr37
                                        ; implicit-def: $sgpr38_sgpr39
                                        ; implicit-def: $sgpr34_sgpr35
	s_branch .LBB29_281
.LBB29_183:                             ;   in Loop: Header=BB29_17 Depth=1
	s_mov_b64 s[58:59], 1
	s_mov_b64 s[2:3], -1
	s_cbranch_execnz .LBB29_182
.LBB29_184:                             ;   in Loop: Header=BB29_17 Depth=1
	s_cmp_eq_u64 s[18:19], 1
	s_cselect_b64 s[0:1], -1, 0
	s_cmp_eq_u64 s[58:59], 1
	s_cselect_b64 s[2:3], -1, 0
	s_and_b64 s[42:43], s[0:1], s[2:3]
	s_mov_b64 s[0:1], -1
	s_and_b64 vcc, exec, s[42:43]
	s_cbranch_vccz .LBB29_199
; %bb.185:                              ;   in Loop: Header=BB29_17 Depth=1
	s_waitcnt vmcnt(0)
	ds_read_b64 v[4:5], v19 offset:5120
	s_waitcnt lgkmcnt(0)
	s_barrier
	v_readfirstlane_b32 s40, v4
	v_readfirstlane_b32 s41, v5
	s_mov_b64 s[0:1], exec
	v_readlane_b32 s2, v64, 24
	v_readlane_b32 s3, v64, 25
	s_and_b64 s[2:3], s[0:1], s[2:3]
	s_mov_b64 exec, s[2:3]
	s_cbranch_execz .LBB29_187
; %bb.186:                              ;   in Loop: Header=BB29_17 Depth=1
	v_mov_b32_e32 v18, v19
	ds_write_b64 v40, v[18:19]
.LBB29_187:                             ;   in Loop: Header=BB29_17 Depth=1
	s_or_b64 exec, exec, s[0:1]
	s_lshl_b64 s[0:1], 2, s44
	s_and_b64 s[2:3], s[80:81], s[20:21]
	s_or_b64 s[80:81], s[2:3], s[0:1]
	v_cmp_gt_i64_e64 s[0:1], s[40:41], 0
	s_or_b64 s[78:79], s[78:79], s[12:13]
	s_and_b64 vcc, exec, s[0:1]
	s_waitcnt lgkmcnt(0)
	s_barrier
	s_cbranch_vccnz .LBB29_202
; %bb.188:                              ;   in Loop: Header=BB29_17 Depth=1
	s_mov_b32 s92, s83
	s_cmp_lg_u64 s[92:93], 0
	s_cbranch_scc0 .LBB29_247
; %bb.189:                              ;   in Loop: Header=BB29_17 Depth=1
	v_cvt_f32_u32_e32 v3, s33
	s_sub_u32 s0, 0, s33
	s_subb_u32 s1, 0, 0
	v_mac_f32_e32 v3, 0x4f800000, v47
	v_rcp_f32_e32 v3, v3
	v_mul_f32_e32 v3, 0x5f7ffffc, v3
	v_mul_f32_e32 v4, 0x2f800000, v3
	v_trunc_f32_e32 v4, v4
	v_mac_f32_e32 v3, 0xcf800000, v4
	v_cvt_u32_f32_e32 v4, v4
	v_cvt_u32_f32_e32 v3, v3
	v_readfirstlane_b32 s2, v4
	v_readfirstlane_b32 s3, v3
	s_mul_i32 s8, s0, s2
	s_mul_hi_u32 s28, s0, s3
	s_mul_i32 s9, s1, s3
	s_add_i32 s8, s28, s8
	s_mul_i32 s29, s0, s3
	s_add_i32 s8, s8, s9
	s_mul_hi_u32 s28, s3, s29
	s_mul_hi_u32 s9, s3, s8
	s_mul_i32 s3, s3, s8
	s_add_u32 s3, s28, s3
	s_addc_u32 s9, 0, s9
	s_mul_hi_u32 s34, s2, s29
	s_mul_i32 s29, s2, s29
	s_add_u32 s3, s3, s29
	s_mul_hi_u32 s28, s2, s8
	s_addc_u32 s3, s9, s34
	s_addc_u32 s9, s28, 0
	s_mul_i32 s8, s2, s8
	s_add_u32 s3, s3, s8
	s_addc_u32 s8, 0, s9
	v_add_co_u32_e32 v3, vcc, s3, v3
	s_cmp_lg_u64 vcc, 0
	s_addc_u32 s2, s2, s8
	v_readfirstlane_b32 s8, v3
	s_mul_i32 s3, s0, s2
	s_mul_hi_u32 s9, s0, s8
	s_add_i32 s3, s9, s3
	s_mul_i32 s1, s1, s8
	s_add_i32 s3, s3, s1
	s_mul_i32 s0, s0, s8
	s_mul_hi_u32 s9, s2, s0
	s_mul_i32 s28, s2, s0
	s_mul_i32 s34, s8, s3
	s_mul_hi_u32 s0, s8, s0
	s_mul_hi_u32 s29, s8, s3
	s_add_u32 s0, s0, s34
	s_addc_u32 s8, 0, s29
	s_add_u32 s0, s0, s28
	s_mul_hi_u32 s1, s2, s3
	s_addc_u32 s0, s8, s9
	s_addc_u32 s1, s1, 0
	s_mul_i32 s3, s2, s3
	s_add_u32 s0, s0, s3
	s_addc_u32 s1, 0, s1
	v_add_co_u32_e32 v3, vcc, s0, v3
	s_cmp_lg_u64 vcc, 0
	s_addc_u32 s8, s2, s1
	s_ashr_i32 s0, s93, 31
	s_add_u32 s2, s87, s0
	s_mov_b32 s1, s0
	s_addc_u32 s3, s93, s0
	s_xor_b64 s[2:3], s[2:3], s[0:1]
	v_readfirstlane_b32 s28, v3
	s_mul_i32 s9, s2, s8
	s_mul_hi_u32 s29, s2, s28
	s_mul_hi_u32 s1, s2, s8
	s_add_u32 s9, s29, s9
	s_addc_u32 s1, 0, s1
	s_mul_hi_u32 s34, s3, s28
	s_mul_i32 s28, s3, s28
	s_add_u32 s9, s9, s28
	s_mul_hi_u32 s29, s3, s8
	s_addc_u32 s1, s1, s34
	s_addc_u32 s9, s29, 0
	s_mul_i32 s8, s3, s8
	s_add_u32 s1, s1, s8
	s_addc_u32 s8, 0, s9
	s_mul_hi_u32 s9, s33, s1
	s_mul_i32 s1, s33, s1
	s_mul_i32 s8, s33, s8
	v_mov_b32_e32 v3, s1
	s_add_i32 s9, s9, s8
	v_sub_co_u32_e32 v3, vcc, s2, v3
	s_cmp_lg_u64 vcc, 0
	s_subb_u32 s1, s3, s9
	v_subrev_co_u32_e32 v4, vcc, s33, v3
	s_cmp_lg_u64 vcc, 0
	s_subb_u32 s2, s1, 0
	v_subrev_co_u32_e32 v5, vcc, s33, v4
	s_cmp_lg_u64 vcc, 0
	s_subb_u32 s3, s2, 0
	v_cmp_le_u32_e32 vcc, s33, v4
	s_cmp_eq_u32 s2, 0
	v_cndmask_b32_e64 v6, 0, -1, vcc
	s_cselect_b64 vcc, -1, 0
	v_cndmask_b32_e32 v6, -1, v6, vcc
	v_mov_b32_e32 v7, s2
	v_mov_b32_e32 v8, s3
	v_cmp_ne_u32_e32 vcc, 0, v6
	v_cndmask_b32_e32 v6, v7, v8, vcc
	v_cndmask_b32_e32 v4, v4, v5, vcc
	v_cmp_le_u32_e32 vcc, s33, v3
	s_cmp_eq_u32 s1, 0
	v_cndmask_b32_e64 v5, 0, -1, vcc
	s_cselect_b64 vcc, -1, 0
	v_cndmask_b32_e32 v5, -1, v5, vcc
	v_cmp_ne_u32_e32 vcc, 0, v5
	v_mov_b32_e32 v7, s1
	v_cndmask_b32_e32 v3, v3, v4, vcc
	v_cndmask_b32_e32 v5, v7, v6, vcc
	v_xor_b32_e32 v3, s0, v3
	v_xor_b32_e32 v5, s0, v5
	v_mov_b32_e32 v6, s0
	v_subrev_co_u32_e32 v4, vcc, s0, v3
	v_subb_co_u32_e32 v5, vcc, v5, v6, vcc
	s_cbranch_execnz .LBB29_191
.LBB29_190:                             ;   in Loop: Header=BB29_17 Depth=1
	v_cvt_f32_u32_e32 v3, s33
	s_sub_i32 s0, 0, s33
	v_rcp_iflag_f32_e32 v3, v3
	v_mul_f32_e32 v3, 0x4f7ffffe, v3
	v_cvt_u32_f32_e32 v3, v3
	v_mul_lo_u32 v4, s0, v3
	v_mul_hi_u32 v4, v3, v4
	v_add_u32_e32 v3, v3, v4
	v_mul_hi_u32 v3, s87, v3
	v_mul_lo_u32 v3, v3, s33
	v_sub_u32_e32 v3, s87, v3
	v_subrev_u32_e32 v4, s33, v3
	v_cmp_le_u32_e32 vcc, s33, v3
	v_cndmask_b32_e32 v3, v3, v4, vcc
	v_subrev_u32_e32 v4, s33, v3
	v_cmp_le_u32_e32 vcc, s33, v3
	v_cndmask_b32_e32 v18, v3, v4, vcc
	v_pk_mov_b32 v[4:5], v[18:19], v[18:19] op_sel:[0,1]
.LBB29_191:                             ;   in Loop: Header=BB29_17 Depth=1
	v_mov_b32_e32 v3, s93
	v_sub_co_u32_e32 v8, vcc, s87, v4
	v_subb_co_u32_e32 v9, vcc, v3, v5, vcc
	v_cmp_gt_i64_e32 vcc, v[8:9], v[0:1]
	s_mov_b64 s[0:1], 0
                                        ; implicit-def: $vgpr6_vgpr7
	s_and_saveexec_b64 s[2:3], vcc
	s_cbranch_execz .LBB29_204
; %bb.192:                              ;   in Loop: Header=BB29_17 Depth=1
	s_mov_b64 s[8:9], 0
	v_pk_mov_b32 v[10:11], v[16:17], v[16:17] op_sel:[0,1]
	v_pk_mov_b32 v[12:13], v[0:1], v[0:1] op_sel:[0,1]
                                        ; implicit-def: $sgpr0_sgpr1
	s_branch .LBB29_194
.LBB29_193:                             ;   in Loop: Header=BB29_194 Depth=2
	s_or_b64 exec, exec, s[28:29]
	s_waitcnt lgkmcnt(0)
	s_barrier
	s_waitcnt vmcnt(0)
	ds_read_b128 v[4:7], v19 offset:3072
	v_mov_b32_e32 v3, s88
	v_add_co_u32_e32 v12, vcc, s33, v12
	v_addc_co_u32_e32 v13, vcc, v13, v3, vcc
	s_waitcnt lgkmcnt(0)
	v_readfirstlane_b32 s29, v5
	v_readfirstlane_b32 s28, v4
	s_cmp_lg_u64 s[28:29], 0
	s_cselect_b64 s[28:29], -1, 0
	v_cmp_ge_i64_e32 vcc, v[12:13], v[8:9]
	s_or_b64 s[34:35], s[28:29], vcc
	s_and_b64 s[34:35], exec, s[34:35]
	s_or_b64 s[8:9], s[34:35], s[8:9]
	v_mov_b32_e32 v3, s85
	v_add_co_u32_e32 v10, vcc, s84, v10
	s_andn2_b64 s[0:1], s[0:1], exec
	s_and_b64 s[28:29], s[28:29], exec
	v_addc_co_u32_e32 v11, vcc, v11, v3, vcc
	s_or_b64 s[0:1], s[0:1], s[28:29]
	s_barrier
	s_andn2_b64 exec, exec, s[8:9]
	s_cbranch_execz .LBB29_203
.LBB29_194:                             ;   Parent Loop BB29_17 Depth=1
                                        ; =>  This Inner Loop Header: Depth=2
	v_cmp_gt_i64_e32 vcc, s[56:57], v[12:13]
	v_pk_mov_b32 v[4:5], 0, 0
	s_and_saveexec_b64 s[28:29], vcc
	s_cbranch_execz .LBB29_196
; %bb.195:                              ;   in Loop: Header=BB29_194 Depth=2
	global_load_dwordx2 v[4:5], v[10:11], off
.LBB29_196:                             ;   in Loop: Header=BB29_194 Depth=2
	s_or_b64 exec, exec, s[28:29]
	s_and_saveexec_b64 s[28:29], vcc
	s_cbranch_execz .LBB29_193
; %bb.197:                              ;   in Loop: Header=BB29_194 Depth=2
	s_waitcnt vmcnt(0)
	v_xor_b32_e32 v3, 0x80000000, v5
	v_and_b32_e32 v7, s79, v3
	v_and_b32_e32 v6, s78, v4
	v_cmp_eq_u64_e32 vcc, s[80:81], v[6:7]
	s_and_b64 exec, exec, vcc
	s_cbranch_execz .LBB29_193
; %bb.198:                              ;   in Loop: Header=BB29_194 Depth=2
	v_mov_b32_e32 v3, v19
	ds_write_b128 v19, v[2:5] offset:3072
	s_branch .LBB29_193
.LBB29_199:                             ;   in Loop: Header=BB29_17 Depth=1
                                        ; implicit-def: $sgpr34_sgpr35
                                        ; implicit-def: $sgpr38_sgpr39
                                        ; implicit-def: $sgpr36_sgpr37
	s_branch .LBB29_218
.LBB29_200:                             ;   in Loop: Header=BB29_17 Depth=1
                                        ; implicit-def: $vgpr4_vgpr5
	s_branch .LBB29_143
.LBB29_201:                             ;   in Loop: Header=BB29_17 Depth=1
                                        ; implicit-def: $vgpr4_vgpr5
	s_branch .LBB29_160
.LBB29_202:                             ;   in Loop: Header=BB29_17 Depth=1
	s_mov_b64 s[34:35], -1
	s_mov_b64 s[0:1], 0
                                        ; implicit-def: $sgpr36_sgpr37
                                        ; implicit-def: $vgpr6_vgpr7
	s_mov_b64 s[38:39], s[34:35]
	s_cbranch_execnz .LBB29_205
	s_branch .LBB29_218
.LBB29_203:                             ;   in Loop: Header=BB29_17 Depth=1
	s_or_b64 exec, exec, s[8:9]
	s_and_b64 s[0:1], s[0:1], exec
.LBB29_204:                             ;   in Loop: Header=BB29_17 Depth=1
	s_or_b64 exec, exec, s[2:3]
	s_mov_b64 s[36:37], -1
	s_mov_b64 s[34:35], 0
	s_mov_b64 s[38:39], s[34:35]
	s_branch .LBB29_218
.LBB29_205:                             ;   in Loop: Header=BB29_17 Depth=1
	v_readlane_b32 s0, v64, 36
	s_add_u32 s8, s0, s40
	v_readlane_b32 s0, v64, 37
	s_addc_u32 s1, s0, s41
	s_mov_b32 s0, s83
	s_cmp_lg_u64 s[0:1], 0
	s_cbranch_scc0 .LBB29_248
; %bb.206:                              ;   in Loop: Header=BB29_17 Depth=1
	v_cvt_f32_u32_e32 v3, s33
	s_sub_u32 s0, 0, s33
	s_subb_u32 s2, 0, 0
	v_mac_f32_e32 v3, 0x4f800000, v47
	v_rcp_f32_e32 v3, v3
	v_mul_f32_e32 v3, 0x5f7ffffc, v3
	v_mul_f32_e32 v4, 0x2f800000, v3
	v_trunc_f32_e32 v4, v4
	v_mac_f32_e32 v3, 0xcf800000, v4
	v_cvt_u32_f32_e32 v4, v4
	v_cvt_u32_f32_e32 v3, v3
	v_readfirstlane_b32 s3, v4
	v_readfirstlane_b32 s9, v3
	s_mul_i32 s28, s0, s3
	s_mul_hi_u32 s34, s0, s9
	s_mul_i32 s29, s2, s9
	s_add_i32 s28, s34, s28
	s_mul_i32 s35, s0, s9
	s_add_i32 s28, s28, s29
	s_mul_hi_u32 s34, s9, s35
	s_mul_hi_u32 s29, s9, s28
	s_mul_i32 s9, s9, s28
	s_add_u32 s9, s34, s9
	s_addc_u32 s29, 0, s29
	s_mul_hi_u32 s36, s3, s35
	s_mul_i32 s35, s3, s35
	s_add_u32 s9, s9, s35
	s_mul_hi_u32 s34, s3, s28
	s_addc_u32 s9, s29, s36
	s_addc_u32 s29, s34, 0
	s_mul_i32 s28, s3, s28
	s_add_u32 s9, s9, s28
	s_addc_u32 s28, 0, s29
	v_add_co_u32_e32 v3, vcc, s9, v3
	s_cmp_lg_u64 vcc, 0
	s_addc_u32 s3, s3, s28
	v_readfirstlane_b32 s28, v3
	s_mul_i32 s9, s0, s3
	s_mul_hi_u32 s29, s0, s28
	s_add_i32 s9, s29, s9
	s_mul_i32 s2, s2, s28
	s_add_i32 s9, s9, s2
	s_mul_i32 s0, s0, s28
	s_mul_hi_u32 s29, s3, s0
	s_mul_i32 s34, s3, s0
	s_mul_i32 s36, s28, s9
	s_mul_hi_u32 s0, s28, s0
	s_mul_hi_u32 s35, s28, s9
	s_add_u32 s0, s0, s36
	s_addc_u32 s28, 0, s35
	s_add_u32 s0, s0, s34
	s_mul_hi_u32 s2, s3, s9
	s_addc_u32 s0, s28, s29
	s_addc_u32 s2, s2, 0
	s_mul_i32 s9, s3, s9
	s_add_u32 s0, s0, s9
	s_addc_u32 s2, 0, s2
	v_add_co_u32_e32 v3, vcc, s0, v3
	s_cmp_lg_u64 vcc, 0
	s_addc_u32 s0, s3, s2
	s_ashr_i32 s2, s1, 31
	s_add_u32 s28, s8, s2
	s_mov_b32 s3, s2
	s_addc_u32 s29, s1, s2
	s_xor_b64 s[28:29], s[28:29], s[2:3]
	v_readfirstlane_b32 s34, v3
	s_mul_i32 s9, s28, s0
	s_mul_hi_u32 s35, s28, s34
	s_mul_hi_u32 s3, s28, s0
	s_add_u32 s9, s35, s9
	s_addc_u32 s3, 0, s3
	s_mul_hi_u32 s36, s29, s34
	s_mul_i32 s34, s29, s34
	s_add_u32 s9, s9, s34
	s_mul_hi_u32 s35, s29, s0
	s_addc_u32 s3, s3, s36
	s_addc_u32 s9, s35, 0
	s_mul_i32 s0, s29, s0
	s_add_u32 s0, s3, s0
	s_addc_u32 s3, 0, s9
	s_mul_hi_u32 s9, s33, s0
	s_mul_i32 s0, s33, s0
	s_mul_i32 s3, s33, s3
	v_mov_b32_e32 v3, s0
	s_add_i32 s9, s9, s3
	v_sub_co_u32_e32 v3, vcc, s28, v3
	s_cmp_lg_u64 vcc, 0
	s_subb_u32 s0, s29, s9
	v_subrev_co_u32_e32 v4, vcc, s33, v3
	s_cmp_lg_u64 vcc, 0
	s_subb_u32 s3, s0, 0
	v_subrev_co_u32_e32 v5, vcc, s33, v4
	s_cmp_lg_u64 vcc, 0
	s_subb_u32 s9, s3, 0
	v_cmp_le_u32_e32 vcc, s33, v4
	s_cmp_eq_u32 s3, 0
	v_cndmask_b32_e64 v6, 0, -1, vcc
	s_cselect_b64 vcc, -1, 0
	v_cndmask_b32_e32 v6, -1, v6, vcc
	v_mov_b32_e32 v7, s3
	v_mov_b32_e32 v8, s9
	v_cmp_ne_u32_e32 vcc, 0, v6
	v_cndmask_b32_e32 v6, v7, v8, vcc
	v_cndmask_b32_e32 v4, v4, v5, vcc
	v_cmp_le_u32_e32 vcc, s33, v3
	s_cmp_eq_u32 s0, 0
	v_cndmask_b32_e64 v5, 0, -1, vcc
	s_cselect_b64 vcc, -1, 0
	v_cndmask_b32_e32 v5, -1, v5, vcc
	v_cmp_ne_u32_e32 vcc, 0, v5
	v_mov_b32_e32 v7, s0
	v_cndmask_b32_e32 v3, v3, v4, vcc
	v_cndmask_b32_e32 v5, v7, v6, vcc
	v_xor_b32_e32 v3, s2, v3
	v_xor_b32_e32 v5, s2, v5
	v_mov_b32_e32 v6, s2
	v_subrev_co_u32_e32 v4, vcc, s2, v3
	v_subb_co_u32_e32 v5, vcc, v5, v6, vcc
	s_cbranch_execnz .LBB29_208
.LBB29_207:                             ;   in Loop: Header=BB29_17 Depth=1
	v_cvt_f32_u32_e32 v3, s33
	s_sub_i32 s0, 0, s33
	v_rcp_iflag_f32_e32 v3, v3
	v_mul_f32_e32 v3, 0x4f7ffffe, v3
	v_cvt_u32_f32_e32 v3, v3
	v_mul_lo_u32 v4, s0, v3
	v_mul_hi_u32 v4, v3, v4
	v_add_u32_e32 v3, v3, v4
	v_mul_hi_u32 v3, s8, v3
	v_mul_lo_u32 v3, v3, s33
	v_sub_u32_e32 v3, s8, v3
	v_subrev_u32_e32 v4, s33, v3
	v_cmp_le_u32_e32 vcc, s33, v3
	v_cndmask_b32_e32 v3, v3, v4, vcc
	v_subrev_u32_e32 v4, s33, v3
	v_cmp_le_u32_e32 vcc, s33, v3
	v_cndmask_b32_e32 v18, v3, v4, vcc
	v_pk_mov_b32 v[4:5], v[18:19], v[18:19] op_sel:[0,1]
.LBB29_208:                             ;   in Loop: Header=BB29_17 Depth=1
	v_mov_b32_e32 v3, s1
	v_sub_co_u32_e32 v8, vcc, s8, v4
	v_subb_co_u32_e32 v9, vcc, v3, v5, vcc
	v_cmp_gt_i64_e32 vcc, v[8:9], v[0:1]
	s_mov_b64 s[0:1], 0
                                        ; implicit-def: $vgpr6_vgpr7
	s_and_saveexec_b64 s[2:3], vcc
	s_cbranch_execz .LBB29_217
; %bb.209:                              ;   in Loop: Header=BB29_17 Depth=1
	s_mov_b64 s[8:9], 0
	v_mov_b32_e32 v12, v39
	v_pk_mov_b32 v[10:11], v[0:1], v[0:1] op_sel:[0,1]
                                        ; implicit-def: $sgpr0_sgpr1
	s_branch .LBB29_211
.LBB29_210:                             ;   in Loop: Header=BB29_211 Depth=2
	s_or_b64 exec, exec, s[28:29]
	s_waitcnt lgkmcnt(0)
	s_barrier
	ds_read_b128 v[4:7], v19 offset:3072
	v_mov_b32_e32 v3, s88
	v_add_co_u32_e32 v10, vcc, s33, v10
	v_addc_co_u32_e32 v11, vcc, v11, v3, vcc
	s_waitcnt lgkmcnt(0)
	v_readfirstlane_b32 s29, v5
	v_readfirstlane_b32 s28, v4
	s_cmp_lg_u64 s[28:29], 0
	s_cselect_b64 s[28:29], -1, 0
	v_cmp_ge_i64_e32 vcc, v[10:11], v[8:9]
	s_or_b64 s[34:35], s[28:29], vcc
	s_and_b64 s[34:35], exec, s[34:35]
	s_or_b64 s[8:9], s[34:35], s[8:9]
	s_andn2_b64 s[0:1], s[0:1], exec
	s_and_b64 s[28:29], s[28:29], exec
	v_add_u32_e32 v12, s94, v12
	s_or_b64 s[0:1], s[0:1], s[28:29]
	s_barrier
	s_andn2_b64 exec, exec, s[8:9]
	s_cbranch_execz .LBB29_216
.LBB29_211:                             ;   Parent Loop BB29_17 Depth=1
                                        ; =>  This Inner Loop Header: Depth=2
	v_cmp_gt_i64_e32 vcc, s[40:41], v[10:11]
	v_pk_mov_b32 v[4:5], 0, 0
	s_and_saveexec_b64 s[28:29], vcc
	s_cbranch_execz .LBB29_213
; %bb.212:                              ;   in Loop: Header=BB29_211 Depth=2
	ds_read_b64 v[4:5], v12
.LBB29_213:                             ;   in Loop: Header=BB29_211 Depth=2
	s_or_b64 exec, exec, s[28:29]
	s_and_saveexec_b64 s[28:29], vcc
	s_cbranch_execz .LBB29_210
; %bb.214:                              ;   in Loop: Header=BB29_211 Depth=2
	s_waitcnt lgkmcnt(0)
	v_xor_b32_e32 v3, 0x80000000, v5
	v_and_b32_e32 v7, s79, v3
	v_and_b32_e32 v6, s78, v4
	v_cmp_eq_u64_e32 vcc, s[80:81], v[6:7]
	s_and_b64 exec, exec, vcc
	s_cbranch_execz .LBB29_210
; %bb.215:                              ;   in Loop: Header=BB29_211 Depth=2
	v_mov_b32_e32 v3, v19
	ds_write_b128 v19, v[2:5] offset:3072
	s_branch .LBB29_210
.LBB29_216:                             ;   in Loop: Header=BB29_17 Depth=1
	s_or_b64 exec, exec, s[8:9]
	s_and_b64 s[0:1], s[0:1], exec
.LBB29_217:                             ;   in Loop: Header=BB29_17 Depth=1
	s_or_b64 exec, exec, s[2:3]
	s_mov_b64 s[38:39], -1
	s_mov_b64 s[34:35], 0
	s_mov_b64 s[36:37], 0
.LBB29_218:                             ;   in Loop: Header=BB29_17 Depth=1
	s_mov_b64 s[2:3], 0
                                        ; implicit-def: $sgpr46
	s_and_saveexec_b64 s[40:41], s[0:1]
	s_cbranch_execz .LBB29_280
; %bb.219:                              ;   in Loop: Header=BB29_17 Depth=1
	s_xor_b64 s[0:1], s[42:43], -1
	s_andn2_b64 vcc, exec, s[0:1]
	s_mov_b32 s46, 1
	s_cbranch_vccnz .LBB29_230
; %bb.220:                              ;   in Loop: Header=BB29_17 Depth=1
	s_waitcnt vmcnt(0)
	v_pk_mov_b32 v[4:5], s[18:19], s[18:19] op_sel:[0,1]
	v_cmp_gt_i64_e32 vcc, s[58:59], v[4:5]
	s_mov_b64 s[0:1], -1
                                        ; implicit-def: $sgpr46
                                        ; implicit-def: $sgpr2_sgpr3
                                        ; implicit-def: $sgpr8_sgpr9
	s_cbranch_vccnz .LBB29_226
; %bb.221:                              ;   in Loop: Header=BB29_17 Depth=1
	ds_read_b64 v[4:5], v19 offset:5120
	s_waitcnt lgkmcnt(0)
	v_cmp_ne_u64_e32 vcc, 0, v[4:5]
	s_cbranch_vccnz .LBB29_225
; %bb.222:                              ;   in Loop: Header=BB29_17 Depth=1
	s_mov_b64 s[0:1], exec
	v_readlane_b32 s2, v64, 12
	v_readlane_b32 s3, v64, 13
	s_and_b64 s[2:3], s[0:1], s[2:3]
	s_mov_b64 exec, s[2:3]
	s_cbranch_execz .LBB29_224
; %bb.223:                              ;   in Loop: Header=BB29_17 Depth=1
	v_pk_mov_b32 v[4:5], s[18:19], s[18:19] op_sel:[0,1]
	ds_write_b64 v19, v[4:5] offset:5128
.LBB29_224:                             ;   in Loop: Header=BB29_17 Depth=1
	s_or_b64 exec, exec, s[0:1]
	s_waitcnt lgkmcnt(0)
	s_barrier
.LBB29_225:                             ;   in Loop: Header=BB29_17 Depth=1
	s_lshl_b64 s[0:1], 2, s44
	s_and_b64 s[2:3], s[80:81], s[20:21]
	s_or_b64 s[2:3], s[2:3], s[0:1]
	s_or_b64 s[8:9], s[78:79], s[12:13]
	s_mov_b64 s[0:1], 0
	s_mov_b32 s46, 8
.LBB29_226:                             ;   in Loop: Header=BB29_17 Depth=1
	s_andn2_b64 vcc, exec, s[0:1]
	s_cbranch_vccnz .LBB29_228
; %bb.227:                              ;   in Loop: Header=BB29_17 Depth=1
	s_sub_u32 s58, s58, s18
	s_subb_u32 s59, s59, s19
	s_mov_b64 s[0:1], -1
	s_mov_b32 s46, 0
	s_mov_b64 s[2:3], s[80:81]
	s_mov_b64 s[8:9], s[78:79]
.LBB29_228:                             ;   in Loop: Header=BB29_17 Depth=1
	s_mov_b64 s[78:79], s[8:9]
	s_mov_b64 s[80:81], s[2:3]
	s_andn2_b64 vcc, exec, s[0:1]
	s_mov_b64 s[42:43], -1
	s_cbranch_vccz .LBB29_231
.LBB29_229:                             ;   in Loop: Header=BB29_17 Depth=1
                                        ; implicit-def: $sgpr0_sgpr1
                                        ; implicit-def: $sgpr8_sgpr9
                                        ; implicit-def: $sgpr2_sgpr3
	s_branch .LBB29_279
.LBB29_230:                             ;   in Loop: Header=BB29_17 Depth=1
	s_mov_b64 s[58:59], 1
	s_mov_b64 s[42:43], -1
	s_cbranch_execnz .LBB29_229
.LBB29_231:                             ;   in Loop: Header=BB29_17 Depth=1
	s_cmp_eq_u64 s[6:7], 1
	s_cselect_b64 s[0:1], -1, 0
	s_cmp_eq_u64 s[58:59], 1
	s_cselect_b64 s[2:3], -1, 0
	s_and_b64 s[18:19], s[0:1], s[2:3]
	s_mov_b64 s[28:29], -1
	s_and_b64 vcc, exec, s[18:19]
	s_cbranch_vccz .LBB29_246
; %bb.232:                              ;   in Loop: Header=BB29_17 Depth=1
	s_waitcnt vmcnt(0)
	ds_read_b64 v[4:5], v19 offset:5120
	s_waitcnt lgkmcnt(0)
	s_barrier
	v_readfirstlane_b32 s20, v4
	v_readfirstlane_b32 s21, v5
	s_mov_b64 s[0:1], exec
	v_readlane_b32 s2, v64, 24
	v_readlane_b32 s3, v64, 25
	s_and_b64 s[2:3], s[0:1], s[2:3]
	s_mov_b64 exec, s[2:3]
	s_cbranch_execz .LBB29_234
; %bb.233:                              ;   in Loop: Header=BB29_17 Depth=1
	v_mov_b32_e32 v18, v19
	ds_write_b64 v40, v[18:19]
.LBB29_234:                             ;   in Loop: Header=BB29_17 Depth=1
	s_or_b64 exec, exec, s[0:1]
	v_cmp_gt_i64_e64 s[0:1], s[20:21], 0
	s_or_b64 s[80:81], s[80:81], s[12:13]
	s_or_b64 s[78:79], s[78:79], s[12:13]
	s_and_b64 vcc, exec, s[0:1]
	s_waitcnt lgkmcnt(0)
	s_barrier
	s_cbranch_vccnz .LBB29_249
; %bb.235:                              ;   in Loop: Header=BB29_17 Depth=1
	s_mov_b32 s92, s83
	s_cmp_lg_u64 s[92:93], 0
	s_cbranch_scc0 .LBB29_285
; %bb.236:                              ;   in Loop: Header=BB29_17 Depth=1
	v_cvt_f32_u32_e32 v3, s33
	s_sub_u32 s0, 0, s33
	s_subb_u32 s1, 0, 0
	v_mac_f32_e32 v3, 0x4f800000, v47
	v_rcp_f32_e32 v3, v3
	v_mul_f32_e32 v3, 0x5f7ffffc, v3
	v_mul_f32_e32 v4, 0x2f800000, v3
	v_trunc_f32_e32 v4, v4
	v_mac_f32_e32 v3, 0xcf800000, v4
	v_cvt_u32_f32_e32 v4, v4
	v_cvt_u32_f32_e32 v3, v3
	v_readfirstlane_b32 s2, v4
	v_readfirstlane_b32 s3, v3
	s_mul_i32 s8, s0, s2
	s_mul_hi_u32 s28, s0, s3
	s_mul_i32 s9, s1, s3
	s_add_i32 s8, s28, s8
	s_mul_i32 s29, s0, s3
	s_add_i32 s8, s8, s9
	s_mul_hi_u32 s28, s3, s29
	s_mul_hi_u32 s9, s3, s8
	s_mul_i32 s3, s3, s8
	s_add_u32 s3, s28, s3
	s_addc_u32 s9, 0, s9
	s_mul_hi_u32 s42, s2, s29
	s_mul_i32 s29, s2, s29
	s_add_u32 s3, s3, s29
	s_mul_hi_u32 s28, s2, s8
	s_addc_u32 s3, s9, s42
	s_addc_u32 s9, s28, 0
	s_mul_i32 s8, s2, s8
	s_add_u32 s3, s3, s8
	s_addc_u32 s8, 0, s9
	v_add_co_u32_e32 v3, vcc, s3, v3
	s_cmp_lg_u64 vcc, 0
	s_addc_u32 s2, s2, s8
	v_readfirstlane_b32 s8, v3
	s_mul_i32 s3, s0, s2
	s_mul_hi_u32 s9, s0, s8
	s_add_i32 s3, s9, s3
	s_mul_i32 s1, s1, s8
	s_add_i32 s3, s3, s1
	s_mul_i32 s0, s0, s8
	s_mul_hi_u32 s9, s2, s0
	s_mul_i32 s28, s2, s0
	s_mul_i32 s42, s8, s3
	s_mul_hi_u32 s0, s8, s0
	s_mul_hi_u32 s29, s8, s3
	s_add_u32 s0, s0, s42
	s_addc_u32 s8, 0, s29
	s_add_u32 s0, s0, s28
	s_mul_hi_u32 s1, s2, s3
	s_addc_u32 s0, s8, s9
	s_addc_u32 s1, s1, 0
	s_mul_i32 s3, s2, s3
	s_add_u32 s0, s0, s3
	s_addc_u32 s1, 0, s1
	v_add_co_u32_e32 v3, vcc, s0, v3
	s_cmp_lg_u64 vcc, 0
	s_addc_u32 s8, s2, s1
	s_ashr_i32 s0, s93, 31
	s_add_u32 s2, s87, s0
	s_mov_b32 s1, s0
	s_addc_u32 s3, s93, s0
	s_xor_b64 s[2:3], s[2:3], s[0:1]
	v_readfirstlane_b32 s28, v3
	s_mul_i32 s9, s2, s8
	s_mul_hi_u32 s29, s2, s28
	s_mul_hi_u32 s1, s2, s8
	s_add_u32 s9, s29, s9
	s_addc_u32 s1, 0, s1
	s_mul_hi_u32 s42, s3, s28
	s_mul_i32 s28, s3, s28
	s_add_u32 s9, s9, s28
	s_mul_hi_u32 s29, s3, s8
	s_addc_u32 s1, s1, s42
	s_addc_u32 s9, s29, 0
	s_mul_i32 s8, s3, s8
	s_add_u32 s1, s1, s8
	s_addc_u32 s8, 0, s9
	s_mul_hi_u32 s9, s33, s1
	s_mul_i32 s1, s33, s1
	s_mul_i32 s8, s33, s8
	v_mov_b32_e32 v3, s1
	s_add_i32 s9, s9, s8
	v_sub_co_u32_e32 v3, vcc, s2, v3
	s_cmp_lg_u64 vcc, 0
	s_subb_u32 s1, s3, s9
	v_subrev_co_u32_e32 v4, vcc, s33, v3
	s_cmp_lg_u64 vcc, 0
	s_subb_u32 s2, s1, 0
	v_subrev_co_u32_e32 v5, vcc, s33, v4
	s_cmp_lg_u64 vcc, 0
	s_subb_u32 s3, s2, 0
	v_cmp_le_u32_e32 vcc, s33, v4
	s_cmp_eq_u32 s2, 0
	v_cndmask_b32_e64 v6, 0, -1, vcc
	s_cselect_b64 vcc, -1, 0
	v_cndmask_b32_e32 v6, -1, v6, vcc
	v_mov_b32_e32 v7, s2
	v_mov_b32_e32 v8, s3
	v_cmp_ne_u32_e32 vcc, 0, v6
	v_cndmask_b32_e32 v6, v7, v8, vcc
	v_cndmask_b32_e32 v4, v4, v5, vcc
	v_cmp_le_u32_e32 vcc, s33, v3
	s_cmp_eq_u32 s1, 0
	v_cndmask_b32_e64 v5, 0, -1, vcc
	s_cselect_b64 vcc, -1, 0
	v_cndmask_b32_e32 v5, -1, v5, vcc
	v_cmp_ne_u32_e32 vcc, 0, v5
	v_mov_b32_e32 v7, s1
	v_cndmask_b32_e32 v3, v3, v4, vcc
	v_cndmask_b32_e32 v5, v7, v6, vcc
	v_xor_b32_e32 v3, s0, v3
	v_xor_b32_e32 v5, s0, v5
	v_mov_b32_e32 v6, s0
	v_subrev_co_u32_e32 v4, vcc, s0, v3
	v_subb_co_u32_e32 v5, vcc, v5, v6, vcc
	s_cbranch_execnz .LBB29_238
.LBB29_237:                             ;   in Loop: Header=BB29_17 Depth=1
	v_cvt_f32_u32_e32 v3, s33
	s_sub_i32 s0, 0, s33
	v_rcp_iflag_f32_e32 v3, v3
	v_mul_f32_e32 v3, 0x4f7ffffe, v3
	v_cvt_u32_f32_e32 v3, v3
	v_mul_lo_u32 v4, s0, v3
	v_mul_hi_u32 v4, v3, v4
	v_add_u32_e32 v3, v3, v4
	v_mul_hi_u32 v3, s87, v3
	v_mul_lo_u32 v3, v3, s33
	v_sub_u32_e32 v3, s87, v3
	v_subrev_u32_e32 v4, s33, v3
	v_cmp_le_u32_e32 vcc, s33, v3
	v_cndmask_b32_e32 v3, v3, v4, vcc
	v_subrev_u32_e32 v4, s33, v3
	v_cmp_le_u32_e32 vcc, s33, v3
	v_cndmask_b32_e32 v18, v3, v4, vcc
	v_pk_mov_b32 v[4:5], v[18:19], v[18:19] op_sel:[0,1]
.LBB29_238:                             ;   in Loop: Header=BB29_17 Depth=1
	v_mov_b32_e32 v3, s93
	v_sub_co_u32_e32 v8, vcc, s87, v4
	v_subb_co_u32_e32 v9, vcc, v3, v5, vcc
	v_cmp_gt_i64_e32 vcc, v[8:9], v[0:1]
	s_mov_b64 s[28:29], 0
                                        ; implicit-def: $vgpr6_vgpr7
	s_and_saveexec_b64 s[0:1], vcc
	s_cbranch_execz .LBB29_251
; %bb.239:                              ;   in Loop: Header=BB29_17 Depth=1
	s_mov_b64 s[8:9], 0
	v_pk_mov_b32 v[10:11], v[16:17], v[16:17] op_sel:[0,1]
	v_pk_mov_b32 v[12:13], v[0:1], v[0:1] op_sel:[0,1]
                                        ; implicit-def: $sgpr2_sgpr3
	s_branch .LBB29_241
.LBB29_240:                             ;   in Loop: Header=BB29_241 Depth=2
	s_or_b64 exec, exec, s[28:29]
	s_waitcnt lgkmcnt(0)
	s_barrier
	s_waitcnt vmcnt(0)
	ds_read_b128 v[4:7], v19 offset:3072
	v_mov_b32_e32 v3, s88
	v_add_co_u32_e32 v12, vcc, s33, v12
	v_addc_co_u32_e32 v13, vcc, v13, v3, vcc
	s_waitcnt lgkmcnt(0)
	v_readfirstlane_b32 s29, v5
	v_readfirstlane_b32 s28, v4
	s_cmp_lg_u64 s[28:29], 0
	s_cselect_b64 s[28:29], -1, 0
	v_cmp_ge_i64_e32 vcc, v[12:13], v[8:9]
	s_or_b64 s[42:43], s[28:29], vcc
	s_and_b64 s[42:43], exec, s[42:43]
	s_or_b64 s[8:9], s[42:43], s[8:9]
	v_mov_b32_e32 v3, s85
	v_add_co_u32_e32 v10, vcc, s84, v10
	s_andn2_b64 s[2:3], s[2:3], exec
	s_and_b64 s[28:29], s[28:29], exec
	v_addc_co_u32_e32 v11, vcc, v11, v3, vcc
	s_or_b64 s[2:3], s[2:3], s[28:29]
	s_barrier
	s_andn2_b64 exec, exec, s[8:9]
	s_cbranch_execz .LBB29_250
.LBB29_241:                             ;   Parent Loop BB29_17 Depth=1
                                        ; =>  This Inner Loop Header: Depth=2
	v_cmp_gt_i64_e32 vcc, s[56:57], v[12:13]
	v_pk_mov_b32 v[4:5], 0, 0
	s_and_saveexec_b64 s[28:29], vcc
	s_cbranch_execz .LBB29_243
; %bb.242:                              ;   in Loop: Header=BB29_241 Depth=2
	global_load_dwordx2 v[4:5], v[10:11], off
.LBB29_243:                             ;   in Loop: Header=BB29_241 Depth=2
	s_or_b64 exec, exec, s[28:29]
	s_and_saveexec_b64 s[28:29], vcc
	s_cbranch_execz .LBB29_240
; %bb.244:                              ;   in Loop: Header=BB29_241 Depth=2
	s_waitcnt vmcnt(0)
	v_xor_b32_e32 v3, 0x80000000, v5
	v_and_b32_e32 v7, s79, v3
	v_and_b32_e32 v6, s78, v4
	v_cmp_eq_u64_e32 vcc, s[80:81], v[6:7]
	s_and_b64 exec, exec, vcc
	s_cbranch_execz .LBB29_240
; %bb.245:                              ;   in Loop: Header=BB29_241 Depth=2
	v_mov_b32_e32 v3, v19
	ds_write_b128 v19, v[2:5] offset:3072
	s_branch .LBB29_240
.LBB29_246:                             ;   in Loop: Header=BB29_17 Depth=1
                                        ; implicit-def: $sgpr0_sgpr1
                                        ; implicit-def: $sgpr8_sgpr9
                                        ; implicit-def: $sgpr2_sgpr3
	s_branch .LBB29_265
.LBB29_247:                             ;   in Loop: Header=BB29_17 Depth=1
                                        ; implicit-def: $vgpr4_vgpr5
	s_branch .LBB29_190
.LBB29_248:                             ;   in Loop: Header=BB29_17 Depth=1
                                        ; implicit-def: $vgpr4_vgpr5
	s_branch .LBB29_207
.LBB29_249:                             ;   in Loop: Header=BB29_17 Depth=1
	s_mov_b64 s[0:1], -1
	s_mov_b64 s[28:29], 0
                                        ; implicit-def: $sgpr2_sgpr3
                                        ; implicit-def: $vgpr6_vgpr7
	s_mov_b64 s[8:9], s[0:1]
	s_cbranch_execnz .LBB29_252
	s_branch .LBB29_265
.LBB29_250:                             ;   in Loop: Header=BB29_17 Depth=1
	s_or_b64 exec, exec, s[8:9]
	s_and_b64 s[28:29], s[2:3], exec
.LBB29_251:                             ;   in Loop: Header=BB29_17 Depth=1
	s_or_b64 exec, exec, s[0:1]
	s_mov_b64 s[2:3], -1
	s_mov_b64 s[0:1], 0
	s_mov_b64 s[8:9], s[0:1]
	s_branch .LBB29_265
.LBB29_252:                             ;   in Loop: Header=BB29_17 Depth=1
	v_readlane_b32 s0, v64, 36
	s_add_u32 s8, s0, s20
	v_readlane_b32 s0, v64, 37
	s_addc_u32 s1, s0, s21
	s_mov_b32 s0, s83
	s_cmp_lg_u64 s[0:1], 0
	s_cbranch_scc0 .LBB29_286
; %bb.253:                              ;   in Loop: Header=BB29_17 Depth=1
	v_cvt_f32_u32_e32 v3, s33
	s_sub_u32 s0, 0, s33
	s_subb_u32 s2, 0, 0
	v_mac_f32_e32 v3, 0x4f800000, v47
	v_rcp_f32_e32 v3, v3
	v_mul_f32_e32 v3, 0x5f7ffffc, v3
	v_mul_f32_e32 v4, 0x2f800000, v3
	v_trunc_f32_e32 v4, v4
	v_mac_f32_e32 v3, 0xcf800000, v4
	v_cvt_u32_f32_e32 v4, v4
	v_cvt_u32_f32_e32 v3, v3
	v_readfirstlane_b32 s3, v4
	v_readfirstlane_b32 s9, v3
	s_mul_i32 s28, s0, s3
	s_mul_hi_u32 s42, s0, s9
	s_mul_i32 s29, s2, s9
	s_add_i32 s28, s42, s28
	s_mul_i32 s43, s0, s9
	s_add_i32 s28, s28, s29
	s_mul_hi_u32 s42, s9, s43
	s_mul_hi_u32 s29, s9, s28
	s_mul_i32 s9, s9, s28
	s_add_u32 s9, s42, s9
	s_addc_u32 s29, 0, s29
	s_mul_hi_u32 s44, s3, s43
	s_mul_i32 s43, s3, s43
	s_add_u32 s9, s9, s43
	s_mul_hi_u32 s42, s3, s28
	s_addc_u32 s9, s29, s44
	s_addc_u32 s29, s42, 0
	s_mul_i32 s28, s3, s28
	s_add_u32 s9, s9, s28
	s_addc_u32 s28, 0, s29
	v_add_co_u32_e32 v3, vcc, s9, v3
	s_cmp_lg_u64 vcc, 0
	s_addc_u32 s3, s3, s28
	v_readfirstlane_b32 s28, v3
	s_mul_i32 s9, s0, s3
	s_mul_hi_u32 s29, s0, s28
	s_add_i32 s9, s29, s9
	s_mul_i32 s2, s2, s28
	s_add_i32 s9, s9, s2
	s_mul_i32 s0, s0, s28
	s_mul_hi_u32 s29, s3, s0
	s_mul_i32 s42, s3, s0
	s_mul_i32 s44, s28, s9
	s_mul_hi_u32 s0, s28, s0
	s_mul_hi_u32 s43, s28, s9
	s_add_u32 s0, s0, s44
	s_addc_u32 s28, 0, s43
	s_add_u32 s0, s0, s42
	s_mul_hi_u32 s2, s3, s9
	s_addc_u32 s0, s28, s29
	s_addc_u32 s2, s2, 0
	s_mul_i32 s9, s3, s9
	s_add_u32 s0, s0, s9
	s_addc_u32 s2, 0, s2
	v_add_co_u32_e32 v3, vcc, s0, v3
	s_cmp_lg_u64 vcc, 0
	s_addc_u32 s0, s3, s2
	s_ashr_i32 s2, s1, 31
	s_add_u32 s28, s8, s2
	s_mov_b32 s3, s2
	s_addc_u32 s29, s1, s2
	s_xor_b64 s[28:29], s[28:29], s[2:3]
	v_readfirstlane_b32 s42, v3
	s_mul_i32 s9, s28, s0
	s_mul_hi_u32 s43, s28, s42
	s_mul_hi_u32 s3, s28, s0
	s_add_u32 s9, s43, s9
	s_addc_u32 s3, 0, s3
	s_mul_hi_u32 s44, s29, s42
	s_mul_i32 s42, s29, s42
	s_add_u32 s9, s9, s42
	s_mul_hi_u32 s43, s29, s0
	s_addc_u32 s3, s3, s44
	s_addc_u32 s9, s43, 0
	s_mul_i32 s0, s29, s0
	s_add_u32 s0, s3, s0
	s_addc_u32 s3, 0, s9
	s_mul_hi_u32 s9, s33, s0
	s_mul_i32 s0, s33, s0
	s_mul_i32 s3, s33, s3
	v_mov_b32_e32 v3, s0
	s_add_i32 s9, s9, s3
	v_sub_co_u32_e32 v3, vcc, s28, v3
	s_cmp_lg_u64 vcc, 0
	s_subb_u32 s0, s29, s9
	v_subrev_co_u32_e32 v4, vcc, s33, v3
	s_cmp_lg_u64 vcc, 0
	s_subb_u32 s3, s0, 0
	v_subrev_co_u32_e32 v5, vcc, s33, v4
	s_cmp_lg_u64 vcc, 0
	s_subb_u32 s9, s3, 0
	v_cmp_le_u32_e32 vcc, s33, v4
	s_cmp_eq_u32 s3, 0
	v_cndmask_b32_e64 v6, 0, -1, vcc
	s_cselect_b64 vcc, -1, 0
	v_cndmask_b32_e32 v6, -1, v6, vcc
	v_mov_b32_e32 v7, s3
	v_mov_b32_e32 v8, s9
	v_cmp_ne_u32_e32 vcc, 0, v6
	v_cndmask_b32_e32 v6, v7, v8, vcc
	v_cndmask_b32_e32 v4, v4, v5, vcc
	v_cmp_le_u32_e32 vcc, s33, v3
	s_cmp_eq_u32 s0, 0
	v_cndmask_b32_e64 v5, 0, -1, vcc
	s_cselect_b64 vcc, -1, 0
	v_cndmask_b32_e32 v5, -1, v5, vcc
	v_cmp_ne_u32_e32 vcc, 0, v5
	v_mov_b32_e32 v7, s0
	v_cndmask_b32_e32 v3, v3, v4, vcc
	v_cndmask_b32_e32 v5, v7, v6, vcc
	v_xor_b32_e32 v3, s2, v3
	v_xor_b32_e32 v5, s2, v5
	v_mov_b32_e32 v6, s2
	v_subrev_co_u32_e32 v4, vcc, s2, v3
	v_subb_co_u32_e32 v5, vcc, v5, v6, vcc
	s_cbranch_execnz .LBB29_255
.LBB29_254:                             ;   in Loop: Header=BB29_17 Depth=1
	v_cvt_f32_u32_e32 v3, s33
	s_sub_i32 s0, 0, s33
	v_rcp_iflag_f32_e32 v3, v3
	v_mul_f32_e32 v3, 0x4f7ffffe, v3
	v_cvt_u32_f32_e32 v3, v3
	v_mul_lo_u32 v4, s0, v3
	v_mul_hi_u32 v4, v3, v4
	v_add_u32_e32 v3, v3, v4
	v_mul_hi_u32 v3, s8, v3
	v_mul_lo_u32 v3, v3, s33
	v_sub_u32_e32 v3, s8, v3
	v_subrev_u32_e32 v4, s33, v3
	v_cmp_le_u32_e32 vcc, s33, v3
	v_cndmask_b32_e32 v3, v3, v4, vcc
	v_subrev_u32_e32 v4, s33, v3
	v_cmp_le_u32_e32 vcc, s33, v3
	v_cndmask_b32_e32 v18, v3, v4, vcc
	v_pk_mov_b32 v[4:5], v[18:19], v[18:19] op_sel:[0,1]
.LBB29_255:                             ;   in Loop: Header=BB29_17 Depth=1
	v_mov_b32_e32 v3, s1
	v_sub_co_u32_e32 v8, vcc, s8, v4
	v_subb_co_u32_e32 v9, vcc, v3, v5, vcc
	v_cmp_gt_i64_e32 vcc, v[8:9], v[0:1]
	s_mov_b64 s[28:29], 0
                                        ; implicit-def: $vgpr6_vgpr7
	s_and_saveexec_b64 s[0:1], vcc
	s_cbranch_execz .LBB29_264
; %bb.256:                              ;   in Loop: Header=BB29_17 Depth=1
	s_mov_b64 s[8:9], 0
	v_mov_b32_e32 v12, v39
	v_pk_mov_b32 v[10:11], v[0:1], v[0:1] op_sel:[0,1]
                                        ; implicit-def: $sgpr2_sgpr3
	s_branch .LBB29_258
.LBB29_257:                             ;   in Loop: Header=BB29_258 Depth=2
	s_or_b64 exec, exec, s[28:29]
	s_waitcnt lgkmcnt(0)
	s_barrier
	ds_read_b128 v[4:7], v19 offset:3072
	v_mov_b32_e32 v3, s88
	v_add_co_u32_e32 v10, vcc, s33, v10
	v_addc_co_u32_e32 v11, vcc, v11, v3, vcc
	s_waitcnt lgkmcnt(0)
	v_readfirstlane_b32 s29, v5
	v_readfirstlane_b32 s28, v4
	s_cmp_lg_u64 s[28:29], 0
	s_cselect_b64 s[28:29], -1, 0
	v_cmp_ge_i64_e32 vcc, v[10:11], v[8:9]
	s_or_b64 s[42:43], s[28:29], vcc
	s_and_b64 s[42:43], exec, s[42:43]
	s_or_b64 s[8:9], s[42:43], s[8:9]
	s_andn2_b64 s[2:3], s[2:3], exec
	s_and_b64 s[28:29], s[28:29], exec
	v_add_u32_e32 v12, s94, v12
	s_or_b64 s[2:3], s[2:3], s[28:29]
	s_barrier
	s_andn2_b64 exec, exec, s[8:9]
	s_cbranch_execz .LBB29_263
.LBB29_258:                             ;   Parent Loop BB29_17 Depth=1
                                        ; =>  This Inner Loop Header: Depth=2
	v_cmp_gt_i64_e32 vcc, s[20:21], v[10:11]
	v_pk_mov_b32 v[4:5], 0, 0
	s_and_saveexec_b64 s[28:29], vcc
	s_cbranch_execz .LBB29_260
; %bb.259:                              ;   in Loop: Header=BB29_258 Depth=2
	ds_read_b64 v[4:5], v12
.LBB29_260:                             ;   in Loop: Header=BB29_258 Depth=2
	s_or_b64 exec, exec, s[28:29]
	s_and_saveexec_b64 s[28:29], vcc
	s_cbranch_execz .LBB29_257
; %bb.261:                              ;   in Loop: Header=BB29_258 Depth=2
	s_waitcnt lgkmcnt(0)
	v_xor_b32_e32 v3, 0x80000000, v5
	v_and_b32_e32 v7, s79, v3
	v_and_b32_e32 v6, s78, v4
	v_cmp_eq_u64_e32 vcc, s[80:81], v[6:7]
	s_and_b64 exec, exec, vcc
	s_cbranch_execz .LBB29_257
; %bb.262:                              ;   in Loop: Header=BB29_258 Depth=2
	v_mov_b32_e32 v3, v19
	ds_write_b128 v19, v[2:5] offset:3072
	s_branch .LBB29_257
.LBB29_263:                             ;   in Loop: Header=BB29_17 Depth=1
	s_or_b64 exec, exec, s[8:9]
	s_and_b64 s[28:29], s[2:3], exec
.LBB29_264:                             ;   in Loop: Header=BB29_17 Depth=1
	s_or_b64 exec, exec, s[0:1]
	s_mov_b64 s[8:9], -1
	s_mov_b64 s[0:1], 0
	s_mov_b64 s[2:3], 0
.LBB29_265:                             ;   in Loop: Header=BB29_17 Depth=1
	s_mov_b64 s[42:43], 0
                                        ; implicit-def: $sgpr46
                                        ; implicit-def: $sgpr44_sgpr45
	s_and_saveexec_b64 s[20:21], s[28:29]
	s_cbranch_execz .LBB29_278
; %bb.266:                              ;   in Loop: Header=BB29_17 Depth=1
	s_xor_b64 s[18:19], s[18:19], -1
	s_mov_b64 s[44:45], 1
	s_andn2_b64 vcc, exec, s[18:19]
	s_mov_b32 s46, 1
	s_cbranch_vccnz .LBB29_277
; %bb.267:                              ;   in Loop: Header=BB29_17 Depth=1
	s_waitcnt vmcnt(0)
	v_pk_mov_b32 v[4:5], s[6:7], s[6:7] op_sel:[0,1]
	v_cmp_gt_i64_e32 vcc, s[58:59], v[4:5]
	s_cbranch_vccnz .LBB29_273
; %bb.268:                              ;   in Loop: Header=BB29_17 Depth=1
	ds_read_b64 v[4:5], v19 offset:5120
	s_waitcnt lgkmcnt(0)
	v_cmp_ne_u64_e32 vcc, 0, v[4:5]
	s_cbranch_vccnz .LBB29_272
; %bb.269:                              ;   in Loop: Header=BB29_17 Depth=1
	s_mov_b64 s[18:19], exec
	v_readlane_b32 s28, v64, 12
	v_readlane_b32 s29, v64, 13
	s_and_b64 s[28:29], s[18:19], s[28:29]
	s_mov_b64 exec, s[28:29]
	s_cbranch_execz .LBB29_271
; %bb.270:                              ;   in Loop: Header=BB29_17 Depth=1
	v_pk_mov_b32 v[4:5], s[6:7], s[6:7] op_sel:[0,1]
	ds_write_b64 v19, v[4:5] offset:5128
.LBB29_271:                             ;   in Loop: Header=BB29_17 Depth=1
	s_or_b64 exec, exec, s[18:19]
	s_waitcnt lgkmcnt(0)
	s_barrier
.LBB29_272:                             ;   in Loop: Header=BB29_17 Depth=1
	s_or_b64 s[18:19], s[80:81], s[12:13]
	s_or_b64 s[12:13], s[78:79], s[12:13]
	s_mov_b64 s[28:29], 0
	s_mov_b32 s46, 8
	s_branch .LBB29_274
.LBB29_273:                             ;   in Loop: Header=BB29_17 Depth=1
	s_mov_b64 s[28:29], -1
                                        ; implicit-def: $sgpr46
                                        ; implicit-def: $sgpr18_sgpr19
                                        ; implicit-def: $sgpr12_sgpr13
.LBB29_274:                             ;   in Loop: Header=BB29_17 Depth=1
	s_andn2_b64 vcc, exec, s[28:29]
	s_cbranch_vccnz .LBB29_276
; %bb.275:                              ;   in Loop: Header=BB29_17 Depth=1
	s_sub_u32 s58, s58, s6
	s_subb_u32 s59, s59, s7
	s_mov_b32 s46, 8
	s_mov_b64 s[18:19], s[80:81]
	s_mov_b64 s[12:13], s[78:79]
.LBB29_276:                             ;   in Loop: Header=BB29_17 Depth=1
	s_mov_b64 s[44:45], s[58:59]
	s_mov_b64 s[80:81], s[18:19]
	;; [unrolled: 1-line block ×3, first 2 shown]
.LBB29_277:                             ;   in Loop: Header=BB29_17 Depth=1
	s_mov_b64 s[42:43], exec
.LBB29_278:                             ;   in Loop: Header=BB29_17 Depth=1
	s_or_b64 exec, exec, s[20:21]
	s_mov_b64 s[58:59], s[44:45]
.LBB29_279:                             ;   in Loop: Header=BB29_17 Depth=1
	s_andn2_b64 s[6:7], s[34:35], exec
	s_and_b64 s[0:1], s[0:1], exec
	s_or_b64 s[34:35], s[6:7], s[0:1]
	s_andn2_b64 s[0:1], s[38:39], exec
	s_and_b64 s[6:7], s[8:9], exec
	s_or_b64 s[38:39], s[0:1], s[6:7]
	;; [unrolled: 3-line block ×3, first 2 shown]
	s_and_b64 s[2:3], s[42:43], exec
.LBB29_280:                             ;   in Loop: Header=BB29_17 Depth=1
	s_or_b64 exec, exec, s[40:41]
.LBB29_281:                             ;   in Loop: Header=BB29_17 Depth=1
	s_andn2_b64 s[0:1], s[24:25], exec
	s_and_b64 s[6:7], s[34:35], exec
	s_or_b64 s[24:25], s[0:1], s[6:7]
	s_andn2_b64 s[0:1], s[26:27], exec
	s_and_b64 s[6:7], s[38:39], exec
	s_or_b64 s[26:27], s[0:1], s[6:7]
	;; [unrolled: 3-line block ×3, first 2 shown]
	s_and_b64 s[2:3], s[2:3], exec
.LBB29_282:                             ;   in Loop: Header=BB29_17 Depth=1
	s_or_b64 exec, exec, s[30:31]
	s_and_saveexec_b64 s[0:1], s[2:3]
	s_xor_b64 s[0:1], exec, s[0:1]
	s_cbranch_execz .LBB29_15
.LBB29_283:                             ;   in Loop: Header=BB29_17 Depth=1
	s_and_b32 s2, s46, -9
	s_cmp_eq_u32 s2, 0
	s_cbranch_scc1 .LBB29_13
; %bb.284:                              ;   in Loop: Header=BB29_17 Depth=1
	s_mov_b64 s[2:3], -1
                                        ; implicit-def: $sgpr78_sgpr79
                                        ; implicit-def: $sgpr95
                                        ; implicit-def: $sgpr86
	s_mov_b64 s[6:7], -1
	s_branch .LBB29_14
.LBB29_285:                             ;   in Loop: Header=BB29_17 Depth=1
                                        ; implicit-def: $vgpr4_vgpr5
	s_branch .LBB29_237
.LBB29_286:                             ;   in Loop: Header=BB29_17 Depth=1
                                        ; implicit-def: $vgpr4_vgpr5
	s_branch .LBB29_254
.LBB29_287:
	s_or_b64 exec, exec, s[68:69]
	s_xor_b64 s[6:7], s[74:75], -1
	s_xor_b64 s[0:1], s[60:61], -1
	;; [unrolled: 1-line block ×3, first 2 shown]
	s_mov_b64 s[2:3], 0
	s_and_saveexec_b64 s[8:9], s[0:1]
	s_xor_b64 s[0:1], exec, s[8:9]
	s_cbranch_execnz .LBB29_292
; %bb.288:
	s_andn2_saveexec_b64 s[0:1], s[0:1]
	s_cbranch_execnz .LBB29_317
.LBB29_289:
	s_or_b64 exec, exec, s[0:1]
	s_and_saveexec_b64 s[0:1], s[2:3]
.LBB29_290:
	; divergent unreachable
.LBB29_291:
	s_endpgm
.LBB29_292:
	s_and_saveexec_b64 s[2:3], s[6:7]
	s_xor_b64 s[2:3], exec, s[2:3]
	s_cbranch_execz .LBB29_315
; %bb.293:
	s_and_saveexec_b64 s[6:7], s[4:5]
	s_xor_b64 s[4:5], exec, s[6:7]
; %bb.294:
	v_xor_b32_e32 v5, 0x80000000, v5
	v_pk_mov_b32 v[6:7], v[4:5], v[4:5] op_sel:[0,1]
; %bb.295:
	s_or_b64 exec, exec, s[4:5]
	s_mov_b64 s[4:5], exec
	v_readlane_b32 s6, v64, 12
	v_readlane_b32 s7, v64, 13
	;; [unrolled: 1-line block ×3, first 2 shown]
	s_and_b64 s[6:7], s[4:5], s[6:7]
	v_readlane_b32 s24, v64, 22
	v_readlane_b32 s27, v64, 7
	;; [unrolled: 1-line block ×3, first 2 shown]
	s_mov_b64 exec, s[6:7]
	s_cbranch_execz .LBB29_297
; %bb.296:
	v_mov_b32_e32 v2, 0
	v_mov_b32_e32 v3, s56
	ds_write_b32 v2, v3 offset:5140
.LBB29_297:
	s_or_b64 exec, exec, s[4:5]
	s_waitcnt lgkmcnt(0)
	s_barrier
	s_mov_b64 s[4:5], exec
	v_readlane_b32 s6, v64, 32
	v_readlane_b32 s7, v64, 33
	s_and_b64 s[6:7], s[4:5], s[6:7]
	s_mov_b64 exec, s[6:7]
	s_cbranch_execz .LBB29_312
; %bb.298:
	v_mov_b32_e32 v2, 0
	ds_read_b32 v4, v2 offset:5140
	s_mov_b64 s[6:7], 0
                                        ; implicit-def: $sgpr8_sgpr9
                                        ; implicit-def: $sgpr10_sgpr11
                                        ; implicit-def: $sgpr12_sgpr13
	s_waitcnt lgkmcnt(0)
	v_ashrrev_i32_e32 v5, 31, v4
	s_branch .LBB29_301
.LBB29_299:                             ;   in Loop: Header=BB29_301 Depth=1
	s_or_b64 exec, exec, s[18:19]
	s_andn2_b64 s[12:13], s[12:13], exec
	s_and_b64 s[16:17], s[16:17], exec
	s_or_b64 s[12:13], s[12:13], s[16:17]
	s_andn2_b64 s[10:11], s[10:11], exec
	s_and_b64 s[16:17], s[20:21], exec
	s_or_b64 s[10:11], s[10:11], s[16:17]
.LBB29_300:                             ;   in Loop: Header=BB29_301 Depth=1
	s_or_b64 exec, exec, s[14:15]
	s_and_b64 s[14:15], exec, s[10:11]
	s_or_b64 s[6:7], s[14:15], s[6:7]
	s_andn2_b64 s[8:9], s[8:9], exec
	s_and_b64 s[14:15], s[12:13], exec
	s_or_b64 s[8:9], s[8:9], s[14:15]
	s_andn2_b64 exec, exec, s[6:7]
	s_cbranch_execz .LBB29_307
.LBB29_301:                             ; =>This Inner Loop Header: Depth=1
	v_pk_mov_b32 v[2:3], v[0:1], v[0:1] op_sel:[0,1]
	v_cmp_lt_i64_e32 vcc, v[2:3], v[4:5]
	s_or_b64 s[12:13], s[12:13], exec
	s_or_b64 s[10:11], s[10:11], exec
                                        ; implicit-def: $vgpr0_vgpr1
	s_and_saveexec_b64 s[14:15], vcc
	s_cbranch_execz .LBB29_300
; %bb.302:                              ;   in Loop: Header=BB29_301 Depth=1
	global_load_dwordx2 v[0:1], v[16:17], off
	s_mov_b64 s[20:21], -1
	s_mov_b64 s[16:17], 0
	s_waitcnt vmcnt(0)
	v_cmp_ne_u64_e32 vcc, v[0:1], v[6:7]
                                        ; implicit-def: $vgpr0_vgpr1
	s_and_saveexec_b64 s[18:19], vcc
	s_cbranch_execz .LBB29_299
; %bb.303:                              ;   in Loop: Header=BB29_301 Depth=1
	v_mov_b32_e32 v1, s88
	v_add_co_u32_e32 v0, vcc, s33, v2
	v_addc_co_u32_e32 v1, vcc, v3, v1, vcc
	v_mov_b32_e32 v3, s85
	v_add_co_u32_e32 v16, vcc, s84, v16
	v_addc_co_u32_e32 v17, vcc, v17, v3, vcc
	v_cmp_le_i64_e32 vcc, s[56:57], v[0:1]
	s_mov_b64 s[16:17], exec
	s_orn2_b64 s[20:21], vcc, exec
	s_branch .LBB29_299
.LBB29_304:
                                        ; implicit-def: $sgpr16_sgpr17
	s_branch .LBB29_3
.LBB29_305:
                                        ; implicit-def: $sgpr8_sgpr9
	s_branch .LBB29_6
.LBB29_306:
                                        ; implicit-def: $sgpr0_sgpr1
                                        ; kill: killed $sgpr0_sgpr1
	s_load_dwordx2 s[0:1], s[4:5], 0x0
	s_branch .LBB29_9
.LBB29_307:
	s_or_b64 exec, exec, s[6:7]
	s_xor_b64 s[6:7], s[8:9], -1
	s_and_saveexec_b64 s[8:9], s[6:7]
	s_xor_b64 s[8:9], exec, s[8:9]
	s_cbranch_execz .LBB29_312
; %bb.308:
	s_mov_b64 s[6:7], exec
	s_brev_b32 s8, -2
.LBB29_309:                             ; =>This Inner Loop Header: Depth=1
	s_ff1_i32_b64 s9, s[6:7]
	v_readlane_b32 s12, v2, s9
	s_lshl_b64 s[10:11], 1, s9
	s_min_i32 s8, s8, s12
	s_andn2_b64 s[6:7], s[6:7], s[10:11]
	s_cmp_lg_u64 s[6:7], 0
	s_cbranch_scc1 .LBB29_309
; %bb.310:
	v_mbcnt_lo_u32_b32 v0, exec_lo, 0
	v_mbcnt_hi_u32_b32 v0, exec_hi, v0
	v_cmp_eq_u32_e32 vcc, 0, v0
	s_and_saveexec_b64 s[6:7], vcc
	s_xor_b64 s[6:7], exec, s[6:7]
	s_cbranch_execz .LBB29_312
; %bb.311:
	v_mov_b32_e32 v0, 0
	v_mov_b32_e32 v1, s8
	ds_min_i32 v0, v1 offset:5140
.LBB29_312:
	s_or_b64 exec, exec, s[4:5]
	s_waitcnt lgkmcnt(0)
	s_barrier
	s_mov_b64 s[4:5], exec
	v_readlane_b32 s6, v64, 12
	v_readlane_b32 s7, v64, 13
	s_and_b64 s[6:7], s[4:5], s[6:7]
	s_mov_b64 exec, s[6:7]
	s_cbranch_execz .LBB29_314
; %bb.313:
	v_readlane_b32 s8, v64, 0
	v_readlane_b32 s9, v64, 1
	;; [unrolled: 1-line block ×4, first 2 shown]
	s_mul_i32 s6, s10, s9
	s_mul_hi_u32 s7, s10, s8
	s_add_i32 s6, s7, s6
	s_mul_i32 s7, s11, s8
	s_add_i32 s6, s6, s7
	s_mul_i32 s7, s10, s8
	v_readlane_b32 s12, v64, 18
	s_sub_u32 s8, s24, s7
	v_readlane_b32 s14, v64, 20
	v_readlane_b32 s15, v64, 21
	s_subb_u32 s6, 0, s6
	s_mul_i32 s7, s8, s15
	s_mul_hi_u32 s9, s8, s14
	v_readlane_b32 s13, v64, 19
	s_add_i32 s7, s9, s7
	s_mul_i32 s6, s6, s14
	s_add_i32 s7, s7, s6
	s_mul_i32 s6, s8, s14
	s_mul_i32 s8, s10, s13
	s_mul_hi_u32 s9, s10, s12
	s_add_i32 s8, s9, s8
	s_mul_i32 s9, s11, s12
	v_readlane_b32 s14, v64, 4
	s_add_i32 s9, s8, s9
	s_mul_i32 s8, s10, s12
	v_readlane_b32 s15, v64, 5
	s_mul_i32 s10, s14, s27
	s_mul_hi_u32 s11, s14, s26
	s_add_i32 s10, s11, s10
	s_mul_i32 s11, s15, s26
	s_add_i32 s10, s10, s11
	s_mul_i32 s11, s14, s26
	v_readlane_b32 s16, v64, 14
	s_sub_u32 s12, s24, s11
	v_readlane_b32 s18, v64, 16
	v_readlane_b32 s19, v64, 17
	s_subb_u32 s10, 0, s10
	s_mul_i32 s11, s12, s19
	s_mul_hi_u32 s13, s12, s18
	v_readlane_b32 s17, v64, 15
	s_add_i32 s11, s13, s11
	s_mul_i32 s10, s10, s18
	s_add_i32 s11, s11, s10
	s_mul_i32 s10, s12, s18
	s_mul_i32 s12, s14, s17
	s_mul_hi_u32 s13, s14, s16
	s_add_i32 s12, s13, s12
	s_mul_i32 s13, s15, s16
	s_add_i32 s13, s12, s13
	s_mul_i32 s12, s14, s16
	s_lshl_b64 s[8:9], s[8:9], 3
	v_readlane_b32 s14, v64, 10
	v_readlane_b32 s15, v64, 11
	s_add_u32 s8, s14, s8
	s_addc_u32 s9, s15, s9
	s_lshl_b64 s[6:7], s[6:7], 3
	v_mov_b32_e32 v2, 0
	s_add_u32 s6, s8, s6
	ds_read_b32 v0, v2 offset:5140
	s_addc_u32 s7, s9, s7
	s_lshl_b64 s[8:9], s[12:13], 3
	v_readlane_b32 s12, v64, 8
	v_readlane_b32 s13, v64, 9
	s_add_u32 s12, s12, s8
	s_addc_u32 s13, s13, s9
	s_lshl_b64 s[8:9], s[10:11], 3
	s_add_u32 s8, s12, s8
	s_addc_u32 s9, s13, s9
	s_waitcnt lgkmcnt(0)
	v_ashrrev_i32_e32 v1, 31, v0
	global_store_dwordx2 v2, v[0:1], s[8:9]
	global_store_dwordx2 v2, v[6:7], s[6:7]
.LBB29_314:
	s_or_b64 exec, exec, s[4:5]
.LBB29_315:
	s_or_saveexec_b64 s[2:3], s[2:3]
	s_mov_b64 s[4:5], 0
	s_xor_b64 exec, exec, s[2:3]
	s_cbranch_execnz .LBB29_318
.LBB29_316:
	s_or_b64 exec, exec, s[2:3]
	s_and_b64 s[2:3], s[4:5], exec
	s_andn2_saveexec_b64 s[0:1], s[0:1]
	s_cbranch_execz .LBB29_289
.LBB29_317:
	s_or_b64 s[2:3], s[2:3], exec
	s_trap 2
	s_or_b64 exec, exec, s[0:1]
	s_and_saveexec_b64 s[0:1], s[2:3]
	s_cbranch_execnz .LBB29_290
	s_branch .LBB29_291
.LBB29_318:
	s_mov_b64 s[4:5], exec
	s_trap 2
	s_branch .LBB29_316
	.section	.rodata,"a",@progbits
	.p2align	6, 0x0
	.amdhsa_kernel _ZN2at6native12_GLOBAL__N_114gatherKthValueIllLi2EEEvNS_4cuda6detail10TensorInfoIKT_T0_EES8_S8_S8_S8_NS5_IS6_S8_EENS5_IlS8_EE
		.amdhsa_group_segment_fixed_size 5144
		.amdhsa_private_segment_fixed_size 0
		.amdhsa_kernarg_size 1536
		.amdhsa_user_sgpr_count 6
		.amdhsa_user_sgpr_private_segment_buffer 1
		.amdhsa_user_sgpr_dispatch_ptr 0
		.amdhsa_user_sgpr_queue_ptr 0
		.amdhsa_user_sgpr_kernarg_segment_ptr 1
		.amdhsa_user_sgpr_dispatch_id 0
		.amdhsa_user_sgpr_flat_scratch_init 0
		.amdhsa_user_sgpr_kernarg_preload_length 0
		.amdhsa_user_sgpr_kernarg_preload_offset 0
		.amdhsa_user_sgpr_private_segment_size 0
		.amdhsa_uses_dynamic_stack 0
		.amdhsa_system_sgpr_private_segment_wavefront_offset 0
		.amdhsa_system_sgpr_workgroup_id_x 1
		.amdhsa_system_sgpr_workgroup_id_y 1
		.amdhsa_system_sgpr_workgroup_id_z 1
		.amdhsa_system_sgpr_workgroup_info 0
		.amdhsa_system_vgpr_workitem_id 0
		.amdhsa_next_free_vgpr 65
		.amdhsa_next_free_sgpr 96
		.amdhsa_accum_offset 68
		.amdhsa_reserve_vcc 1
		.amdhsa_reserve_flat_scratch 0
		.amdhsa_float_round_mode_32 0
		.amdhsa_float_round_mode_16_64 0
		.amdhsa_float_denorm_mode_32 3
		.amdhsa_float_denorm_mode_16_64 3
		.amdhsa_dx10_clamp 1
		.amdhsa_ieee_mode 1
		.amdhsa_fp16_overflow 0
		.amdhsa_tg_split 0
		.amdhsa_exception_fp_ieee_invalid_op 0
		.amdhsa_exception_fp_denorm_src 0
		.amdhsa_exception_fp_ieee_div_zero 0
		.amdhsa_exception_fp_ieee_overflow 0
		.amdhsa_exception_fp_ieee_underflow 0
		.amdhsa_exception_fp_ieee_inexact 0
		.amdhsa_exception_int_div_zero 0
	.end_amdhsa_kernel
	.section	.text._ZN2at6native12_GLOBAL__N_114gatherKthValueIllLi2EEEvNS_4cuda6detail10TensorInfoIKT_T0_EES8_S8_S8_S8_NS5_IS6_S8_EENS5_IlS8_EE,"axG",@progbits,_ZN2at6native12_GLOBAL__N_114gatherKthValueIllLi2EEEvNS_4cuda6detail10TensorInfoIKT_T0_EES8_S8_S8_S8_NS5_IS6_S8_EENS5_IlS8_EE,comdat
.Lfunc_end29:
	.size	_ZN2at6native12_GLOBAL__N_114gatherKthValueIllLi2EEEvNS_4cuda6detail10TensorInfoIKT_T0_EES8_S8_S8_S8_NS5_IS6_S8_EENS5_IlS8_EE, .Lfunc_end29-_ZN2at6native12_GLOBAL__N_114gatherKthValueIllLi2EEEvNS_4cuda6detail10TensorInfoIKT_T0_EES8_S8_S8_S8_NS5_IS6_S8_EENS5_IlS8_EE
                                        ; -- End function
	.section	.AMDGPU.csdata,"",@progbits
; Kernel info:
; codeLenInByte = 18660
; NumSgprs: 100
; NumVgprs: 65
; NumAgprs: 0
; TotalNumVgprs: 65
; ScratchSize: 0
; MemoryBound: 0
; FloatMode: 240
; IeeeMode: 1
; LDSByteSize: 5144 bytes/workgroup (compile time only)
; SGPRBlocks: 12
; VGPRBlocks: 8
; NumSGPRsForWavesPerEU: 100
; NumVGPRsForWavesPerEU: 65
; AccumOffset: 68
; Occupancy: 7
; WaveLimiterHint : 1
; COMPUTE_PGM_RSRC2:SCRATCH_EN: 0
; COMPUTE_PGM_RSRC2:USER_SGPR: 6
; COMPUTE_PGM_RSRC2:TRAP_HANDLER: 0
; COMPUTE_PGM_RSRC2:TGID_X_EN: 1
; COMPUTE_PGM_RSRC2:TGID_Y_EN: 1
; COMPUTE_PGM_RSRC2:TGID_Z_EN: 1
; COMPUTE_PGM_RSRC2:TIDIG_COMP_CNT: 0
; COMPUTE_PGM_RSRC3_GFX90A:ACCUM_OFFSET: 16
; COMPUTE_PGM_RSRC3_GFX90A:TG_SPLIT: 0
	.section	.text._ZN2at6native12_GLOBAL__N_114gatherKthValueIllLi3EEEvNS_4cuda6detail10TensorInfoIKT_T0_EES8_S8_S8_S8_NS5_IS6_S8_EENS5_IlS8_EE,"axG",@progbits,_ZN2at6native12_GLOBAL__N_114gatherKthValueIllLi3EEEvNS_4cuda6detail10TensorInfoIKT_T0_EES8_S8_S8_S8_NS5_IS6_S8_EENS5_IlS8_EE,comdat
	.globl	_ZN2at6native12_GLOBAL__N_114gatherKthValueIllLi3EEEvNS_4cuda6detail10TensorInfoIKT_T0_EES8_S8_S8_S8_NS5_IS6_S8_EENS5_IlS8_EE ; -- Begin function _ZN2at6native12_GLOBAL__N_114gatherKthValueIllLi3EEEvNS_4cuda6detail10TensorInfoIKT_T0_EES8_S8_S8_S8_NS5_IS6_S8_EENS5_IlS8_EE
	.p2align	8
	.type	_ZN2at6native12_GLOBAL__N_114gatherKthValueIllLi3EEEvNS_4cuda6detail10TensorInfoIKT_T0_EES8_S8_S8_S8_NS5_IS6_S8_EENS5_IlS8_EE,@function
_ZN2at6native12_GLOBAL__N_114gatherKthValueIllLi3EEEvNS_4cuda6detail10TensorInfoIKT_T0_EES8_S8_S8_S8_NS5_IS6_S8_EENS5_IlS8_EE: ; @_ZN2at6native12_GLOBAL__N_114gatherKthValueIllLi3EEEvNS_4cuda6detail10TensorInfoIKT_T0_EES8_S8_S8_S8_NS5_IS6_S8_EENS5_IlS8_EE
; %bb.0:
	s_load_dwordx8 s[56:63], s[4:5], 0x1a0
	s_load_dwordx2 s[18:19], s[4:5], 0x500
	s_add_u32 s16, s4, 0x500
	s_addc_u32 s17, s5, 0
	s_mov_b32 s39, 0
	s_waitcnt lgkmcnt(0)
	v_mov_b32_e32 v2, s60
	s_mul_i32 s0, s19, s8
	s_add_i32 s0, s0, s7
	s_mul_i32 s0, s0, s18
	v_mov_b32_e32 v3, s61
	s_add_i32 s38, s0, s6
	v_cmp_ge_i64_e32 vcc, s[38:39], v[2:3]
	s_cbranch_vccnz .LBB30_308
; %bb.1:
	s_load_dwordx4 s[8:11], s[4:5], 0x10
	s_mov_b32 s0, s39
	s_waitcnt lgkmcnt(0)
	s_mov_b32 s1, s11
	s_cmp_lg_u64 s[0:1], 0
	s_cbranch_scc0 .LBB30_12
; %bb.2:
	s_ashr_i32 s2, s11, 31
	s_add_u32 s0, s10, s2
	s_mov_b32 s3, s2
	s_addc_u32 s1, s11, s2
	s_xor_b64 s[14:15], s[0:1], s[2:3]
	v_cvt_f32_u32_e32 v1, s14
	v_cvt_f32_u32_e32 v2, s15
	s_sub_u32 s0, 0, s14
	s_subb_u32 s1, 0, s15
	v_madmk_f32 v1, v2, 0x4f800000, v1
	v_rcp_f32_e32 v1, v1
	v_mul_f32_e32 v1, 0x5f7ffffc, v1
	v_mul_f32_e32 v2, 0x2f800000, v1
	v_trunc_f32_e32 v2, v2
	v_madmk_f32 v1, v2, 0xcf800000, v1
	v_cvt_u32_f32_e32 v2, v2
	v_cvt_u32_f32_e32 v1, v1
	v_readfirstlane_b32 s7, v2
	v_readfirstlane_b32 s19, v1
	s_mul_i32 s20, s0, s7
	s_mul_hi_u32 s22, s0, s19
	s_mul_i32 s21, s1, s19
	s_add_i32 s20, s22, s20
	s_add_i32 s20, s20, s21
	s_mul_i32 s23, s0, s19
	s_mul_hi_u32 s21, s19, s20
	s_mul_i32 s22, s19, s20
	s_mul_hi_u32 s19, s19, s23
	s_add_u32 s19, s19, s22
	s_addc_u32 s21, 0, s21
	s_mul_hi_u32 s24, s7, s23
	s_mul_i32 s23, s7, s23
	s_add_u32 s19, s19, s23
	s_mul_hi_u32 s22, s7, s20
	s_addc_u32 s19, s21, s24
	s_addc_u32 s21, s22, 0
	s_mul_i32 s20, s7, s20
	s_add_u32 s19, s19, s20
	s_addc_u32 s20, 0, s21
	v_add_co_u32_e32 v1, vcc, s19, v1
	s_cmp_lg_u64 vcc, 0
	s_addc_u32 s7, s7, s20
	v_readfirstlane_b32 s20, v1
	s_mul_i32 s19, s0, s7
	s_mul_hi_u32 s21, s0, s20
	s_add_i32 s19, s21, s19
	s_mul_i32 s1, s1, s20
	s_add_i32 s19, s19, s1
	s_mul_i32 s0, s0, s20
	s_mul_hi_u32 s21, s7, s0
	s_mul_i32 s22, s7, s0
	s_mul_i32 s24, s20, s19
	s_mul_hi_u32 s0, s20, s0
	s_mul_hi_u32 s23, s20, s19
	s_add_u32 s0, s0, s24
	s_addc_u32 s20, 0, s23
	s_add_u32 s0, s0, s22
	s_mul_hi_u32 s1, s7, s19
	s_addc_u32 s0, s20, s21
	s_addc_u32 s1, s1, 0
	s_mul_i32 s19, s7, s19
	s_add_u32 s0, s0, s19
	s_addc_u32 s1, 0, s1
	v_add_co_u32_e32 v1, vcc, s0, v1
	s_cmp_lg_u64 vcc, 0
	s_addc_u32 s7, s7, s1
	s_ashr_i32 s20, 0, 31
	s_add_u32 s0, s38, s20
	s_mov_b32 s21, s20
	s_addc_u32 s1, 0, s20
	s_xor_b64 s[22:23], s[0:1], s[20:21]
	v_readfirstlane_b32 s19, v1
	s_mul_i32 s1, s22, s7
	s_mul_hi_u32 s24, s22, s19
	s_mul_hi_u32 s0, s22, s7
	s_add_u32 s1, s24, s1
	s_addc_u32 s0, 0, s0
	s_mul_hi_u32 s25, s23, s19
	s_mul_i32 s19, s23, s19
	s_add_u32 s1, s1, s19
	s_mul_hi_u32 s24, s23, s7
	s_addc_u32 s0, s0, s25
	s_addc_u32 s1, s24, 0
	s_mul_i32 s7, s23, s7
	s_add_u32 s7, s0, s7
	s_addc_u32 s19, 0, s1
	s_mul_i32 s0, s14, s19
	s_mul_hi_u32 s1, s14, s7
	s_add_i32 s0, s1, s0
	s_mul_i32 s1, s15, s7
	s_add_i32 s24, s0, s1
	s_mul_i32 s1, s14, s7
	v_mov_b32_e32 v1, s1
	s_sub_i32 s0, s23, s24
	v_sub_co_u32_e32 v1, vcc, s22, v1
	s_cmp_lg_u64 vcc, 0
	s_subb_u32 s22, s0, s15
	v_subrev_co_u32_e64 v2, s[0:1], s14, v1
	s_cmp_lg_u64 s[0:1], 0
	s_subb_u32 s0, s22, 0
	s_cmp_ge_u32 s0, s15
	v_readfirstlane_b32 s22, v2
	s_cselect_b32 s1, -1, 0
	s_cmp_ge_u32 s22, s14
	s_cselect_b32 s22, -1, 0
	s_cmp_eq_u32 s0, s15
	s_cselect_b32 s0, s22, s1
	s_add_u32 s1, s7, 1
	s_addc_u32 s22, s19, 0
	s_add_u32 s25, s7, 2
	s_addc_u32 s26, s19, 0
	s_cmp_lg_u32 s0, 0
	s_cselect_b32 s0, s25, s1
	s_cselect_b32 s1, s26, s22
	s_cmp_lg_u64 vcc, 0
	s_subb_u32 s22, s23, s24
	s_cmp_ge_u32 s22, s15
	v_readfirstlane_b32 s24, v1
	s_cselect_b32 s23, -1, 0
	s_cmp_ge_u32 s24, s14
	s_cselect_b32 s14, -1, 0
	s_cmp_eq_u32 s22, s15
	s_cselect_b32 s14, s14, s23
	s_cmp_lg_u32 s14, 0
	s_cselect_b32 s1, s1, s19
	s_cselect_b32 s0, s0, s7
	s_xor_b64 s[2:3], s[20:21], s[2:3]
	s_xor_b64 s[0:1], s[0:1], s[2:3]
	s_sub_u32 s2, s0, s2
	s_subb_u32 s3, s1, s3
	s_cbranch_execnz .LBB30_4
.LBB30_3:
	v_cvt_f32_u32_e32 v1, s10
	s_sub_i32 s0, 0, s10
	s_mov_b32 s3, 0
	v_rcp_iflag_f32_e32 v1, v1
	v_mul_f32_e32 v1, 0x4f7ffffe, v1
	v_cvt_u32_f32_e32 v1, v1
	v_readfirstlane_b32 s1, v1
	s_mul_i32 s0, s0, s1
	s_mul_hi_u32 s0, s1, s0
	s_add_i32 s1, s1, s0
	s_mul_hi_u32 s0, s38, s1
	s_mul_i32 s2, s0, s10
	s_sub_i32 s2, s38, s2
	s_add_i32 s1, s0, 1
	s_sub_i32 s7, s2, s10
	s_cmp_ge_u32 s2, s10
	s_cselect_b32 s0, s1, s0
	s_cselect_b32 s2, s7, s2
	s_add_i32 s1, s0, 1
	s_cmp_ge_u32 s2, s10
	s_cselect_b32 s2, s1, s0
.LBB30_4:
	s_or_b64 s[0:1], s[2:3], s[8:9]
	s_mov_b32 s0, 0
	s_cmp_lg_u64 s[0:1], 0
	s_cbranch_scc0 .LBB30_13
; %bb.5:
	s_ashr_i32 s14, s9, 31
	s_add_u32 s0, s8, s14
	s_mov_b32 s15, s14
	s_addc_u32 s1, s9, s14
	s_xor_b64 s[20:21], s[0:1], s[14:15]
	v_cvt_f32_u32_e32 v1, s20
	v_cvt_f32_u32_e32 v2, s21
	s_sub_u32 s0, 0, s20
	s_subb_u32 s1, 0, s21
	v_madmk_f32 v1, v2, 0x4f800000, v1
	v_rcp_f32_e32 v1, v1
	v_mul_f32_e32 v1, 0x5f7ffffc, v1
	v_mul_f32_e32 v2, 0x2f800000, v1
	v_trunc_f32_e32 v2, v2
	v_madmk_f32 v1, v2, 0xcf800000, v1
	v_cvt_u32_f32_e32 v2, v2
	v_cvt_u32_f32_e32 v1, v1
	v_readfirstlane_b32 s7, v2
	v_readfirstlane_b32 s19, v1
	s_mul_i32 s22, s0, s7
	s_mul_hi_u32 s24, s0, s19
	s_mul_i32 s23, s1, s19
	s_add_i32 s22, s24, s22
	s_add_i32 s22, s22, s23
	s_mul_i32 s25, s0, s19
	s_mul_hi_u32 s23, s19, s22
	s_mul_i32 s24, s19, s22
	s_mul_hi_u32 s19, s19, s25
	s_add_u32 s19, s19, s24
	s_addc_u32 s23, 0, s23
	s_mul_hi_u32 s26, s7, s25
	s_mul_i32 s25, s7, s25
	s_add_u32 s19, s19, s25
	s_mul_hi_u32 s24, s7, s22
	s_addc_u32 s19, s23, s26
	s_addc_u32 s23, s24, 0
	s_mul_i32 s22, s7, s22
	s_add_u32 s19, s19, s22
	s_addc_u32 s22, 0, s23
	v_add_co_u32_e32 v1, vcc, s19, v1
	s_cmp_lg_u64 vcc, 0
	s_addc_u32 s7, s7, s22
	v_readfirstlane_b32 s22, v1
	s_mul_i32 s19, s0, s7
	s_mul_hi_u32 s23, s0, s22
	s_add_i32 s19, s23, s19
	s_mul_i32 s1, s1, s22
	s_add_i32 s19, s19, s1
	s_mul_i32 s0, s0, s22
	s_mul_hi_u32 s23, s7, s0
	s_mul_i32 s24, s7, s0
	s_mul_i32 s26, s22, s19
	s_mul_hi_u32 s0, s22, s0
	s_mul_hi_u32 s25, s22, s19
	s_add_u32 s0, s0, s26
	s_addc_u32 s22, 0, s25
	s_add_u32 s0, s0, s24
	s_mul_hi_u32 s1, s7, s19
	s_addc_u32 s0, s22, s23
	s_addc_u32 s1, s1, 0
	s_mul_i32 s19, s7, s19
	s_add_u32 s0, s0, s19
	s_addc_u32 s1, 0, s1
	v_add_co_u32_e32 v1, vcc, s0, v1
	s_cmp_lg_u64 vcc, 0
	s_addc_u32 s7, s7, s1
	s_ashr_i32 s22, s3, 31
	s_add_u32 s0, s2, s22
	s_mov_b32 s23, s22
	s_addc_u32 s1, s3, s22
	s_xor_b64 s[24:25], s[0:1], s[22:23]
	v_readfirstlane_b32 s19, v1
	s_mul_i32 s1, s24, s7
	s_mul_hi_u32 s26, s24, s19
	s_mul_hi_u32 s0, s24, s7
	s_add_u32 s1, s26, s1
	s_addc_u32 s0, 0, s0
	s_mul_hi_u32 s27, s25, s19
	s_mul_i32 s19, s25, s19
	s_add_u32 s1, s1, s19
	s_mul_hi_u32 s26, s25, s7
	s_addc_u32 s0, s0, s27
	s_addc_u32 s1, s26, 0
	s_mul_i32 s7, s25, s7
	s_add_u32 s7, s0, s7
	s_addc_u32 s19, 0, s1
	s_mul_i32 s0, s20, s19
	s_mul_hi_u32 s1, s20, s7
	s_add_i32 s0, s1, s0
	s_mul_i32 s1, s21, s7
	s_add_i32 s26, s0, s1
	s_mul_i32 s1, s20, s7
	v_mov_b32_e32 v1, s1
	s_sub_i32 s0, s25, s26
	v_sub_co_u32_e32 v1, vcc, s24, v1
	s_cmp_lg_u64 vcc, 0
	s_subb_u32 s24, s0, s21
	v_subrev_co_u32_e64 v2, s[0:1], s20, v1
	s_cmp_lg_u64 s[0:1], 0
	s_subb_u32 s0, s24, 0
	s_cmp_ge_u32 s0, s21
	v_readfirstlane_b32 s24, v2
	s_cselect_b32 s1, -1, 0
	s_cmp_ge_u32 s24, s20
	s_cselect_b32 s24, -1, 0
	s_cmp_eq_u32 s0, s21
	s_cselect_b32 s0, s24, s1
	s_add_u32 s1, s7, 1
	s_addc_u32 s24, s19, 0
	s_add_u32 s27, s7, 2
	s_addc_u32 s28, s19, 0
	s_cmp_lg_u32 s0, 0
	s_cselect_b32 s0, s27, s1
	s_cselect_b32 s1, s28, s24
	s_cmp_lg_u64 vcc, 0
	s_subb_u32 s24, s25, s26
	s_cmp_ge_u32 s24, s21
	v_readfirstlane_b32 s26, v1
	s_cselect_b32 s25, -1, 0
	s_cmp_ge_u32 s26, s20
	s_cselect_b32 s20, -1, 0
	s_cmp_eq_u32 s24, s21
	s_cselect_b32 s20, s20, s25
	s_cmp_lg_u32 s20, 0
	s_cselect_b32 s1, s1, s19
	s_cselect_b32 s0, s0, s7
	s_xor_b64 s[14:15], s[22:23], s[14:15]
	s_xor_b64 s[0:1], s[0:1], s[14:15]
	s_sub_u32 s20, s0, s14
	s_subb_u32 s21, s1, s15
	s_load_dwordx4 s[24:27], s[4:5], 0x1d0
	s_cbranch_execnz .LBB30_7
.LBB30_6:
	v_cvt_f32_u32_e32 v1, s8
	s_sub_i32 s0, 0, s8
	s_mov_b32 s21, 0
	v_rcp_iflag_f32_e32 v1, v1
	v_mul_f32_e32 v1, 0x4f7ffffe, v1
	v_cvt_u32_f32_e32 v1, v1
	v_readfirstlane_b32 s1, v1
	s_mul_i32 s0, s0, s1
	s_mul_hi_u32 s0, s1, s0
	s_add_i32 s1, s1, s0
	s_mul_hi_u32 s0, s2, s1
	s_mul_i32 s7, s0, s8
	s_sub_i32 s7, s2, s7
	s_add_i32 s1, s0, 1
	s_sub_i32 s12, s7, s8
	s_cmp_ge_u32 s7, s8
	s_cselect_b32 s0, s1, s0
	s_cselect_b32 s7, s12, s7
	s_add_i32 s1, s0, 1
	s_cmp_ge_u32 s7, s8
	s_cselect_b32 s20, s1, s0
.LBB30_7:
                                        ; implicit-def: $vgpr66 : SGPR spill to VGPR lane
	s_waitcnt lgkmcnt(0)
	s_mov_b32 s1, s27
	v_writelane_b32 v66, s24, 0
	s_mov_b32 s0, 0
	v_writelane_b32 v66, s25, 1
	s_cmp_lg_u64 s[0:1], 0
	v_writelane_b32 v66, s26, 2
	v_writelane_b32 v66, s27, 3
	s_cbranch_scc0 .LBB30_14
; %bb.8:
	s_ashr_i32 s12, s27, 31
	s_add_u32 s0, s26, s12
	s_mov_b32 s13, s12
	s_addc_u32 s1, s27, s12
	s_xor_b64 s[22:23], s[0:1], s[12:13]
	v_cvt_f32_u32_e32 v1, s22
	v_cvt_f32_u32_e32 v2, s23
	s_sub_u32 s0, 0, s22
	s_subb_u32 s1, 0, s23
	v_madmk_f32 v1, v2, 0x4f800000, v1
	v_rcp_f32_e32 v1, v1
	v_mul_f32_e32 v1, 0x5f7ffffc, v1
	v_mul_f32_e32 v2, 0x2f800000, v1
	v_trunc_f32_e32 v2, v2
	v_madmk_f32 v1, v2, 0xcf800000, v1
	v_cvt_u32_f32_e32 v2, v2
	v_cvt_u32_f32_e32 v1, v1
	v_readfirstlane_b32 s7, v2
	v_readfirstlane_b32 s19, v1
	s_mul_i32 s24, s0, s7
	s_mul_hi_u32 s26, s0, s19
	s_mul_i32 s25, s1, s19
	s_add_i32 s24, s26, s24
	s_add_i32 s24, s24, s25
	s_mul_i32 s27, s0, s19
	s_mul_hi_u32 s25, s19, s24
	s_mul_i32 s26, s19, s24
	s_mul_hi_u32 s19, s19, s27
	s_add_u32 s19, s19, s26
	s_addc_u32 s25, 0, s25
	s_mul_hi_u32 s28, s7, s27
	s_mul_i32 s27, s7, s27
	s_add_u32 s19, s19, s27
	s_mul_hi_u32 s26, s7, s24
	s_addc_u32 s19, s25, s28
	s_addc_u32 s25, s26, 0
	s_mul_i32 s24, s7, s24
	s_add_u32 s19, s19, s24
	s_addc_u32 s24, 0, s25
	v_add_co_u32_e32 v1, vcc, s19, v1
	s_cmp_lg_u64 vcc, 0
	s_addc_u32 s7, s7, s24
	v_readfirstlane_b32 s24, v1
	s_mul_i32 s19, s0, s7
	s_mul_hi_u32 s25, s0, s24
	s_add_i32 s19, s25, s19
	s_mul_i32 s1, s1, s24
	s_add_i32 s19, s19, s1
	s_mul_i32 s0, s0, s24
	s_mul_hi_u32 s25, s7, s0
	s_mul_i32 s26, s7, s0
	s_mul_i32 s28, s24, s19
	s_mul_hi_u32 s0, s24, s0
	s_mul_hi_u32 s27, s24, s19
	s_add_u32 s0, s0, s28
	s_addc_u32 s24, 0, s27
	s_add_u32 s0, s0, s26
	s_mul_hi_u32 s1, s7, s19
	s_addc_u32 s0, s24, s25
	s_addc_u32 s1, s1, 0
	s_mul_i32 s19, s7, s19
	s_add_u32 s0, s0, s19
	s_addc_u32 s1, 0, s1
	v_add_co_u32_e32 v1, vcc, s0, v1
	s_cmp_lg_u64 vcc, 0
	s_addc_u32 s7, s7, s1
	s_ashr_i32 s24, 0, 31
	s_add_u32 s0, s38, s24
	s_mov_b32 s25, s24
	s_addc_u32 s1, 0, s24
	s_xor_b64 s[26:27], s[0:1], s[24:25]
	v_readfirstlane_b32 s19, v1
	s_mul_i32 s1, s26, s7
	s_mul_hi_u32 s28, s26, s19
	s_mul_hi_u32 s0, s26, s7
	s_add_u32 s1, s28, s1
	s_addc_u32 s0, 0, s0
	s_mul_hi_u32 s29, s27, s19
	s_mul_i32 s19, s27, s19
	s_add_u32 s1, s1, s19
	s_mul_hi_u32 s28, s27, s7
	s_addc_u32 s0, s0, s29
	s_addc_u32 s1, s28, 0
	s_mul_i32 s7, s27, s7
	s_add_u32 s7, s0, s7
	s_addc_u32 s19, 0, s1
	s_mul_i32 s0, s22, s19
	s_mul_hi_u32 s1, s22, s7
	s_add_i32 s0, s1, s0
	s_mul_i32 s1, s23, s7
	s_add_i32 s28, s0, s1
	s_mul_i32 s1, s22, s7
	v_mov_b32_e32 v1, s1
	s_sub_i32 s0, s27, s28
	v_sub_co_u32_e32 v1, vcc, s26, v1
	s_cmp_lg_u64 vcc, 0
	s_subb_u32 s26, s0, s23
	v_subrev_co_u32_e64 v2, s[0:1], s22, v1
	s_cmp_lg_u64 s[0:1], 0
	s_subb_u32 s0, s26, 0
	s_cmp_ge_u32 s0, s23
	v_readfirstlane_b32 s26, v2
	s_cselect_b32 s1, -1, 0
	s_cmp_ge_u32 s26, s22
	s_cselect_b32 s26, -1, 0
	s_cmp_eq_u32 s0, s23
	s_cselect_b32 s0, s26, s1
	s_add_u32 s1, s7, 1
	s_addc_u32 s26, s19, 0
	s_add_u32 s29, s7, 2
	s_addc_u32 s30, s19, 0
	s_cmp_lg_u32 s0, 0
	s_cselect_b32 s0, s29, s1
	s_cselect_b32 s1, s30, s26
	s_cmp_lg_u64 vcc, 0
	s_subb_u32 s26, s27, s28
	s_cmp_ge_u32 s26, s23
	v_readfirstlane_b32 s28, v1
	s_cselect_b32 s27, -1, 0
	s_cmp_ge_u32 s28, s22
	s_cselect_b32 s22, -1, 0
	s_cmp_eq_u32 s26, s23
	s_cselect_b32 s22, s22, s27
	s_cmp_lg_u32 s22, 0
	s_cselect_b32 s1, s1, s19
	s_cselect_b32 s0, s0, s7
	s_xor_b64 s[12:13], s[24:25], s[12:13]
	s_load_dwordx4 s[24:27], s[4:5], 0x1d0
	s_xor_b64 s[0:1], s[0:1], s[12:13]
	s_sub_u32 s30, s0, s12
	s_subb_u32 s31, s1, s13
	s_cbranch_execnz .LBB30_10
.LBB30_9:
	s_waitcnt lgkmcnt(0)
	v_cvt_f32_u32_e32 v1, s26
	s_sub_i32 s0, 0, s26
	s_mov_b32 s31, 0
	v_rcp_iflag_f32_e32 v1, v1
	v_mul_f32_e32 v1, 0x4f7ffffe, v1
	v_cvt_u32_f32_e32 v1, v1
	v_readfirstlane_b32 s1, v1
	s_mul_i32 s0, s0, s1
	s_mul_hi_u32 s0, s1, s0
	s_add_i32 s1, s1, s0
	s_mul_hi_u32 s0, s38, s1
	s_mul_i32 s7, s0, s26
	s_sub_i32 s7, s38, s7
	s_add_i32 s1, s0, 1
	s_sub_i32 s12, s7, s26
	s_cmp_ge_u32 s7, s26
	s_cselect_b32 s0, s1, s0
	s_cselect_b32 s7, s12, s7
	s_add_i32 s1, s0, 1
	s_cmp_ge_u32 s7, s26
	s_cselect_b32 s30, s1, s0
.LBB30_10:
	s_waitcnt lgkmcnt(0)
	s_or_b64 s[0:1], s[30:31], s[24:25]
	s_mov_b32 s0, 0
	s_cmp_lg_u64 s[0:1], 0
	v_writelane_b32 v66, s30, 4
	v_writelane_b32 v66, s31, 5
	s_cbranch_scc0 .LBB30_15
; %bb.11:
	s_ashr_i32 s14, s25, 31
	s_add_u32 s0, s24, s14
	s_mov_b32 s15, s14
	s_addc_u32 s1, s25, s14
	s_xor_b64 s[22:23], s[0:1], s[14:15]
	v_cvt_f32_u32_e32 v1, s22
	v_cvt_f32_u32_e32 v2, s23
	s_sub_u32 s0, 0, s22
	s_subb_u32 s1, 0, s23
	s_mov_b64 s[12:13], 0
	v_madmk_f32 v1, v2, 0x4f800000, v1
	v_rcp_f32_e32 v1, v1
	v_mul_f32_e32 v1, 0x5f7ffffc, v1
	v_mul_f32_e32 v2, 0x2f800000, v1
	v_trunc_f32_e32 v2, v2
	v_madmk_f32 v1, v2, 0xcf800000, v1
	v_cvt_u32_f32_e32 v2, v2
	v_cvt_u32_f32_e32 v1, v1
	v_readfirstlane_b32 s7, v2
	v_readfirstlane_b32 s19, v1
	s_mul_i32 s24, s0, s7
	s_mul_hi_u32 s26, s0, s19
	s_mul_i32 s25, s1, s19
	s_add_i32 s24, s26, s24
	s_add_i32 s24, s24, s25
	s_mul_i32 s27, s0, s19
	s_mul_hi_u32 s25, s19, s24
	s_mul_i32 s26, s19, s24
	s_mul_hi_u32 s19, s19, s27
	s_add_u32 s19, s19, s26
	s_addc_u32 s25, 0, s25
	s_mul_hi_u32 s28, s7, s27
	s_mul_i32 s27, s7, s27
	s_add_u32 s19, s19, s27
	s_mul_hi_u32 s26, s7, s24
	s_addc_u32 s19, s25, s28
	s_addc_u32 s25, s26, 0
	s_mul_i32 s24, s7, s24
	s_add_u32 s19, s19, s24
	s_addc_u32 s24, 0, s25
	v_add_co_u32_e32 v1, vcc, s19, v1
	s_cmp_lg_u64 vcc, 0
	s_addc_u32 s7, s7, s24
	v_readfirstlane_b32 s24, v1
	s_mul_i32 s19, s0, s7
	s_mul_hi_u32 s25, s0, s24
	s_add_i32 s19, s25, s19
	s_mul_i32 s1, s1, s24
	s_add_i32 s19, s19, s1
	s_mul_i32 s0, s0, s24
	s_mul_hi_u32 s25, s7, s0
	s_mul_i32 s26, s7, s0
	s_mul_i32 s28, s24, s19
	s_mul_hi_u32 s0, s24, s0
	s_mul_hi_u32 s27, s24, s19
	s_add_u32 s0, s0, s28
	s_addc_u32 s24, 0, s27
	s_add_u32 s0, s0, s26
	s_mul_hi_u32 s1, s7, s19
	s_addc_u32 s0, s24, s25
	s_addc_u32 s1, s1, 0
	s_mul_i32 s19, s7, s19
	s_add_u32 s0, s0, s19
	s_addc_u32 s1, 0, s1
	v_add_co_u32_e32 v1, vcc, s0, v1
	s_cmp_lg_u64 vcc, 0
	s_addc_u32 s7, s7, s1
	s_ashr_i32 s24, s31, 31
	s_add_u32 s0, s30, s24
	s_mov_b32 s25, s24
	s_addc_u32 s1, s31, s24
	s_xor_b64 s[26:27], s[0:1], s[24:25]
	v_readfirstlane_b32 s19, v1
	s_mul_i32 s1, s26, s7
	s_mul_hi_u32 s28, s26, s19
	s_mul_hi_u32 s0, s26, s7
	s_add_u32 s1, s28, s1
	s_addc_u32 s0, 0, s0
	s_mul_hi_u32 s29, s27, s19
	s_mul_i32 s19, s27, s19
	s_add_u32 s1, s1, s19
	s_mul_hi_u32 s28, s27, s7
	s_addc_u32 s0, s0, s29
	s_addc_u32 s1, s28, 0
	s_mul_i32 s7, s27, s7
	s_add_u32 s7, s0, s7
	s_addc_u32 s19, 0, s1
	s_mul_i32 s0, s22, s19
	s_mul_hi_u32 s1, s22, s7
	s_add_i32 s0, s1, s0
	s_mul_i32 s1, s23, s7
	s_add_i32 s28, s0, s1
	s_mul_i32 s1, s22, s7
	v_mov_b32_e32 v1, s1
	s_sub_i32 s0, s27, s28
	v_sub_co_u32_e32 v1, vcc, s26, v1
	s_cmp_lg_u64 vcc, 0
	s_subb_u32 s26, s0, s23
	v_subrev_co_u32_e64 v2, s[0:1], s22, v1
	s_cmp_lg_u64 s[0:1], 0
	s_subb_u32 s0, s26, 0
	s_cmp_ge_u32 s0, s23
	v_readfirstlane_b32 s26, v2
	s_cselect_b32 s1, -1, 0
	s_cmp_ge_u32 s26, s22
	s_cselect_b32 s26, -1, 0
	s_cmp_eq_u32 s0, s23
	s_cselect_b32 s0, s26, s1
	s_add_u32 s1, s7, 1
	s_addc_u32 s26, s19, 0
	s_add_u32 s29, s7, 2
	s_addc_u32 s30, s19, 0
	s_cmp_lg_u32 s0, 0
	s_cselect_b32 s0, s29, s1
	s_cselect_b32 s1, s30, s26
	s_cmp_lg_u64 vcc, 0
	s_subb_u32 s26, s27, s28
	s_cmp_ge_u32 s26, s23
	v_readfirstlane_b32 s28, v1
	s_cselect_b32 s27, -1, 0
	s_cmp_ge_u32 s28, s22
	s_cselect_b32 s22, -1, 0
	s_cmp_eq_u32 s26, s23
	s_cselect_b32 s22, s22, s27
	s_cmp_lg_u32 s22, 0
	s_cselect_b32 s1, s1, s19
	s_cselect_b32 s0, s0, s7
	s_xor_b64 s[14:15], s[24:25], s[14:15]
	s_load_dwordx4 s[24:27], s[4:5], 0x1d0
	s_xor_b64 s[0:1], s[0:1], s[14:15]
	s_sub_u32 s14, s0, s14
	s_subb_u32 s15, s1, s15
	s_branch .LBB30_16
.LBB30_12:
                                        ; implicit-def: $sgpr2_sgpr3
	s_branch .LBB30_3
.LBB30_13:
                                        ; implicit-def: $sgpr20_sgpr21
	s_load_dwordx4 s[24:27], s[4:5], 0x1d0
	s_branch .LBB30_6
.LBB30_14:
                                        ; implicit-def: $sgpr30_sgpr31
	s_branch .LBB30_9
.LBB30_15:
	s_mov_b64 s[12:13], -1
                                        ; implicit-def: $sgpr14_sgpr15
.LBB30_16:
	s_load_dwordx4 s[28:31], s[4:5], 0x370
	s_andn2_b64 vcc, exec, s[12:13]
	s_waitcnt lgkmcnt(0)
	v_writelane_b32 v66, s28, 6
	v_writelane_b32 v66, s29, 7
	;; [unrolled: 1-line block ×4, first 2 shown]
	s_cbranch_vccnz .LBB30_18
; %bb.17:
	v_cvt_f32_u32_e32 v1, s24
	s_sub_i32 s0, 0, s24
	v_readlane_b32 s12, v66, 4
	s_mov_b32 s15, 0
	v_rcp_iflag_f32_e32 v1, v1
	v_readlane_b32 s13, v66, 5
	v_mul_f32_e32 v1, 0x4f7ffffe, v1
	v_cvt_u32_f32_e32 v1, v1
	v_readfirstlane_b32 s1, v1
	s_mul_i32 s0, s0, s1
	s_mul_hi_u32 s0, s1, s0
	s_add_i32 s1, s1, s0
	s_mul_hi_u32 s0, s12, s1
	s_mul_i32 s7, s0, s24
	s_sub_i32 s7, s12, s7
	s_add_i32 s1, s0, 1
	s_sub_i32 s12, s7, s24
	s_cmp_ge_u32 s7, s24
	s_cselect_b32 s0, s1, s0
	s_cselect_b32 s7, s12, s7
	s_add_i32 s1, s0, 1
	s_cmp_ge_u32 s7, s24
	s_cselect_b32 s14, s1, s0
.LBB30_18:
	s_load_dwordx4 s[24:27], s[4:5], 0x370
	s_mov_b32 s0, 0
	v_writelane_b32 v66, s14, 10
	v_writelane_b32 v66, s15, 11
	s_waitcnt lgkmcnt(0)
	s_mov_b32 s1, s27
	s_cmp_lg_u64 s[0:1], 0
	s_cbranch_scc0 .LBB30_23
; %bb.19:
	s_ashr_i32 s12, s27, 31
	s_add_u32 s0, s26, s12
	s_mov_b32 s13, s12
	s_addc_u32 s1, s27, s12
	s_xor_b64 s[22:23], s[0:1], s[12:13]
	v_cvt_f32_u32_e32 v1, s22
	v_cvt_f32_u32_e32 v2, s23
	s_sub_u32 s0, 0, s22
	s_subb_u32 s1, 0, s23
	v_madmk_f32 v1, v2, 0x4f800000, v1
	v_rcp_f32_e32 v1, v1
	v_mul_f32_e32 v1, 0x5f7ffffc, v1
	v_mul_f32_e32 v2, 0x2f800000, v1
	v_trunc_f32_e32 v2, v2
	v_madmk_f32 v1, v2, 0xcf800000, v1
	v_cvt_u32_f32_e32 v2, v2
	v_cvt_u32_f32_e32 v1, v1
	v_readfirstlane_b32 s7, v2
	v_readfirstlane_b32 s19, v1
	s_mul_i32 s24, s0, s7
	s_mul_hi_u32 s26, s0, s19
	s_mul_i32 s25, s1, s19
	s_add_i32 s24, s26, s24
	s_add_i32 s24, s24, s25
	s_mul_i32 s27, s0, s19
	s_mul_hi_u32 s25, s19, s24
	s_mul_i32 s26, s19, s24
	s_mul_hi_u32 s19, s19, s27
	s_add_u32 s19, s19, s26
	s_addc_u32 s25, 0, s25
	s_mul_hi_u32 s28, s7, s27
	s_mul_i32 s27, s7, s27
	s_add_u32 s19, s19, s27
	s_mul_hi_u32 s26, s7, s24
	s_addc_u32 s19, s25, s28
	s_addc_u32 s25, s26, 0
	s_mul_i32 s24, s7, s24
	s_add_u32 s19, s19, s24
	s_addc_u32 s24, 0, s25
	v_add_co_u32_e32 v1, vcc, s19, v1
	s_cmp_lg_u64 vcc, 0
	s_addc_u32 s7, s7, s24
	v_readfirstlane_b32 s24, v1
	s_mul_i32 s19, s0, s7
	s_mul_hi_u32 s25, s0, s24
	s_add_i32 s19, s25, s19
	s_mul_i32 s1, s1, s24
	s_add_i32 s19, s19, s1
	s_mul_i32 s0, s0, s24
	s_mul_hi_u32 s25, s7, s0
	s_mul_i32 s26, s7, s0
	s_mul_i32 s28, s24, s19
	s_mul_hi_u32 s0, s24, s0
	s_mul_hi_u32 s27, s24, s19
	s_add_u32 s0, s0, s28
	s_addc_u32 s24, 0, s27
	s_add_u32 s0, s0, s26
	s_mul_hi_u32 s1, s7, s19
	s_addc_u32 s0, s24, s25
	s_addc_u32 s1, s1, 0
	s_mul_i32 s19, s7, s19
	s_add_u32 s0, s0, s19
	s_addc_u32 s1, 0, s1
	v_add_co_u32_e32 v1, vcc, s0, v1
	s_cmp_lg_u64 vcc, 0
	s_addc_u32 s7, s7, s1
	s_ashr_i32 s24, 0, 31
	s_add_u32 s0, s38, s24
	s_mov_b32 s25, s24
	s_addc_u32 s1, 0, s24
	s_xor_b64 s[26:27], s[0:1], s[24:25]
	v_readfirstlane_b32 s19, v1
	s_mul_i32 s1, s26, s7
	s_mul_hi_u32 s28, s26, s19
	s_mul_hi_u32 s0, s26, s7
	s_add_u32 s1, s28, s1
	s_addc_u32 s0, 0, s0
	s_mul_hi_u32 s29, s27, s19
	s_mul_i32 s19, s27, s19
	s_add_u32 s1, s1, s19
	s_mul_hi_u32 s28, s27, s7
	s_addc_u32 s0, s0, s29
	s_addc_u32 s1, s28, 0
	s_mul_i32 s7, s27, s7
	s_add_u32 s7, s0, s7
	s_addc_u32 s19, 0, s1
	s_mul_i32 s0, s22, s19
	s_mul_hi_u32 s1, s22, s7
	s_add_i32 s0, s1, s0
	s_mul_i32 s1, s23, s7
	s_add_i32 s28, s0, s1
	s_mul_i32 s1, s22, s7
	v_mov_b32_e32 v1, s1
	s_sub_i32 s0, s27, s28
	v_sub_co_u32_e32 v1, vcc, s26, v1
	s_cmp_lg_u64 vcc, 0
	s_subb_u32 s26, s0, s23
	v_subrev_co_u32_e64 v2, s[0:1], s22, v1
	s_cmp_lg_u64 s[0:1], 0
	s_subb_u32 s0, s26, 0
	s_cmp_ge_u32 s0, s23
	v_readfirstlane_b32 s26, v2
	s_cselect_b32 s1, -1, 0
	s_cmp_ge_u32 s26, s22
	s_cselect_b32 s26, -1, 0
	s_cmp_eq_u32 s0, s23
	s_cselect_b32 s0, s26, s1
	s_add_u32 s1, s7, 1
	s_addc_u32 s26, s19, 0
	s_add_u32 s29, s7, 2
	s_addc_u32 s30, s19, 0
	s_cmp_lg_u32 s0, 0
	s_cselect_b32 s0, s29, s1
	s_cselect_b32 s1, s30, s26
	s_cmp_lg_u64 vcc, 0
	s_subb_u32 s26, s27, s28
	s_cmp_ge_u32 s26, s23
	v_readfirstlane_b32 s28, v1
	s_cselect_b32 s27, -1, 0
	s_cmp_ge_u32 s28, s22
	s_cselect_b32 s22, -1, 0
	s_cmp_eq_u32 s26, s23
	s_cselect_b32 s22, s22, s27
	s_cmp_lg_u32 s22, 0
	s_cselect_b32 s1, s1, s19
	s_cselect_b32 s0, s0, s7
	s_xor_b64 s[12:13], s[24:25], s[12:13]
	s_load_dwordx4 s[24:27], s[4:5], 0x370
	s_xor_b64 s[0:1], s[0:1], s[12:13]
	s_sub_u32 s36, s0, s12
	s_subb_u32 s37, s1, s13
	s_cbranch_execnz .LBB30_21
.LBB30_20:
	s_waitcnt lgkmcnt(0)
	v_cvt_f32_u32_e32 v1, s26
	s_sub_i32 s0, 0, s26
	s_mov_b32 s37, 0
	v_rcp_iflag_f32_e32 v1, v1
	v_mul_f32_e32 v1, 0x4f7ffffe, v1
	v_cvt_u32_f32_e32 v1, v1
	v_readfirstlane_b32 s1, v1
	s_mul_i32 s0, s0, s1
	s_mul_hi_u32 s0, s1, s0
	s_add_i32 s1, s1, s0
	s_mul_hi_u32 s0, s38, s1
	s_mul_i32 s7, s0, s26
	s_sub_i32 s7, s38, s7
	s_add_i32 s1, s0, 1
	s_sub_i32 s12, s7, s26
	s_cmp_ge_u32 s7, s26
	s_cselect_b32 s0, s1, s0
	s_cselect_b32 s7, s12, s7
	s_add_i32 s1, s0, 1
	s_cmp_ge_u32 s7, s26
	s_cselect_b32 s36, s1, s0
.LBB30_21:
	s_load_dwordx2 s[22:23], s[4:5], 0xe0
	s_load_dwordx4 s[12:15], s[4:5], 0xd0
	s_waitcnt lgkmcnt(0)
	s_or_b64 s[0:1], s[36:37], s[24:25]
	s_mov_b32 s0, 0
	s_cmp_lg_u64 s[0:1], 0
	v_writelane_b32 v66, s36, 12
	v_writelane_b32 v66, s37, 13
	s_cbranch_scc0 .LBB30_24
; %bb.22:
	s_ashr_i32 s26, s25, 31
	s_add_u32 s0, s24, s26
	s_mov_b32 s27, s26
	s_addc_u32 s1, s25, s26
	s_xor_b64 s[28:29], s[0:1], s[26:27]
	v_cvt_f32_u32_e32 v1, s28
	v_cvt_f32_u32_e32 v2, s29
	s_sub_u32 s0, 0, s28
	s_subb_u32 s1, 0, s29
	s_mov_b64 s[24:25], 0
	v_madmk_f32 v1, v2, 0x4f800000, v1
	v_rcp_f32_e32 v1, v1
	v_mul_f32_e32 v1, 0x5f7ffffc, v1
	v_mul_f32_e32 v2, 0x2f800000, v1
	v_trunc_f32_e32 v2, v2
	v_madmk_f32 v1, v2, 0xcf800000, v1
	v_cvt_u32_f32_e32 v2, v2
	v_cvt_u32_f32_e32 v1, v1
	v_readfirstlane_b32 s7, v2
	v_readfirstlane_b32 s19, v1
	s_mul_i32 s30, s0, s7
	s_mul_hi_u32 s33, s0, s19
	s_mul_i32 s31, s1, s19
	s_add_i32 s30, s33, s30
	s_add_i32 s30, s30, s31
	s_mul_i32 s34, s0, s19
	s_mul_hi_u32 s31, s19, s30
	s_mul_i32 s33, s19, s30
	s_mul_hi_u32 s19, s19, s34
	s_add_u32 s19, s19, s33
	s_addc_u32 s31, 0, s31
	s_mul_hi_u32 s35, s7, s34
	s_mul_i32 s34, s7, s34
	s_add_u32 s19, s19, s34
	s_mul_hi_u32 s33, s7, s30
	s_addc_u32 s19, s31, s35
	s_addc_u32 s31, s33, 0
	s_mul_i32 s30, s7, s30
	s_add_u32 s19, s19, s30
	s_addc_u32 s30, 0, s31
	v_add_co_u32_e32 v1, vcc, s19, v1
	s_cmp_lg_u64 vcc, 0
	s_addc_u32 s7, s7, s30
	v_readfirstlane_b32 s30, v1
	s_mul_i32 s19, s0, s7
	s_mul_hi_u32 s31, s0, s30
	s_add_i32 s19, s31, s19
	s_mul_i32 s1, s1, s30
	s_add_i32 s19, s19, s1
	s_mul_i32 s0, s0, s30
	s_mul_hi_u32 s31, s7, s0
	s_mul_i32 s33, s7, s0
	s_mul_i32 s35, s30, s19
	s_mul_hi_u32 s0, s30, s0
	s_mul_hi_u32 s34, s30, s19
	s_add_u32 s0, s0, s35
	s_addc_u32 s30, 0, s34
	s_add_u32 s0, s0, s33
	s_mul_hi_u32 s1, s7, s19
	s_addc_u32 s0, s30, s31
	s_addc_u32 s1, s1, 0
	s_mul_i32 s19, s7, s19
	s_add_u32 s0, s0, s19
	s_addc_u32 s1, 0, s1
	v_add_co_u32_e32 v1, vcc, s0, v1
	s_cmp_lg_u64 vcc, 0
	s_addc_u32 s7, s7, s1
	s_ashr_i32 s30, s37, 31
	s_add_u32 s0, s36, s30
	s_mov_b32 s31, s30
	s_addc_u32 s1, s37, s30
	s_xor_b64 s[34:35], s[0:1], s[30:31]
	v_readfirstlane_b32 s19, v1
	s_mul_i32 s1, s34, s7
	s_mul_hi_u32 s33, s34, s19
	s_mul_hi_u32 s0, s34, s7
	s_add_u32 s1, s33, s1
	s_addc_u32 s0, 0, s0
	s_mul_hi_u32 s36, s35, s19
	s_mul_i32 s19, s35, s19
	s_add_u32 s1, s1, s19
	s_mul_hi_u32 s33, s35, s7
	s_addc_u32 s0, s0, s36
	s_addc_u32 s1, s33, 0
	s_mul_i32 s7, s35, s7
	s_add_u32 s7, s0, s7
	s_addc_u32 s19, 0, s1
	s_mul_i32 s0, s28, s19
	s_mul_hi_u32 s1, s28, s7
	s_add_i32 s0, s1, s0
	s_mul_i32 s1, s29, s7
	s_add_i32 s33, s0, s1
	s_mul_i32 s1, s28, s7
	v_mov_b32_e32 v1, s1
	s_sub_i32 s0, s35, s33
	v_sub_co_u32_e32 v1, vcc, s34, v1
	s_cmp_lg_u64 vcc, 0
	s_subb_u32 s34, s0, s29
	v_subrev_co_u32_e64 v2, s[0:1], s28, v1
	s_cmp_lg_u64 s[0:1], 0
	s_subb_u32 s0, s34, 0
	s_cmp_ge_u32 s0, s29
	v_readfirstlane_b32 s34, v2
	s_cselect_b32 s1, -1, 0
	s_cmp_ge_u32 s34, s28
	s_cselect_b32 s34, -1, 0
	s_cmp_eq_u32 s0, s29
	s_cselect_b32 s0, s34, s1
	s_add_u32 s1, s7, 1
	s_addc_u32 s34, s19, 0
	s_add_u32 s36, s7, 2
	s_addc_u32 s37, s19, 0
	s_cmp_lg_u32 s0, 0
	s_cselect_b32 s0, s36, s1
	s_cselect_b32 s1, s37, s34
	s_cmp_lg_u64 vcc, 0
	s_subb_u32 s33, s35, s33
	s_cmp_ge_u32 s33, s29
	v_readfirstlane_b32 s35, v1
	s_cselect_b32 s34, -1, 0
	s_cmp_ge_u32 s35, s28
	s_cselect_b32 s28, -1, 0
	s_cmp_eq_u32 s33, s29
	s_cselect_b32 s28, s28, s34
	s_cmp_lg_u32 s28, 0
	s_cselect_b32 s1, s1, s19
	s_cselect_b32 s0, s0, s7
	s_xor_b64 s[26:27], s[30:31], s[26:27]
	s_xor_b64 s[0:1], s[0:1], s[26:27]
	s_sub_u32 s0, s0, s26
	s_subb_u32 s1, s1, s27
	v_writelane_b32 v66, s0, 26
	v_writelane_b32 v66, s1, 27
	s_branch .LBB30_25
.LBB30_23:
                                        ; implicit-def: $sgpr36_sgpr37
	s_branch .LBB30_20
.LBB30_24:
	s_mov_b64 s[24:25], -1
                                        ; implicit-def: $sgpr0_sgpr1
                                        ; kill: killed $sgpr0_sgpr1
.LBB30_25:
	s_load_dwordx2 s[0:1], s[4:5], 0x440
	s_load_dwordx4 s[28:31], s[4:5], 0x430
	s_andn2_b64 vcc, exec, s[24:25]
	s_waitcnt lgkmcnt(0)
	v_writelane_b32 v66, s0, 14
	v_writelane_b32 v66, s1, 15
	s_load_dwordx2 s[0:1], s[4:5], 0x2a0
	v_writelane_b32 v66, s28, 16
	v_writelane_b32 v66, s29, 17
	v_writelane_b32 v66, s30, 18
	v_writelane_b32 v66, s31, 19
	s_load_dwordx4 s[28:31], s[4:5], 0x290
	s_waitcnt lgkmcnt(0)
	v_writelane_b32 v66, s0, 20
	v_writelane_b32 v66, s1, 21
	s_load_dwordx2 s[0:1], s[4:5], 0x0
	v_writelane_b32 v66, s28, 22
	v_writelane_b32 v66, s29, 23
	v_writelane_b32 v66, s30, 24
	v_writelane_b32 v66, s31, 25
	s_cbranch_vccnz .LBB30_27
; %bb.26:
	s_load_dwordx4 s[28:31], s[4:5], 0x370
	v_readlane_b32 s26, v66, 12
	s_waitcnt lgkmcnt(0)
	s_mov_b32 s29, 0
	v_readlane_b32 s27, v66, 13
	v_cvt_f32_u32_e32 v1, s28
	s_sub_i32 s7, 0, s28
	v_rcp_iflag_f32_e32 v1, v1
	v_mul_f32_e32 v1, 0x4f7ffffe, v1
	v_cvt_u32_f32_e32 v1, v1
	v_readfirstlane_b32 s19, v1
	s_mul_i32 s7, s7, s19
	s_mul_hi_u32 s7, s19, s7
	s_add_i32 s19, s19, s7
	s_mul_hi_u32 s7, s26, s19
	s_mul_i32 s24, s7, s28
	s_sub_i32 s24, s26, s24
	s_add_i32 s19, s7, 1
	s_sub_i32 s25, s24, s28
	s_cmp_ge_u32 s24, s28
	s_cselect_b32 s7, s19, s7
	s_cselect_b32 s24, s25, s24
	s_add_i32 s19, s7, 1
	s_cmp_ge_u32 s24, s28
	s_cselect_b32 s28, s19, s7
	v_writelane_b32 v66, s28, 26
	v_writelane_b32 v66, s29, 27
.LBB30_27:
	s_load_dwordx2 s[24:25], s[4:5], 0x360
	s_mov_b32 s95, 0
	s_load_dwordx2 s[4:5], s[4:5], 0x1c0
	s_waitcnt lgkmcnt(0)
	v_writelane_b32 v66, s24, 28
	v_writelane_b32 v66, s25, 29
	;; [unrolled: 1-line block ×4, first 2 shown]
	v_cmp_eq_u32_e64 s[24:25], 0, v0
	s_mov_b64 s[4:5], exec
	v_writelane_b32 v66, s24, 32
	v_writelane_b32 v66, s25, 33
	s_and_b64 s[24:25], s[4:5], s[24:25]
	s_mov_b64 exec, s[24:25]
	s_cbranch_execz .LBB30_29
; %bb.28:
	v_mov_b32_e32 v2, 0
	v_mov_b32_e32 v4, s56
	;; [unrolled: 1-line block ×4, first 2 shown]
	ds_write_b32 v2, v2 offset:5136
	ds_write_b128 v2, v[2:5] offset:5120
.LBB30_29:
	s_or_b64 exec, exec, s[4:5]
	s_mul_i32 s4, s20, s9
	s_mul_hi_u32 s5, s20, s8
	s_add_i32 s4, s5, s4
	s_mul_i32 s5, s21, s8
	s_add_i32 s4, s4, s5
	s_mul_i32 s5, s20, s8
	s_sub_u32 s7, s2, s5
	s_subb_u32 s4, s3, s4
	s_mul_i32 s5, s7, s15
	s_mul_hi_u32 s8, s7, s14
	s_add_i32 s5, s8, s5
	s_mul_i32 s4, s4, s14
	s_add_i32 s5, s5, s4
	s_mul_i32 s4, s7, s14
	s_mul_i32 s7, s20, s13
	s_mul_hi_u32 s8, s20, s12
	s_add_i32 s7, s8, s7
	s_mul_i32 s8, s21, s12
	s_add_i32 s9, s7, s8
	s_mul_i32 s7, s2, s11
	s_mul_hi_u32 s11, s2, s10
	s_add_i32 s7, s11, s7
	s_mul_i32 s3, s3, s10
	s_add_i32 s7, s7, s3
	s_mul_i32 s2, s2, s10
	s_mov_b32 s10, s38
	v_writelane_b32 v66, s10, 34
	s_sub_u32 s2, s38, s2
	v_writelane_b32 v66, s11, 35
	s_subb_u32 s3, 0, s7
	s_mul_i32 s7, s2, s23
	s_mul_hi_u32 s10, s2, s22
	s_mul_i32 s8, s20, s12
	s_add_i32 s7, s10, s7
	s_mul_i32 s3, s3, s22
	s_add_i32 s3, s7, s3
	s_lshl_b64 s[8:9], s[8:9], 3
	s_add_u32 s7, s0, s8
	s_addc_u32 s12, s1, s9
	s_lshl_b64 s[10:11], s[4:5], 3
	s_mul_i32 s2, s2, s22
	s_add_u32 s4, s7, s10
	v_mbcnt_lo_u32_b32 v1, -1, 0
	s_addc_u32 s5, s12, s11
	s_lshl_b64 s[12:13], s[2:3], 3
	v_mbcnt_hi_u32_b32 v40, -1, v1
	s_add_u32 s14, s4, s12
	v_cmp_gt_u32_e32 vcc, 64, v0
	v_cmp_gt_i32_e64 s[2:3], 4, v40
	s_addc_u32 s15, s5, s13
	s_and_b64 s[48:49], vcc, s[2:3]
	v_cmp_gt_u32_e64 s[2:3], 2, v0
	v_mov_b32_e32 v2, 0x180
	v_writelane_b32 v66, s2, 36
	v_mov_b32_e32 v3, 0
	v_mov_b32_e32 v19, 0
	v_writelane_b32 v66, s3, 37
	v_cmp_gt_i64_e64 s[2:3], s[56:57], v[2:3]
	v_mov_b32_e32 v1, v19
	v_writelane_b32 v66, s2, 38
	v_writelane_b32 v66, s3, 39
	v_cmp_gt_u64_e64 s[2:3], s[56:57], v[0:1]
	v_writelane_b32 v66, s2, 40
	v_writelane_b32 v66, s3, 41
	v_mad_u64_u32 v[2:3], s[2:3], v0, s62, 0
	v_mov_b32_e32 v4, v3
	v_mad_u64_u32 v[4:5], s[2:3], v0, s63, v[4:5]
	v_mov_b32_e32 v6, s15
	v_writelane_b32 v66, s14, 42
	v_writelane_b32 v66, s15, 43
	v_cmp_gt_i64_e64 s[2:3], s[56:57], v[0:1]
	v_writelane_b32 v66, s2, 44
	s_waitcnt lgkmcnt(0)
	s_barrier
	v_writelane_b32 v66, s3, 45
	s_load_dword s2, s[16:17], 0xc
	v_mov_b32_e32 v3, v4
	v_lshlrev_b64 v[4:5], 3, v[2:3]
	v_add_co_u32_e32 v20, vcc, s14, v4
	s_waitcnt lgkmcnt(0)
	s_and_b32 s33, s2, 0xffff
	s_bfe_u32 s3, s2, 0xa0006
	s_add_u32 s7, s33, -1
	v_cmp_gt_u16_e64 s[14:15], s2, 63
	s_addc_u32 s2, 0, -1
	v_writelane_b32 v66, s14, 46
	s_add_u32 s75, s7, s56
	v_writelane_b32 v66, s15, 47
	s_addc_u32 s73, s2, s57
	v_writelane_b32 v66, s7, 48
	s_cmp_lt_u32 s6, s18
	v_writelane_b32 v66, s2, 49
	s_cselect_b32 s2, 12, 18
	s_add_u32 s50, s16, s2
	s_addc_u32 s51, s17, 0
	s_add_i32 s2, s3, -1
	s_bfe_u32 s6, s33, 0x30006
	s_cmp_gt_u32 s2, 6
	s_cselect_b64 s[14:15], -1, 0
	v_writelane_b32 v66, s14, 50
	s_and_b32 s91, s3, 0x3f8
	v_writelane_b32 v66, s15, 51
	s_cmp_lg_u32 s6, 0
	v_writelane_b32 v66, s6, 52
	s_cselect_b64 s[2:3], -1, 0
	v_writelane_b32 v66, s2, 53
	v_writelane_b32 v66, s3, 54
	s_add_u32 s2, s8, s12
	v_addc_co_u32_e32 v21, vcc, v6, v5, vcc
	v_lshrrev_b32_e32 v6, 4, v0
	s_addc_u32 s3, s9, s13
	v_and_b32_e32 v43, 60, v6
	v_lshlrev_b32_e32 v6, 2, v40
	s_add_u32 s2, s2, s10
	v_and_b32_e32 v44, 0x100, v6
	v_lshlrev_b64 v[6:7], v40, -1
	s_addc_u32 s3, s3, s11
	v_lshlrev_b32_e32 v45, 5, v0
	v_not_b32_e32 v25, v7
	s_add_u32 s2, s0, s2
	v_or_b32_e32 v7, 24, v45
	s_addc_u32 s3, s1, s3
	v_mad_u64_u32 v[26:27], s[0:1], s62, v7, 0
	v_not_b32_e32 v24, v6
	v_mov_b32_e32 v6, v27
	v_mad_u64_u32 v[6:7], s[0:1], s63, v7, v[6:7]
	s_lshl_b64 s[0:1], s[62:63], 5
	v_writelane_b32 v66, s0, 55
	v_or_b32_e32 v7, 16, v45
	v_writelane_b32 v66, s1, 56
	v_mad_u64_u32 v[28:29], s[0:1], s62, v7, 0
	v_mov_b32_e32 v27, v6
	v_mov_b32_e32 v6, v29
	v_mad_u64_u32 v[6:7], s[0:1], s63, v7, v[6:7]
	v_or_b32_e32 v7, 8, v45
	v_lshlrev_b64 v[32:33], 5, v[2:3]
	v_mov_b32_e32 v2, s57
	v_add_co_u32_e32 v46, vcc, s56, v0
	v_mad_u64_u32 v[30:31], s[0:1], s62, v7, 0
	v_addc_co_u32_e32 v47, vcc, 0, v2, vcc
	v_mov_b32_e32 v2, 0xc00
	v_mov_b32_e32 v29, v6
	;; [unrolled: 1-line block ×3, first 2 shown]
	v_lshl_or_b32 v48, v40, 3, v2
	v_mov_b32_e32 v2, s3
	v_writelane_b32 v66, s2, 57
	v_mad_u64_u32 v[6:7], s[0:1], s63, v7, v[6:7]
	v_writelane_b32 v66, s3, 58
	s_mul_i32 s0, s63, s33
	s_mul_hi_u32 s1, s62, s33
	v_writelane_b32 v66, s48, 59
	v_lshlrev_b32_e32 v41, 3, v0
	v_add_co_u32_e32 v16, vcc, s2, v4
	s_add_i32 s1, s1, s0
	s_mul_i32 s0, s62, s33
	v_writelane_b32 v66, s49, 60
	v_cmp_eq_u32_e64 s[4:5], 0, v40
	v_add_u32_e32 v42, 0xc00, v41
	v_lshlrev_b32_e32 v22, 2, v0
	v_mov_b32_e32 v23, v19
	s_mov_b32 s90, s95
	s_lshl_b64 s[84:85], s[62:63], 3
	v_mov_b32_e32 v31, v6
	v_addc_co_u32_e32 v17, vcc, v2, v5, vcc
	s_lshl_b64 s[88:89], s[0:1], 3
	s_lshl_b32 s86, s33, 3
	s_mov_b32 s87, 62
	s_mov_b64 s[66:67], 0
	v_pk_mov_b32 v[6:7], 0, 0
	v_mov_b32_e32 v2, 1
	v_cvt_f32_ubyte0_e32 v49, 0
	s_mov_b32 s74, 0
	s_mov_b64 s[54:55], 0
	s_mov_b64 s[78:79], 0
	v_writelane_b32 v66, s50, 61
                                        ; implicit-def: $sgpr68_sgpr69
                                        ; implicit-def: $sgpr60_sgpr61
                                        ; implicit-def: $sgpr70_sgpr71
                                        ; implicit-def: $sgpr82_sgpr83
                                        ; implicit-def: $sgpr10_sgpr11
                                        ; implicit-def: $sgpr76_sgpr77
	v_writelane_b32 v66, s51, 62
	s_branch .LBB30_34
.LBB30_30:                              ;   in Loop: Header=BB30_34 Depth=1
	s_xor_b32 s74, s74, 1
	s_add_i32 s8, s87, -2
	s_cmp_eq_u32 s87, 0
	s_mov_b64 s[2:3], 0
	s_cselect_b64 s[6:7], -1, 0
	s_mov_b32 s87, s8
.LBB30_31:                              ;   in Loop: Header=BB30_34 Depth=1
	s_andn2_b64 s[8:9], s[24:25], exec
	s_and_b64 s[2:3], s[2:3], exec
	s_or_b64 s[24:25], s[8:9], s[2:3]
	s_andn2_b64 s[26:27], s[26:27], exec
	s_andn2_b64 s[22:23], s[22:23], exec
	s_orn2_b64 s[16:17], s[6:7], exec
.LBB30_32:                              ;   in Loop: Header=BB30_34 Depth=1
	s_or_b64 exec, exec, s[0:1]
	s_andn2_b64 s[0:1], s[76:77], exec
	s_and_b64 s[2:3], s[24:25], exec
	s_or_b64 s[76:77], s[0:1], s[2:3]
	s_andn2_b64 s[0:1], s[10:11], exec
	s_and_b64 s[2:3], s[26:27], exec
	s_or_b64 s[10:11], s[0:1], s[2:3]
	;; [unrolled: 3-line block ×3, first 2 shown]
	s_orn2_b64 s[16:17], s[16:17], exec
.LBB30_33:                              ;   in Loop: Header=BB30_34 Depth=1
	s_or_b64 exec, exec, s[14:15]
	s_and_b64 s[0:1], exec, s[16:17]
	s_or_b64 s[66:67], s[0:1], s[66:67]
	s_andn2_b64 s[0:1], s[70:71], exec
	s_and_b64 s[2:3], s[76:77], exec
	s_or_b64 s[70:71], s[0:1], s[2:3]
	s_andn2_b64 s[0:1], s[60:61], exec
	s_and_b64 s[2:3], s[10:11], exec
	;; [unrolled: 3-line block ×3, first 2 shown]
	s_waitcnt vmcnt(0)
	v_pk_mov_b32 v[4:5], s[54:55], s[54:55] op_sel:[0,1]
	s_or_b64 s[68:69], s[0:1], s[2:3]
	s_andn2_b64 exec, exec, s[66:67]
	s_cbranch_execz .LBB30_304
.LBB30_34:                              ; =>This Loop Header: Depth=1
                                        ;     Child Loop BB30_42 Depth 2
                                        ;     Child Loop BB30_61 Depth 2
	;; [unrolled: 1-line block ×16, first 2 shown]
	ds_read_b128 v[8:11], v19 offset:5120
	s_waitcnt lgkmcnt(0)
	v_readfirstlane_b32 s1, v9
	v_readfirstlane_b32 s0, v8
	v_cmp_gt_i64_e64 s[2:3], s[0:1], 0
	s_and_b64 vcc, exec, s[2:3]
	s_cbranch_vccnz .LBB30_68
; %bb.35:                               ;   in Loop: Header=BB30_34 Depth=1
	v_readlane_b32 s2, v66, 38
	v_readlane_b32 s3, v66, 39
	s_and_b64 vcc, exec, s[2:3]
	s_cbranch_vccz .LBB30_50
; %bb.36:                               ;   in Loop: Header=BB30_34 Depth=1
	s_mov_b64 s[2:3], 0x181
	v_cmp_gt_i64_e32 vcc, s[2:3], v[10:11]
	s_mov_b64 s[2:3], 0
	s_mov_b64 s[6:7], 0
	s_cbranch_vccz .LBB30_55
; %bb.37:                               ;   in Loop: Header=BB30_34 Depth=1
	v_pk_mov_b32 v[4:5], 0, 0
	s_mov_b64 s[0:1], exec
	v_readlane_b32 s6, v66, 40
	v_readlane_b32 s7, v66, 41
	s_and_b64 s[6:7], s[0:1], s[6:7]
	s_mov_b64 exec, s[6:7]
	s_cbranch_execz .LBB30_39
; %bb.38:                               ;   in Loop: Header=BB30_34 Depth=1
	global_load_dwordx2 v[4:5], v[20:21], off
.LBB30_39:                              ;   in Loop: Header=BB30_34 Depth=1
	s_or_b64 exec, exec, s[0:1]
	s_mov_b64 s[0:1], exec
	v_readlane_b32 s6, v66, 40
	v_readlane_b32 s7, v66, 41
	s_and_b64 s[6:7], s[0:1], s[6:7]
	s_mov_b64 exec, s[6:7]
	s_cbranch_execz .LBB30_51
; %bb.40:                               ;   in Loop: Header=BB30_34 Depth=1
	global_load_ushort v3, v19, s[50:51]
	v_readlane_b32 s6, v66, 57
	v_readlane_b32 s7, v66, 58
	v_pk_mov_b32 v[8:9], s[6:7], s[6:7] op_sel:[0,1]
	s_mov_b64 s[8:9], 0
	s_waitcnt vmcnt(0)
	v_readfirstlane_b32 s6, v3
	s_and_b32 s6, 0xffff, s6
	v_add_u32_e32 v11, s6, v0
	s_mul_i32 s12, s85, s6
	s_mul_hi_u32 s13, s84, s6
	s_mul_i32 s20, s84, s6
	v_mad_u64_u32 v[8:9], s[6:7], s84, v11, v[8:9]
	v_mov_b32_e32 v10, v9
	v_mad_u64_u32 v[10:11], s[6:7], s85, v11, v[10:11]
	s_add_i32 s21, s13, s12
	v_mov_b32_e32 v9, v10
	v_pk_mov_b32 v[10:11], v[0:1], v[0:1] op_sel:[0,1]
	s_branch .LBB30_42
.LBB30_41:                              ;   in Loop: Header=BB30_42 Depth=2
	s_or_b64 exec, exec, s[6:7]
	v_mov_b32_e32 v4, s21
	v_add_co_u32_e32 v8, vcc, s20, v8
	v_addc_co_u32_e32 v9, vcc, v9, v4, vcc
	s_waitcnt vmcnt(0)
	v_pk_mov_b32 v[4:5], v[12:13], v[12:13] op_sel:[0,1]
	s_andn2_b64 exec, exec, s[8:9]
	s_cbranch_execz .LBB30_51
.LBB30_42:                              ;   Parent Loop BB30_34 Depth=1
                                        ; =>  This Inner Loop Header: Depth=2
	v_add_co_u32_sdwa v10, vcc, v10, v3 dst_sel:DWORD dst_unused:UNUSED_PAD src0_sel:DWORD src1_sel:WORD_0
	v_addc_co_u32_e32 v11, vcc, 0, v11, vcc
	v_cmp_gt_i64_e64 s[6:7], s[56:57], v[10:11]
	v_cmp_le_i64_e32 vcc, s[56:57], v[10:11]
	v_pk_mov_b32 v[12:13], 0, 0
	s_and_saveexec_b64 s[12:13], s[6:7]
	s_cbranch_execz .LBB30_44
; %bb.43:                               ;   in Loop: Header=BB30_42 Depth=2
	global_load_dwordx2 v[12:13], v[8:9], off
.LBB30_44:                              ;   in Loop: Header=BB30_42 Depth=2
	s_or_b64 exec, exec, s[12:13]
	s_waitcnt lgkmcnt(0)
	v_xor_b32_e32 v14, 0x80000000, v5
	v_and_b32_e32 v15, s79, v14
	v_and_b32_e32 v14, s78, v4
	v_cmp_eq_u64_e64 s[12:13], s[54:55], v[14:15]
	s_cmp_lg_u64 s[12:13], 0
	s_cselect_b64 s[6:7], -1, 0
	s_and_b64 s[6:7], s[4:5], s[6:7]
	v_mov_b32_e32 v14, 0
	s_and_saveexec_b64 s[14:15], s[6:7]
	s_cbranch_execz .LBB30_48
; %bb.45:                               ;   in Loop: Header=BB30_42 Depth=2
	s_mov_b64 s[18:19], exec
	v_mbcnt_lo_u32_b32 v14, s18, 0
	v_mbcnt_hi_u32_b32 v14, s19, v14
	s_bcnt1_i32_b64 s22, s[12:13]
	v_cmp_eq_u32_e64 s[6:7], 0, v14
                                        ; implicit-def: $vgpr15
	s_and_saveexec_b64 s[16:17], s[6:7]
	s_cbranch_execz .LBB30_47
; %bb.46:                               ;   in Loop: Header=BB30_42 Depth=2
	s_bcnt1_i32_b64 s6, s[18:19]
	s_mul_i32 s6, s22, s6
	v_mov_b32_e32 v15, s6
	ds_add_rtn_u32 v15, v19, v15 offset:5136
.LBB30_47:                              ;   in Loop: Header=BB30_42 Depth=2
	s_or_b64 exec, exec, s[16:17]
	s_waitcnt lgkmcnt(0)
	v_readfirstlane_b32 s6, v15
	v_mov_b32_e32 v15, s6
	v_mad_u32_u24 v14, s22, v14, v15
.LBB30_48:                              ;   in Loop: Header=BB30_42 Depth=2
	s_or_b64 exec, exec, s[14:15]
	ds_bpermute_b32 v14, v44, v14
	s_and_b64 s[6:7], exec, vcc
	s_or_b64 s[8:9], s[6:7], s[8:9]
	s_and_saveexec_b64 s[6:7], s[12:13]
	s_cbranch_execz .LBB30_41
; %bb.49:                               ;   in Loop: Header=BB30_42 Depth=2
	v_and_b32_e32 v18, s12, v24
	v_and_b32_e32 v15, s13, v25
	v_bcnt_u32_b32 v18, v18, 0
	v_bcnt_u32_b32 v15, v15, v18
	v_lshlrev_b32_e32 v15, 3, v15
	s_waitcnt lgkmcnt(0)
	v_lshl_add_u32 v14, v14, 3, v15
	ds_write_b64 v14, v[4:5]
	s_branch .LBB30_41
.LBB30_50:                              ;   in Loop: Header=BB30_34 Depth=1
	s_mov_b64 s[2:3], -1
	s_mov_b64 s[6:7], 0
	s_branch .LBB30_54
.LBB30_51:                              ;   in Loop: Header=BB30_34 Depth=1
	s_or_b64 exec, exec, s[0:1]
	s_waitcnt lgkmcnt(0)
	s_barrier
	s_mov_b64 s[0:1], exec
	v_readlane_b32 s6, v66, 32
	v_readlane_b32 s7, v66, 33
	s_and_b64 s[6:7], s[0:1], s[6:7]
	s_mov_b64 exec, s[6:7]
	s_cbranch_execz .LBB30_53
; %bb.52:                               ;   in Loop: Header=BB30_34 Depth=1
	s_waitcnt vmcnt(0)
	ds_read_b32 v4, v19 offset:5136
	s_waitcnt lgkmcnt(0)
	v_ashrrev_i32_e32 v5, 31, v4
	ds_write_b64 v19, v[4:5] offset:5120
.LBB30_53:                              ;   in Loop: Header=BB30_34 Depth=1
	s_or_b64 exec, exec, s[0:1]
	s_waitcnt lgkmcnt(0)
	s_barrier
	s_mov_b64 s[6:7], -1
.LBB30_54:                              ;   in Loop: Header=BB30_34 Depth=1
                                        ; implicit-def: $sgpr0_sgpr1
.LBB30_55:                              ;   in Loop: Header=BB30_34 Depth=1
	s_and_b64 vcc, exec, s[2:3]
	s_cbranch_vccz .LBB30_66
; %bb.56:                               ;   in Loop: Header=BB30_34 Depth=1
	s_waitcnt vmcnt(0)
	v_pk_mov_b32 v[4:5], 0, 0
	s_mov_b64 s[0:1], exec
	v_readlane_b32 s2, v66, 44
	v_readlane_b32 s3, v66, 45
	s_and_b64 s[2:3], s[0:1], s[2:3]
	s_mov_b64 exec, s[2:3]
	s_cbranch_execz .LBB30_58
; %bb.57:                               ;   in Loop: Header=BB30_34 Depth=1
	global_load_dwordx2 v[4:5], v[20:21], off
.LBB30_58:                              ;   in Loop: Header=BB30_34 Depth=1
	s_or_b64 exec, exec, s[0:1]
	s_mov_b64 s[0:1], exec
	v_readlane_b32 s2, v66, 44
	v_readlane_b32 s3, v66, 45
	s_and_b64 s[2:3], s[0:1], s[2:3]
	s_mov_b64 exec, s[2:3]
	s_cbranch_execz .LBB30_63
; %bb.59:                               ;   in Loop: Header=BB30_34 Depth=1
	global_load_ushort v3, v19, s[50:51]
	v_readlane_b32 s2, v66, 57
	v_readlane_b32 s3, v66, 58
	v_pk_mov_b32 v[8:9], s[2:3], s[2:3] op_sel:[0,1]
	s_mov_b64 s[2:3], 0
	v_mov_b32_e32 v14, v41
	s_waitcnt vmcnt(0)
	v_readfirstlane_b32 s6, v3
	s_and_b32 s6, 0xffff, s6
	v_add_u32_e32 v11, s6, v0
	s_lshl_b32 s12, s6, 3
	s_mul_i32 s8, s85, s6
	s_mul_hi_u32 s9, s84, s6
	s_mul_i32 s13, s84, s6
	v_mad_u64_u32 v[8:9], s[6:7], s84, v11, v[8:9]
	v_mov_b32_e32 v10, v9
	v_mad_u64_u32 v[10:11], s[6:7], s85, v11, v[10:11]
	s_add_i32 s14, s9, s8
	v_mov_b32_e32 v9, v10
	v_pk_mov_b32 v[10:11], v[0:1], v[0:1] op_sel:[0,1]
	s_branch .LBB30_61
.LBB30_60:                              ;   in Loop: Header=BB30_61 Depth=2
	s_or_b64 exec, exec, s[8:9]
	s_and_b64 s[6:7], exec, vcc
	ds_write_b64 v14, v[4:5]
	v_mov_b32_e32 v4, s14
	v_add_co_u32_e32 v8, vcc, s13, v8
	s_or_b64 s[2:3], s[6:7], s[2:3]
	v_add_u32_e32 v14, s12, v14
	v_addc_co_u32_e32 v9, vcc, v9, v4, vcc
	s_waitcnt vmcnt(0)
	v_pk_mov_b32 v[4:5], v[12:13], v[12:13] op_sel:[0,1]
	s_andn2_b64 exec, exec, s[2:3]
	s_cbranch_execz .LBB30_63
.LBB30_61:                              ;   Parent Loop BB30_34 Depth=1
                                        ; =>  This Inner Loop Header: Depth=2
	v_add_co_u32_sdwa v10, vcc, v10, v3 dst_sel:DWORD dst_unused:UNUSED_PAD src0_sel:DWORD src1_sel:WORD_0
	v_addc_co_u32_e32 v11, vcc, 0, v11, vcc
	v_cmp_gt_i64_e64 s[6:7], s[56:57], v[10:11]
	v_cmp_le_i64_e32 vcc, s[56:57], v[10:11]
	v_pk_mov_b32 v[12:13], 0, 0
	s_and_saveexec_b64 s[8:9], s[6:7]
	s_cbranch_execz .LBB30_60
; %bb.62:                               ;   in Loop: Header=BB30_61 Depth=2
	global_load_dwordx2 v[12:13], v[8:9], off
	s_branch .LBB30_60
.LBB30_63:                              ;   in Loop: Header=BB30_34 Depth=1
	s_or_b64 exec, exec, s[0:1]
	s_waitcnt lgkmcnt(0)
	s_barrier
	s_mov_b64 s[0:1], exec
	v_readlane_b32 s2, v66, 32
	v_readlane_b32 s3, v66, 33
	s_and_b64 s[2:3], s[0:1], s[2:3]
	s_mov_b64 exec, s[2:3]
	s_cbranch_execz .LBB30_65
; %bb.64:                               ;   in Loop: Header=BB30_34 Depth=1
	s_waitcnt vmcnt(0)
	v_pk_mov_b32 v[4:5], s[56:57], s[56:57] op_sel:[0,1]
	ds_write_b64 v19, v[4:5] offset:5120
.LBB30_65:                              ;   in Loop: Header=BB30_34 Depth=1
	s_or_b64 exec, exec, s[0:1]
	s_mov_b64 s[6:7], -1
	s_waitcnt lgkmcnt(0)
	s_barrier
                                        ; implicit-def: $sgpr0_sgpr1
.LBB30_66:                              ;   in Loop: Header=BB30_34 Depth=1
	s_and_b64 vcc, exec, s[6:7]
	s_cbranch_vccz .LBB30_68
; %bb.67:                               ;   in Loop: Header=BB30_34 Depth=1
	s_waitcnt vmcnt(0)
	ds_read_b64 v[4:5], v19 offset:5120
	s_waitcnt lgkmcnt(0)
	v_readfirstlane_b32 s0, v4
.LBB30_68:                              ;   in Loop: Header=BB30_34 Depth=1
	s_cmp_lt_i32 s0, 1
	s_cbranch_scc0 .LBB30_83
; %bb.69:                               ;   in Loop: Header=BB30_34 Depth=1
	global_load_ushort v3, v19, s[50:51]
	s_mov_b32 s2, s95
	s_mov_b32 s3, s57
	s_waitcnt vmcnt(0)
	v_readfirstlane_b32 s1, v3
	s_and_b32 s1, 0xffff, s1
	s_lshl_b32 s1, s1, 2
	s_cmp_lg_u64 s[2:3], 0
	s_cbranch_scc0 .LBB30_103
; %bb.70:                               ;   in Loop: Header=BB30_34 Depth=1
	v_cvt_f32_u32_e32 v4, s1
	s_sub_u32 s2, 0, s1
	s_subb_u32 s3, 0, 0
	v_mac_f32_e32 v4, 0x4f800000, v49
	v_rcp_f32_e32 v4, v4
	v_mul_f32_e32 v4, 0x5f7ffffc, v4
	v_mul_f32_e32 v5, 0x2f800000, v4
	v_trunc_f32_e32 v5, v5
	v_mac_f32_e32 v4, 0xcf800000, v5
	v_cvt_u32_f32_e32 v5, v5
	v_cvt_u32_f32_e32 v4, v4
	v_readfirstlane_b32 s6, v5
	v_readfirstlane_b32 s7, v4
	s_mul_i32 s8, s2, s6
	s_mul_hi_u32 s12, s2, s7
	s_mul_i32 s9, s3, s7
	s_add_i32 s8, s12, s8
	s_mul_i32 s13, s2, s7
	s_add_i32 s8, s8, s9
	s_mul_hi_u32 s12, s7, s13
	s_mul_hi_u32 s9, s7, s8
	s_mul_i32 s7, s7, s8
	s_add_u32 s7, s12, s7
	s_addc_u32 s9, 0, s9
	s_mul_hi_u32 s14, s6, s13
	s_mul_i32 s13, s6, s13
	s_add_u32 s7, s7, s13
	s_mul_hi_u32 s12, s6, s8
	s_addc_u32 s7, s9, s14
	s_addc_u32 s9, s12, 0
	s_mul_i32 s8, s6, s8
	s_add_u32 s7, s7, s8
	s_addc_u32 s8, 0, s9
	v_add_co_u32_e32 v4, vcc, s7, v4
	s_cmp_lg_u64 vcc, 0
	s_addc_u32 s6, s6, s8
	v_readfirstlane_b32 s8, v4
	s_mul_i32 s7, s2, s6
	s_mul_hi_u32 s9, s2, s8
	s_add_i32 s7, s9, s7
	s_mul_i32 s3, s3, s8
	s_add_i32 s7, s7, s3
	s_mul_i32 s2, s2, s8
	s_mul_hi_u32 s9, s6, s2
	s_mul_i32 s12, s6, s2
	s_mul_i32 s14, s8, s7
	s_mul_hi_u32 s2, s8, s2
	s_mul_hi_u32 s13, s8, s7
	s_add_u32 s2, s2, s14
	s_addc_u32 s8, 0, s13
	s_add_u32 s2, s2, s12
	s_mul_hi_u32 s3, s6, s7
	s_addc_u32 s2, s8, s9
	s_addc_u32 s3, s3, 0
	s_mul_i32 s7, s6, s7
	s_add_u32 s2, s2, s7
	s_addc_u32 s3, 0, s3
	v_add_co_u32_e32 v4, vcc, s2, v4
	s_cmp_lg_u64 vcc, 0
	s_addc_u32 s8, s6, s3
	s_ashr_i32 s2, s57, 31
	s_add_u32 s6, s56, s2
	s_mov_b32 s3, s2
	s_addc_u32 s7, s57, s2
	s_xor_b64 s[6:7], s[6:7], s[2:3]
	v_readfirstlane_b32 s12, v4
	s_mul_i32 s9, s6, s8
	s_mul_hi_u32 s13, s6, s12
	s_mul_hi_u32 s3, s6, s8
	s_add_u32 s9, s13, s9
	s_addc_u32 s3, 0, s3
	s_mul_hi_u32 s14, s7, s12
	s_mul_i32 s12, s7, s12
	s_add_u32 s9, s9, s12
	s_mul_hi_u32 s13, s7, s8
	s_addc_u32 s3, s3, s14
	s_addc_u32 s9, s13, 0
	s_mul_i32 s8, s7, s8
	s_add_u32 s3, s3, s8
	s_addc_u32 s8, 0, s9
	s_mul_hi_u32 s9, s1, s3
	s_mul_i32 s3, s1, s3
	s_mul_i32 s8, s1, s8
	v_mov_b32_e32 v4, s3
	s_add_i32 s9, s9, s8
	v_sub_co_u32_e32 v4, vcc, s6, v4
	s_cmp_lg_u64 vcc, 0
	s_subb_u32 s3, s7, s9
	v_subrev_co_u32_e32 v5, vcc, s1, v4
	s_cmp_lg_u64 vcc, 0
	s_subb_u32 s6, s3, 0
	v_subrev_co_u32_e32 v8, vcc, s1, v5
	s_cmp_lg_u64 vcc, 0
	s_subb_u32 s7, s6, 0
	v_cmp_le_u32_e32 vcc, s1, v5
	s_cmp_eq_u32 s6, 0
	v_cndmask_b32_e64 v9, 0, -1, vcc
	s_cselect_b64 vcc, -1, 0
	v_cndmask_b32_e32 v9, -1, v9, vcc
	v_mov_b32_e32 v10, s6
	v_mov_b32_e32 v11, s7
	v_cmp_ne_u32_e32 vcc, 0, v9
	v_cndmask_b32_e32 v9, v10, v11, vcc
	v_cndmask_b32_e32 v5, v5, v8, vcc
	v_cmp_le_u32_e32 vcc, s1, v4
	s_cmp_eq_u32 s3, 0
	v_cndmask_b32_e64 v8, 0, -1, vcc
	s_cselect_b64 vcc, -1, 0
	v_cndmask_b32_e32 v8, -1, v8, vcc
	v_cmp_ne_u32_e32 vcc, 0, v8
	v_mov_b32_e32 v10, s3
	v_cndmask_b32_e32 v4, v4, v5, vcc
	v_cndmask_b32_e32 v8, v10, v9, vcc
	v_xor_b32_e32 v4, s2, v4
	v_xor_b32_e32 v5, s2, v8
	v_mov_b32_e32 v8, s2
	v_subrev_co_u32_e32 v4, vcc, s2, v4
	v_subb_co_u32_e32 v5, vcc, v5, v8, vcc
	s_cbranch_execnz .LBB30_72
.LBB30_71:                              ;   in Loop: Header=BB30_34 Depth=1
	v_cvt_f32_u32_e32 v4, s1
	s_sub_i32 s2, 0, s1
	v_rcp_iflag_f32_e32 v4, v4
	v_mul_f32_e32 v4, 0x4f7ffffe, v4
	v_cvt_u32_f32_e32 v4, v4
	v_mul_lo_u32 v5, s2, v4
	v_mul_hi_u32 v5, v4, v5
	v_add_u32_e32 v4, v4, v5
	v_mul_hi_u32 v4, s56, v4
	v_mul_lo_u32 v4, v4, s1
	v_sub_u32_e32 v4, s56, v4
	v_subrev_u32_e32 v5, s1, v4
	v_cmp_le_u32_e32 vcc, s1, v4
	v_cndmask_b32_e32 v4, v4, v5, vcc
	v_subrev_u32_e32 v5, s1, v4
	v_cmp_le_u32_e32 vcc, s1, v4
	v_cndmask_b32_e32 v18, v4, v5, vcc
	v_pk_mov_b32 v[4:5], v[18:19], v[18:19] op_sel:[0,1]
.LBB30_72:                              ;   in Loop: Header=BB30_34 Depth=1
	v_mov_b32_e32 v8, s57
	v_sub_co_u32_e32 v34, vcc, s56, v4
	v_subb_co_u32_e32 v35, vcc, v8, v5, vcc
	v_pk_mov_b32 v[8:9], 0, 0
	v_and_b32_e32 v3, 0xffff, v3
	v_cmp_gt_i64_e32 vcc, v[34:35], v[22:23]
	s_mov_b64 s[92:93], 0
	v_pk_mov_b32 v[10:11], v[8:9], v[8:9] op_sel:[0,1]
	v_pk_mov_b32 v[12:13], v[8:9], v[8:9] op_sel:[0,1]
	;; [unrolled: 1-line block ×3, first 2 shown]
	s_and_saveexec_b64 s[8:9], vcc
	s_cbranch_execz .LBB30_76
; %bb.73:                               ;   in Loop: Header=BB30_34 Depth=1
	v_readlane_b32 s2, v66, 55
	v_readlane_b32 s3, v66, 56
	v_mul_lo_u32 v8, s3, v3
	v_mul_hi_u32 v9, s2, v3
	v_mul_lo_u32 v51, s2, v3
	v_readlane_b32 s2, v66, 42
	v_readlane_b32 s3, v66, 43
	s_and_b32 s72, s87, 0xfe
	v_add_u32_e32 v50, v9, v8
	v_pk_mov_b32 v[36:37], s[2:3], s[2:3] op_sel:[0,1]
	s_mov_b64 s[2:3], 0
	s_mov_b64 s[80:81], 0
	;; [unrolled: 1-line block ×4, first 2 shown]
	v_pk_mov_b32 v[38:39], v[22:23], v[22:23] op_sel:[0,1]
.LBB30_74:                              ;   Parent Loop BB30_34 Depth=1
                                        ; =>  This Inner Loop Header: Depth=2
	v_add_co_u32_e32 v14, vcc, v36, v32
	v_addc_co_u32_e32 v15, vcc, v37, v33, vcc
	v_add_co_u32_e32 v52, vcc, v36, v30
	v_addc_co_u32_e32 v53, vcc, v37, v31, vcc
	;; [unrolled: 2-line block ×4, first 2 shown]
	global_load_dwordx2 v[14:15], v[14:15], off
	s_nop 0
	global_load_dwordx2 v[52:53], v[52:53], off
	s_nop 0
	;; [unrolled: 2-line block ×3, first 2 shown]
	global_load_dwordx2 v[56:57], v[56:57], off
	v_mov_b32_e32 v9, v19
	v_mov_b32_e32 v11, v19
	v_mov_b32_e32 v13, v19
	v_add_co_u32_e32 v38, vcc, s1, v38
	v_addc_co_u32_e32 v39, vcc, 0, v39, vcc
	v_add_co_u32_e32 v36, vcc, v36, v51
	v_addc_co_u32_e32 v37, vcc, v37, v50, vcc
	v_cmp_ge_i64_e32 vcc, v[38:39], v[34:35]
	s_waitcnt vmcnt(3)
	v_xor_b32_e32 v15, 0x80000000, v15
	s_waitcnt vmcnt(2)
	v_xor_b32_e32 v53, 0x80000000, v53
	v_and_b32_e32 v58, s78, v14
	v_and_b32_e32 v59, s79, v15
	v_lshrrev_b64 v[14:15], s72, v[14:15]
	s_waitcnt vmcnt(1)
	v_xor_b32_e32 v55, 0x80000000, v55
	v_and_b32_e32 v60, s78, v52
	v_and_b32_e32 v61, s79, v53
	v_lshrrev_b64 v[52:53], s72, v[52:53]
	v_and_b32_e32 v18, 3, v14
	s_waitcnt vmcnt(0)
	v_xor_b32_e32 v57, 0x80000000, v57
	v_and_b32_e32 v62, s78, v54
	v_and_b32_e32 v63, s79, v55
	v_lshrrev_b64 v[54:55], s72, v[54:55]
	v_cmp_eq_u64_e64 s[18:19], s[54:55], v[58:59]
	v_and_b32_e32 v8, 3, v52
	v_cmp_eq_u64_e64 s[6:7], 0, v[18:19]
	v_and_b32_e32 v64, s78, v56
	v_and_b32_e32 v65, s79, v57
	v_lshrrev_b64 v[56:57], s72, v[56:57]
	v_cmp_eq_u64_e64 s[16:17], s[54:55], v[60:61]
	v_and_b32_e32 v10, 3, v54
	v_cmp_eq_u64_e64 s[30:31], 0, v[8:9]
	s_and_b64 s[6:7], s[18:19], s[6:7]
	v_cmp_eq_u64_e64 s[14:15], s[54:55], v[62:63]
	v_and_b32_e32 v12, 3, v56
	v_cmp_eq_u64_e64 s[34:35], 0, v[10:11]
	v_cmp_eq_u64_e64 s[40:41], 1, v[8:9]
	;; [unrolled: 1-line block ×4, first 2 shown]
	v_cndmask_b32_e64 v8, 0, 1, s[6:7]
	s_and_b64 s[6:7], s[16:17], s[30:31]
	v_cmp_eq_u64_e64 s[12:13], s[54:55], v[64:65]
	v_cmp_eq_u64_e64 s[36:37], 0, v[12:13]
	v_cndmask_b32_e64 v9, 0, 1, s[6:7]
	s_and_b64 s[6:7], s[14:15], s[34:35]
	v_cmp_eq_u64_e64 s[42:43], 1, v[10:11]
	v_cmp_eq_u64_e64 s[50:51], 2, v[10:11]
	;; [unrolled: 1-line block ×3, first 2 shown]
	v_cndmask_b32_e64 v10, 0, 1, s[6:7]
	s_and_b64 s[6:7], s[12:13], s[36:37]
	v_cndmask_b32_e64 v11, 0, 1, s[6:7]
	v_cmp_ne_u32_e64 s[6:7], 0, v8
	v_cmp_ne_u32_e64 s[30:31], 0, v9
	;; [unrolled: 1-line block ×4, first 2 shown]
	s_bcnt1_i32_b64 s6, s[6:7]
	s_bcnt1_i32_b64 s7, s[30:31]
	;; [unrolled: 1-line block ×4, first 2 shown]
	s_add_u32 s6, s6, s64
	s_addc_u32 s34, 0, s65
	s_add_u32 s6, s6, s7
	s_addc_u32 s7, s34, 0
	;; [unrolled: 2-line block ×3, first 2 shown]
	v_cmp_eq_u64_e64 s[38:39], 1, v[18:19]
	s_add_u32 s64, s6, s31
	s_addc_u32 s65, s7, 0
	s_and_b64 s[6:7], s[18:19], s[38:39]
	v_cndmask_b32_e64 v10, 0, 1, s[6:7]
	s_and_b64 s[6:7], s[16:17], s[40:41]
	v_cmp_eq_u64_e64 s[44:45], 1, v[12:13]
	v_cndmask_b32_e64 v11, 0, 1, s[6:7]
	s_and_b64 s[6:7], s[14:15], s[42:43]
	v_cmp_eq_u64_e64 s[52:53], 2, v[12:13]
	v_cmp_eq_u64_e64 s[20:21], 3, v[12:13]
	v_cndmask_b32_e64 v12, 0, 1, s[6:7]
	s_and_b64 s[6:7], s[12:13], s[44:45]
	v_cndmask_b32_e64 v13, 0, 1, s[6:7]
	v_cmp_ne_u32_e64 s[6:7], 0, v10
	v_cmp_ne_u32_e64 s[30:31], 0, v11
	;; [unrolled: 1-line block ×4, first 2 shown]
	s_bcnt1_i32_b64 s6, s[6:7]
	s_bcnt1_i32_b64 s7, s[30:31]
	;; [unrolled: 1-line block ×4, first 2 shown]
	s_add_u32 s6, s6, s28
	s_addc_u32 s28, 0, s29
	s_add_u32 s6, s6, s7
	s_addc_u32 s7, s28, 0
	;; [unrolled: 2-line block ×3, first 2 shown]
	v_cmp_eq_u64_e64 s[46:47], 2, v[18:19]
	s_add_u32 s28, s6, s31
	s_addc_u32 s29, s7, 0
	s_and_b64 s[6:7], s[18:19], s[46:47]
	v_cndmask_b32_e64 v12, 0, 1, s[6:7]
	s_and_b64 s[6:7], s[16:17], s[48:49]
	v_cndmask_b32_e64 v13, 0, 1, s[6:7]
	;; [unrolled: 2-line block ×4, first 2 shown]
	v_cmp_ne_u32_e64 s[6:7], 0, v12
	v_cmp_ne_u32_e64 s[30:31], 0, v13
	;; [unrolled: 1-line block ×4, first 2 shown]
	s_bcnt1_i32_b64 s6, s[6:7]
	s_bcnt1_i32_b64 s7, s[30:31]
	;; [unrolled: 1-line block ×4, first 2 shown]
	s_add_u32 s6, s6, s80
	s_addc_u32 s34, 0, s81
	s_add_u32 s6, s6, s7
	s_addc_u32 s7, s34, 0
	;; [unrolled: 2-line block ×3, first 2 shown]
	v_cmp_eq_u64_e64 s[26:27], 3, v[18:19]
	s_add_u32 s80, s6, s31
	s_addc_u32 s81, s7, 0
	s_and_b64 s[6:7], s[18:19], s[26:27]
	v_cndmask_b32_e64 v14, 0, 1, s[6:7]
	s_and_b64 s[6:7], s[16:17], s[24:25]
	v_cndmask_b32_e64 v15, 0, 1, s[6:7]
	;; [unrolled: 2-line block ×4, first 2 shown]
	v_cmp_ne_u32_e64 s[6:7], 0, v14
	v_cmp_ne_u32_e64 s[12:13], 0, v15
	;; [unrolled: 1-line block ×4, first 2 shown]
	s_bcnt1_i32_b64 s6, s[6:7]
	s_bcnt1_i32_b64 s7, s[12:13]
	;; [unrolled: 1-line block ×4, first 2 shown]
	s_add_u32 s2, s6, s2
	s_addc_u32 s3, 0, s3
	s_add_u32 s2, s2, s7
	s_addc_u32 s3, s3, 0
	;; [unrolled: 2-line block ×4, first 2 shown]
	v_pk_mov_b32 v[8:9], s[64:65], s[64:65] op_sel:[0,1]
	v_pk_mov_b32 v[10:11], s[28:29], s[28:29] op_sel:[0,1]
	;; [unrolled: 1-line block ×3, first 2 shown]
	s_or_b64 s[92:93], vcc, s[92:93]
	v_pk_mov_b32 v[14:15], s[2:3], s[2:3] op_sel:[0,1]
	s_andn2_b64 exec, exec, s[92:93]
	s_cbranch_execnz .LBB30_74
; %bb.75:                               ;   in Loop: Header=BB30_34 Depth=1
	s_or_b64 exec, exec, s[92:93]
	v_readlane_b32 s48, v66, 59
	v_readlane_b32 s50, v66, 61
	v_readlane_b32 s49, v66, 60
	v_readlane_b32 s51, v66, 62
.LBB30_76:                              ;   in Loop: Header=BB30_34 Depth=1
	s_or_b64 exec, exec, s[8:9]
	v_add_co_u32_e32 v34, vcc, v34, v0
	v_addc_co_u32_e32 v35, vcc, 0, v35, vcc
	v_cmp_gt_i64_e32 vcc, s[56:57], v[34:35]
	v_pk_mov_b32 v[36:37], 0, 0
	s_and_saveexec_b64 s[2:3], vcc
	s_cbranch_execz .LBB30_78
; %bb.77:                               ;   in Loop: Header=BB30_34 Depth=1
	v_mul_lo_u32 v18, v35, s62
	v_mul_lo_u32 v38, v34, s63
	v_mad_u64_u32 v[36:37], s[6:7], v34, s62, 0
	v_add3_u32 v37, v37, v38, v18
	v_readlane_b32 s6, v66, 42
	v_lshlrev_b64 v[36:37], 3, v[36:37]
	v_readlane_b32 s7, v66, 43
	v_mov_b32_e32 v18, s7
	v_add_co_u32_e64 v36, s[6:7], s6, v36
	v_addc_co_u32_e64 v37, s[6:7], v18, v37, s[6:7]
	global_load_dwordx2 v[36:37], v[36:37], off
.LBB30_78:                              ;   in Loop: Header=BB30_34 Depth=1
	s_or_b64 exec, exec, s[2:3]
	s_and_saveexec_b64 s[2:3], vcc
	s_cbranch_execz .LBB30_85
; %bb.79:                               ;   in Loop: Header=BB30_34 Depth=1
	v_add_co_u32_e32 v18, vcc, v46, v3
	v_addc_co_u32_e32 v38, vcc, 0, v47, vcc
	v_sub_co_u32_e32 v18, vcc, v18, v4
	v_readlane_b32 s6, v66, 57
	v_subb_co_u32_e32 v4, vcc, v38, v5, vcc
	v_readlane_b32 s7, v66, 58
	v_mul_lo_u32 v38, s84, v4
	v_pk_mov_b32 v[4:5], s[6:7], s[6:7] op_sel:[0,1]
	v_mul_lo_u32 v39, s85, v18
	v_mad_u64_u32 v[4:5], s[6:7], s84, v18, v[4:5]
	v_add3_u32 v5, v39, v5, v38
	v_mul_lo_u32 v18, s85, v3
	v_mul_hi_u32 v38, s84, v3
	s_and_b32 s1, s87, 0xfe
	v_add_u32_e32 v50, v38, v18
	v_mul_lo_u32 v51, s84, v3
	s_mov_b64 s[8:9], 0
	s_branch .LBB30_81
.LBB30_80:                              ;   in Loop: Header=BB30_81 Depth=2
	s_or_b64 exec, exec, s[12:13]
	s_waitcnt vmcnt(0)
	v_xor_b32_e32 v37, 0x80000000, v37
	v_and_b32_e32 v53, s79, v37
	v_and_b32_e32 v52, s78, v36
	v_lshrrev_b64 v[36:37], s1, v[36:37]
	s_and_b64 s[6:7], exec, vcc
	v_and_b32_e32 v18, 3, v36
	s_or_b64 s[8:9], s[6:7], s[8:9]
	v_cmp_eq_u64_e32 vcc, s[54:55], v[52:53]
	v_cmp_eq_u64_e64 s[6:7], 0, v[18:19]
	s_and_b64 s[6:7], vcc, s[6:7]
	v_cndmask_b32_e64 v36, 0, 1, s[6:7]
	v_cmp_ne_u32_e64 s[6:7], 0, v36
	s_bcnt1_i32_b64 s6, s[6:7]
	v_add_co_u32_e64 v8, s[6:7], s6, v8
	v_addc_co_u32_e64 v9, s[6:7], 0, v9, s[6:7]
	v_cmp_eq_u64_e64 s[6:7], 1, v[18:19]
	s_and_b64 s[6:7], vcc, s[6:7]
	v_cndmask_b32_e64 v36, 0, 1, s[6:7]
	v_cmp_ne_u32_e64 s[6:7], 0, v36
	s_bcnt1_i32_b64 s6, s[6:7]
	v_add_co_u32_e64 v10, s[6:7], s6, v10
	v_addc_co_u32_e64 v11, s[6:7], 0, v11, s[6:7]
	;; [unrolled: 7-line block ×3, first 2 shown]
	v_cmp_eq_u64_e64 s[6:7], 3, v[18:19]
	s_and_b64 s[6:7], vcc, s[6:7]
	v_cndmask_b32_e64 v18, 0, 1, s[6:7]
	v_cmp_ne_u32_e32 vcc, 0, v18
	s_bcnt1_i32_b64 s6, vcc
	v_add_co_u32_e32 v14, vcc, s6, v14
	v_addc_co_u32_e32 v15, vcc, 0, v15, vcc
	v_add_co_u32_e32 v4, vcc, v4, v51
	v_addc_co_u32_e32 v5, vcc, v5, v50, vcc
	v_pk_mov_b32 v[36:37], v[38:39], v[38:39] op_sel:[0,1]
	s_andn2_b64 exec, exec, s[8:9]
	s_cbranch_execz .LBB30_84
.LBB30_81:                              ;   Parent Loop BB30_34 Depth=1
                                        ; =>  This Inner Loop Header: Depth=2
	v_add_co_u32_e32 v34, vcc, v34, v3
	v_addc_co_u32_e32 v35, vcc, 0, v35, vcc
	v_cmp_gt_i64_e64 s[6:7], s[56:57], v[34:35]
	v_cmp_le_i64_e32 vcc, s[56:57], v[34:35]
	v_pk_mov_b32 v[38:39], 0, 0
	s_and_saveexec_b64 s[12:13], s[6:7]
	s_cbranch_execz .LBB30_80
; %bb.82:                               ;   in Loop: Header=BB30_81 Depth=2
	global_load_dwordx2 v[38:39], v[4:5], off
	s_branch .LBB30_80
.LBB30_83:                              ;   in Loop: Header=BB30_34 Depth=1
                                        ; implicit-def: $vgpr14_vgpr15
                                        ; implicit-def: $vgpr10_vgpr11
	s_cbranch_execnz .LBB30_86
	s_branch .LBB30_95
.LBB30_84:                              ;   in Loop: Header=BB30_34 Depth=1
	s_or_b64 exec, exec, s[8:9]
.LBB30_85:                              ;   in Loop: Header=BB30_34 Depth=1
	s_or_b64 exec, exec, s[2:3]
	s_branch .LBB30_95
.LBB30_86:                              ;   in Loop: Header=BB30_34 Depth=1
	global_load_ushort v3, v19, s[50:51]
	v_pk_mov_b32 v[8:9], 0, 0
	s_mov_b64 s[8:9], 0
	v_pk_mov_b32 v[10:11], v[8:9], v[8:9] op_sel:[0,1]
	v_pk_mov_b32 v[12:13], v[8:9], v[8:9] op_sel:[0,1]
	;; [unrolled: 1-line block ×3, first 2 shown]
	s_waitcnt vmcnt(0)
	v_readfirstlane_b32 s1, v3
	s_and_b32 s1, 0xffff, s1
	s_lshl_b32 s1, s1, 2
	v_cvt_f32_u32_e32 v4, s1
	s_sub_i32 s2, 0, s1
	v_and_b32_e32 v3, 0xffff, v3
	v_rcp_iflag_f32_e32 v4, v4
	v_mul_f32_e32 v4, 0x4f7ffffe, v4
	v_cvt_u32_f32_e32 v4, v4
	v_readfirstlane_b32 s3, v4
	s_mul_i32 s2, s2, s3
	s_mul_hi_u32 s2, s3, s2
	s_add_i32 s3, s3, s2
	s_mul_hi_u32 s2, s0, s3
	s_mul_i32 s2, s2, s1
	s_sub_i32 s2, s0, s2
	s_sub_i32 s3, s2, s1
	s_cmp_ge_u32 s2, s1
	s_cselect_b32 s2, s3, s2
	s_sub_i32 s3, s2, s1
	s_cmp_ge_u32 s2, s1
	s_cselect_b32 s2, s3, s2
	s_sub_i32 s94, s0, s2
	v_cmp_gt_u32_e32 vcc, s94, v22
	s_and_saveexec_b64 s[2:3], vcc
	s_cbranch_execz .LBB30_90
; %bb.87:                               ;   in Loop: Header=BB30_34 Depth=1
	s_and_b32 s72, s87, 0xfe
	v_lshlrev_b32_e32 v50, 5, v3
	v_mov_b32_e32 v51, v45
	s_mov_b64 s[28:29], 0
	s_mov_b64 s[64:65], 0
	;; [unrolled: 1-line block ×4, first 2 shown]
	v_pk_mov_b32 v[4:5], v[22:23], v[22:23] op_sel:[0,1]
.LBB30_88:                              ;   Parent Loop BB30_34 Depth=1
                                        ; =>  This Inner Loop Header: Depth=2
	ds_read_b128 v[12:15], v51
	ds_read_b128 v[8:11], v51 offset:16
	v_mov_b32_e32 v35, v19
	v_mov_b32_e32 v37, v19
	;; [unrolled: 1-line block ×3, first 2 shown]
	s_waitcnt lgkmcnt(1)
	v_xor_b32_e32 v13, 0x80000000, v13
	v_xor_b32_e32 v15, 0x80000000, v15
	v_and_b32_e32 v52, s78, v12
	v_and_b32_e32 v53, s79, v13
	v_lshrrev_b64 v[12:13], s72, v[12:13]
	s_waitcnt lgkmcnt(0)
	v_xor_b32_e32 v9, 0x80000000, v9
	v_and_b32_e32 v54, s78, v14
	v_and_b32_e32 v55, s79, v15
	v_lshrrev_b64 v[14:15], s72, v[14:15]
	v_and_b32_e32 v18, 3, v12
	v_xor_b32_e32 v11, 0x80000000, v11
	v_and_b32_e32 v56, s78, v8
	v_and_b32_e32 v57, s79, v9
	v_lshrrev_b64 v[8:9], s72, v[8:9]
	v_cmp_eq_u64_e64 s[18:19], s[54:55], v[52:53]
	v_and_b32_e32 v34, 3, v14
	v_cmp_eq_u64_e64 s[6:7], 0, v[18:19]
	v_and_b32_e32 v58, s78, v10
	v_and_b32_e32 v59, s79, v11
	v_lshrrev_b64 v[10:11], s72, v[10:11]
	v_cmp_eq_u64_e64 s[16:17], s[54:55], v[54:55]
	v_and_b32_e32 v36, 3, v8
	v_cmp_eq_u64_e64 s[30:31], 0, v[34:35]
	s_and_b64 s[6:7], s[18:19], s[6:7]
	v_cmp_eq_u64_e64 s[14:15], s[54:55], v[56:57]
	v_and_b32_e32 v38, 3, v10
	v_cmp_eq_u64_e64 s[34:35], 0, v[36:37]
	v_cndmask_b32_e64 v8, 0, 1, s[6:7]
	s_and_b64 s[6:7], s[16:17], s[30:31]
	v_cmp_eq_u64_e64 s[12:13], s[54:55], v[58:59]
	v_cmp_eq_u64_e64 s[36:37], 0, v[38:39]
	v_cndmask_b32_e64 v9, 0, 1, s[6:7]
	s_and_b64 s[6:7], s[14:15], s[34:35]
	v_cndmask_b32_e64 v10, 0, 1, s[6:7]
	s_and_b64 s[6:7], s[12:13], s[36:37]
	v_cndmask_b32_e64 v11, 0, 1, s[6:7]
	v_cmp_ne_u32_e64 s[6:7], 0, v8
	v_cmp_ne_u32_e64 s[30:31], 0, v9
	v_cmp_ne_u32_e64 s[34:35], 0, v10
	v_cmp_ne_u32_e64 s[36:37], 0, v11
	s_bcnt1_i32_b64 s6, s[6:7]
	s_bcnt1_i32_b64 s7, s[30:31]
	s_bcnt1_i32_b64 s30, s[34:35]
	s_bcnt1_i32_b64 s31, s[36:37]
	s_add_u32 s6, s6, s92
	s_addc_u32 s34, 0, s93
	s_add_u32 s6, s6, s7
	s_addc_u32 s7, s34, 0
	s_add_u32 s6, s6, s30
	s_addc_u32 s7, s7, 0
	v_cmp_eq_u64_e64 s[38:39], 1, v[18:19]
	s_add_u32 s92, s6, s31
	v_cmp_eq_u64_e64 s[40:41], 1, v[34:35]
	s_addc_u32 s93, s7, 0
	s_and_b64 s[6:7], s[18:19], s[38:39]
	v_cmp_eq_u64_e64 s[42:43], 1, v[36:37]
	v_cndmask_b32_e64 v10, 0, 1, s[6:7]
	s_and_b64 s[6:7], s[16:17], s[40:41]
	v_cmp_eq_u64_e64 s[44:45], 1, v[38:39]
	v_cndmask_b32_e64 v11, 0, 1, s[6:7]
	s_and_b64 s[6:7], s[14:15], s[42:43]
	v_cndmask_b32_e64 v12, 0, 1, s[6:7]
	s_and_b64 s[6:7], s[12:13], s[44:45]
	v_cndmask_b32_e64 v13, 0, 1, s[6:7]
	v_cmp_ne_u32_e64 s[6:7], 0, v10
	v_cmp_ne_u32_e64 s[30:31], 0, v11
	v_cmp_ne_u32_e64 s[34:35], 0, v12
	v_cmp_ne_u32_e64 s[36:37], 0, v13
	s_bcnt1_i32_b64 s6, s[6:7]
	s_bcnt1_i32_b64 s7, s[30:31]
	s_bcnt1_i32_b64 s30, s[34:35]
	s_bcnt1_i32_b64 s31, s[36:37]
	s_add_u32 s6, s6, s80
	s_addc_u32 s34, 0, s81
	s_add_u32 s6, s6, s7
	s_addc_u32 s7, s34, 0
	s_add_u32 s6, s6, s30
	s_addc_u32 s7, s7, 0
	v_cmp_eq_u64_e64 s[46:47], 2, v[18:19]
	s_add_u32 s80, s6, s31
	v_cmp_eq_u64_e64 s[48:49], 2, v[34:35]
	s_addc_u32 s81, s7, 0
	s_and_b64 s[6:7], s[18:19], s[46:47]
	v_cmp_eq_u64_e64 s[50:51], 2, v[36:37]
	v_cndmask_b32_e64 v12, 0, 1, s[6:7]
	s_and_b64 s[6:7], s[16:17], s[48:49]
	;; [unrolled: 28-line block ×3, first 2 shown]
	v_cmp_eq_u64_e64 s[20:21], 3, v[38:39]
	v_cndmask_b32_e64 v15, 0, 1, s[6:7]
	s_and_b64 s[6:7], s[14:15], s[22:23]
	v_cndmask_b32_e64 v18, 0, 1, s[6:7]
	s_and_b64 s[6:7], s[12:13], s[20:21]
	v_cndmask_b32_e64 v34, 0, 1, s[6:7]
	v_cmp_ne_u32_e64 s[6:7], 0, v14
	v_cmp_ne_u32_e64 s[12:13], 0, v15
	;; [unrolled: 1-line block ×4, first 2 shown]
	s_bcnt1_i32_b64 s6, s[6:7]
	s_bcnt1_i32_b64 s7, s[12:13]
	;; [unrolled: 1-line block ×4, first 2 shown]
	s_add_u32 s6, s6, s28
	s_addc_u32 s14, 0, s29
	s_add_u32 s6, s6, s7
	s_addc_u32 s7, s14, 0
	s_add_u32 s6, s6, s12
	v_add_co_u32_e32 v4, vcc, s1, v4
	s_addc_u32 s7, s7, 0
	v_addc_co_u32_e32 v5, vcc, 0, v5, vcc
	s_add_u32 s28, s6, s13
	v_cmp_le_u64_e32 vcc, s[94:95], v[4:5]
	s_addc_u32 s29, s7, 0
	v_add_u32_e32 v51, v51, v50
	v_pk_mov_b32 v[8:9], s[92:93], s[92:93] op_sel:[0,1]
	v_pk_mov_b32 v[10:11], s[80:81], s[80:81] op_sel:[0,1]
	;; [unrolled: 1-line block ×3, first 2 shown]
	s_or_b64 s[8:9], vcc, s[8:9]
	v_pk_mov_b32 v[14:15], s[28:29], s[28:29] op_sel:[0,1]
	s_andn2_b64 exec, exec, s[8:9]
	s_cbranch_execnz .LBB30_88
; %bb.89:                               ;   in Loop: Header=BB30_34 Depth=1
	s_or_b64 exec, exec, s[8:9]
	v_readlane_b32 s48, v66, 59
	v_readlane_b32 s50, v66, 61
	;; [unrolled: 1-line block ×4, first 2 shown]
.LBB30_90:                              ;   in Loop: Header=BB30_34 Depth=1
	s_or_b64 exec, exec, s[2:3]
	v_add_u32_e32 v18, s94, v0
	v_cmp_gt_u32_e32 vcc, s0, v18
	s_and_saveexec_b64 s[2:3], vcc
	s_cbranch_execz .LBB30_94
; %bb.91:                               ;   in Loop: Header=BB30_34 Depth=1
	s_and_b32 s94, s0, 0x7fffffff
	s_and_b32 s8, s87, 0xfe
	v_lshlrev_b32_e32 v34, 3, v18
	v_lshlrev_b32_e32 v35, 3, v3
	s_mov_b64 s[0:1], 0
	v_pk_mov_b32 v[4:5], v[18:19], v[18:19] op_sel:[0,1]
.LBB30_92:                              ;   Parent Loop BB30_34 Depth=1
                                        ; =>  This Inner Loop Header: Depth=2
	ds_read_b64 v[36:37], v34
	v_add_co_u32_e32 v4, vcc, v4, v3
	v_addc_co_u32_e32 v5, vcc, 0, v5, vcc
	s_waitcnt lgkmcnt(0)
	v_xor_b32_e32 v37, 0x80000000, v37
	v_and_b32_e32 v38, s78, v36
	v_and_b32_e32 v39, s79, v37
	v_lshrrev_b64 v[36:37], s8, v[36:37]
	v_and_b32_e32 v18, 3, v36
	v_cmp_eq_u64_e64 s[6:7], s[54:55], v[38:39]
	v_cmp_eq_u64_e64 s[12:13], 0, v[18:19]
	v_cmp_eq_u64_e64 s[14:15], 1, v[18:19]
	s_and_b64 s[12:13], s[6:7], s[12:13]
	v_cmp_eq_u64_e64 s[16:17], 2, v[18:19]
	v_cmp_eq_u64_e64 s[18:19], 3, v[18:19]
	v_cndmask_b32_e64 v18, 0, 1, s[12:13]
	s_and_b64 s[12:13], s[6:7], s[14:15]
	v_cndmask_b32_e64 v36, 0, 1, s[12:13]
	s_and_b64 s[12:13], s[6:7], s[16:17]
	s_and_b64 s[6:7], s[6:7], s[18:19]
	v_cndmask_b32_e64 v37, 0, 1, s[12:13]
	v_cndmask_b32_e64 v38, 0, 1, s[6:7]
	v_cmp_ne_u32_e64 s[6:7], 0, v18
	v_cmp_ne_u32_e64 s[12:13], 0, v36
	;; [unrolled: 1-line block ×4, first 2 shown]
	v_cmp_le_u64_e32 vcc, s[94:95], v[4:5]
	s_bcnt1_i32_b64 s6, s[6:7]
	s_bcnt1_i32_b64 s7, s[12:13]
	;; [unrolled: 1-line block ×4, first 2 shown]
	s_or_b64 s[0:1], vcc, s[0:1]
	v_add_co_u32_e32 v8, vcc, s6, v8
	v_addc_co_u32_e32 v9, vcc, 0, v9, vcc
	v_add_co_u32_e32 v10, vcc, s7, v10
	v_addc_co_u32_e32 v11, vcc, 0, v11, vcc
	;; [unrolled: 2-line block ×3, first 2 shown]
	v_add_co_u32_e32 v14, vcc, s12, v14
	v_add_u32_e32 v34, v34, v35
	v_addc_co_u32_e32 v15, vcc, 0, v15, vcc
	s_andn2_b64 exec, exec, s[0:1]
	s_cbranch_execnz .LBB30_92
; %bb.93:                               ;   in Loop: Header=BB30_34 Depth=1
	s_or_b64 exec, exec, s[0:1]
.LBB30_94:                              ;   in Loop: Header=BB30_34 Depth=1
	s_or_b64 exec, exec, s[2:3]
.LBB30_95:                              ;   in Loop: Header=BB30_34 Depth=1
	s_lshl_b32 s2, s74, 6
	s_and_saveexec_b64 s[0:1], s[4:5]
	s_cbranch_execz .LBB30_97
; %bb.96:                               ;   in Loop: Header=BB30_34 Depth=1
	v_or_b32_e32 v3, s2, v43
	v_lshlrev_b32_e32 v3, 3, v3
	ds_write_b128 v3, v[8:11] offset:3072
	ds_write_b128 v3, v[12:15] offset:3088
.LBB30_97:                              ;   in Loop: Header=BB30_34 Depth=1
	s_or_b64 exec, exec, s[0:1]
	s_waitcnt lgkmcnt(0)
	s_barrier
	s_and_saveexec_b64 s[0:1], s[48:49]
	s_cbranch_execz .LBB30_109
; %bb.98:                               ;   in Loop: Header=BB30_34 Depth=1
	v_readlane_b32 s6, v66, 46
	v_readlane_b32 s7, v66, 47
	s_andn2_b64 vcc, exec, s[6:7]
	s_waitcnt vmcnt(0)
	v_pk_mov_b32 v[4:5], 0, 0
	s_cbranch_vccnz .LBB30_108
; %bb.99:                               ;   in Loop: Header=BB30_34 Depth=1
	v_readlane_b32 s6, v66, 50
	v_readlane_b32 s7, v66, 51
	s_andn2_b64 vcc, exec, s[6:7]
	s_cbranch_vccnz .LBB30_104
; %bb.100:                              ;   in Loop: Header=BB30_34 Depth=1
	v_lshl_add_u32 v3, s74, 9, v48
	s_mov_b32 s3, 0
	v_pk_mov_b32 v[4:5], 0, 0
.LBB30_101:                             ;   Parent Loop BB30_34 Depth=1
                                        ; =>  This Inner Loop Header: Depth=2
	ds_read2_b64 v[8:11], v3 offset1:4
	ds_read2_b64 v[12:15], v3 offset0:8 offset1:12
	ds_read2_b64 v[34:37], v3 offset0:16 offset1:20
	;; [unrolled: 1-line block ×3, first 2 shown]
	s_add_i32 s3, s3, 8
	s_waitcnt lgkmcnt(3)
	v_add_co_u32_e32 v4, vcc, v8, v4
	v_addc_co_u32_e32 v5, vcc, v9, v5, vcc
	v_add_co_u32_e32 v4, vcc, v10, v4
	v_addc_co_u32_e32 v5, vcc, v11, v5, vcc
	s_waitcnt lgkmcnt(2)
	v_add_co_u32_e32 v4, vcc, v12, v4
	v_addc_co_u32_e32 v5, vcc, v13, v5, vcc
	v_add_co_u32_e32 v4, vcc, v14, v4
	v_addc_co_u32_e32 v5, vcc, v15, v5, vcc
	;; [unrolled: 5-line block ×3, first 2 shown]
	s_waitcnt lgkmcnt(0)
	v_add_co_u32_e32 v4, vcc, v50, v4
	v_addc_co_u32_e32 v5, vcc, v51, v5, vcc
	v_add_co_u32_e32 v4, vcc, v52, v4
	v_add_u32_e32 v3, 0x100, v3
	s_cmp_eq_u32 s91, s3
	v_addc_co_u32_e32 v5, vcc, v53, v5, vcc
	s_cbranch_scc0 .LBB30_101
; %bb.102:                              ;   in Loop: Header=BB30_34 Depth=1
	s_mov_b32 s3, s91
	s_branch .LBB30_105
.LBB30_103:                             ;   in Loop: Header=BB30_34 Depth=1
                                        ; implicit-def: $vgpr4_vgpr5
	s_branch .LBB30_71
.LBB30_104:                             ;   in Loop: Header=BB30_34 Depth=1
	s_mov_b32 s3, 0
	v_pk_mov_b32 v[4:5], 0, 0
.LBB30_105:                             ;   in Loop: Header=BB30_34 Depth=1
	v_readlane_b32 s6, v66, 53
	v_readlane_b32 s7, v66, 54
	s_andn2_b64 vcc, exec, s[6:7]
	s_cbranch_vccnz .LBB30_108
; %bb.106:                              ;   in Loop: Header=BB30_34 Depth=1
	s_lshl_b32 s6, s74, 9
	s_lshl_b32 s3, s3, 5
	s_add_i32 s6, s6, s3
	v_add_u32_e32 v3, s6, v48
	v_readlane_b32 s3, v66, 52
.LBB30_107:                             ;   Parent Loop BB30_34 Depth=1
                                        ; =>  This Inner Loop Header: Depth=2
	ds_read_b64 v[8:9], v3
	s_add_i32 s3, s3, -1
	v_add_u32_e32 v3, 32, v3
	s_cmp_lg_u32 s3, 0
	s_waitcnt lgkmcnt(0)
	v_add_co_u32_e32 v4, vcc, v8, v4
	v_addc_co_u32_e32 v5, vcc, v9, v5, vcc
	s_cbranch_scc1 .LBB30_107
.LBB30_108:                             ;   in Loop: Header=BB30_34 Depth=1
	v_add_lshl_u32 v3, s2, v40, 3
	ds_write_b64 v3, v[4:5] offset:3072
.LBB30_109:                             ;   in Loop: Header=BB30_34 Depth=1
	s_or_b64 exec, exec, s[0:1]
	s_lshl_b32 s0, s2, 3
	v_mov_b32_e32 v3, s0
	s_waitcnt lgkmcnt(0)
	s_barrier
	ds_read_b128 v[8:11], v3 offset:3072
	ds_read_b128 v[12:15], v3 offset:3088
	s_and_b32 s42, s87, 0xfe
	s_lshl_b64 s[12:13], 3, s42
	s_not_b64 s[20:21], s[12:13]
	s_waitcnt lgkmcnt(1)
	v_readfirstlane_b32 s1, v9
	v_readfirstlane_b32 s0, v8
	s_cmp_eq_u64 s[0:1], 1
	s_cselect_b64 s[2:3], -1, 0
	s_cmp_eq_u64 s[58:59], 1
	s_cselect_b64 s[8:9], -1, 0
	s_and_b64 s[22:23], s[2:3], s[8:9]
	v_readfirstlane_b32 s34, v10
	v_readfirstlane_b32 s35, v11
	s_waitcnt lgkmcnt(0)
	v_readfirstlane_b32 s18, v12
	v_readfirstlane_b32 s19, v13
	v_readfirstlane_b32 s6, v14
	v_readfirstlane_b32 s7, v15
	s_mov_b64 s[16:17], -1
	s_and_b64 vcc, exec, s[22:23]
	s_cbranch_vccz .LBB30_124
; %bb.110:                              ;   in Loop: Header=BB30_34 Depth=1
	s_waitcnt vmcnt(0)
	ds_read_b64 v[4:5], v19 offset:5120
	s_waitcnt lgkmcnt(0)
	s_barrier
	v_readfirstlane_b32 s14, v4
	v_readfirstlane_b32 s15, v5
	s_mov_b64 s[2:3], exec
	v_readlane_b32 s8, v66, 36
	v_readlane_b32 s9, v66, 37
	s_and_b64 s[8:9], s[2:3], s[8:9]
	s_mov_b64 exec, s[8:9]
	s_cbranch_execz .LBB30_112
; %bb.111:                              ;   in Loop: Header=BB30_34 Depth=1
	v_mov_b32_e32 v18, v19
	ds_write_b64 v42, v[18:19]
.LBB30_112:                             ;   in Loop: Header=BB30_34 Depth=1
	s_or_b64 exec, exec, s[2:3]
	v_cmp_lt_i64_e64 s[2:3], s[14:15], 1
	s_and_b64 s[54:55], s[54:55], s[20:21]
	s_or_b64 s[78:79], s[78:79], s[12:13]
	s_and_b64 vcc, exec, s[2:3]
	s_waitcnt lgkmcnt(0)
	s_barrier
	s_cbranch_vccz .LBB30_125
; %bb.113:                              ;   in Loop: Header=BB30_34 Depth=1
	s_mov_b32 s72, s95
	s_cmp_lg_u64 s[72:73], 0
	s_cbranch_scc0 .LBB30_170
; %bb.114:                              ;   in Loop: Header=BB30_34 Depth=1
	v_cvt_f32_u32_e32 v3, s33
	s_sub_u32 s2, 0, s33
	s_subb_u32 s3, 0, 0
	v_mac_f32_e32 v3, 0x4f800000, v49
	v_rcp_f32_e32 v3, v3
	v_mul_f32_e32 v3, 0x5f7ffffc, v3
	v_mul_f32_e32 v4, 0x2f800000, v3
	v_trunc_f32_e32 v4, v4
	v_mac_f32_e32 v3, 0xcf800000, v4
	v_cvt_u32_f32_e32 v4, v4
	v_cvt_u32_f32_e32 v3, v3
	v_readfirstlane_b32 s8, v4
	v_readfirstlane_b32 s9, v3
	s_mul_i32 s24, s2, s8
	s_mul_hi_u32 s26, s2, s9
	s_mul_i32 s25, s3, s9
	s_add_i32 s24, s26, s24
	s_mul_i32 s27, s2, s9
	s_add_i32 s24, s24, s25
	s_mul_hi_u32 s26, s9, s27
	s_mul_hi_u32 s25, s9, s24
	s_mul_i32 s9, s9, s24
	s_add_u32 s9, s26, s9
	s_addc_u32 s25, 0, s25
	s_mul_hi_u32 s28, s8, s27
	s_mul_i32 s27, s8, s27
	s_add_u32 s9, s9, s27
	s_mul_hi_u32 s26, s8, s24
	s_addc_u32 s9, s25, s28
	s_addc_u32 s25, s26, 0
	s_mul_i32 s24, s8, s24
	s_add_u32 s9, s9, s24
	s_addc_u32 s24, 0, s25
	v_add_co_u32_e32 v3, vcc, s9, v3
	s_cmp_lg_u64 vcc, 0
	s_addc_u32 s8, s8, s24
	v_readfirstlane_b32 s24, v3
	s_mul_i32 s9, s2, s8
	s_mul_hi_u32 s25, s2, s24
	s_add_i32 s9, s25, s9
	s_mul_i32 s3, s3, s24
	s_add_i32 s9, s9, s3
	s_mul_i32 s2, s2, s24
	s_mul_hi_u32 s25, s8, s2
	s_mul_i32 s26, s8, s2
	s_mul_i32 s28, s24, s9
	s_mul_hi_u32 s2, s24, s2
	s_mul_hi_u32 s27, s24, s9
	s_add_u32 s2, s2, s28
	s_addc_u32 s24, 0, s27
	s_add_u32 s2, s2, s26
	s_mul_hi_u32 s3, s8, s9
	s_addc_u32 s2, s24, s25
	s_addc_u32 s3, s3, 0
	s_mul_i32 s9, s8, s9
	s_add_u32 s2, s2, s9
	s_addc_u32 s3, 0, s3
	v_add_co_u32_e32 v3, vcc, s2, v3
	s_cmp_lg_u64 vcc, 0
	s_addc_u32 s24, s8, s3
	s_ashr_i32 s2, s73, 31
	s_add_u32 s8, s75, s2
	s_mov_b32 s3, s2
	s_addc_u32 s9, s73, s2
	s_xor_b64 s[8:9], s[8:9], s[2:3]
	v_readfirstlane_b32 s26, v3
	s_mul_i32 s25, s8, s24
	s_mul_hi_u32 s27, s8, s26
	s_mul_hi_u32 s3, s8, s24
	s_add_u32 s25, s27, s25
	s_addc_u32 s3, 0, s3
	s_mul_hi_u32 s28, s9, s26
	s_mul_i32 s26, s9, s26
	s_add_u32 s25, s25, s26
	s_mul_hi_u32 s27, s9, s24
	s_addc_u32 s3, s3, s28
	s_addc_u32 s25, s27, 0
	s_mul_i32 s24, s9, s24
	s_add_u32 s3, s3, s24
	s_addc_u32 s24, 0, s25
	s_mul_hi_u32 s25, s33, s3
	s_mul_i32 s3, s33, s3
	s_mul_i32 s24, s33, s24
	v_mov_b32_e32 v3, s3
	s_add_i32 s25, s25, s24
	v_sub_co_u32_e32 v3, vcc, s8, v3
	s_cmp_lg_u64 vcc, 0
	s_subb_u32 s3, s9, s25
	v_subrev_co_u32_e32 v4, vcc, s33, v3
	s_cmp_lg_u64 vcc, 0
	s_subb_u32 s8, s3, 0
	v_subrev_co_u32_e32 v5, vcc, s33, v4
	s_cmp_lg_u64 vcc, 0
	s_subb_u32 s9, s8, 0
	v_cmp_le_u32_e32 vcc, s33, v4
	s_cmp_eq_u32 s8, 0
	v_cndmask_b32_e64 v6, 0, -1, vcc
	s_cselect_b64 vcc, -1, 0
	v_cndmask_b32_e32 v6, -1, v6, vcc
	v_mov_b32_e32 v7, s8
	v_mov_b32_e32 v8, s9
	v_cmp_ne_u32_e32 vcc, 0, v6
	v_cndmask_b32_e32 v6, v7, v8, vcc
	v_cndmask_b32_e32 v4, v4, v5, vcc
	v_cmp_le_u32_e32 vcc, s33, v3
	s_cmp_eq_u32 s3, 0
	v_cndmask_b32_e64 v5, 0, -1, vcc
	s_cselect_b64 vcc, -1, 0
	v_cndmask_b32_e32 v5, -1, v5, vcc
	v_cmp_ne_u32_e32 vcc, 0, v5
	v_mov_b32_e32 v7, s3
	v_cndmask_b32_e32 v3, v3, v4, vcc
	v_cndmask_b32_e32 v5, v7, v6, vcc
	v_xor_b32_e32 v3, s2, v3
	v_xor_b32_e32 v5, s2, v5
	v_mov_b32_e32 v6, s2
	v_subrev_co_u32_e32 v4, vcc, s2, v3
	v_subb_co_u32_e32 v5, vcc, v5, v6, vcc
	s_cbranch_execnz .LBB30_116
.LBB30_115:                             ;   in Loop: Header=BB30_34 Depth=1
	v_cvt_f32_u32_e32 v3, s33
	s_sub_i32 s2, 0, s33
	v_rcp_iflag_f32_e32 v3, v3
	v_mul_f32_e32 v3, 0x4f7ffffe, v3
	v_cvt_u32_f32_e32 v3, v3
	v_mul_lo_u32 v4, s2, v3
	v_mul_hi_u32 v4, v3, v4
	v_add_u32_e32 v3, v3, v4
	s_mov_b32 s2, s75
	v_mul_hi_u32 v3, s2, v3
	v_mul_lo_u32 v3, v3, s33
	v_sub_u32_e32 v3, s2, v3
	v_subrev_u32_e32 v4, s33, v3
	v_cmp_le_u32_e32 vcc, s33, v3
	v_cndmask_b32_e32 v3, v3, v4, vcc
	v_subrev_u32_e32 v4, s33, v3
	v_cmp_le_u32_e32 vcc, s33, v3
	v_cndmask_b32_e32 v18, v3, v4, vcc
	v_pk_mov_b32 v[4:5], v[18:19], v[18:19] op_sel:[0,1]
.LBB30_116:                             ;   in Loop: Header=BB30_34 Depth=1
	v_mov_b32_e32 v3, s73
	v_sub_co_u32_e32 v8, vcc, s75, v4
	v_subb_co_u32_e32 v9, vcc, v3, v5, vcc
	v_cmp_gt_i64_e32 vcc, v[8:9], v[0:1]
	s_mov_b64 s[2:3], 0
                                        ; implicit-def: $vgpr6_vgpr7
	s_and_saveexec_b64 s[8:9], vcc
	s_cbranch_execz .LBB30_127
; %bb.117:                              ;   in Loop: Header=BB30_34 Depth=1
	s_mov_b64 s[24:25], 0
	v_pk_mov_b32 v[10:11], v[16:17], v[16:17] op_sel:[0,1]
	v_pk_mov_b32 v[12:13], v[0:1], v[0:1] op_sel:[0,1]
                                        ; implicit-def: $sgpr2_sgpr3
	s_branch .LBB30_119
.LBB30_118:                             ;   in Loop: Header=BB30_119 Depth=2
	s_or_b64 exec, exec, s[26:27]
	s_waitcnt lgkmcnt(0)
	s_barrier
	s_waitcnt vmcnt(0)
	ds_read_b128 v[4:7], v19 offset:3072
	v_mov_b32_e32 v3, s90
	v_add_co_u32_e32 v12, vcc, s33, v12
	v_addc_co_u32_e32 v13, vcc, v13, v3, vcc
	s_waitcnt lgkmcnt(0)
	v_readfirstlane_b32 s27, v5
	v_readfirstlane_b32 s26, v4
	s_cmp_lg_u64 s[26:27], 0
	s_cselect_b64 s[26:27], -1, 0
	v_cmp_ge_i64_e32 vcc, v[12:13], v[8:9]
	s_or_b64 s[28:29], s[26:27], vcc
	s_and_b64 s[28:29], exec, s[28:29]
	s_or_b64 s[24:25], s[28:29], s[24:25]
	v_mov_b32_e32 v3, s89
	v_add_co_u32_e32 v10, vcc, s88, v10
	s_andn2_b64 s[2:3], s[2:3], exec
	s_and_b64 s[26:27], s[26:27], exec
	v_addc_co_u32_e32 v11, vcc, v11, v3, vcc
	s_or_b64 s[2:3], s[2:3], s[26:27]
	s_barrier
	s_andn2_b64 exec, exec, s[24:25]
	s_cbranch_execz .LBB30_126
.LBB30_119:                             ;   Parent Loop BB30_34 Depth=1
                                        ; =>  This Inner Loop Header: Depth=2
	v_cmp_gt_i64_e32 vcc, s[56:57], v[12:13]
	v_pk_mov_b32 v[4:5], 0, 0
	s_and_saveexec_b64 s[26:27], vcc
	s_cbranch_execz .LBB30_121
; %bb.120:                              ;   in Loop: Header=BB30_119 Depth=2
	global_load_dwordx2 v[4:5], v[10:11], off
.LBB30_121:                             ;   in Loop: Header=BB30_119 Depth=2
	s_or_b64 exec, exec, s[26:27]
	s_and_saveexec_b64 s[26:27], vcc
	s_cbranch_execz .LBB30_118
; %bb.122:                              ;   in Loop: Header=BB30_119 Depth=2
	s_waitcnt vmcnt(0)
	v_xor_b32_e32 v3, 0x80000000, v5
	v_and_b32_e32 v7, s79, v3
	v_and_b32_e32 v6, s78, v4
	v_cmp_eq_u64_e32 vcc, s[54:55], v[6:7]
	s_and_b64 exec, exec, vcc
	s_cbranch_execz .LBB30_118
; %bb.123:                              ;   in Loop: Header=BB30_119 Depth=2
	v_mov_b32_e32 v3, v19
	ds_write_b128 v19, v[2:5] offset:3072
	s_branch .LBB30_118
.LBB30_124:                             ;   in Loop: Header=BB30_34 Depth=1
	s_mov_b64 s[2:3], -1
                                        ; implicit-def: $sgpr8_sgpr9
                                        ; implicit-def: $sgpr26_sgpr27
                                        ; implicit-def: $sgpr24_sgpr25
	s_branch .LBB30_141
.LBB30_125:                             ;   in Loop: Header=BB30_34 Depth=1
	s_mov_b64 s[8:9], -1
	s_mov_b64 s[2:3], 0
                                        ; implicit-def: $sgpr24_sgpr25
                                        ; implicit-def: $vgpr6_vgpr7
	s_mov_b64 s[26:27], s[8:9]
	s_cbranch_execnz .LBB30_128
	s_branch .LBB30_141
.LBB30_126:                             ;   in Loop: Header=BB30_34 Depth=1
	s_or_b64 exec, exec, s[24:25]
	s_and_b64 s[2:3], s[2:3], exec
.LBB30_127:                             ;   in Loop: Header=BB30_34 Depth=1
	s_or_b64 exec, exec, s[8:9]
	s_mov_b64 s[24:25], -1
	s_mov_b64 s[8:9], 0
	s_mov_b64 s[26:27], s[8:9]
	s_branch .LBB30_141
.LBB30_128:                             ;   in Loop: Header=BB30_34 Depth=1
	v_readlane_b32 s2, v66, 48
	s_add_u32 s24, s2, s14
	v_readlane_b32 s2, v66, 49
	s_addc_u32 s3, s2, s15
	s_mov_b32 s2, s95
	s_cmp_lg_u64 s[2:3], 0
	s_cbranch_scc0 .LBB30_171
; %bb.129:                              ;   in Loop: Header=BB30_34 Depth=1
	v_cvt_f32_u32_e32 v3, s33
	s_sub_u32 s2, 0, s33
	s_subb_u32 s8, 0, 0
	v_mac_f32_e32 v3, 0x4f800000, v49
	v_rcp_f32_e32 v3, v3
	v_mul_f32_e32 v3, 0x5f7ffffc, v3
	v_mul_f32_e32 v4, 0x2f800000, v3
	v_trunc_f32_e32 v4, v4
	v_mac_f32_e32 v3, 0xcf800000, v4
	v_cvt_u32_f32_e32 v4, v4
	v_cvt_u32_f32_e32 v3, v3
	v_readfirstlane_b32 s9, v4
	v_readfirstlane_b32 s25, v3
	s_mul_i32 s26, s2, s9
	s_mul_hi_u32 s28, s2, s25
	s_mul_i32 s27, s8, s25
	s_add_i32 s26, s28, s26
	s_mul_i32 s29, s2, s25
	s_add_i32 s26, s26, s27
	s_mul_hi_u32 s28, s25, s29
	s_mul_hi_u32 s27, s25, s26
	s_mul_i32 s25, s25, s26
	s_add_u32 s25, s28, s25
	s_addc_u32 s27, 0, s27
	s_mul_hi_u32 s30, s9, s29
	s_mul_i32 s29, s9, s29
	s_add_u32 s25, s25, s29
	s_mul_hi_u32 s28, s9, s26
	s_addc_u32 s25, s27, s30
	s_addc_u32 s27, s28, 0
	s_mul_i32 s26, s9, s26
	s_add_u32 s25, s25, s26
	s_addc_u32 s26, 0, s27
	v_add_co_u32_e32 v3, vcc, s25, v3
	s_cmp_lg_u64 vcc, 0
	s_addc_u32 s9, s9, s26
	v_readfirstlane_b32 s26, v3
	s_mul_i32 s25, s2, s9
	s_mul_hi_u32 s27, s2, s26
	s_add_i32 s25, s27, s25
	s_mul_i32 s8, s8, s26
	s_add_i32 s25, s25, s8
	s_mul_i32 s2, s2, s26
	s_mul_hi_u32 s27, s9, s2
	s_mul_i32 s28, s9, s2
	s_mul_i32 s30, s26, s25
	s_mul_hi_u32 s2, s26, s2
	s_mul_hi_u32 s29, s26, s25
	s_add_u32 s2, s2, s30
	s_addc_u32 s26, 0, s29
	s_add_u32 s2, s2, s28
	s_mul_hi_u32 s8, s9, s25
	s_addc_u32 s2, s26, s27
	s_addc_u32 s8, s8, 0
	s_mul_i32 s25, s9, s25
	s_add_u32 s2, s2, s25
	s_addc_u32 s8, 0, s8
	v_add_co_u32_e32 v3, vcc, s2, v3
	s_cmp_lg_u64 vcc, 0
	s_addc_u32 s2, s9, s8
	s_ashr_i32 s8, s3, 31
	s_add_u32 s26, s24, s8
	s_mov_b32 s9, s8
	s_addc_u32 s27, s3, s8
	s_xor_b64 s[26:27], s[26:27], s[8:9]
	v_readfirstlane_b32 s28, v3
	s_mul_i32 s25, s26, s2
	s_mul_hi_u32 s29, s26, s28
	s_mul_hi_u32 s9, s26, s2
	s_add_u32 s25, s29, s25
	s_addc_u32 s9, 0, s9
	s_mul_hi_u32 s30, s27, s28
	s_mul_i32 s28, s27, s28
	s_add_u32 s25, s25, s28
	s_mul_hi_u32 s29, s27, s2
	s_addc_u32 s9, s9, s30
	s_addc_u32 s25, s29, 0
	s_mul_i32 s2, s27, s2
	s_add_u32 s2, s9, s2
	s_addc_u32 s9, 0, s25
	s_mul_hi_u32 s25, s33, s2
	s_mul_i32 s2, s33, s2
	s_mul_i32 s9, s33, s9
	v_mov_b32_e32 v3, s2
	s_add_i32 s25, s25, s9
	v_sub_co_u32_e32 v3, vcc, s26, v3
	s_cmp_lg_u64 vcc, 0
	s_subb_u32 s2, s27, s25
	v_subrev_co_u32_e32 v4, vcc, s33, v3
	s_cmp_lg_u64 vcc, 0
	s_subb_u32 s9, s2, 0
	v_subrev_co_u32_e32 v5, vcc, s33, v4
	s_cmp_lg_u64 vcc, 0
	s_subb_u32 s25, s9, 0
	v_cmp_le_u32_e32 vcc, s33, v4
	s_cmp_eq_u32 s9, 0
	v_cndmask_b32_e64 v6, 0, -1, vcc
	s_cselect_b64 vcc, -1, 0
	v_cndmask_b32_e32 v6, -1, v6, vcc
	v_mov_b32_e32 v7, s9
	v_mov_b32_e32 v8, s25
	v_cmp_ne_u32_e32 vcc, 0, v6
	v_cndmask_b32_e32 v6, v7, v8, vcc
	v_cndmask_b32_e32 v4, v4, v5, vcc
	v_cmp_le_u32_e32 vcc, s33, v3
	s_cmp_eq_u32 s2, 0
	v_cndmask_b32_e64 v5, 0, -1, vcc
	s_cselect_b64 vcc, -1, 0
	v_cndmask_b32_e32 v5, -1, v5, vcc
	v_cmp_ne_u32_e32 vcc, 0, v5
	v_mov_b32_e32 v7, s2
	v_cndmask_b32_e32 v3, v3, v4, vcc
	v_cndmask_b32_e32 v5, v7, v6, vcc
	v_xor_b32_e32 v3, s8, v3
	v_xor_b32_e32 v5, s8, v5
	v_mov_b32_e32 v6, s8
	v_subrev_co_u32_e32 v4, vcc, s8, v3
	v_subb_co_u32_e32 v5, vcc, v5, v6, vcc
	s_cbranch_execnz .LBB30_131
.LBB30_130:                             ;   in Loop: Header=BB30_34 Depth=1
	v_cvt_f32_u32_e32 v3, s33
	s_sub_i32 s2, 0, s33
	v_rcp_iflag_f32_e32 v3, v3
	v_mul_f32_e32 v3, 0x4f7ffffe, v3
	v_cvt_u32_f32_e32 v3, v3
	v_mul_lo_u32 v4, s2, v3
	v_mul_hi_u32 v4, v3, v4
	v_add_u32_e32 v3, v3, v4
	v_mul_hi_u32 v3, s24, v3
	v_mul_lo_u32 v3, v3, s33
	v_sub_u32_e32 v3, s24, v3
	v_subrev_u32_e32 v4, s33, v3
	v_cmp_le_u32_e32 vcc, s33, v3
	v_cndmask_b32_e32 v3, v3, v4, vcc
	v_subrev_u32_e32 v4, s33, v3
	v_cmp_le_u32_e32 vcc, s33, v3
	v_cndmask_b32_e32 v18, v3, v4, vcc
	v_pk_mov_b32 v[4:5], v[18:19], v[18:19] op_sel:[0,1]
.LBB30_131:                             ;   in Loop: Header=BB30_34 Depth=1
	v_mov_b32_e32 v3, s3
	v_sub_co_u32_e32 v8, vcc, s24, v4
	v_subb_co_u32_e32 v9, vcc, v3, v5, vcc
	v_cmp_gt_i64_e32 vcc, v[8:9], v[0:1]
	s_mov_b64 s[2:3], 0
                                        ; implicit-def: $vgpr6_vgpr7
	s_and_saveexec_b64 s[8:9], vcc
	s_cbranch_execz .LBB30_140
; %bb.132:                              ;   in Loop: Header=BB30_34 Depth=1
	s_mov_b64 s[24:25], 0
	v_mov_b32_e32 v12, v41
	v_pk_mov_b32 v[10:11], v[0:1], v[0:1] op_sel:[0,1]
                                        ; implicit-def: $sgpr2_sgpr3
	s_branch .LBB30_134
.LBB30_133:                             ;   in Loop: Header=BB30_134 Depth=2
	s_or_b64 exec, exec, s[26:27]
	s_waitcnt lgkmcnt(0)
	s_barrier
	ds_read_b128 v[4:7], v19 offset:3072
	v_mov_b32_e32 v3, s90
	v_add_co_u32_e32 v10, vcc, s33, v10
	v_addc_co_u32_e32 v11, vcc, v11, v3, vcc
	s_waitcnt lgkmcnt(0)
	v_readfirstlane_b32 s27, v5
	v_readfirstlane_b32 s26, v4
	s_cmp_lg_u64 s[26:27], 0
	s_cselect_b64 s[26:27], -1, 0
	v_cmp_ge_i64_e32 vcc, v[10:11], v[8:9]
	s_or_b64 s[28:29], s[26:27], vcc
	s_and_b64 s[28:29], exec, s[28:29]
	s_or_b64 s[24:25], s[28:29], s[24:25]
	s_andn2_b64 s[2:3], s[2:3], exec
	s_and_b64 s[26:27], s[26:27], exec
	v_add_u32_e32 v12, s86, v12
	s_or_b64 s[2:3], s[2:3], s[26:27]
	s_barrier
	s_andn2_b64 exec, exec, s[24:25]
	s_cbranch_execz .LBB30_139
.LBB30_134:                             ;   Parent Loop BB30_34 Depth=1
                                        ; =>  This Inner Loop Header: Depth=2
	v_cmp_gt_i64_e32 vcc, s[14:15], v[10:11]
	v_pk_mov_b32 v[4:5], 0, 0
	s_and_saveexec_b64 s[26:27], vcc
	s_cbranch_execz .LBB30_136
; %bb.135:                              ;   in Loop: Header=BB30_134 Depth=2
	ds_read_b64 v[4:5], v12
.LBB30_136:                             ;   in Loop: Header=BB30_134 Depth=2
	s_or_b64 exec, exec, s[26:27]
	s_and_saveexec_b64 s[26:27], vcc
	s_cbranch_execz .LBB30_133
; %bb.137:                              ;   in Loop: Header=BB30_134 Depth=2
	s_waitcnt lgkmcnt(0)
	v_xor_b32_e32 v3, 0x80000000, v5
	v_and_b32_e32 v7, s79, v3
	v_and_b32_e32 v6, s78, v4
	v_cmp_eq_u64_e32 vcc, s[54:55], v[6:7]
	s_and_b64 exec, exec, vcc
	s_cbranch_execz .LBB30_133
; %bb.138:                              ;   in Loop: Header=BB30_134 Depth=2
	v_mov_b32_e32 v3, v19
	ds_write_b128 v19, v[2:5] offset:3072
	s_branch .LBB30_133
.LBB30_139:                             ;   in Loop: Header=BB30_34 Depth=1
	s_or_b64 exec, exec, s[24:25]
	s_and_b64 s[2:3], s[2:3], exec
.LBB30_140:                             ;   in Loop: Header=BB30_34 Depth=1
	s_or_b64 exec, exec, s[8:9]
	s_mov_b64 s[26:27], -1
	s_mov_b64 s[8:9], 0
	s_mov_b64 s[24:25], 0
.LBB30_141:                             ;   in Loop: Header=BB30_34 Depth=1
	s_andn2_b64 s[14:15], s[76:77], exec
	s_and_b64 s[8:9], s[8:9], exec
	s_or_b64 s[76:77], s[14:15], s[8:9]
	s_andn2_b64 s[8:9], s[10:11], exec
	s_and_b64 s[10:11], s[26:27], exec
	s_or_b64 s[10:11], s[8:9], s[10:11]
	;; [unrolled: 3-line block ×3, first 2 shown]
	s_and_saveexec_b64 s[14:15], s[2:3]
	s_cbranch_execz .LBB30_33
; %bb.142:                              ;   in Loop: Header=BB30_34 Depth=1
	s_xor_b64 s[2:3], s[22:23], -1
	s_andn2_b64 vcc, exec, s[2:3]
	s_mov_b32 s46, 1
	s_cbranch_vccnz .LBB30_153
; %bb.143:                              ;   in Loop: Header=BB30_34 Depth=1
	s_waitcnt vmcnt(0)
	v_pk_mov_b32 v[4:5], s[0:1], s[0:1] op_sel:[0,1]
	v_cmp_gt_i64_e32 vcc, s[58:59], v[4:5]
	s_mov_b64 s[2:3], -1
                                        ; implicit-def: $sgpr46
                                        ; implicit-def: $sgpr8_sgpr9
                                        ; implicit-def: $sgpr16_sgpr17
	s_cbranch_vccnz .LBB30_149
; %bb.144:                              ;   in Loop: Header=BB30_34 Depth=1
	ds_read_b64 v[4:5], v19 offset:5120
	s_waitcnt lgkmcnt(0)
	v_cmp_ne_u64_e32 vcc, 0, v[4:5]
	s_cbranch_vccnz .LBB30_148
; %bb.145:                              ;   in Loop: Header=BB30_34 Depth=1
	s_mov_b64 s[2:3], exec
	v_readlane_b32 s8, v66, 32
	v_readlane_b32 s9, v66, 33
	s_and_b64 s[8:9], s[2:3], s[8:9]
	s_mov_b64 exec, s[8:9]
	s_cbranch_execz .LBB30_147
; %bb.146:                              ;   in Loop: Header=BB30_34 Depth=1
	v_pk_mov_b32 v[4:5], s[0:1], s[0:1] op_sel:[0,1]
	ds_write_b64 v19, v[4:5] offset:5128
.LBB30_147:                             ;   in Loop: Header=BB30_34 Depth=1
	s_or_b64 exec, exec, s[2:3]
	s_waitcnt lgkmcnt(0)
	s_barrier
.LBB30_148:                             ;   in Loop: Header=BB30_34 Depth=1
	s_and_b64 s[8:9], s[54:55], s[20:21]
	s_or_b64 s[16:17], s[78:79], s[12:13]
	s_mov_b64 s[2:3], 0
	s_mov_b32 s46, 8
.LBB30_149:                             ;   in Loop: Header=BB30_34 Depth=1
	s_andn2_b64 vcc, exec, s[2:3]
	s_cbranch_vccnz .LBB30_151
; %bb.150:                              ;   in Loop: Header=BB30_34 Depth=1
	s_sub_u32 s58, s58, s0
	s_subb_u32 s59, s59, s1
	s_mov_b64 s[2:3], -1
	s_mov_b32 s46, 0
	s_mov_b64 s[8:9], s[54:55]
	s_mov_b64 s[16:17], s[78:79]
.LBB30_151:                             ;   in Loop: Header=BB30_34 Depth=1
	s_mov_b64 s[78:79], s[16:17]
	s_mov_b64 s[54:55], s[8:9]
	s_mov_b64 s[16:17], -1
	s_and_b64 vcc, exec, s[2:3]
	s_cbranch_vccnz .LBB30_154
.LBB30_152:                             ;   in Loop: Header=BB30_34 Depth=1
	s_mov_b64 s[8:9], -1
                                        ; implicit-def: $sgpr22_sgpr23
                                        ; implicit-def: $sgpr26_sgpr27
                                        ; implicit-def: $sgpr24_sgpr25
	s_and_saveexec_b64 s[0:1], s[8:9]
	s_xor_b64 s[0:1], exec, s[0:1]
	s_cbranch_execz .LBB30_32
	s_branch .LBB30_300
.LBB30_153:                             ;   in Loop: Header=BB30_34 Depth=1
	s_mov_b64 s[58:59], 1
	s_mov_b64 s[16:17], -1
	s_branch .LBB30_152
.LBB30_154:                             ;   in Loop: Header=BB30_34 Depth=1
	s_cmp_eq_u64 s[34:35], 1
	s_cselect_b64 s[0:1], -1, 0
	s_cmp_eq_u64 s[58:59], 1
	s_cselect_b64 s[2:3], -1, 0
	s_and_b64 s[0:1], s[0:1], s[2:3]
	s_mov_b64 s[2:3], -1
	s_and_b64 vcc, exec, s[0:1]
	s_cbranch_vccz .LBB30_169
; %bb.155:                              ;   in Loop: Header=BB30_34 Depth=1
	s_waitcnt vmcnt(0)
	ds_read_b64 v[4:5], v19 offset:5120
	s_waitcnt lgkmcnt(0)
	s_barrier
	v_readfirstlane_b32 s30, v4
	v_readfirstlane_b32 s31, v5
	s_mov_b64 s[2:3], exec
	v_readlane_b32 s8, v66, 36
	v_readlane_b32 s9, v66, 37
	s_and_b64 s[8:9], s[2:3], s[8:9]
	s_mov_b64 exec, s[8:9]
	s_cbranch_execz .LBB30_157
; %bb.156:                              ;   in Loop: Header=BB30_34 Depth=1
	v_mov_b32_e32 v18, v19
	ds_write_b64 v42, v[18:19]
.LBB30_157:                             ;   in Loop: Header=BB30_34 Depth=1
	s_or_b64 exec, exec, s[2:3]
	s_lshl_b64 s[2:3], 1, s42
	s_and_b64 s[8:9], s[54:55], s[20:21]
	s_or_b64 s[54:55], s[8:9], s[2:3]
	v_cmp_gt_i64_e64 s[2:3], s[30:31], 0
	s_or_b64 s[78:79], s[78:79], s[12:13]
	s_and_b64 vcc, exec, s[2:3]
	s_waitcnt lgkmcnt(0)
	s_barrier
	s_cbranch_vccnz .LBB30_172
; %bb.158:                              ;   in Loop: Header=BB30_34 Depth=1
	s_mov_b32 s72, s95
	s_cmp_lg_u64 s[72:73], 0
	s_cbranch_scc0 .LBB30_217
; %bb.159:                              ;   in Loop: Header=BB30_34 Depth=1
	v_cvt_f32_u32_e32 v3, s33
	s_sub_u32 s2, 0, s33
	s_subb_u32 s3, 0, 0
	v_mac_f32_e32 v3, 0x4f800000, v49
	v_rcp_f32_e32 v3, v3
	v_mul_f32_e32 v3, 0x5f7ffffc, v3
	v_mul_f32_e32 v4, 0x2f800000, v3
	v_trunc_f32_e32 v4, v4
	v_mac_f32_e32 v3, 0xcf800000, v4
	v_cvt_u32_f32_e32 v4, v4
	v_cvt_u32_f32_e32 v3, v3
	v_readfirstlane_b32 s8, v4
	v_readfirstlane_b32 s9, v3
	s_mul_i32 s22, s2, s8
	s_mul_hi_u32 s24, s2, s9
	s_mul_i32 s23, s3, s9
	s_add_i32 s22, s24, s22
	s_mul_i32 s25, s2, s9
	s_add_i32 s22, s22, s23
	s_mul_hi_u32 s24, s9, s25
	s_mul_hi_u32 s23, s9, s22
	s_mul_i32 s9, s9, s22
	s_add_u32 s9, s24, s9
	s_addc_u32 s23, 0, s23
	s_mul_hi_u32 s26, s8, s25
	s_mul_i32 s25, s8, s25
	s_add_u32 s9, s9, s25
	s_mul_hi_u32 s24, s8, s22
	s_addc_u32 s9, s23, s26
	s_addc_u32 s23, s24, 0
	s_mul_i32 s22, s8, s22
	s_add_u32 s9, s9, s22
	s_addc_u32 s22, 0, s23
	v_add_co_u32_e32 v3, vcc, s9, v3
	s_cmp_lg_u64 vcc, 0
	s_addc_u32 s8, s8, s22
	v_readfirstlane_b32 s22, v3
	s_mul_i32 s9, s2, s8
	s_mul_hi_u32 s23, s2, s22
	s_add_i32 s9, s23, s9
	s_mul_i32 s3, s3, s22
	s_add_i32 s9, s9, s3
	s_mul_i32 s2, s2, s22
	s_mul_hi_u32 s23, s8, s2
	s_mul_i32 s24, s8, s2
	s_mul_i32 s26, s22, s9
	s_mul_hi_u32 s2, s22, s2
	s_mul_hi_u32 s25, s22, s9
	s_add_u32 s2, s2, s26
	s_addc_u32 s22, 0, s25
	s_add_u32 s2, s2, s24
	s_mul_hi_u32 s3, s8, s9
	s_addc_u32 s2, s22, s23
	s_addc_u32 s3, s3, 0
	s_mul_i32 s9, s8, s9
	s_add_u32 s2, s2, s9
	s_addc_u32 s3, 0, s3
	v_add_co_u32_e32 v3, vcc, s2, v3
	s_cmp_lg_u64 vcc, 0
	s_addc_u32 s22, s8, s3
	s_ashr_i32 s2, s73, 31
	s_add_u32 s8, s75, s2
	s_mov_b32 s3, s2
	s_addc_u32 s9, s73, s2
	s_xor_b64 s[8:9], s[8:9], s[2:3]
	v_readfirstlane_b32 s24, v3
	s_mul_i32 s23, s8, s22
	s_mul_hi_u32 s25, s8, s24
	s_mul_hi_u32 s3, s8, s22
	s_add_u32 s23, s25, s23
	s_addc_u32 s3, 0, s3
	s_mul_hi_u32 s26, s9, s24
	s_mul_i32 s24, s9, s24
	s_add_u32 s23, s23, s24
	s_mul_hi_u32 s25, s9, s22
	s_addc_u32 s3, s3, s26
	s_addc_u32 s23, s25, 0
	s_mul_i32 s22, s9, s22
	s_add_u32 s3, s3, s22
	s_addc_u32 s22, 0, s23
	s_mul_hi_u32 s23, s33, s3
	s_mul_i32 s3, s33, s3
	s_mul_i32 s22, s33, s22
	v_mov_b32_e32 v3, s3
	s_add_i32 s23, s23, s22
	v_sub_co_u32_e32 v3, vcc, s8, v3
	s_cmp_lg_u64 vcc, 0
	s_subb_u32 s3, s9, s23
	v_subrev_co_u32_e32 v4, vcc, s33, v3
	s_cmp_lg_u64 vcc, 0
	s_subb_u32 s8, s3, 0
	v_subrev_co_u32_e32 v5, vcc, s33, v4
	s_cmp_lg_u64 vcc, 0
	s_subb_u32 s9, s8, 0
	v_cmp_le_u32_e32 vcc, s33, v4
	s_cmp_eq_u32 s8, 0
	v_cndmask_b32_e64 v6, 0, -1, vcc
	s_cselect_b64 vcc, -1, 0
	v_cndmask_b32_e32 v6, -1, v6, vcc
	v_mov_b32_e32 v7, s8
	v_mov_b32_e32 v8, s9
	v_cmp_ne_u32_e32 vcc, 0, v6
	v_cndmask_b32_e32 v6, v7, v8, vcc
	v_cndmask_b32_e32 v4, v4, v5, vcc
	v_cmp_le_u32_e32 vcc, s33, v3
	s_cmp_eq_u32 s3, 0
	v_cndmask_b32_e64 v5, 0, -1, vcc
	s_cselect_b64 vcc, -1, 0
	v_cndmask_b32_e32 v5, -1, v5, vcc
	v_cmp_ne_u32_e32 vcc, 0, v5
	v_mov_b32_e32 v7, s3
	v_cndmask_b32_e32 v3, v3, v4, vcc
	v_cndmask_b32_e32 v5, v7, v6, vcc
	v_xor_b32_e32 v3, s2, v3
	v_xor_b32_e32 v5, s2, v5
	v_mov_b32_e32 v6, s2
	v_subrev_co_u32_e32 v4, vcc, s2, v3
	v_subb_co_u32_e32 v5, vcc, v5, v6, vcc
	s_cbranch_execnz .LBB30_161
.LBB30_160:                             ;   in Loop: Header=BB30_34 Depth=1
	v_cvt_f32_u32_e32 v3, s33
	s_sub_i32 s2, 0, s33
	v_rcp_iflag_f32_e32 v3, v3
	v_mul_f32_e32 v3, 0x4f7ffffe, v3
	v_cvt_u32_f32_e32 v3, v3
	v_mul_lo_u32 v4, s2, v3
	v_mul_hi_u32 v4, v3, v4
	v_add_u32_e32 v3, v3, v4
	s_mov_b32 s2, s75
	v_mul_hi_u32 v3, s2, v3
	v_mul_lo_u32 v3, v3, s33
	v_sub_u32_e32 v3, s2, v3
	v_subrev_u32_e32 v4, s33, v3
	v_cmp_le_u32_e32 vcc, s33, v3
	v_cndmask_b32_e32 v3, v3, v4, vcc
	v_subrev_u32_e32 v4, s33, v3
	v_cmp_le_u32_e32 vcc, s33, v3
	v_cndmask_b32_e32 v18, v3, v4, vcc
	v_pk_mov_b32 v[4:5], v[18:19], v[18:19] op_sel:[0,1]
.LBB30_161:                             ;   in Loop: Header=BB30_34 Depth=1
	v_mov_b32_e32 v3, s73
	v_sub_co_u32_e32 v8, vcc, s75, v4
	v_subb_co_u32_e32 v9, vcc, v3, v5, vcc
	v_cmp_gt_i64_e32 vcc, v[8:9], v[0:1]
	s_mov_b64 s[2:3], 0
                                        ; implicit-def: $vgpr6_vgpr7
	s_and_saveexec_b64 s[8:9], vcc
	s_cbranch_execz .LBB30_174
; %bb.162:                              ;   in Loop: Header=BB30_34 Depth=1
	s_mov_b64 s[22:23], 0
	v_pk_mov_b32 v[10:11], v[16:17], v[16:17] op_sel:[0,1]
	v_pk_mov_b32 v[12:13], v[0:1], v[0:1] op_sel:[0,1]
                                        ; implicit-def: $sgpr2_sgpr3
	s_branch .LBB30_164
.LBB30_163:                             ;   in Loop: Header=BB30_164 Depth=2
	s_or_b64 exec, exec, s[24:25]
	s_waitcnt lgkmcnt(0)
	s_barrier
	s_waitcnt vmcnt(0)
	ds_read_b128 v[4:7], v19 offset:3072
	v_mov_b32_e32 v3, s90
	v_add_co_u32_e32 v12, vcc, s33, v12
	v_addc_co_u32_e32 v13, vcc, v13, v3, vcc
	s_waitcnt lgkmcnt(0)
	v_readfirstlane_b32 s25, v5
	v_readfirstlane_b32 s24, v4
	s_cmp_lg_u64 s[24:25], 0
	s_cselect_b64 s[24:25], -1, 0
	v_cmp_ge_i64_e32 vcc, v[12:13], v[8:9]
	s_or_b64 s[26:27], s[24:25], vcc
	s_and_b64 s[26:27], exec, s[26:27]
	s_or_b64 s[22:23], s[26:27], s[22:23]
	v_mov_b32_e32 v3, s89
	v_add_co_u32_e32 v10, vcc, s88, v10
	s_andn2_b64 s[2:3], s[2:3], exec
	s_and_b64 s[24:25], s[24:25], exec
	v_addc_co_u32_e32 v11, vcc, v11, v3, vcc
	s_or_b64 s[2:3], s[2:3], s[24:25]
	s_barrier
	s_andn2_b64 exec, exec, s[22:23]
	s_cbranch_execz .LBB30_173
.LBB30_164:                             ;   Parent Loop BB30_34 Depth=1
                                        ; =>  This Inner Loop Header: Depth=2
	v_cmp_gt_i64_e32 vcc, s[56:57], v[12:13]
	v_pk_mov_b32 v[4:5], 0, 0
	s_and_saveexec_b64 s[24:25], vcc
	s_cbranch_execz .LBB30_166
; %bb.165:                              ;   in Loop: Header=BB30_164 Depth=2
	global_load_dwordx2 v[4:5], v[10:11], off
.LBB30_166:                             ;   in Loop: Header=BB30_164 Depth=2
	s_or_b64 exec, exec, s[24:25]
	s_and_saveexec_b64 s[24:25], vcc
	s_cbranch_execz .LBB30_163
; %bb.167:                              ;   in Loop: Header=BB30_164 Depth=2
	s_waitcnt vmcnt(0)
	v_xor_b32_e32 v3, 0x80000000, v5
	v_and_b32_e32 v7, s79, v3
	v_and_b32_e32 v6, s78, v4
	v_cmp_eq_u64_e32 vcc, s[54:55], v[6:7]
	s_and_b64 exec, exec, vcc
	s_cbranch_execz .LBB30_163
; %bb.168:                              ;   in Loop: Header=BB30_164 Depth=2
	v_mov_b32_e32 v3, v19
	ds_write_b128 v19, v[2:5] offset:3072
	s_branch .LBB30_163
.LBB30_169:                             ;   in Loop: Header=BB30_34 Depth=1
                                        ; implicit-def: $sgpr24_sgpr25
                                        ; implicit-def: $sgpr26_sgpr27
                                        ; implicit-def: $sgpr22_sgpr23
	s_branch .LBB30_188
.LBB30_170:                             ;   in Loop: Header=BB30_34 Depth=1
                                        ; implicit-def: $vgpr4_vgpr5
	s_branch .LBB30_115
.LBB30_171:                             ;   in Loop: Header=BB30_34 Depth=1
                                        ; implicit-def: $vgpr4_vgpr5
	s_branch .LBB30_130
.LBB30_172:                             ;   in Loop: Header=BB30_34 Depth=1
	s_mov_b64 s[24:25], -1
	s_mov_b64 s[2:3], 0
                                        ; implicit-def: $sgpr22_sgpr23
                                        ; implicit-def: $vgpr6_vgpr7
	s_mov_b64 s[26:27], s[24:25]
	s_cbranch_execnz .LBB30_175
	s_branch .LBB30_188
.LBB30_173:                             ;   in Loop: Header=BB30_34 Depth=1
	s_or_b64 exec, exec, s[22:23]
	s_and_b64 s[2:3], s[2:3], exec
.LBB30_174:                             ;   in Loop: Header=BB30_34 Depth=1
	s_or_b64 exec, exec, s[8:9]
	s_mov_b64 s[22:23], -1
	s_mov_b64 s[24:25], 0
	s_mov_b64 s[26:27], s[24:25]
	s_branch .LBB30_188
.LBB30_175:                             ;   in Loop: Header=BB30_34 Depth=1
	v_readlane_b32 s2, v66, 48
	s_add_u32 s22, s2, s30
	v_readlane_b32 s2, v66, 49
	s_addc_u32 s3, s2, s31
	s_mov_b32 s2, s95
	s_cmp_lg_u64 s[2:3], 0
	s_cbranch_scc0 .LBB30_218
; %bb.176:                              ;   in Loop: Header=BB30_34 Depth=1
	v_cvt_f32_u32_e32 v3, s33
	s_sub_u32 s2, 0, s33
	s_subb_u32 s8, 0, 0
	v_mac_f32_e32 v3, 0x4f800000, v49
	v_rcp_f32_e32 v3, v3
	v_mul_f32_e32 v3, 0x5f7ffffc, v3
	v_mul_f32_e32 v4, 0x2f800000, v3
	v_trunc_f32_e32 v4, v4
	v_mac_f32_e32 v3, 0xcf800000, v4
	v_cvt_u32_f32_e32 v4, v4
	v_cvt_u32_f32_e32 v3, v3
	v_readfirstlane_b32 s9, v4
	v_readfirstlane_b32 s23, v3
	s_mul_i32 s24, s2, s9
	s_mul_hi_u32 s26, s2, s23
	s_mul_i32 s25, s8, s23
	s_add_i32 s24, s26, s24
	s_mul_i32 s27, s2, s23
	s_add_i32 s24, s24, s25
	s_mul_hi_u32 s26, s23, s27
	s_mul_hi_u32 s25, s23, s24
	s_mul_i32 s23, s23, s24
	s_add_u32 s23, s26, s23
	s_addc_u32 s25, 0, s25
	s_mul_hi_u32 s28, s9, s27
	s_mul_i32 s27, s9, s27
	s_add_u32 s23, s23, s27
	s_mul_hi_u32 s26, s9, s24
	s_addc_u32 s23, s25, s28
	s_addc_u32 s25, s26, 0
	s_mul_i32 s24, s9, s24
	s_add_u32 s23, s23, s24
	s_addc_u32 s24, 0, s25
	v_add_co_u32_e32 v3, vcc, s23, v3
	s_cmp_lg_u64 vcc, 0
	s_addc_u32 s9, s9, s24
	v_readfirstlane_b32 s24, v3
	s_mul_i32 s23, s2, s9
	s_mul_hi_u32 s25, s2, s24
	s_add_i32 s23, s25, s23
	s_mul_i32 s8, s8, s24
	s_add_i32 s23, s23, s8
	s_mul_i32 s2, s2, s24
	s_mul_hi_u32 s25, s9, s2
	s_mul_i32 s26, s9, s2
	s_mul_i32 s28, s24, s23
	s_mul_hi_u32 s2, s24, s2
	s_mul_hi_u32 s27, s24, s23
	s_add_u32 s2, s2, s28
	s_addc_u32 s24, 0, s27
	s_add_u32 s2, s2, s26
	s_mul_hi_u32 s8, s9, s23
	s_addc_u32 s2, s24, s25
	s_addc_u32 s8, s8, 0
	s_mul_i32 s23, s9, s23
	s_add_u32 s2, s2, s23
	s_addc_u32 s8, 0, s8
	v_add_co_u32_e32 v3, vcc, s2, v3
	s_cmp_lg_u64 vcc, 0
	s_addc_u32 s2, s9, s8
	s_ashr_i32 s8, s3, 31
	s_add_u32 s24, s22, s8
	s_mov_b32 s9, s8
	s_addc_u32 s25, s3, s8
	s_xor_b64 s[24:25], s[24:25], s[8:9]
	v_readfirstlane_b32 s26, v3
	s_mul_i32 s23, s24, s2
	s_mul_hi_u32 s27, s24, s26
	s_mul_hi_u32 s9, s24, s2
	s_add_u32 s23, s27, s23
	s_addc_u32 s9, 0, s9
	s_mul_hi_u32 s28, s25, s26
	s_mul_i32 s26, s25, s26
	s_add_u32 s23, s23, s26
	s_mul_hi_u32 s27, s25, s2
	s_addc_u32 s9, s9, s28
	s_addc_u32 s23, s27, 0
	s_mul_i32 s2, s25, s2
	s_add_u32 s2, s9, s2
	s_addc_u32 s9, 0, s23
	s_mul_hi_u32 s23, s33, s2
	s_mul_i32 s2, s33, s2
	s_mul_i32 s9, s33, s9
	v_mov_b32_e32 v3, s2
	s_add_i32 s23, s23, s9
	v_sub_co_u32_e32 v3, vcc, s24, v3
	s_cmp_lg_u64 vcc, 0
	s_subb_u32 s2, s25, s23
	v_subrev_co_u32_e32 v4, vcc, s33, v3
	s_cmp_lg_u64 vcc, 0
	s_subb_u32 s9, s2, 0
	v_subrev_co_u32_e32 v5, vcc, s33, v4
	s_cmp_lg_u64 vcc, 0
	s_subb_u32 s23, s9, 0
	v_cmp_le_u32_e32 vcc, s33, v4
	s_cmp_eq_u32 s9, 0
	v_cndmask_b32_e64 v6, 0, -1, vcc
	s_cselect_b64 vcc, -1, 0
	v_cndmask_b32_e32 v6, -1, v6, vcc
	v_mov_b32_e32 v7, s9
	v_mov_b32_e32 v8, s23
	v_cmp_ne_u32_e32 vcc, 0, v6
	v_cndmask_b32_e32 v6, v7, v8, vcc
	v_cndmask_b32_e32 v4, v4, v5, vcc
	v_cmp_le_u32_e32 vcc, s33, v3
	s_cmp_eq_u32 s2, 0
	v_cndmask_b32_e64 v5, 0, -1, vcc
	s_cselect_b64 vcc, -1, 0
	v_cndmask_b32_e32 v5, -1, v5, vcc
	v_cmp_ne_u32_e32 vcc, 0, v5
	v_mov_b32_e32 v7, s2
	v_cndmask_b32_e32 v3, v3, v4, vcc
	v_cndmask_b32_e32 v5, v7, v6, vcc
	v_xor_b32_e32 v3, s8, v3
	v_xor_b32_e32 v5, s8, v5
	v_mov_b32_e32 v6, s8
	v_subrev_co_u32_e32 v4, vcc, s8, v3
	v_subb_co_u32_e32 v5, vcc, v5, v6, vcc
	s_cbranch_execnz .LBB30_178
.LBB30_177:                             ;   in Loop: Header=BB30_34 Depth=1
	v_cvt_f32_u32_e32 v3, s33
	s_sub_i32 s2, 0, s33
	v_rcp_iflag_f32_e32 v3, v3
	v_mul_f32_e32 v3, 0x4f7ffffe, v3
	v_cvt_u32_f32_e32 v3, v3
	v_mul_lo_u32 v4, s2, v3
	v_mul_hi_u32 v4, v3, v4
	v_add_u32_e32 v3, v3, v4
	v_mul_hi_u32 v3, s22, v3
	v_mul_lo_u32 v3, v3, s33
	v_sub_u32_e32 v3, s22, v3
	v_subrev_u32_e32 v4, s33, v3
	v_cmp_le_u32_e32 vcc, s33, v3
	v_cndmask_b32_e32 v3, v3, v4, vcc
	v_subrev_u32_e32 v4, s33, v3
	v_cmp_le_u32_e32 vcc, s33, v3
	v_cndmask_b32_e32 v18, v3, v4, vcc
	v_pk_mov_b32 v[4:5], v[18:19], v[18:19] op_sel:[0,1]
.LBB30_178:                             ;   in Loop: Header=BB30_34 Depth=1
	v_mov_b32_e32 v3, s3
	v_sub_co_u32_e32 v8, vcc, s22, v4
	v_subb_co_u32_e32 v9, vcc, v3, v5, vcc
	v_cmp_gt_i64_e32 vcc, v[8:9], v[0:1]
	s_mov_b64 s[2:3], 0
                                        ; implicit-def: $vgpr6_vgpr7
	s_and_saveexec_b64 s[8:9], vcc
	s_cbranch_execz .LBB30_187
; %bb.179:                              ;   in Loop: Header=BB30_34 Depth=1
	s_mov_b64 s[22:23], 0
	v_mov_b32_e32 v12, v41
	v_pk_mov_b32 v[10:11], v[0:1], v[0:1] op_sel:[0,1]
                                        ; implicit-def: $sgpr2_sgpr3
	s_branch .LBB30_181
.LBB30_180:                             ;   in Loop: Header=BB30_181 Depth=2
	s_or_b64 exec, exec, s[24:25]
	s_waitcnt lgkmcnt(0)
	s_barrier
	ds_read_b128 v[4:7], v19 offset:3072
	v_mov_b32_e32 v3, s90
	v_add_co_u32_e32 v10, vcc, s33, v10
	v_addc_co_u32_e32 v11, vcc, v11, v3, vcc
	s_waitcnt lgkmcnt(0)
	v_readfirstlane_b32 s25, v5
	v_readfirstlane_b32 s24, v4
	s_cmp_lg_u64 s[24:25], 0
	s_cselect_b64 s[24:25], -1, 0
	v_cmp_ge_i64_e32 vcc, v[10:11], v[8:9]
	s_or_b64 s[26:27], s[24:25], vcc
	s_and_b64 s[26:27], exec, s[26:27]
	s_or_b64 s[22:23], s[26:27], s[22:23]
	s_andn2_b64 s[2:3], s[2:3], exec
	s_and_b64 s[24:25], s[24:25], exec
	v_add_u32_e32 v12, s86, v12
	s_or_b64 s[2:3], s[2:3], s[24:25]
	s_barrier
	s_andn2_b64 exec, exec, s[22:23]
	s_cbranch_execz .LBB30_186
.LBB30_181:                             ;   Parent Loop BB30_34 Depth=1
                                        ; =>  This Inner Loop Header: Depth=2
	v_cmp_gt_i64_e32 vcc, s[30:31], v[10:11]
	v_pk_mov_b32 v[4:5], 0, 0
	s_and_saveexec_b64 s[24:25], vcc
	s_cbranch_execz .LBB30_183
; %bb.182:                              ;   in Loop: Header=BB30_181 Depth=2
	ds_read_b64 v[4:5], v12
.LBB30_183:                             ;   in Loop: Header=BB30_181 Depth=2
	s_or_b64 exec, exec, s[24:25]
	s_and_saveexec_b64 s[24:25], vcc
	s_cbranch_execz .LBB30_180
; %bb.184:                              ;   in Loop: Header=BB30_181 Depth=2
	s_waitcnt lgkmcnt(0)
	v_xor_b32_e32 v3, 0x80000000, v5
	v_and_b32_e32 v7, s79, v3
	v_and_b32_e32 v6, s78, v4
	v_cmp_eq_u64_e32 vcc, s[54:55], v[6:7]
	s_and_b64 exec, exec, vcc
	s_cbranch_execz .LBB30_180
; %bb.185:                              ;   in Loop: Header=BB30_181 Depth=2
	v_mov_b32_e32 v3, v19
	ds_write_b128 v19, v[2:5] offset:3072
	s_branch .LBB30_180
.LBB30_186:                             ;   in Loop: Header=BB30_34 Depth=1
	s_or_b64 exec, exec, s[22:23]
	s_and_b64 s[2:3], s[2:3], exec
.LBB30_187:                             ;   in Loop: Header=BB30_34 Depth=1
	s_or_b64 exec, exec, s[8:9]
	s_mov_b64 s[26:27], -1
	s_mov_b64 s[24:25], 0
	s_mov_b64 s[22:23], 0
.LBB30_188:                             ;   in Loop: Header=BB30_34 Depth=1
	s_mov_b64 s[8:9], 0
                                        ; implicit-def: $sgpr46
	s_and_saveexec_b64 s[30:31], s[2:3]
	s_cbranch_execz .LBB30_299
; %bb.189:                              ;   in Loop: Header=BB30_34 Depth=1
	s_xor_b64 s[0:1], s[0:1], -1
	s_andn2_b64 vcc, exec, s[0:1]
	s_mov_b32 s46, 1
	s_cbranch_vccnz .LBB30_200
; %bb.190:                              ;   in Loop: Header=BB30_34 Depth=1
	s_waitcnt vmcnt(0)
	v_pk_mov_b32 v[4:5], s[34:35], s[34:35] op_sel:[0,1]
	v_cmp_gt_i64_e32 vcc, s[58:59], v[4:5]
	s_mov_b64 s[0:1], -1
                                        ; implicit-def: $sgpr46
                                        ; implicit-def: $sgpr2_sgpr3
                                        ; implicit-def: $sgpr8_sgpr9
	s_cbranch_vccnz .LBB30_196
; %bb.191:                              ;   in Loop: Header=BB30_34 Depth=1
	ds_read_b64 v[4:5], v19 offset:5120
	s_waitcnt lgkmcnt(0)
	v_cmp_ne_u64_e32 vcc, 0, v[4:5]
	s_cbranch_vccnz .LBB30_195
; %bb.192:                              ;   in Loop: Header=BB30_34 Depth=1
	s_mov_b64 s[0:1], exec
	v_readlane_b32 s2, v66, 32
	v_readlane_b32 s3, v66, 33
	s_and_b64 s[2:3], s[0:1], s[2:3]
	s_mov_b64 exec, s[2:3]
	s_cbranch_execz .LBB30_194
; %bb.193:                              ;   in Loop: Header=BB30_34 Depth=1
	v_pk_mov_b32 v[4:5], s[34:35], s[34:35] op_sel:[0,1]
	ds_write_b64 v19, v[4:5] offset:5128
.LBB30_194:                             ;   in Loop: Header=BB30_34 Depth=1
	s_or_b64 exec, exec, s[0:1]
	s_waitcnt lgkmcnt(0)
	s_barrier
.LBB30_195:                             ;   in Loop: Header=BB30_34 Depth=1
	s_lshl_b64 s[0:1], 1, s42
	s_and_b64 s[2:3], s[54:55], s[20:21]
	s_or_b64 s[2:3], s[2:3], s[0:1]
	s_or_b64 s[8:9], s[78:79], s[12:13]
	s_mov_b64 s[0:1], 0
	s_mov_b32 s46, 8
.LBB30_196:                             ;   in Loop: Header=BB30_34 Depth=1
	s_andn2_b64 vcc, exec, s[0:1]
	s_cbranch_vccnz .LBB30_198
; %bb.197:                              ;   in Loop: Header=BB30_34 Depth=1
	s_sub_u32 s58, s58, s34
	s_subb_u32 s59, s59, s35
	s_mov_b64 s[0:1], -1
	s_mov_b32 s46, 0
	s_mov_b64 s[2:3], s[54:55]
	s_mov_b64 s[8:9], s[78:79]
.LBB30_198:                             ;   in Loop: Header=BB30_34 Depth=1
	s_mov_b64 s[78:79], s[8:9]
	s_mov_b64 s[54:55], s[2:3]
	s_andn2_b64 vcc, exec, s[0:1]
	s_mov_b64 s[8:9], -1
	s_cbranch_vccz .LBB30_201
.LBB30_199:                             ;   in Loop: Header=BB30_34 Depth=1
                                        ; implicit-def: $sgpr34_sgpr35
                                        ; implicit-def: $sgpr36_sgpr37
                                        ; implicit-def: $sgpr0_sgpr1
	s_branch .LBB30_298
.LBB30_200:                             ;   in Loop: Header=BB30_34 Depth=1
	s_mov_b64 s[58:59], 1
	s_mov_b64 s[8:9], -1
	s_cbranch_execnz .LBB30_199
.LBB30_201:                             ;   in Loop: Header=BB30_34 Depth=1
	s_cmp_eq_u64 s[18:19], 1
	s_cselect_b64 s[0:1], -1, 0
	s_cmp_eq_u64 s[58:59], 1
	s_cselect_b64 s[2:3], -1, 0
	s_and_b64 s[40:41], s[0:1], s[2:3]
	s_mov_b64 s[2:3], -1
	s_and_b64 vcc, exec, s[40:41]
	s_cbranch_vccz .LBB30_216
; %bb.202:                              ;   in Loop: Header=BB30_34 Depth=1
	s_waitcnt vmcnt(0)
	ds_read_b64 v[4:5], v19 offset:5120
	s_waitcnt lgkmcnt(0)
	s_barrier
	v_readfirstlane_b32 s38, v4
	v_readfirstlane_b32 s39, v5
	s_mov_b64 s[0:1], exec
	v_readlane_b32 s2, v66, 36
	v_readlane_b32 s3, v66, 37
	s_and_b64 s[2:3], s[0:1], s[2:3]
	s_mov_b64 exec, s[2:3]
	s_cbranch_execz .LBB30_204
; %bb.203:                              ;   in Loop: Header=BB30_34 Depth=1
	v_mov_b32_e32 v18, v19
	ds_write_b64 v42, v[18:19]
.LBB30_204:                             ;   in Loop: Header=BB30_34 Depth=1
	s_or_b64 exec, exec, s[0:1]
	s_lshl_b64 s[0:1], 2, s42
	s_and_b64 s[2:3], s[54:55], s[20:21]
	s_or_b64 s[54:55], s[2:3], s[0:1]
	v_cmp_gt_i64_e64 s[0:1], s[38:39], 0
	s_or_b64 s[78:79], s[78:79], s[12:13]
	s_and_b64 vcc, exec, s[0:1]
	s_waitcnt lgkmcnt(0)
	s_barrier
	s_cbranch_vccnz .LBB30_219
; %bb.205:                              ;   in Loop: Header=BB30_34 Depth=1
	s_mov_b32 s72, s95
	s_cmp_lg_u64 s[72:73], 0
	s_cbranch_scc0 .LBB30_264
; %bb.206:                              ;   in Loop: Header=BB30_34 Depth=1
	v_cvt_f32_u32_e32 v3, s33
	s_sub_u32 s0, 0, s33
	s_subb_u32 s1, 0, 0
	v_mac_f32_e32 v3, 0x4f800000, v49
	v_rcp_f32_e32 v3, v3
	v_mul_f32_e32 v3, 0x5f7ffffc, v3
	v_mul_f32_e32 v4, 0x2f800000, v3
	v_trunc_f32_e32 v4, v4
	v_mac_f32_e32 v3, 0xcf800000, v4
	v_cvt_u32_f32_e32 v4, v4
	v_cvt_u32_f32_e32 v3, v3
	v_readfirstlane_b32 s2, v4
	v_readfirstlane_b32 s3, v3
	s_mul_i32 s8, s0, s2
	s_mul_hi_u32 s28, s0, s3
	s_mul_i32 s9, s1, s3
	s_add_i32 s8, s28, s8
	s_mul_i32 s29, s0, s3
	s_add_i32 s8, s8, s9
	s_mul_hi_u32 s28, s3, s29
	s_mul_hi_u32 s9, s3, s8
	s_mul_i32 s3, s3, s8
	s_add_u32 s3, s28, s3
	s_addc_u32 s9, 0, s9
	s_mul_hi_u32 s34, s2, s29
	s_mul_i32 s29, s2, s29
	s_add_u32 s3, s3, s29
	s_mul_hi_u32 s28, s2, s8
	s_addc_u32 s3, s9, s34
	s_addc_u32 s9, s28, 0
	s_mul_i32 s8, s2, s8
	s_add_u32 s3, s3, s8
	s_addc_u32 s8, 0, s9
	v_add_co_u32_e32 v3, vcc, s3, v3
	s_cmp_lg_u64 vcc, 0
	s_addc_u32 s2, s2, s8
	v_readfirstlane_b32 s8, v3
	s_mul_i32 s3, s0, s2
	s_mul_hi_u32 s9, s0, s8
	s_add_i32 s3, s9, s3
	s_mul_i32 s1, s1, s8
	s_add_i32 s3, s3, s1
	s_mul_i32 s0, s0, s8
	s_mul_hi_u32 s9, s2, s0
	s_mul_i32 s28, s2, s0
	s_mul_i32 s34, s8, s3
	s_mul_hi_u32 s0, s8, s0
	s_mul_hi_u32 s29, s8, s3
	s_add_u32 s0, s0, s34
	s_addc_u32 s8, 0, s29
	s_add_u32 s0, s0, s28
	s_mul_hi_u32 s1, s2, s3
	s_addc_u32 s0, s8, s9
	s_addc_u32 s1, s1, 0
	s_mul_i32 s3, s2, s3
	s_add_u32 s0, s0, s3
	s_addc_u32 s1, 0, s1
	v_add_co_u32_e32 v3, vcc, s0, v3
	s_cmp_lg_u64 vcc, 0
	s_addc_u32 s8, s2, s1
	s_ashr_i32 s0, s73, 31
	s_add_u32 s2, s75, s0
	s_mov_b32 s1, s0
	s_addc_u32 s3, s73, s0
	s_xor_b64 s[2:3], s[2:3], s[0:1]
	v_readfirstlane_b32 s28, v3
	s_mul_i32 s9, s2, s8
	s_mul_hi_u32 s29, s2, s28
	s_mul_hi_u32 s1, s2, s8
	s_add_u32 s9, s29, s9
	s_addc_u32 s1, 0, s1
	s_mul_hi_u32 s34, s3, s28
	s_mul_i32 s28, s3, s28
	s_add_u32 s9, s9, s28
	s_mul_hi_u32 s29, s3, s8
	s_addc_u32 s1, s1, s34
	s_addc_u32 s9, s29, 0
	s_mul_i32 s8, s3, s8
	s_add_u32 s1, s1, s8
	s_addc_u32 s8, 0, s9
	s_mul_hi_u32 s9, s33, s1
	s_mul_i32 s1, s33, s1
	s_mul_i32 s8, s33, s8
	v_mov_b32_e32 v3, s1
	s_add_i32 s9, s9, s8
	v_sub_co_u32_e32 v3, vcc, s2, v3
	s_cmp_lg_u64 vcc, 0
	s_subb_u32 s1, s3, s9
	v_subrev_co_u32_e32 v4, vcc, s33, v3
	s_cmp_lg_u64 vcc, 0
	s_subb_u32 s2, s1, 0
	v_subrev_co_u32_e32 v5, vcc, s33, v4
	s_cmp_lg_u64 vcc, 0
	s_subb_u32 s3, s2, 0
	v_cmp_le_u32_e32 vcc, s33, v4
	s_cmp_eq_u32 s2, 0
	v_cndmask_b32_e64 v6, 0, -1, vcc
	s_cselect_b64 vcc, -1, 0
	v_cndmask_b32_e32 v6, -1, v6, vcc
	v_mov_b32_e32 v7, s2
	v_mov_b32_e32 v8, s3
	v_cmp_ne_u32_e32 vcc, 0, v6
	v_cndmask_b32_e32 v6, v7, v8, vcc
	v_cndmask_b32_e32 v4, v4, v5, vcc
	v_cmp_le_u32_e32 vcc, s33, v3
	s_cmp_eq_u32 s1, 0
	v_cndmask_b32_e64 v5, 0, -1, vcc
	s_cselect_b64 vcc, -1, 0
	v_cndmask_b32_e32 v5, -1, v5, vcc
	v_cmp_ne_u32_e32 vcc, 0, v5
	v_mov_b32_e32 v7, s1
	v_cndmask_b32_e32 v3, v3, v4, vcc
	v_cndmask_b32_e32 v5, v7, v6, vcc
	v_xor_b32_e32 v3, s0, v3
	v_xor_b32_e32 v5, s0, v5
	v_mov_b32_e32 v6, s0
	v_subrev_co_u32_e32 v4, vcc, s0, v3
	v_subb_co_u32_e32 v5, vcc, v5, v6, vcc
	s_cbranch_execnz .LBB30_208
.LBB30_207:                             ;   in Loop: Header=BB30_34 Depth=1
	v_cvt_f32_u32_e32 v3, s33
	s_sub_i32 s0, 0, s33
	v_rcp_iflag_f32_e32 v3, v3
	v_mul_f32_e32 v3, 0x4f7ffffe, v3
	v_cvt_u32_f32_e32 v3, v3
	v_mul_lo_u32 v4, s0, v3
	v_mul_hi_u32 v4, v3, v4
	v_add_u32_e32 v3, v3, v4
	s_mov_b32 s0, s75
	v_mul_hi_u32 v3, s0, v3
	v_mul_lo_u32 v3, v3, s33
	v_sub_u32_e32 v3, s0, v3
	v_subrev_u32_e32 v4, s33, v3
	v_cmp_le_u32_e32 vcc, s33, v3
	v_cndmask_b32_e32 v3, v3, v4, vcc
	v_subrev_u32_e32 v4, s33, v3
	v_cmp_le_u32_e32 vcc, s33, v3
	v_cndmask_b32_e32 v18, v3, v4, vcc
	v_pk_mov_b32 v[4:5], v[18:19], v[18:19] op_sel:[0,1]
.LBB30_208:                             ;   in Loop: Header=BB30_34 Depth=1
	v_mov_b32_e32 v3, s73
	v_sub_co_u32_e32 v8, vcc, s75, v4
	v_subb_co_u32_e32 v9, vcc, v3, v5, vcc
	v_cmp_gt_i64_e32 vcc, v[8:9], v[0:1]
	s_mov_b64 s[2:3], 0
                                        ; implicit-def: $vgpr6_vgpr7
	s_and_saveexec_b64 s[0:1], vcc
	s_cbranch_execz .LBB30_221
; %bb.209:                              ;   in Loop: Header=BB30_34 Depth=1
	s_mov_b64 s[8:9], 0
	v_pk_mov_b32 v[10:11], v[16:17], v[16:17] op_sel:[0,1]
	v_pk_mov_b32 v[12:13], v[0:1], v[0:1] op_sel:[0,1]
                                        ; implicit-def: $sgpr2_sgpr3
	s_branch .LBB30_211
.LBB30_210:                             ;   in Loop: Header=BB30_211 Depth=2
	s_or_b64 exec, exec, s[28:29]
	s_waitcnt lgkmcnt(0)
	s_barrier
	s_waitcnt vmcnt(0)
	ds_read_b128 v[4:7], v19 offset:3072
	v_mov_b32_e32 v3, s90
	v_add_co_u32_e32 v12, vcc, s33, v12
	v_addc_co_u32_e32 v13, vcc, v13, v3, vcc
	s_waitcnt lgkmcnt(0)
	v_readfirstlane_b32 s29, v5
	v_readfirstlane_b32 s28, v4
	s_cmp_lg_u64 s[28:29], 0
	s_cselect_b64 s[28:29], -1, 0
	v_cmp_ge_i64_e32 vcc, v[12:13], v[8:9]
	s_or_b64 s[34:35], s[28:29], vcc
	s_and_b64 s[34:35], exec, s[34:35]
	s_or_b64 s[8:9], s[34:35], s[8:9]
	v_mov_b32_e32 v3, s89
	v_add_co_u32_e32 v10, vcc, s88, v10
	s_andn2_b64 s[2:3], s[2:3], exec
	s_and_b64 s[28:29], s[28:29], exec
	v_addc_co_u32_e32 v11, vcc, v11, v3, vcc
	s_or_b64 s[2:3], s[2:3], s[28:29]
	s_barrier
	s_andn2_b64 exec, exec, s[8:9]
	s_cbranch_execz .LBB30_220
.LBB30_211:                             ;   Parent Loop BB30_34 Depth=1
                                        ; =>  This Inner Loop Header: Depth=2
	v_cmp_gt_i64_e32 vcc, s[56:57], v[12:13]
	v_pk_mov_b32 v[4:5], 0, 0
	s_and_saveexec_b64 s[28:29], vcc
	s_cbranch_execz .LBB30_213
; %bb.212:                              ;   in Loop: Header=BB30_211 Depth=2
	global_load_dwordx2 v[4:5], v[10:11], off
.LBB30_213:                             ;   in Loop: Header=BB30_211 Depth=2
	s_or_b64 exec, exec, s[28:29]
	s_and_saveexec_b64 s[28:29], vcc
	s_cbranch_execz .LBB30_210
; %bb.214:                              ;   in Loop: Header=BB30_211 Depth=2
	s_waitcnt vmcnt(0)
	v_xor_b32_e32 v3, 0x80000000, v5
	v_and_b32_e32 v7, s79, v3
	v_and_b32_e32 v6, s78, v4
	v_cmp_eq_u64_e32 vcc, s[54:55], v[6:7]
	s_and_b64 exec, exec, vcc
	s_cbranch_execz .LBB30_210
; %bb.215:                              ;   in Loop: Header=BB30_211 Depth=2
	v_mov_b32_e32 v3, v19
	ds_write_b128 v19, v[2:5] offset:3072
	s_branch .LBB30_210
.LBB30_216:                             ;   in Loop: Header=BB30_34 Depth=1
                                        ; implicit-def: $sgpr0_sgpr1
                                        ; implicit-def: $sgpr36_sgpr37
                                        ; implicit-def: $sgpr34_sgpr35
	s_branch .LBB30_235
.LBB30_217:                             ;   in Loop: Header=BB30_34 Depth=1
                                        ; implicit-def: $vgpr4_vgpr5
	s_branch .LBB30_160
.LBB30_218:                             ;   in Loop: Header=BB30_34 Depth=1
                                        ; implicit-def: $vgpr4_vgpr5
	s_branch .LBB30_177
.LBB30_219:                             ;   in Loop: Header=BB30_34 Depth=1
	s_mov_b64 s[0:1], -1
	s_mov_b64 s[2:3], 0
                                        ; implicit-def: $sgpr34_sgpr35
                                        ; implicit-def: $vgpr6_vgpr7
	s_mov_b64 s[36:37], s[0:1]
	s_cbranch_execnz .LBB30_222
	s_branch .LBB30_235
.LBB30_220:                             ;   in Loop: Header=BB30_34 Depth=1
	s_or_b64 exec, exec, s[8:9]
	s_and_b64 s[2:3], s[2:3], exec
.LBB30_221:                             ;   in Loop: Header=BB30_34 Depth=1
	s_or_b64 exec, exec, s[0:1]
	s_mov_b64 s[34:35], -1
	s_mov_b64 s[0:1], 0
	s_mov_b64 s[36:37], s[0:1]
	s_branch .LBB30_235
.LBB30_222:                             ;   in Loop: Header=BB30_34 Depth=1
	v_readlane_b32 s0, v66, 48
	s_add_u32 s8, s0, s38
	v_readlane_b32 s0, v66, 49
	s_addc_u32 s1, s0, s39
	s_mov_b32 s0, s95
	s_cmp_lg_u64 s[0:1], 0
	s_cbranch_scc0 .LBB30_265
; %bb.223:                              ;   in Loop: Header=BB30_34 Depth=1
	v_cvt_f32_u32_e32 v3, s33
	s_sub_u32 s0, 0, s33
	s_subb_u32 s2, 0, 0
	v_mac_f32_e32 v3, 0x4f800000, v49
	v_rcp_f32_e32 v3, v3
	v_mul_f32_e32 v3, 0x5f7ffffc, v3
	v_mul_f32_e32 v4, 0x2f800000, v3
	v_trunc_f32_e32 v4, v4
	v_mac_f32_e32 v3, 0xcf800000, v4
	v_cvt_u32_f32_e32 v4, v4
	v_cvt_u32_f32_e32 v3, v3
	v_readfirstlane_b32 s3, v4
	v_readfirstlane_b32 s9, v3
	s_mul_i32 s28, s0, s3
	s_mul_hi_u32 s34, s0, s9
	s_mul_i32 s29, s2, s9
	s_add_i32 s28, s34, s28
	s_mul_i32 s35, s0, s9
	s_add_i32 s28, s28, s29
	s_mul_hi_u32 s34, s9, s35
	s_mul_hi_u32 s29, s9, s28
	s_mul_i32 s9, s9, s28
	s_add_u32 s9, s34, s9
	s_addc_u32 s29, 0, s29
	s_mul_hi_u32 s36, s3, s35
	s_mul_i32 s35, s3, s35
	s_add_u32 s9, s9, s35
	s_mul_hi_u32 s34, s3, s28
	s_addc_u32 s9, s29, s36
	s_addc_u32 s29, s34, 0
	s_mul_i32 s28, s3, s28
	s_add_u32 s9, s9, s28
	s_addc_u32 s28, 0, s29
	v_add_co_u32_e32 v3, vcc, s9, v3
	s_cmp_lg_u64 vcc, 0
	s_addc_u32 s3, s3, s28
	v_readfirstlane_b32 s28, v3
	s_mul_i32 s9, s0, s3
	s_mul_hi_u32 s29, s0, s28
	s_add_i32 s9, s29, s9
	s_mul_i32 s2, s2, s28
	s_add_i32 s9, s9, s2
	s_mul_i32 s0, s0, s28
	s_mul_hi_u32 s29, s3, s0
	s_mul_i32 s34, s3, s0
	s_mul_i32 s36, s28, s9
	s_mul_hi_u32 s0, s28, s0
	s_mul_hi_u32 s35, s28, s9
	s_add_u32 s0, s0, s36
	s_addc_u32 s28, 0, s35
	s_add_u32 s0, s0, s34
	s_mul_hi_u32 s2, s3, s9
	s_addc_u32 s0, s28, s29
	s_addc_u32 s2, s2, 0
	s_mul_i32 s9, s3, s9
	s_add_u32 s0, s0, s9
	s_addc_u32 s2, 0, s2
	v_add_co_u32_e32 v3, vcc, s0, v3
	s_cmp_lg_u64 vcc, 0
	s_addc_u32 s0, s3, s2
	s_ashr_i32 s2, s1, 31
	s_add_u32 s28, s8, s2
	s_mov_b32 s3, s2
	s_addc_u32 s29, s1, s2
	s_xor_b64 s[28:29], s[28:29], s[2:3]
	v_readfirstlane_b32 s34, v3
	s_mul_i32 s9, s28, s0
	s_mul_hi_u32 s35, s28, s34
	s_mul_hi_u32 s3, s28, s0
	s_add_u32 s9, s35, s9
	s_addc_u32 s3, 0, s3
	s_mul_hi_u32 s36, s29, s34
	s_mul_i32 s34, s29, s34
	s_add_u32 s9, s9, s34
	s_mul_hi_u32 s35, s29, s0
	s_addc_u32 s3, s3, s36
	s_addc_u32 s9, s35, 0
	s_mul_i32 s0, s29, s0
	s_add_u32 s0, s3, s0
	s_addc_u32 s3, 0, s9
	s_mul_hi_u32 s9, s33, s0
	s_mul_i32 s0, s33, s0
	s_mul_i32 s3, s33, s3
	v_mov_b32_e32 v3, s0
	s_add_i32 s9, s9, s3
	v_sub_co_u32_e32 v3, vcc, s28, v3
	s_cmp_lg_u64 vcc, 0
	s_subb_u32 s0, s29, s9
	v_subrev_co_u32_e32 v4, vcc, s33, v3
	s_cmp_lg_u64 vcc, 0
	s_subb_u32 s3, s0, 0
	v_subrev_co_u32_e32 v5, vcc, s33, v4
	s_cmp_lg_u64 vcc, 0
	s_subb_u32 s9, s3, 0
	v_cmp_le_u32_e32 vcc, s33, v4
	s_cmp_eq_u32 s3, 0
	v_cndmask_b32_e64 v6, 0, -1, vcc
	s_cselect_b64 vcc, -1, 0
	v_cndmask_b32_e32 v6, -1, v6, vcc
	v_mov_b32_e32 v7, s3
	v_mov_b32_e32 v8, s9
	v_cmp_ne_u32_e32 vcc, 0, v6
	v_cndmask_b32_e32 v6, v7, v8, vcc
	v_cndmask_b32_e32 v4, v4, v5, vcc
	v_cmp_le_u32_e32 vcc, s33, v3
	s_cmp_eq_u32 s0, 0
	v_cndmask_b32_e64 v5, 0, -1, vcc
	s_cselect_b64 vcc, -1, 0
	v_cndmask_b32_e32 v5, -1, v5, vcc
	v_cmp_ne_u32_e32 vcc, 0, v5
	v_mov_b32_e32 v7, s0
	v_cndmask_b32_e32 v3, v3, v4, vcc
	v_cndmask_b32_e32 v5, v7, v6, vcc
	v_xor_b32_e32 v3, s2, v3
	v_xor_b32_e32 v5, s2, v5
	v_mov_b32_e32 v6, s2
	v_subrev_co_u32_e32 v4, vcc, s2, v3
	v_subb_co_u32_e32 v5, vcc, v5, v6, vcc
	s_cbranch_execnz .LBB30_225
.LBB30_224:                             ;   in Loop: Header=BB30_34 Depth=1
	v_cvt_f32_u32_e32 v3, s33
	s_sub_i32 s0, 0, s33
	v_rcp_iflag_f32_e32 v3, v3
	v_mul_f32_e32 v3, 0x4f7ffffe, v3
	v_cvt_u32_f32_e32 v3, v3
	v_mul_lo_u32 v4, s0, v3
	v_mul_hi_u32 v4, v3, v4
	v_add_u32_e32 v3, v3, v4
	v_mul_hi_u32 v3, s8, v3
	v_mul_lo_u32 v3, v3, s33
	v_sub_u32_e32 v3, s8, v3
	v_subrev_u32_e32 v4, s33, v3
	v_cmp_le_u32_e32 vcc, s33, v3
	v_cndmask_b32_e32 v3, v3, v4, vcc
	v_subrev_u32_e32 v4, s33, v3
	v_cmp_le_u32_e32 vcc, s33, v3
	v_cndmask_b32_e32 v18, v3, v4, vcc
	v_pk_mov_b32 v[4:5], v[18:19], v[18:19] op_sel:[0,1]
.LBB30_225:                             ;   in Loop: Header=BB30_34 Depth=1
	v_mov_b32_e32 v3, s1
	v_sub_co_u32_e32 v8, vcc, s8, v4
	v_subb_co_u32_e32 v9, vcc, v3, v5, vcc
	v_cmp_gt_i64_e32 vcc, v[8:9], v[0:1]
	s_mov_b64 s[2:3], 0
                                        ; implicit-def: $vgpr6_vgpr7
	s_and_saveexec_b64 s[0:1], vcc
	s_cbranch_execz .LBB30_234
; %bb.226:                              ;   in Loop: Header=BB30_34 Depth=1
	s_mov_b64 s[8:9], 0
	v_mov_b32_e32 v12, v41
	v_pk_mov_b32 v[10:11], v[0:1], v[0:1] op_sel:[0,1]
                                        ; implicit-def: $sgpr2_sgpr3
	s_branch .LBB30_228
.LBB30_227:                             ;   in Loop: Header=BB30_228 Depth=2
	s_or_b64 exec, exec, s[28:29]
	s_waitcnt lgkmcnt(0)
	s_barrier
	ds_read_b128 v[4:7], v19 offset:3072
	v_mov_b32_e32 v3, s90
	v_add_co_u32_e32 v10, vcc, s33, v10
	v_addc_co_u32_e32 v11, vcc, v11, v3, vcc
	s_waitcnt lgkmcnt(0)
	v_readfirstlane_b32 s29, v5
	v_readfirstlane_b32 s28, v4
	s_cmp_lg_u64 s[28:29], 0
	s_cselect_b64 s[28:29], -1, 0
	v_cmp_ge_i64_e32 vcc, v[10:11], v[8:9]
	s_or_b64 s[34:35], s[28:29], vcc
	s_and_b64 s[34:35], exec, s[34:35]
	s_or_b64 s[8:9], s[34:35], s[8:9]
	s_andn2_b64 s[2:3], s[2:3], exec
	s_and_b64 s[28:29], s[28:29], exec
	v_add_u32_e32 v12, s86, v12
	s_or_b64 s[2:3], s[2:3], s[28:29]
	s_barrier
	s_andn2_b64 exec, exec, s[8:9]
	s_cbranch_execz .LBB30_233
.LBB30_228:                             ;   Parent Loop BB30_34 Depth=1
                                        ; =>  This Inner Loop Header: Depth=2
	v_cmp_gt_i64_e32 vcc, s[38:39], v[10:11]
	v_pk_mov_b32 v[4:5], 0, 0
	s_and_saveexec_b64 s[28:29], vcc
	s_cbranch_execz .LBB30_230
; %bb.229:                              ;   in Loop: Header=BB30_228 Depth=2
	ds_read_b64 v[4:5], v12
.LBB30_230:                             ;   in Loop: Header=BB30_228 Depth=2
	s_or_b64 exec, exec, s[28:29]
	s_and_saveexec_b64 s[28:29], vcc
	s_cbranch_execz .LBB30_227
; %bb.231:                              ;   in Loop: Header=BB30_228 Depth=2
	s_waitcnt lgkmcnt(0)
	v_xor_b32_e32 v3, 0x80000000, v5
	v_and_b32_e32 v7, s79, v3
	v_and_b32_e32 v6, s78, v4
	v_cmp_eq_u64_e32 vcc, s[54:55], v[6:7]
	s_and_b64 exec, exec, vcc
	s_cbranch_execz .LBB30_227
; %bb.232:                              ;   in Loop: Header=BB30_228 Depth=2
	v_mov_b32_e32 v3, v19
	ds_write_b128 v19, v[2:5] offset:3072
	s_branch .LBB30_227
.LBB30_233:                             ;   in Loop: Header=BB30_34 Depth=1
	s_or_b64 exec, exec, s[8:9]
	s_and_b64 s[2:3], s[2:3], exec
.LBB30_234:                             ;   in Loop: Header=BB30_34 Depth=1
	s_or_b64 exec, exec, s[0:1]
	s_mov_b64 s[36:37], -1
	s_mov_b64 s[0:1], 0
	s_mov_b64 s[34:35], 0
.LBB30_235:                             ;   in Loop: Header=BB30_34 Depth=1
	s_mov_b64 s[8:9], 0
                                        ; implicit-def: $sgpr46
	s_and_saveexec_b64 s[38:39], s[2:3]
	s_cbranch_execz .LBB30_297
; %bb.236:                              ;   in Loop: Header=BB30_34 Depth=1
	s_xor_b64 s[2:3], s[40:41], -1
	s_andn2_b64 vcc, exec, s[2:3]
	s_mov_b32 s46, 1
	s_cbranch_vccnz .LBB30_247
; %bb.237:                              ;   in Loop: Header=BB30_34 Depth=1
	s_waitcnt vmcnt(0)
	v_pk_mov_b32 v[4:5], s[18:19], s[18:19] op_sel:[0,1]
	v_cmp_gt_i64_e32 vcc, s[58:59], v[4:5]
	s_mov_b64 s[2:3], -1
                                        ; implicit-def: $sgpr46
                                        ; implicit-def: $sgpr8_sgpr9
                                        ; implicit-def: $sgpr28_sgpr29
	s_cbranch_vccnz .LBB30_243
; %bb.238:                              ;   in Loop: Header=BB30_34 Depth=1
	ds_read_b64 v[4:5], v19 offset:5120
	s_waitcnt lgkmcnt(0)
	v_cmp_ne_u64_e32 vcc, 0, v[4:5]
	s_cbranch_vccnz .LBB30_242
; %bb.239:                              ;   in Loop: Header=BB30_34 Depth=1
	s_mov_b64 s[2:3], exec
	v_readlane_b32 s8, v66, 32
	v_readlane_b32 s9, v66, 33
	s_and_b64 s[8:9], s[2:3], s[8:9]
	s_mov_b64 exec, s[8:9]
	s_cbranch_execz .LBB30_241
; %bb.240:                              ;   in Loop: Header=BB30_34 Depth=1
	v_pk_mov_b32 v[4:5], s[18:19], s[18:19] op_sel:[0,1]
	ds_write_b64 v19, v[4:5] offset:5128
.LBB30_241:                             ;   in Loop: Header=BB30_34 Depth=1
	s_or_b64 exec, exec, s[2:3]
	s_waitcnt lgkmcnt(0)
	s_barrier
.LBB30_242:                             ;   in Loop: Header=BB30_34 Depth=1
	s_lshl_b64 s[2:3], 2, s42
	s_and_b64 s[8:9], s[54:55], s[20:21]
	s_or_b64 s[8:9], s[8:9], s[2:3]
	s_or_b64 s[28:29], s[78:79], s[12:13]
	s_mov_b64 s[2:3], 0
	s_mov_b32 s46, 8
.LBB30_243:                             ;   in Loop: Header=BB30_34 Depth=1
	s_andn2_b64 vcc, exec, s[2:3]
	s_cbranch_vccnz .LBB30_245
; %bb.244:                              ;   in Loop: Header=BB30_34 Depth=1
	s_sub_u32 s58, s58, s18
	s_subb_u32 s59, s59, s19
	s_mov_b64 s[2:3], -1
	s_mov_b32 s46, 0
	s_mov_b64 s[8:9], s[54:55]
	s_mov_b64 s[28:29], s[78:79]
.LBB30_245:                             ;   in Loop: Header=BB30_34 Depth=1
	s_mov_b64 s[78:79], s[28:29]
	s_mov_b64 s[54:55], s[8:9]
	s_andn2_b64 vcc, exec, s[2:3]
	s_mov_b64 s[42:43], -1
	s_cbranch_vccz .LBB30_248
.LBB30_246:                             ;   in Loop: Header=BB30_34 Depth=1
                                        ; implicit-def: $sgpr2_sgpr3
                                        ; implicit-def: $sgpr28_sgpr29
                                        ; implicit-def: $sgpr8_sgpr9
	s_branch .LBB30_296
.LBB30_247:                             ;   in Loop: Header=BB30_34 Depth=1
	s_mov_b64 s[58:59], 1
	s_mov_b64 s[42:43], -1
	s_cbranch_execnz .LBB30_246
.LBB30_248:                             ;   in Loop: Header=BB30_34 Depth=1
	s_cmp_eq_u64 s[6:7], 1
	s_cselect_b64 s[2:3], -1, 0
	s_cmp_eq_u64 s[58:59], 1
	s_cselect_b64 s[8:9], -1, 0
	s_and_b64 s[18:19], s[2:3], s[8:9]
	s_mov_b64 s[40:41], -1
	s_and_b64 vcc, exec, s[18:19]
	s_cbranch_vccz .LBB30_263
; %bb.249:                              ;   in Loop: Header=BB30_34 Depth=1
	s_waitcnt vmcnt(0)
	ds_read_b64 v[4:5], v19 offset:5120
	s_waitcnt lgkmcnt(0)
	s_barrier
	v_readfirstlane_b32 s20, v4
	v_readfirstlane_b32 s21, v5
	s_mov_b64 s[2:3], exec
	v_readlane_b32 s8, v66, 36
	v_readlane_b32 s9, v66, 37
	s_and_b64 s[8:9], s[2:3], s[8:9]
	s_mov_b64 exec, s[8:9]
	s_cbranch_execz .LBB30_251
; %bb.250:                              ;   in Loop: Header=BB30_34 Depth=1
	v_mov_b32_e32 v18, v19
	ds_write_b64 v42, v[18:19]
.LBB30_251:                             ;   in Loop: Header=BB30_34 Depth=1
	s_or_b64 exec, exec, s[2:3]
	v_cmp_gt_i64_e64 s[2:3], s[20:21], 0
	s_or_b64 s[54:55], s[54:55], s[12:13]
	s_or_b64 s[78:79], s[78:79], s[12:13]
	s_and_b64 vcc, exec, s[2:3]
	s_waitcnt lgkmcnt(0)
	s_barrier
	s_cbranch_vccnz .LBB30_266
; %bb.252:                              ;   in Loop: Header=BB30_34 Depth=1
	s_mov_b32 s72, s95
	s_cmp_lg_u64 s[72:73], 0
	s_cbranch_scc0 .LBB30_302
; %bb.253:                              ;   in Loop: Header=BB30_34 Depth=1
	v_cvt_f32_u32_e32 v3, s33
	s_sub_u32 s2, 0, s33
	s_subb_u32 s3, 0, 0
	v_mac_f32_e32 v3, 0x4f800000, v49
	v_rcp_f32_e32 v3, v3
	v_mul_f32_e32 v3, 0x5f7ffffc, v3
	v_mul_f32_e32 v4, 0x2f800000, v3
	v_trunc_f32_e32 v4, v4
	v_mac_f32_e32 v3, 0xcf800000, v4
	v_cvt_u32_f32_e32 v4, v4
	v_cvt_u32_f32_e32 v3, v3
	v_readfirstlane_b32 s8, v4
	v_readfirstlane_b32 s9, v3
	s_mul_i32 s28, s2, s8
	s_mul_hi_u32 s40, s2, s9
	s_mul_i32 s29, s3, s9
	s_add_i32 s28, s40, s28
	s_mul_i32 s41, s2, s9
	s_add_i32 s28, s28, s29
	s_mul_hi_u32 s40, s9, s41
	s_mul_hi_u32 s29, s9, s28
	s_mul_i32 s9, s9, s28
	s_add_u32 s9, s40, s9
	s_addc_u32 s29, 0, s29
	s_mul_hi_u32 s42, s8, s41
	s_mul_i32 s41, s8, s41
	s_add_u32 s9, s9, s41
	s_mul_hi_u32 s40, s8, s28
	s_addc_u32 s9, s29, s42
	s_addc_u32 s29, s40, 0
	s_mul_i32 s28, s8, s28
	s_add_u32 s9, s9, s28
	s_addc_u32 s28, 0, s29
	v_add_co_u32_e32 v3, vcc, s9, v3
	s_cmp_lg_u64 vcc, 0
	s_addc_u32 s8, s8, s28
	v_readfirstlane_b32 s28, v3
	s_mul_i32 s9, s2, s8
	s_mul_hi_u32 s29, s2, s28
	s_add_i32 s9, s29, s9
	s_mul_i32 s3, s3, s28
	s_add_i32 s9, s9, s3
	s_mul_i32 s2, s2, s28
	s_mul_hi_u32 s29, s8, s2
	s_mul_i32 s40, s8, s2
	s_mul_i32 s42, s28, s9
	s_mul_hi_u32 s2, s28, s2
	s_mul_hi_u32 s41, s28, s9
	s_add_u32 s2, s2, s42
	s_addc_u32 s28, 0, s41
	s_add_u32 s2, s2, s40
	s_mul_hi_u32 s3, s8, s9
	s_addc_u32 s2, s28, s29
	s_addc_u32 s3, s3, 0
	s_mul_i32 s9, s8, s9
	s_add_u32 s2, s2, s9
	s_addc_u32 s3, 0, s3
	v_add_co_u32_e32 v3, vcc, s2, v3
	s_cmp_lg_u64 vcc, 0
	s_addc_u32 s28, s8, s3
	s_ashr_i32 s2, s73, 31
	s_add_u32 s8, s75, s2
	s_mov_b32 s3, s2
	s_addc_u32 s9, s73, s2
	s_xor_b64 s[8:9], s[8:9], s[2:3]
	v_readfirstlane_b32 s40, v3
	s_mul_i32 s29, s8, s28
	s_mul_hi_u32 s41, s8, s40
	s_mul_hi_u32 s3, s8, s28
	s_add_u32 s29, s41, s29
	s_addc_u32 s3, 0, s3
	s_mul_hi_u32 s42, s9, s40
	s_mul_i32 s40, s9, s40
	s_add_u32 s29, s29, s40
	s_mul_hi_u32 s41, s9, s28
	s_addc_u32 s3, s3, s42
	s_addc_u32 s29, s41, 0
	s_mul_i32 s28, s9, s28
	s_add_u32 s3, s3, s28
	s_addc_u32 s28, 0, s29
	s_mul_hi_u32 s29, s33, s3
	s_mul_i32 s3, s33, s3
	s_mul_i32 s28, s33, s28
	v_mov_b32_e32 v3, s3
	s_add_i32 s29, s29, s28
	v_sub_co_u32_e32 v3, vcc, s8, v3
	s_cmp_lg_u64 vcc, 0
	s_subb_u32 s3, s9, s29
	v_subrev_co_u32_e32 v4, vcc, s33, v3
	s_cmp_lg_u64 vcc, 0
	s_subb_u32 s8, s3, 0
	v_subrev_co_u32_e32 v5, vcc, s33, v4
	s_cmp_lg_u64 vcc, 0
	s_subb_u32 s9, s8, 0
	v_cmp_le_u32_e32 vcc, s33, v4
	s_cmp_eq_u32 s8, 0
	v_cndmask_b32_e64 v6, 0, -1, vcc
	s_cselect_b64 vcc, -1, 0
	v_cndmask_b32_e32 v6, -1, v6, vcc
	v_mov_b32_e32 v7, s8
	v_mov_b32_e32 v8, s9
	v_cmp_ne_u32_e32 vcc, 0, v6
	v_cndmask_b32_e32 v6, v7, v8, vcc
	v_cndmask_b32_e32 v4, v4, v5, vcc
	v_cmp_le_u32_e32 vcc, s33, v3
	s_cmp_eq_u32 s3, 0
	v_cndmask_b32_e64 v5, 0, -1, vcc
	s_cselect_b64 vcc, -1, 0
	v_cndmask_b32_e32 v5, -1, v5, vcc
	v_cmp_ne_u32_e32 vcc, 0, v5
	v_mov_b32_e32 v7, s3
	v_cndmask_b32_e32 v3, v3, v4, vcc
	v_cndmask_b32_e32 v5, v7, v6, vcc
	v_xor_b32_e32 v3, s2, v3
	v_xor_b32_e32 v5, s2, v5
	v_mov_b32_e32 v6, s2
	v_subrev_co_u32_e32 v4, vcc, s2, v3
	v_subb_co_u32_e32 v5, vcc, v5, v6, vcc
	s_cbranch_execnz .LBB30_255
.LBB30_254:                             ;   in Loop: Header=BB30_34 Depth=1
	v_cvt_f32_u32_e32 v3, s33
	s_sub_i32 s2, 0, s33
	v_rcp_iflag_f32_e32 v3, v3
	v_mul_f32_e32 v3, 0x4f7ffffe, v3
	v_cvt_u32_f32_e32 v3, v3
	v_mul_lo_u32 v4, s2, v3
	v_mul_hi_u32 v4, v3, v4
	v_add_u32_e32 v3, v3, v4
	s_mov_b32 s2, s75
	v_mul_hi_u32 v3, s2, v3
	v_mul_lo_u32 v3, v3, s33
	v_sub_u32_e32 v3, s2, v3
	v_subrev_u32_e32 v4, s33, v3
	v_cmp_le_u32_e32 vcc, s33, v3
	v_cndmask_b32_e32 v3, v3, v4, vcc
	v_subrev_u32_e32 v4, s33, v3
	v_cmp_le_u32_e32 vcc, s33, v3
	v_cndmask_b32_e32 v18, v3, v4, vcc
	v_pk_mov_b32 v[4:5], v[18:19], v[18:19] op_sel:[0,1]
.LBB30_255:                             ;   in Loop: Header=BB30_34 Depth=1
	v_mov_b32_e32 v3, s73
	v_sub_co_u32_e32 v8, vcc, s75, v4
	v_subb_co_u32_e32 v9, vcc, v3, v5, vcc
	v_cmp_gt_i64_e32 vcc, v[8:9], v[0:1]
	s_mov_b64 s[40:41], 0
                                        ; implicit-def: $vgpr6_vgpr7
	s_and_saveexec_b64 s[2:3], vcc
	s_cbranch_execz .LBB30_268
; %bb.256:                              ;   in Loop: Header=BB30_34 Depth=1
	s_mov_b64 s[28:29], 0
	v_pk_mov_b32 v[10:11], v[16:17], v[16:17] op_sel:[0,1]
	v_pk_mov_b32 v[12:13], v[0:1], v[0:1] op_sel:[0,1]
                                        ; implicit-def: $sgpr8_sgpr9
	s_branch .LBB30_258
.LBB30_257:                             ;   in Loop: Header=BB30_258 Depth=2
	s_or_b64 exec, exec, s[40:41]
	s_waitcnt lgkmcnt(0)
	s_barrier
	s_waitcnt vmcnt(0)
	ds_read_b128 v[4:7], v19 offset:3072
	v_mov_b32_e32 v3, s90
	v_add_co_u32_e32 v12, vcc, s33, v12
	v_addc_co_u32_e32 v13, vcc, v13, v3, vcc
	s_waitcnt lgkmcnt(0)
	v_readfirstlane_b32 s41, v5
	v_readfirstlane_b32 s40, v4
	s_cmp_lg_u64 s[40:41], 0
	s_cselect_b64 s[40:41], -1, 0
	v_cmp_ge_i64_e32 vcc, v[12:13], v[8:9]
	s_or_b64 s[42:43], s[40:41], vcc
	s_and_b64 s[42:43], exec, s[42:43]
	s_or_b64 s[28:29], s[42:43], s[28:29]
	v_mov_b32_e32 v3, s89
	v_add_co_u32_e32 v10, vcc, s88, v10
	s_andn2_b64 s[8:9], s[8:9], exec
	s_and_b64 s[40:41], s[40:41], exec
	v_addc_co_u32_e32 v11, vcc, v11, v3, vcc
	s_or_b64 s[8:9], s[8:9], s[40:41]
	s_barrier
	s_andn2_b64 exec, exec, s[28:29]
	s_cbranch_execz .LBB30_267
.LBB30_258:                             ;   Parent Loop BB30_34 Depth=1
                                        ; =>  This Inner Loop Header: Depth=2
	v_cmp_gt_i64_e32 vcc, s[56:57], v[12:13]
	v_pk_mov_b32 v[4:5], 0, 0
	s_and_saveexec_b64 s[40:41], vcc
	s_cbranch_execz .LBB30_260
; %bb.259:                              ;   in Loop: Header=BB30_258 Depth=2
	global_load_dwordx2 v[4:5], v[10:11], off
.LBB30_260:                             ;   in Loop: Header=BB30_258 Depth=2
	s_or_b64 exec, exec, s[40:41]
	s_and_saveexec_b64 s[40:41], vcc
	s_cbranch_execz .LBB30_257
; %bb.261:                              ;   in Loop: Header=BB30_258 Depth=2
	s_waitcnt vmcnt(0)
	v_xor_b32_e32 v3, 0x80000000, v5
	v_and_b32_e32 v7, s79, v3
	v_and_b32_e32 v6, s78, v4
	v_cmp_eq_u64_e32 vcc, s[54:55], v[6:7]
	s_and_b64 exec, exec, vcc
	s_cbranch_execz .LBB30_257
; %bb.262:                              ;   in Loop: Header=BB30_258 Depth=2
	v_mov_b32_e32 v3, v19
	ds_write_b128 v19, v[2:5] offset:3072
	s_branch .LBB30_257
.LBB30_263:                             ;   in Loop: Header=BB30_34 Depth=1
                                        ; implicit-def: $sgpr2_sgpr3
                                        ; implicit-def: $sgpr28_sgpr29
                                        ; implicit-def: $sgpr8_sgpr9
	s_branch .LBB30_282
.LBB30_264:                             ;   in Loop: Header=BB30_34 Depth=1
                                        ; implicit-def: $vgpr4_vgpr5
	s_branch .LBB30_207
.LBB30_265:                             ;   in Loop: Header=BB30_34 Depth=1
                                        ; implicit-def: $vgpr4_vgpr5
	s_branch .LBB30_224
.LBB30_266:                             ;   in Loop: Header=BB30_34 Depth=1
	s_mov_b64 s[2:3], -1
	s_mov_b64 s[40:41], 0
                                        ; implicit-def: $sgpr8_sgpr9
                                        ; implicit-def: $vgpr6_vgpr7
	s_mov_b64 s[28:29], s[2:3]
	s_cbranch_execnz .LBB30_269
	s_branch .LBB30_282
.LBB30_267:                             ;   in Loop: Header=BB30_34 Depth=1
	s_or_b64 exec, exec, s[28:29]
	s_and_b64 s[40:41], s[8:9], exec
.LBB30_268:                             ;   in Loop: Header=BB30_34 Depth=1
	s_or_b64 exec, exec, s[2:3]
	s_mov_b64 s[8:9], -1
	s_mov_b64 s[2:3], 0
	s_mov_b64 s[28:29], s[2:3]
	s_branch .LBB30_282
.LBB30_269:                             ;   in Loop: Header=BB30_34 Depth=1
	v_readlane_b32 s2, v66, 48
	s_add_u32 s28, s2, s20
	v_readlane_b32 s2, v66, 49
	s_addc_u32 s3, s2, s21
	s_mov_b32 s2, s95
	s_cmp_lg_u64 s[2:3], 0
	s_cbranch_scc0 .LBB30_303
; %bb.270:                              ;   in Loop: Header=BB30_34 Depth=1
	v_cvt_f32_u32_e32 v3, s33
	s_sub_u32 s2, 0, s33
	s_subb_u32 s8, 0, 0
	v_mac_f32_e32 v3, 0x4f800000, v49
	v_rcp_f32_e32 v3, v3
	v_mul_f32_e32 v3, 0x5f7ffffc, v3
	v_mul_f32_e32 v4, 0x2f800000, v3
	v_trunc_f32_e32 v4, v4
	v_mac_f32_e32 v3, 0xcf800000, v4
	v_cvt_u32_f32_e32 v4, v4
	v_cvt_u32_f32_e32 v3, v3
	v_readfirstlane_b32 s9, v4
	v_readfirstlane_b32 s29, v3
	s_mul_i32 s40, s2, s9
	s_mul_hi_u32 s42, s2, s29
	s_mul_i32 s41, s8, s29
	s_add_i32 s40, s42, s40
	s_mul_i32 s43, s2, s29
	s_add_i32 s40, s40, s41
	s_mul_hi_u32 s42, s29, s43
	s_mul_hi_u32 s41, s29, s40
	s_mul_i32 s29, s29, s40
	s_add_u32 s29, s42, s29
	s_addc_u32 s41, 0, s41
	s_mul_hi_u32 s44, s9, s43
	s_mul_i32 s43, s9, s43
	s_add_u32 s29, s29, s43
	s_mul_hi_u32 s42, s9, s40
	s_addc_u32 s29, s41, s44
	s_addc_u32 s41, s42, 0
	s_mul_i32 s40, s9, s40
	s_add_u32 s29, s29, s40
	s_addc_u32 s40, 0, s41
	v_add_co_u32_e32 v3, vcc, s29, v3
	s_cmp_lg_u64 vcc, 0
	s_addc_u32 s9, s9, s40
	v_readfirstlane_b32 s40, v3
	s_mul_i32 s29, s2, s9
	s_mul_hi_u32 s41, s2, s40
	s_add_i32 s29, s41, s29
	s_mul_i32 s8, s8, s40
	s_add_i32 s29, s29, s8
	s_mul_i32 s2, s2, s40
	s_mul_hi_u32 s41, s9, s2
	s_mul_i32 s42, s9, s2
	s_mul_i32 s44, s40, s29
	s_mul_hi_u32 s2, s40, s2
	s_mul_hi_u32 s43, s40, s29
	s_add_u32 s2, s2, s44
	s_addc_u32 s40, 0, s43
	s_add_u32 s2, s2, s42
	s_mul_hi_u32 s8, s9, s29
	s_addc_u32 s2, s40, s41
	s_addc_u32 s8, s8, 0
	s_mul_i32 s29, s9, s29
	s_add_u32 s2, s2, s29
	s_addc_u32 s8, 0, s8
	v_add_co_u32_e32 v3, vcc, s2, v3
	s_cmp_lg_u64 vcc, 0
	s_addc_u32 s2, s9, s8
	s_ashr_i32 s8, s3, 31
	s_add_u32 s40, s28, s8
	s_mov_b32 s9, s8
	s_addc_u32 s41, s3, s8
	s_xor_b64 s[40:41], s[40:41], s[8:9]
	v_readfirstlane_b32 s42, v3
	s_mul_i32 s29, s40, s2
	s_mul_hi_u32 s43, s40, s42
	s_mul_hi_u32 s9, s40, s2
	s_add_u32 s29, s43, s29
	s_addc_u32 s9, 0, s9
	s_mul_hi_u32 s44, s41, s42
	s_mul_i32 s42, s41, s42
	s_add_u32 s29, s29, s42
	s_mul_hi_u32 s43, s41, s2
	s_addc_u32 s9, s9, s44
	s_addc_u32 s29, s43, 0
	s_mul_i32 s2, s41, s2
	s_add_u32 s2, s9, s2
	s_addc_u32 s9, 0, s29
	s_mul_hi_u32 s29, s33, s2
	s_mul_i32 s2, s33, s2
	s_mul_i32 s9, s33, s9
	v_mov_b32_e32 v3, s2
	s_add_i32 s29, s29, s9
	v_sub_co_u32_e32 v3, vcc, s40, v3
	s_cmp_lg_u64 vcc, 0
	s_subb_u32 s2, s41, s29
	v_subrev_co_u32_e32 v4, vcc, s33, v3
	s_cmp_lg_u64 vcc, 0
	s_subb_u32 s9, s2, 0
	v_subrev_co_u32_e32 v5, vcc, s33, v4
	s_cmp_lg_u64 vcc, 0
	s_subb_u32 s29, s9, 0
	v_cmp_le_u32_e32 vcc, s33, v4
	s_cmp_eq_u32 s9, 0
	v_cndmask_b32_e64 v6, 0, -1, vcc
	s_cselect_b64 vcc, -1, 0
	v_cndmask_b32_e32 v6, -1, v6, vcc
	v_mov_b32_e32 v7, s9
	v_mov_b32_e32 v8, s29
	v_cmp_ne_u32_e32 vcc, 0, v6
	v_cndmask_b32_e32 v6, v7, v8, vcc
	v_cndmask_b32_e32 v4, v4, v5, vcc
	v_cmp_le_u32_e32 vcc, s33, v3
	s_cmp_eq_u32 s2, 0
	v_cndmask_b32_e64 v5, 0, -1, vcc
	s_cselect_b64 vcc, -1, 0
	v_cndmask_b32_e32 v5, -1, v5, vcc
	v_cmp_ne_u32_e32 vcc, 0, v5
	v_mov_b32_e32 v7, s2
	v_cndmask_b32_e32 v3, v3, v4, vcc
	v_cndmask_b32_e32 v5, v7, v6, vcc
	v_xor_b32_e32 v3, s8, v3
	v_xor_b32_e32 v5, s8, v5
	v_mov_b32_e32 v6, s8
	v_subrev_co_u32_e32 v4, vcc, s8, v3
	v_subb_co_u32_e32 v5, vcc, v5, v6, vcc
	s_cbranch_execnz .LBB30_272
.LBB30_271:                             ;   in Loop: Header=BB30_34 Depth=1
	v_cvt_f32_u32_e32 v3, s33
	s_sub_i32 s2, 0, s33
	v_rcp_iflag_f32_e32 v3, v3
	v_mul_f32_e32 v3, 0x4f7ffffe, v3
	v_cvt_u32_f32_e32 v3, v3
	v_mul_lo_u32 v4, s2, v3
	v_mul_hi_u32 v4, v3, v4
	v_add_u32_e32 v3, v3, v4
	v_mul_hi_u32 v3, s28, v3
	v_mul_lo_u32 v3, v3, s33
	v_sub_u32_e32 v3, s28, v3
	v_subrev_u32_e32 v4, s33, v3
	v_cmp_le_u32_e32 vcc, s33, v3
	v_cndmask_b32_e32 v3, v3, v4, vcc
	v_subrev_u32_e32 v4, s33, v3
	v_cmp_le_u32_e32 vcc, s33, v3
	v_cndmask_b32_e32 v18, v3, v4, vcc
	v_pk_mov_b32 v[4:5], v[18:19], v[18:19] op_sel:[0,1]
.LBB30_272:                             ;   in Loop: Header=BB30_34 Depth=1
	v_mov_b32_e32 v3, s3
	v_sub_co_u32_e32 v8, vcc, s28, v4
	v_subb_co_u32_e32 v9, vcc, v3, v5, vcc
	v_cmp_gt_i64_e32 vcc, v[8:9], v[0:1]
	s_mov_b64 s[40:41], 0
                                        ; implicit-def: $vgpr6_vgpr7
	s_and_saveexec_b64 s[2:3], vcc
	s_cbranch_execz .LBB30_281
; %bb.273:                              ;   in Loop: Header=BB30_34 Depth=1
	s_mov_b64 s[28:29], 0
	v_mov_b32_e32 v12, v41
	v_pk_mov_b32 v[10:11], v[0:1], v[0:1] op_sel:[0,1]
                                        ; implicit-def: $sgpr8_sgpr9
	s_branch .LBB30_275
.LBB30_274:                             ;   in Loop: Header=BB30_275 Depth=2
	s_or_b64 exec, exec, s[40:41]
	s_waitcnt lgkmcnt(0)
	s_barrier
	ds_read_b128 v[4:7], v19 offset:3072
	v_mov_b32_e32 v3, s90
	v_add_co_u32_e32 v10, vcc, s33, v10
	v_addc_co_u32_e32 v11, vcc, v11, v3, vcc
	s_waitcnt lgkmcnt(0)
	v_readfirstlane_b32 s41, v5
	v_readfirstlane_b32 s40, v4
	s_cmp_lg_u64 s[40:41], 0
	s_cselect_b64 s[40:41], -1, 0
	v_cmp_ge_i64_e32 vcc, v[10:11], v[8:9]
	s_or_b64 s[42:43], s[40:41], vcc
	s_and_b64 s[42:43], exec, s[42:43]
	s_or_b64 s[28:29], s[42:43], s[28:29]
	s_andn2_b64 s[8:9], s[8:9], exec
	s_and_b64 s[40:41], s[40:41], exec
	v_add_u32_e32 v12, s86, v12
	s_or_b64 s[8:9], s[8:9], s[40:41]
	s_barrier
	s_andn2_b64 exec, exec, s[28:29]
	s_cbranch_execz .LBB30_280
.LBB30_275:                             ;   Parent Loop BB30_34 Depth=1
                                        ; =>  This Inner Loop Header: Depth=2
	v_cmp_gt_i64_e32 vcc, s[20:21], v[10:11]
	v_pk_mov_b32 v[4:5], 0, 0
	s_and_saveexec_b64 s[40:41], vcc
	s_cbranch_execz .LBB30_277
; %bb.276:                              ;   in Loop: Header=BB30_275 Depth=2
	ds_read_b64 v[4:5], v12
.LBB30_277:                             ;   in Loop: Header=BB30_275 Depth=2
	s_or_b64 exec, exec, s[40:41]
	s_and_saveexec_b64 s[40:41], vcc
	s_cbranch_execz .LBB30_274
; %bb.278:                              ;   in Loop: Header=BB30_275 Depth=2
	s_waitcnt lgkmcnt(0)
	v_xor_b32_e32 v3, 0x80000000, v5
	v_and_b32_e32 v7, s79, v3
	v_and_b32_e32 v6, s78, v4
	v_cmp_eq_u64_e32 vcc, s[54:55], v[6:7]
	s_and_b64 exec, exec, vcc
	s_cbranch_execz .LBB30_274
; %bb.279:                              ;   in Loop: Header=BB30_275 Depth=2
	v_mov_b32_e32 v3, v19
	ds_write_b128 v19, v[2:5] offset:3072
	s_branch .LBB30_274
.LBB30_280:                             ;   in Loop: Header=BB30_34 Depth=1
	s_or_b64 exec, exec, s[28:29]
	s_and_b64 s[40:41], s[8:9], exec
.LBB30_281:                             ;   in Loop: Header=BB30_34 Depth=1
	s_or_b64 exec, exec, s[2:3]
	s_mov_b64 s[28:29], -1
	s_mov_b64 s[2:3], 0
	s_mov_b64 s[8:9], 0
.LBB30_282:                             ;   in Loop: Header=BB30_34 Depth=1
	s_mov_b64 s[42:43], 0
                                        ; implicit-def: $sgpr46
                                        ; implicit-def: $sgpr44_sgpr45
	s_and_saveexec_b64 s[20:21], s[40:41]
	s_cbranch_execz .LBB30_295
; %bb.283:                              ;   in Loop: Header=BB30_34 Depth=1
	s_xor_b64 s[18:19], s[18:19], -1
	s_mov_b64 s[44:45], 1
	s_andn2_b64 vcc, exec, s[18:19]
	s_mov_b32 s46, 1
	s_cbranch_vccnz .LBB30_294
; %bb.284:                              ;   in Loop: Header=BB30_34 Depth=1
	s_waitcnt vmcnt(0)
	v_pk_mov_b32 v[4:5], s[6:7], s[6:7] op_sel:[0,1]
	v_cmp_gt_i64_e32 vcc, s[58:59], v[4:5]
	s_cbranch_vccnz .LBB30_290
; %bb.285:                              ;   in Loop: Header=BB30_34 Depth=1
	ds_read_b64 v[4:5], v19 offset:5120
	s_waitcnt lgkmcnt(0)
	v_cmp_ne_u64_e32 vcc, 0, v[4:5]
	s_cbranch_vccnz .LBB30_289
; %bb.286:                              ;   in Loop: Header=BB30_34 Depth=1
	s_mov_b64 s[18:19], exec
	v_readlane_b32 s40, v66, 32
	v_readlane_b32 s41, v66, 33
	s_and_b64 s[40:41], s[18:19], s[40:41]
	s_mov_b64 exec, s[40:41]
	s_cbranch_execz .LBB30_288
; %bb.287:                              ;   in Loop: Header=BB30_34 Depth=1
	v_pk_mov_b32 v[4:5], s[6:7], s[6:7] op_sel:[0,1]
	ds_write_b64 v19, v[4:5] offset:5128
.LBB30_288:                             ;   in Loop: Header=BB30_34 Depth=1
	s_or_b64 exec, exec, s[18:19]
	s_waitcnt lgkmcnt(0)
	s_barrier
.LBB30_289:                             ;   in Loop: Header=BB30_34 Depth=1
	s_or_b64 s[18:19], s[54:55], s[12:13]
	s_or_b64 s[12:13], s[78:79], s[12:13]
	s_mov_b64 s[40:41], 0
	s_mov_b32 s46, 8
	s_branch .LBB30_291
.LBB30_290:                             ;   in Loop: Header=BB30_34 Depth=1
	s_mov_b64 s[40:41], -1
                                        ; implicit-def: $sgpr46
                                        ; implicit-def: $sgpr18_sgpr19
                                        ; implicit-def: $sgpr12_sgpr13
.LBB30_291:                             ;   in Loop: Header=BB30_34 Depth=1
	s_andn2_b64 vcc, exec, s[40:41]
	s_cbranch_vccnz .LBB30_293
; %bb.292:                              ;   in Loop: Header=BB30_34 Depth=1
	s_sub_u32 s58, s58, s6
	s_subb_u32 s59, s59, s7
	s_mov_b32 s46, 8
	s_mov_b64 s[18:19], s[54:55]
	s_mov_b64 s[12:13], s[78:79]
.LBB30_293:                             ;   in Loop: Header=BB30_34 Depth=1
	s_mov_b64 s[44:45], s[58:59]
	s_mov_b64 s[54:55], s[18:19]
	;; [unrolled: 1-line block ×3, first 2 shown]
.LBB30_294:                             ;   in Loop: Header=BB30_34 Depth=1
	s_mov_b64 s[42:43], exec
.LBB30_295:                             ;   in Loop: Header=BB30_34 Depth=1
	s_or_b64 exec, exec, s[20:21]
	s_mov_b64 s[58:59], s[44:45]
.LBB30_296:                             ;   in Loop: Header=BB30_34 Depth=1
	s_andn2_b64 s[0:1], s[0:1], exec
	s_and_b64 s[2:3], s[2:3], exec
	s_or_b64 s[0:1], s[0:1], s[2:3]
	s_andn2_b64 s[2:3], s[36:37], exec
	s_and_b64 s[6:7], s[28:29], exec
	s_or_b64 s[36:37], s[2:3], s[6:7]
	;; [unrolled: 3-line block ×3, first 2 shown]
	s_and_b64 s[8:9], s[42:43], exec
.LBB30_297:                             ;   in Loop: Header=BB30_34 Depth=1
	s_or_b64 exec, exec, s[38:39]
.LBB30_298:                             ;   in Loop: Header=BB30_34 Depth=1
	s_andn2_b64 s[2:3], s[24:25], exec
	s_and_b64 s[0:1], s[0:1], exec
	s_or_b64 s[24:25], s[2:3], s[0:1]
	s_andn2_b64 s[0:1], s[26:27], exec
	s_and_b64 s[2:3], s[36:37], exec
	s_or_b64 s[26:27], s[0:1], s[2:3]
	;; [unrolled: 3-line block ×3, first 2 shown]
	s_and_b64 s[8:9], s[8:9], exec
.LBB30_299:                             ;   in Loop: Header=BB30_34 Depth=1
	s_or_b64 exec, exec, s[30:31]
	s_and_saveexec_b64 s[0:1], s[8:9]
	s_xor_b64 s[0:1], exec, s[0:1]
	s_cbranch_execz .LBB30_32
.LBB30_300:                             ;   in Loop: Header=BB30_34 Depth=1
	s_and_b32 s2, s46, -9
	s_cmp_eq_u32 s2, 0
	s_cbranch_scc1 .LBB30_30
; %bb.301:                              ;   in Loop: Header=BB30_34 Depth=1
	s_mov_b64 s[2:3], -1
                                        ; implicit-def: $sgpr78_sgpr79
                                        ; implicit-def: $sgpr87
                                        ; implicit-def: $sgpr74
	s_mov_b64 s[6:7], -1
	s_branch .LBB30_31
.LBB30_302:                             ;   in Loop: Header=BB30_34 Depth=1
                                        ; implicit-def: $vgpr4_vgpr5
	s_branch .LBB30_254
.LBB30_303:                             ;   in Loop: Header=BB30_34 Depth=1
                                        ; implicit-def: $vgpr4_vgpr5
	s_branch .LBB30_271
.LBB30_304:
	s_or_b64 exec, exec, s[66:67]
	s_xor_b64 s[6:7], s[60:61], -1
	s_xor_b64 s[0:1], s[68:69], -1
	;; [unrolled: 1-line block ×3, first 2 shown]
	s_mov_b64 s[2:3], 0
	s_and_saveexec_b64 s[8:9], s[0:1]
	s_xor_b64 s[0:1], exec, s[8:9]
	s_cbranch_execnz .LBB30_309
; %bb.305:
	s_andn2_saveexec_b64 s[0:1], s[0:1]
	s_cbranch_execnz .LBB30_331
.LBB30_306:
	s_or_b64 exec, exec, s[0:1]
	s_and_saveexec_b64 s[0:1], s[2:3]
.LBB30_307:
	; divergent unreachable
.LBB30_308:
	s_endpgm
.LBB30_309:
	s_and_saveexec_b64 s[2:3], s[6:7]
	s_xor_b64 s[2:3], exec, s[2:3]
	s_cbranch_execz .LBB30_329
; %bb.310:
	s_and_saveexec_b64 s[6:7], s[4:5]
	s_xor_b64 s[4:5], exec, s[6:7]
; %bb.311:
	v_xor_b32_e32 v5, 0x80000000, v5
	v_pk_mov_b32 v[6:7], v[4:5], v[4:5] op_sel:[0,1]
; %bb.312:
	s_or_b64 exec, exec, s[4:5]
	s_mov_b64 s[4:5], exec
	v_readlane_b32 s6, v66, 32
	v_readlane_b32 s7, v66, 33
	s_and_b64 s[6:7], s[4:5], s[6:7]
	v_readlane_b32 s24, v66, 34
	v_readlane_b32 s25, v66, 35
	s_mov_b64 exec, s[6:7]
	s_cbranch_execz .LBB30_314
; %bb.313:
	v_mov_b32_e32 v2, 0
	v_mov_b32_e32 v3, s56
	ds_write_b32 v2, v3 offset:5140
.LBB30_314:
	s_or_b64 exec, exec, s[4:5]
	s_waitcnt lgkmcnt(0)
	s_barrier
	s_mov_b64 s[4:5], exec
	v_readlane_b32 s6, v66, 44
	v_readlane_b32 s7, v66, 45
	s_and_b64 s[6:7], s[4:5], s[6:7]
	s_mov_b64 exec, s[6:7]
	s_cbranch_execz .LBB30_326
; %bb.315:
	v_mov_b32_e32 v2, 0
	ds_read_b32 v4, v2 offset:5140
	s_mov_b64 s[6:7], 0
                                        ; implicit-def: $sgpr8_sgpr9
                                        ; implicit-def: $sgpr10_sgpr11
                                        ; implicit-def: $sgpr12_sgpr13
	s_waitcnt lgkmcnt(0)
	v_ashrrev_i32_e32 v5, 31, v4
	s_branch .LBB30_318
.LBB30_316:                             ;   in Loop: Header=BB30_318 Depth=1
	s_or_b64 exec, exec, s[18:19]
	s_andn2_b64 s[12:13], s[12:13], exec
	s_and_b64 s[16:17], s[16:17], exec
	s_or_b64 s[12:13], s[12:13], s[16:17]
	s_andn2_b64 s[10:11], s[10:11], exec
	s_and_b64 s[16:17], s[20:21], exec
	s_or_b64 s[10:11], s[10:11], s[16:17]
.LBB30_317:                             ;   in Loop: Header=BB30_318 Depth=1
	s_or_b64 exec, exec, s[14:15]
	s_and_b64 s[14:15], exec, s[10:11]
	s_or_b64 s[6:7], s[14:15], s[6:7]
	s_andn2_b64 s[8:9], s[8:9], exec
	s_and_b64 s[14:15], s[12:13], exec
	s_or_b64 s[8:9], s[8:9], s[14:15]
	s_andn2_b64 exec, exec, s[6:7]
	s_cbranch_execz .LBB30_321
.LBB30_318:                             ; =>This Inner Loop Header: Depth=1
	v_pk_mov_b32 v[2:3], v[0:1], v[0:1] op_sel:[0,1]
	v_cmp_lt_i64_e32 vcc, v[2:3], v[4:5]
	s_or_b64 s[12:13], s[12:13], exec
	s_or_b64 s[10:11], s[10:11], exec
                                        ; implicit-def: $vgpr0_vgpr1
	s_and_saveexec_b64 s[14:15], vcc
	s_cbranch_execz .LBB30_317
; %bb.319:                              ;   in Loop: Header=BB30_318 Depth=1
	global_load_dwordx2 v[0:1], v[16:17], off
	s_mov_b64 s[20:21], -1
	s_mov_b64 s[16:17], 0
	s_waitcnt vmcnt(0)
	v_cmp_ne_u64_e32 vcc, v[0:1], v[6:7]
                                        ; implicit-def: $vgpr0_vgpr1
	s_and_saveexec_b64 s[18:19], vcc
	s_cbranch_execz .LBB30_316
; %bb.320:                              ;   in Loop: Header=BB30_318 Depth=1
	v_mov_b32_e32 v1, s90
	v_add_co_u32_e32 v0, vcc, s33, v2
	v_addc_co_u32_e32 v1, vcc, v3, v1, vcc
	v_mov_b32_e32 v3, s89
	v_add_co_u32_e32 v16, vcc, s88, v16
	v_addc_co_u32_e32 v17, vcc, v17, v3, vcc
	v_cmp_le_i64_e32 vcc, s[56:57], v[0:1]
	s_mov_b64 s[16:17], exec
	s_orn2_b64 s[20:21], vcc, exec
	s_branch .LBB30_316
.LBB30_321:
	s_or_b64 exec, exec, s[6:7]
	s_xor_b64 s[6:7], s[8:9], -1
	s_and_saveexec_b64 s[8:9], s[6:7]
	s_xor_b64 s[8:9], exec, s[8:9]
	s_cbranch_execz .LBB30_326
; %bb.322:
	s_mov_b64 s[6:7], exec
	s_brev_b32 s8, -2
.LBB30_323:                             ; =>This Inner Loop Header: Depth=1
	s_ff1_i32_b64 s9, s[6:7]
	v_readlane_b32 s12, v2, s9
	s_lshl_b64 s[10:11], 1, s9
	s_min_i32 s8, s8, s12
	s_andn2_b64 s[6:7], s[6:7], s[10:11]
	s_cmp_lg_u64 s[6:7], 0
	s_cbranch_scc1 .LBB30_323
; %bb.324:
	v_mbcnt_lo_u32_b32 v0, exec_lo, 0
	v_mbcnt_hi_u32_b32 v0, exec_hi, v0
	v_cmp_eq_u32_e32 vcc, 0, v0
	s_and_saveexec_b64 s[6:7], vcc
	s_xor_b64 s[6:7], exec, s[6:7]
	s_cbranch_execz .LBB30_326
; %bb.325:
	v_mov_b32_e32 v0, 0
	v_mov_b32_e32 v1, s8
	ds_min_i32 v0, v1 offset:5140
.LBB30_326:
	s_or_b64 exec, exec, s[4:5]
	s_waitcnt lgkmcnt(0)
	s_barrier
	s_mov_b64 s[4:5], exec
	v_readlane_b32 s6, v66, 32
	v_readlane_b32 s7, v66, 33
	s_and_b64 s[6:7], s[4:5], s[6:7]
	s_mov_b64 exec, s[6:7]
	s_cbranch_execz .LBB30_328
; %bb.327:
	v_readlane_b32 s20, v66, 6
	v_readlane_b32 s22, v66, 8
	;; [unrolled: 1-line block ×5, first 2 shown]
	s_mul_i32 s6, s26, s23
	s_mul_hi_u32 s7, s26, s22
	s_add_i32 s6, s7, s6
	s_mul_i32 s7, s27, s22
	s_add_i32 s6, s6, s7
	s_mul_i32 s7, s26, s22
	v_readlane_b32 s10, v66, 14
	s_sub_u32 s8, s24, s7
	v_readlane_b32 s11, v66, 15
	s_subb_u32 s6, 0, s6
	s_mul_i32 s7, s8, s11
	s_mul_hi_u32 s9, s8, s10
	v_readlane_b32 s12, v66, 0
	s_add_i32 s7, s9, s7
	s_mul_i32 s6, s6, s10
	v_readlane_b32 s13, v66, 1
	v_readlane_b32 s18, v66, 10
	s_add_i32 s7, s7, s6
	s_mul_i32 s6, s8, s10
	v_readlane_b32 s19, v66, 11
	s_mul_i32 s8, s18, s13
	s_mul_hi_u32 s9, s18, s12
	s_add_i32 s8, s9, s8
	s_mul_i32 s9, s19, s12
	s_add_i32 s8, s8, s9
	s_mul_i32 s9, s18, s12
	v_readlane_b32 s16, v66, 4
	v_readlane_b32 s28, v66, 22
	;; [unrolled: 1-line block ×3, first 2 shown]
	s_sub_u32 s10, s16, s9
	v_readlane_b32 s30, v66, 24
	v_readlane_b32 s31, v66, 25
	s_subb_u32 s8, s17, s8
	s_mul_i32 s9, s10, s31
	s_mul_hi_u32 s11, s10, s30
	v_readlane_b32 s14, v66, 2
	v_readlane_b32 s15, v66, 3
	;; [unrolled: 1-line block ×3, first 2 shown]
	s_add_i32 s9, s11, s9
	s_mul_i32 s8, s8, s30
	s_add_i32 s9, s9, s8
	s_mul_i32 s8, s10, s30
	s_mul_i32 s10, s18, s29
	s_mul_hi_u32 s11, s18, s28
	s_mul_i32 s12, s16, s15
	s_mul_hi_u32 s13, s16, s14
	s_add_i32 s10, s11, s10
	s_mul_i32 s11, s19, s28
	s_add_i32 s12, s13, s12
	s_mul_i32 s13, s17, s14
	s_add_i32 s11, s10, s11
	s_add_i32 s12, s12, s13
	s_mul_i32 s13, s16, s14
	v_readlane_b32 s16, v66, 20
	s_sub_u32 s14, s24, s13
	v_readlane_b32 s17, v66, 21
	s_subb_u32 s12, 0, s12
	s_mul_i32 s13, s14, s17
	s_mul_hi_u32 s15, s14, s16
	v_readlane_b32 s21, v66, 7
	s_mul_i32 s10, s18, s28
	s_add_i32 s13, s15, s13
	s_mul_i32 s12, s12, s16
	v_readlane_b32 s18, v66, 26
	s_add_i32 s13, s13, s12
	s_mul_i32 s12, s14, s16
	v_readlane_b32 s19, v66, 27
	s_mul_i32 s14, s18, s21
	s_mul_hi_u32 s15, s18, s20
	s_add_i32 s14, s15, s14
	s_mul_i32 s15, s19, s20
	s_add_i32 s14, s14, s15
	s_mul_i32 s15, s18, s20
	v_readlane_b32 s20, v66, 16
	s_sub_u32 s16, s26, s15
	v_readlane_b32 s22, v66, 18
	v_readlane_b32 s23, v66, 19
	s_subb_u32 s14, s27, s14
	s_mul_i32 s15, s16, s23
	s_mul_hi_u32 s17, s16, s22
	v_readlane_b32 s21, v66, 17
	s_add_i32 s15, s17, s15
	s_mul_i32 s14, s14, s22
	s_add_i32 s15, s15, s14
	s_mul_i32 s14, s16, s22
	s_mul_i32 s16, s18, s21
	s_mul_hi_u32 s17, s18, s20
	s_add_i32 s16, s17, s16
	s_mul_i32 s17, s19, s20
	s_add_i32 s17, s16, s17
	s_mul_i32 s16, s18, s20
	s_lshl_b64 s[10:11], s[10:11], 3
	v_readlane_b32 s18, v66, 30
	v_readlane_b32 s19, v66, 31
	s_add_u32 s10, s18, s10
	s_addc_u32 s11, s19, s11
	s_lshl_b64 s[8:9], s[8:9], 3
	s_add_u32 s10, s10, s8
	s_addc_u32 s11, s11, s9
	s_lshl_b64 s[8:9], s[12:13], 3
	;; [unrolled: 3-line block ×3, first 2 shown]
	v_readlane_b32 s12, v66, 28
	v_mov_b32_e32 v2, 0
	v_readlane_b32 s13, v66, 29
	s_add_u32 s12, s12, s10
	ds_read_b32 v0, v2 offset:5140
	s_addc_u32 s13, s13, s11
	s_lshl_b64 s[10:11], s[14:15], 3
	s_add_u32 s10, s12, s10
	s_addc_u32 s11, s13, s11
	s_lshl_b64 s[6:7], s[6:7], 3
	s_add_u32 s6, s10, s6
	s_addc_u32 s7, s11, s7
	s_waitcnt lgkmcnt(0)
	v_ashrrev_i32_e32 v1, 31, v0
	global_store_dwordx2 v2, v[0:1], s[6:7]
	global_store_dwordx2 v2, v[6:7], s[8:9]
.LBB30_328:
	s_or_b64 exec, exec, s[4:5]
.LBB30_329:
	s_or_saveexec_b64 s[2:3], s[2:3]
	s_mov_b64 s[4:5], 0
	s_xor_b64 exec, exec, s[2:3]
	s_cbranch_execnz .LBB30_332
.LBB30_330:
	s_or_b64 exec, exec, s[2:3]
	s_and_b64 s[2:3], s[4:5], exec
	s_andn2_saveexec_b64 s[0:1], s[0:1]
	s_cbranch_execz .LBB30_306
.LBB30_331:
	s_or_b64 s[2:3], s[2:3], exec
	s_trap 2
	s_or_b64 exec, exec, s[0:1]
	s_and_saveexec_b64 s[0:1], s[2:3]
	s_cbranch_execnz .LBB30_307
	s_branch .LBB30_308
.LBB30_332:
	s_mov_b64 s[4:5], exec
	s_trap 2
	s_branch .LBB30_330
	.section	.rodata,"a",@progbits
	.p2align	6, 0x0
	.amdhsa_kernel _ZN2at6native12_GLOBAL__N_114gatherKthValueIllLi3EEEvNS_4cuda6detail10TensorInfoIKT_T0_EES8_S8_S8_S8_NS5_IS6_S8_EENS5_IlS8_EE
		.amdhsa_group_segment_fixed_size 5144
		.amdhsa_private_segment_fixed_size 0
		.amdhsa_kernarg_size 1536
		.amdhsa_user_sgpr_count 6
		.amdhsa_user_sgpr_private_segment_buffer 1
		.amdhsa_user_sgpr_dispatch_ptr 0
		.amdhsa_user_sgpr_queue_ptr 0
		.amdhsa_user_sgpr_kernarg_segment_ptr 1
		.amdhsa_user_sgpr_dispatch_id 0
		.amdhsa_user_sgpr_flat_scratch_init 0
		.amdhsa_user_sgpr_kernarg_preload_length 0
		.amdhsa_user_sgpr_kernarg_preload_offset 0
		.amdhsa_user_sgpr_private_segment_size 0
		.amdhsa_uses_dynamic_stack 0
		.amdhsa_system_sgpr_private_segment_wavefront_offset 0
		.amdhsa_system_sgpr_workgroup_id_x 1
		.amdhsa_system_sgpr_workgroup_id_y 1
		.amdhsa_system_sgpr_workgroup_id_z 1
		.amdhsa_system_sgpr_workgroup_info 0
		.amdhsa_system_vgpr_workitem_id 0
		.amdhsa_next_free_vgpr 67
		.amdhsa_next_free_sgpr 96
		.amdhsa_accum_offset 68
		.amdhsa_reserve_vcc 1
		.amdhsa_reserve_flat_scratch 0
		.amdhsa_float_round_mode_32 0
		.amdhsa_float_round_mode_16_64 0
		.amdhsa_float_denorm_mode_32 3
		.amdhsa_float_denorm_mode_16_64 3
		.amdhsa_dx10_clamp 1
		.amdhsa_ieee_mode 1
		.amdhsa_fp16_overflow 0
		.amdhsa_tg_split 0
		.amdhsa_exception_fp_ieee_invalid_op 0
		.amdhsa_exception_fp_denorm_src 0
		.amdhsa_exception_fp_ieee_div_zero 0
		.amdhsa_exception_fp_ieee_overflow 0
		.amdhsa_exception_fp_ieee_underflow 0
		.amdhsa_exception_fp_ieee_inexact 0
		.amdhsa_exception_int_div_zero 0
	.end_amdhsa_kernel
	.section	.text._ZN2at6native12_GLOBAL__N_114gatherKthValueIllLi3EEEvNS_4cuda6detail10TensorInfoIKT_T0_EES8_S8_S8_S8_NS5_IS6_S8_EENS5_IlS8_EE,"axG",@progbits,_ZN2at6native12_GLOBAL__N_114gatherKthValueIllLi3EEEvNS_4cuda6detail10TensorInfoIKT_T0_EES8_S8_S8_S8_NS5_IS6_S8_EENS5_IlS8_EE,comdat
.Lfunc_end30:
	.size	_ZN2at6native12_GLOBAL__N_114gatherKthValueIllLi3EEEvNS_4cuda6detail10TensorInfoIKT_T0_EES8_S8_S8_S8_NS5_IS6_S8_EENS5_IlS8_EE, .Lfunc_end30-_ZN2at6native12_GLOBAL__N_114gatherKthValueIllLi3EEEvNS_4cuda6detail10TensorInfoIKT_T0_EES8_S8_S8_S8_NS5_IS6_S8_EENS5_IlS8_EE
                                        ; -- End function
	.section	.AMDGPU.csdata,"",@progbits
; Kernel info:
; codeLenInByte = 21220
; NumSgprs: 100
; NumVgprs: 67
; NumAgprs: 0
; TotalNumVgprs: 67
; ScratchSize: 0
; MemoryBound: 0
; FloatMode: 240
; IeeeMode: 1
; LDSByteSize: 5144 bytes/workgroup (compile time only)
; SGPRBlocks: 12
; VGPRBlocks: 8
; NumSGPRsForWavesPerEU: 100
; NumVGPRsForWavesPerEU: 67
; AccumOffset: 68
; Occupancy: 7
; WaveLimiterHint : 1
; COMPUTE_PGM_RSRC2:SCRATCH_EN: 0
; COMPUTE_PGM_RSRC2:USER_SGPR: 6
; COMPUTE_PGM_RSRC2:TRAP_HANDLER: 0
; COMPUTE_PGM_RSRC2:TGID_X_EN: 1
; COMPUTE_PGM_RSRC2:TGID_Y_EN: 1
; COMPUTE_PGM_RSRC2:TGID_Z_EN: 1
; COMPUTE_PGM_RSRC2:TIDIG_COMP_CNT: 0
; COMPUTE_PGM_RSRC3_GFX90A:ACCUM_OFFSET: 16
; COMPUTE_PGM_RSRC3_GFX90A:TG_SPLIT: 0
	.section	.text._ZN2at6native12_GLOBAL__N_114gatherKthValueIllLin1EEEvNS_4cuda6detail10TensorInfoIKT_T0_EES8_S8_S8_S8_NS5_IS6_S8_EENS5_IlS8_EE,"axG",@progbits,_ZN2at6native12_GLOBAL__N_114gatherKthValueIllLin1EEEvNS_4cuda6detail10TensorInfoIKT_T0_EES8_S8_S8_S8_NS5_IS6_S8_EENS5_IlS8_EE,comdat
	.globl	_ZN2at6native12_GLOBAL__N_114gatherKthValueIllLin1EEEvNS_4cuda6detail10TensorInfoIKT_T0_EES8_S8_S8_S8_NS5_IS6_S8_EENS5_IlS8_EE ; -- Begin function _ZN2at6native12_GLOBAL__N_114gatherKthValueIllLin1EEEvNS_4cuda6detail10TensorInfoIKT_T0_EES8_S8_S8_S8_NS5_IS6_S8_EENS5_IlS8_EE
	.p2align	8
	.type	_ZN2at6native12_GLOBAL__N_114gatherKthValueIllLin1EEEvNS_4cuda6detail10TensorInfoIKT_T0_EES8_S8_S8_S8_NS5_IS6_S8_EENS5_IlS8_EE,@function
_ZN2at6native12_GLOBAL__N_114gatherKthValueIllLin1EEEvNS_4cuda6detail10TensorInfoIKT_T0_EES8_S8_S8_S8_NS5_IS6_S8_EENS5_IlS8_EE: ; @_ZN2at6native12_GLOBAL__N_114gatherKthValueIllLin1EEEvNS_4cuda6detail10TensorInfoIKT_T0_EES8_S8_S8_S8_NS5_IS6_S8_EENS5_IlS8_EE
; %bb.0:
	s_load_dwordx8 s[56:63], s[4:5], 0x1a0
	s_load_dwordx2 s[12:13], s[4:5], 0x500
	s_add_u32 s10, s4, 0x500
	s_addc_u32 s11, s5, 0
	s_mov_b32 s9, 0
	s_waitcnt lgkmcnt(0)
	v_mov_b32_e32 v2, s60
	s_mul_i32 s0, s13, s8
	s_add_i32 s0, s0, s7
	s_mul_i32 s0, s0, s12
	v_mov_b32_e32 v3, s61
	s_add_i32 s8, s0, s6
	v_cmp_ge_i64_e32 vcc, s[8:9], v[2:3]
	s_cbranch_vccnz .LBB31_307
; %bb.1:
	s_load_dword s0, s[4:5], 0x198
	s_mov_b64 s[2:3], 0
	s_mov_b64 s[14:15], s[8:9]
	s_waitcnt lgkmcnt(0)
	s_cmp_lt_i32 s0, 2
	s_cbranch_scc1 .LBB31_9
; %bb.2:
	s_mov_b32 s16, 0
	s_add_i32 s7, s0, 1
	s_add_i32 s0, s0, -1
	s_mov_b32 s1, s16
	s_lshl_b64 s[0:1], s[0:1], 3
	s_add_u32 s0, s0, s4
	s_addc_u32 s1, s1, s5
	s_add_u32 s18, s0, 8
	s_addc_u32 s19, s1, 0
	s_mov_b64 s[20:21], s[8:9]
.LBB31_3:                               ; =>This Inner Loop Header: Depth=1
	s_load_dwordx2 s[22:23], s[18:19], 0x0
	s_waitcnt lgkmcnt(0)
	s_or_b64 s[0:1], s[20:21], s[22:23]
	s_mov_b32 s17, s1
	s_cmp_lg_u64 s[16:17], 0
	s_cbranch_scc0 .LBB31_8
; %bb.4:                                ;   in Loop: Header=BB31_3 Depth=1
	s_ashr_i32 s14, s23, 31
	s_add_u32 s0, s22, s14
	s_mov_b32 s15, s14
	s_addc_u32 s1, s23, s14
	s_xor_b64 s[24:25], s[0:1], s[14:15]
	v_cvt_f32_u32_e32 v1, s24
	v_cvt_f32_u32_e32 v2, s25
	s_sub_u32 s0, 0, s24
	s_subb_u32 s1, 0, s25
	v_mac_f32_e32 v1, 0x4f800000, v2
	v_rcp_f32_e32 v1, v1
	v_mul_f32_e32 v1, 0x5f7ffffc, v1
	v_mul_f32_e32 v2, 0x2f800000, v1
	v_trunc_f32_e32 v2, v2
	v_mac_f32_e32 v1, 0xcf800000, v2
	v_cvt_u32_f32_e32 v2, v2
	v_cvt_u32_f32_e32 v1, v1
	v_readfirstlane_b32 s13, v2
	v_readfirstlane_b32 s17, v1
	s_mul_i32 s26, s0, s13
	s_mul_hi_u32 s28, s0, s17
	s_mul_i32 s27, s1, s17
	s_add_i32 s26, s28, s26
	s_add_i32 s26, s26, s27
	s_mul_i32 s29, s0, s17
	s_mul_hi_u32 s27, s17, s26
	s_mul_i32 s28, s17, s26
	s_mul_hi_u32 s17, s17, s29
	s_add_u32 s17, s17, s28
	s_addc_u32 s27, 0, s27
	s_mul_hi_u32 s30, s13, s29
	s_mul_i32 s29, s13, s29
	s_add_u32 s17, s17, s29
	s_mul_hi_u32 s28, s13, s26
	s_addc_u32 s17, s27, s30
	s_addc_u32 s27, s28, 0
	s_mul_i32 s26, s13, s26
	s_add_u32 s17, s17, s26
	s_addc_u32 s26, 0, s27
	v_add_co_u32_e32 v1, vcc, s17, v1
	s_cmp_lg_u64 vcc, 0
	s_addc_u32 s13, s13, s26
	v_readfirstlane_b32 s26, v1
	s_mul_i32 s17, s0, s13
	s_mul_hi_u32 s27, s0, s26
	s_add_i32 s17, s27, s17
	s_mul_i32 s1, s1, s26
	s_add_i32 s17, s17, s1
	s_mul_i32 s0, s0, s26
	s_mul_hi_u32 s27, s13, s0
	s_mul_i32 s28, s13, s0
	s_mul_i32 s30, s26, s17
	s_mul_hi_u32 s0, s26, s0
	s_mul_hi_u32 s29, s26, s17
	s_add_u32 s0, s0, s30
	s_addc_u32 s26, 0, s29
	s_add_u32 s0, s0, s28
	s_mul_hi_u32 s1, s13, s17
	s_addc_u32 s0, s26, s27
	s_addc_u32 s1, s1, 0
	s_mul_i32 s17, s13, s17
	s_add_u32 s0, s0, s17
	s_addc_u32 s1, 0, s1
	v_add_co_u32_e32 v1, vcc, s0, v1
	s_cmp_lg_u64 vcc, 0
	s_addc_u32 s13, s13, s1
	s_ashr_i32 s26, s21, 31
	s_add_u32 s0, s20, s26
	s_mov_b32 s27, s26
	s_addc_u32 s1, s21, s26
	s_xor_b64 s[28:29], s[0:1], s[26:27]
	v_readfirstlane_b32 s17, v1
	s_mul_i32 s1, s28, s13
	s_mul_hi_u32 s30, s28, s17
	s_mul_hi_u32 s0, s28, s13
	s_add_u32 s1, s30, s1
	s_addc_u32 s0, 0, s0
	s_mul_hi_u32 s31, s29, s17
	s_mul_i32 s17, s29, s17
	s_add_u32 s1, s1, s17
	s_mul_hi_u32 s30, s29, s13
	s_addc_u32 s0, s0, s31
	s_addc_u32 s1, s30, 0
	s_mul_i32 s13, s29, s13
	s_add_u32 s13, s0, s13
	s_addc_u32 s17, 0, s1
	s_mul_i32 s0, s24, s17
	s_mul_hi_u32 s1, s24, s13
	s_add_i32 s0, s1, s0
	s_mul_i32 s1, s25, s13
	s_add_i32 s30, s0, s1
	s_mul_i32 s1, s24, s13
	v_mov_b32_e32 v1, s1
	s_sub_i32 s0, s29, s30
	v_sub_co_u32_e32 v1, vcc, s28, v1
	s_cmp_lg_u64 vcc, 0
	s_subb_u32 s28, s0, s25
	v_subrev_co_u32_e64 v2, s[0:1], s24, v1
	s_cmp_lg_u64 s[0:1], 0
	s_subb_u32 s0, s28, 0
	s_cmp_ge_u32 s0, s25
	v_readfirstlane_b32 s28, v2
	s_cselect_b32 s1, -1, 0
	s_cmp_ge_u32 s28, s24
	s_cselect_b32 s28, -1, 0
	s_cmp_eq_u32 s0, s25
	s_cselect_b32 s0, s28, s1
	s_add_u32 s1, s13, 1
	s_addc_u32 s28, s17, 0
	s_add_u32 s31, s13, 2
	s_addc_u32 s33, s17, 0
	s_cmp_lg_u32 s0, 0
	s_cselect_b32 s0, s31, s1
	s_cselect_b32 s1, s33, s28
	s_cmp_lg_u64 vcc, 0
	s_subb_u32 s28, s29, s30
	s_cmp_ge_u32 s28, s25
	v_readfirstlane_b32 s30, v1
	s_cselect_b32 s29, -1, 0
	s_cmp_ge_u32 s30, s24
	s_cselect_b32 s24, -1, 0
	s_cmp_eq_u32 s28, s25
	s_cselect_b32 s24, s24, s29
	s_cmp_lg_u32 s24, 0
	s_cselect_b32 s1, s1, s17
	s_cselect_b32 s0, s0, s13
	s_xor_b64 s[14:15], s[26:27], s[14:15]
	s_xor_b64 s[0:1], s[0:1], s[14:15]
	s_sub_u32 s14, s0, s14
	s_subb_u32 s15, s1, s15
	s_cbranch_execnz .LBB31_6
.LBB31_5:                               ;   in Loop: Header=BB31_3 Depth=1
	v_cvt_f32_u32_e32 v1, s22
	s_sub_i32 s0, 0, s22
	s_mov_b32 s15, s16
	v_rcp_iflag_f32_e32 v1, v1
	v_mul_f32_e32 v1, 0x4f7ffffe, v1
	v_cvt_u32_f32_e32 v1, v1
	v_readfirstlane_b32 s1, v1
	s_mul_i32 s0, s0, s1
	s_mul_hi_u32 s0, s1, s0
	s_add_i32 s1, s1, s0
	s_mul_hi_u32 s0, s20, s1
	s_mul_i32 s13, s0, s22
	s_sub_i32 s13, s20, s13
	s_add_i32 s1, s0, 1
	s_sub_i32 s14, s13, s22
	s_cmp_ge_u32 s13, s22
	s_cselect_b32 s0, s1, s0
	s_cselect_b32 s13, s14, s13
	s_add_i32 s1, s0, 1
	s_cmp_ge_u32 s13, s22
	s_cselect_b32 s14, s1, s0
.LBB31_6:                               ;   in Loop: Header=BB31_3 Depth=1
	s_mul_i32 s0, s14, s23
	s_mul_hi_u32 s1, s14, s22
	s_add_i32 s13, s1, s0
	s_load_dwordx2 s[0:1], s[18:19], 0xc8
	s_mul_i32 s17, s15, s22
	s_add_i32 s13, s13, s17
	s_mul_i32 s17, s14, s22
	s_sub_u32 s17, s20, s17
	s_subb_u32 s13, s21, s13
	s_waitcnt lgkmcnt(0)
	s_mul_i32 s13, s0, s13
	s_mul_hi_u32 s20, s0, s17
	s_add_i32 s13, s20, s13
	s_mul_i32 s1, s1, s17
	s_add_i32 s13, s13, s1
	s_mul_i32 s0, s0, s17
	s_add_u32 s2, s0, s2
	s_addc_u32 s3, s13, s3
	s_add_i32 s7, s7, -1
	s_add_u32 s18, s18, -8
	s_addc_u32 s19, s19, -1
	s_cmp_gt_u32 s7, 2
	s_cbranch_scc0 .LBB31_9
; %bb.7:                                ;   in Loop: Header=BB31_3 Depth=1
	s_mov_b64 s[20:21], s[14:15]
	s_branch .LBB31_3
.LBB31_8:                               ;   in Loop: Header=BB31_3 Depth=1
                                        ; implicit-def: $sgpr14_sgpr15
	s_branch .LBB31_5
.LBB31_9:
	s_load_dword s0, s[4:5], 0x358
	s_load_dwordx2 s[16:17], s[4:5], 0xd0
	s_add_u32 s18, s4, 0x1c0
	s_addc_u32 s19, s5, 0
	s_mov_b64 s[40:41], 0
	s_waitcnt lgkmcnt(0)
	s_cmp_lt_i32 s0, 2
	s_mov_b64 s[28:29], s[8:9]
	s_cbranch_scc1 .LBB31_17
; %bb.10:
	s_mov_b32 s20, 0
	s_add_i32 s7, s0, 1
	s_add_i32 s0, s0, -1
	s_mov_b32 s1, s20
	s_lshl_b64 s[0:1], s[0:1], 3
	s_add_u32 s0, s0, s18
	s_addc_u32 s1, s1, s19
	s_add_u32 s22, s0, 8
	s_addc_u32 s23, s1, 0
	s_mov_b64 s[24:25], s[8:9]
.LBB31_11:                              ; =>This Inner Loop Header: Depth=1
	s_load_dwordx2 s[26:27], s[22:23], 0x0
	s_waitcnt lgkmcnt(0)
	s_or_b64 s[0:1], s[24:25], s[26:27]
	s_mov_b32 s21, s1
	s_cmp_lg_u64 s[20:21], 0
	s_cbranch_scc0 .LBB31_16
; %bb.12:                               ;   in Loop: Header=BB31_11 Depth=1
	s_ashr_i32 s28, s27, 31
	s_add_u32 s0, s26, s28
	s_mov_b32 s29, s28
	s_addc_u32 s1, s27, s28
	s_xor_b64 s[30:31], s[0:1], s[28:29]
	v_cvt_f32_u32_e32 v1, s30
	v_cvt_f32_u32_e32 v2, s31
	s_sub_u32 s0, 0, s30
	s_subb_u32 s1, 0, s31
	v_mac_f32_e32 v1, 0x4f800000, v2
	v_rcp_f32_e32 v1, v1
	v_mul_f32_e32 v1, 0x5f7ffffc, v1
	v_mul_f32_e32 v2, 0x2f800000, v1
	v_trunc_f32_e32 v2, v2
	v_mac_f32_e32 v1, 0xcf800000, v2
	v_cvt_u32_f32_e32 v2, v2
	v_cvt_u32_f32_e32 v1, v1
	v_readfirstlane_b32 s13, v2
	v_readfirstlane_b32 s21, v1
	s_mul_i32 s33, s0, s13
	s_mul_hi_u32 s35, s0, s21
	s_mul_i32 s34, s1, s21
	s_add_i32 s33, s35, s33
	s_add_i32 s33, s33, s34
	s_mul_i32 s36, s0, s21
	s_mul_hi_u32 s34, s21, s33
	s_mul_i32 s35, s21, s33
	s_mul_hi_u32 s21, s21, s36
	s_add_u32 s21, s21, s35
	s_addc_u32 s34, 0, s34
	s_mul_hi_u32 s37, s13, s36
	s_mul_i32 s36, s13, s36
	s_add_u32 s21, s21, s36
	s_mul_hi_u32 s35, s13, s33
	s_addc_u32 s21, s34, s37
	s_addc_u32 s34, s35, 0
	s_mul_i32 s33, s13, s33
	s_add_u32 s21, s21, s33
	s_addc_u32 s33, 0, s34
	v_add_co_u32_e32 v1, vcc, s21, v1
	s_cmp_lg_u64 vcc, 0
	s_addc_u32 s13, s13, s33
	v_readfirstlane_b32 s33, v1
	s_mul_i32 s21, s0, s13
	s_mul_hi_u32 s34, s0, s33
	s_add_i32 s21, s34, s21
	s_mul_i32 s1, s1, s33
	s_add_i32 s21, s21, s1
	s_mul_i32 s0, s0, s33
	s_mul_hi_u32 s34, s13, s0
	s_mul_i32 s35, s13, s0
	s_mul_i32 s37, s33, s21
	s_mul_hi_u32 s0, s33, s0
	s_mul_hi_u32 s36, s33, s21
	s_add_u32 s0, s0, s37
	s_addc_u32 s33, 0, s36
	s_add_u32 s0, s0, s35
	s_mul_hi_u32 s1, s13, s21
	s_addc_u32 s0, s33, s34
	s_addc_u32 s1, s1, 0
	s_mul_i32 s21, s13, s21
	s_add_u32 s0, s0, s21
	s_addc_u32 s1, 0, s1
	v_add_co_u32_e32 v1, vcc, s0, v1
	s_cmp_lg_u64 vcc, 0
	s_addc_u32 s13, s13, s1
	s_ashr_i32 s34, s25, 31
	s_add_u32 s0, s24, s34
	s_mov_b32 s35, s34
	s_addc_u32 s1, s25, s34
	s_xor_b64 s[36:37], s[0:1], s[34:35]
	v_readfirstlane_b32 s21, v1
	s_mul_i32 s1, s36, s13
	s_mul_hi_u32 s33, s36, s21
	s_mul_hi_u32 s0, s36, s13
	s_add_u32 s1, s33, s1
	s_addc_u32 s0, 0, s0
	s_mul_hi_u32 s38, s37, s21
	s_mul_i32 s21, s37, s21
	s_add_u32 s1, s1, s21
	s_mul_hi_u32 s33, s37, s13
	s_addc_u32 s0, s0, s38
	s_addc_u32 s1, s33, 0
	s_mul_i32 s13, s37, s13
	s_add_u32 s13, s0, s13
	s_addc_u32 s21, 0, s1
	s_mul_i32 s0, s30, s21
	s_mul_hi_u32 s1, s30, s13
	s_add_i32 s0, s1, s0
	s_mul_i32 s1, s31, s13
	s_add_i32 s33, s0, s1
	s_mul_i32 s1, s30, s13
	v_mov_b32_e32 v1, s1
	s_sub_i32 s0, s37, s33
	v_sub_co_u32_e32 v1, vcc, s36, v1
	s_cmp_lg_u64 vcc, 0
	s_subb_u32 s36, s0, s31
	v_subrev_co_u32_e64 v2, s[0:1], s30, v1
	s_cmp_lg_u64 s[0:1], 0
	s_subb_u32 s0, s36, 0
	s_cmp_ge_u32 s0, s31
	v_readfirstlane_b32 s36, v2
	s_cselect_b32 s1, -1, 0
	s_cmp_ge_u32 s36, s30
	s_cselect_b32 s36, -1, 0
	s_cmp_eq_u32 s0, s31
	s_cselect_b32 s0, s36, s1
	s_add_u32 s1, s13, 1
	s_addc_u32 s36, s21, 0
	s_add_u32 s38, s13, 2
	s_addc_u32 s39, s21, 0
	s_cmp_lg_u32 s0, 0
	s_cselect_b32 s0, s38, s1
	s_cselect_b32 s1, s39, s36
	s_cmp_lg_u64 vcc, 0
	s_subb_u32 s33, s37, s33
	s_cmp_ge_u32 s33, s31
	v_readfirstlane_b32 s37, v1
	s_cselect_b32 s36, -1, 0
	s_cmp_ge_u32 s37, s30
	s_cselect_b32 s30, -1, 0
	s_cmp_eq_u32 s33, s31
	s_cselect_b32 s30, s30, s36
	s_cmp_lg_u32 s30, 0
	s_cselect_b32 s1, s1, s21
	s_cselect_b32 s0, s0, s13
	s_xor_b64 s[28:29], s[34:35], s[28:29]
	s_xor_b64 s[0:1], s[0:1], s[28:29]
	s_sub_u32 s28, s0, s28
	s_subb_u32 s29, s1, s29
	s_cbranch_execnz .LBB31_14
.LBB31_13:                              ;   in Loop: Header=BB31_11 Depth=1
	v_cvt_f32_u32_e32 v1, s26
	s_sub_i32 s0, 0, s26
	s_mov_b32 s29, s20
	v_rcp_iflag_f32_e32 v1, v1
	v_mul_f32_e32 v1, 0x4f7ffffe, v1
	v_cvt_u32_f32_e32 v1, v1
	v_readfirstlane_b32 s1, v1
	s_mul_i32 s0, s0, s1
	s_mul_hi_u32 s0, s1, s0
	s_add_i32 s1, s1, s0
	s_mul_hi_u32 s0, s24, s1
	s_mul_i32 s13, s0, s26
	s_sub_i32 s13, s24, s13
	s_add_i32 s1, s0, 1
	s_sub_i32 s21, s13, s26
	s_cmp_ge_u32 s13, s26
	s_cselect_b32 s0, s1, s0
	s_cselect_b32 s13, s21, s13
	s_add_i32 s1, s0, 1
	s_cmp_ge_u32 s13, s26
	s_cselect_b32 s28, s1, s0
.LBB31_14:                              ;   in Loop: Header=BB31_11 Depth=1
	s_mul_i32 s0, s28, s27
	s_mul_hi_u32 s1, s28, s26
	s_add_i32 s13, s1, s0
	s_load_dwordx2 s[0:1], s[22:23], 0xc8
	s_mul_i32 s21, s29, s26
	s_add_i32 s13, s13, s21
	s_mul_i32 s21, s28, s26
	s_sub_u32 s21, s24, s21
	s_subb_u32 s13, s25, s13
	s_waitcnt lgkmcnt(0)
	s_mul_i32 s13, s0, s13
	s_mul_hi_u32 s24, s0, s21
	s_add_i32 s13, s24, s13
	s_mul_i32 s1, s1, s21
	s_add_i32 s13, s13, s1
	s_mul_i32 s0, s0, s21
	s_add_u32 s40, s0, s40
	s_addc_u32 s41, s13, s41
	s_add_i32 s7, s7, -1
	s_add_u32 s22, s22, -8
	s_addc_u32 s23, s23, -1
	s_cmp_gt_u32 s7, 2
	s_cbranch_scc0 .LBB31_17
; %bb.15:                               ;   in Loop: Header=BB31_11 Depth=1
	s_mov_b64 s[24:25], s[28:29]
	s_branch .LBB31_11
.LBB31_16:                              ;   in Loop: Header=BB31_11 Depth=1
                                        ; implicit-def: $sgpr28_sgpr29
	s_branch .LBB31_13
.LBB31_17:
                                        ; implicit-def: $vgpr70 : SGPR spill to VGPR lane
	s_load_dword s13, s[4:5], 0x4f8
	s_load_dwordx2 s[0:1], s[18:19], 0xd0
	v_writelane_b32 v70, s40, 0
	v_writelane_b32 v70, s41, 1
	;; [unrolled: 1-line block ×4, first 2 shown]
	s_waitcnt lgkmcnt(0)
	v_writelane_b32 v70, s0, 4
	v_writelane_b32 v70, s1, 5
	s_add_u32 s0, s4, 0x360
	s_addc_u32 s1, s5, 0
	s_cmp_lt_i32 s13, 2
	s_mov_b64 s[64:65], 0
                                        ; kill: killed $sgpr18 killed $sgpr19
	s_cbranch_scc1 .LBB31_25
; %bb.18:
	s_mov_b32 s18, 0
	s_add_i32 s20, s13, -1
	s_mov_b32 s21, s18
	s_add_i32 s7, s13, 1
	s_lshl_b64 s[20:21], s[20:21], 3
	s_add_u32 s0, s20, s0
	s_addc_u32 s1, s21, s1
	s_add_u32 s20, s0, 8
	s_addc_u32 s21, s1, 0
.LBB31_19:                              ; =>This Inner Loop Header: Depth=1
	s_load_dwordx2 s[22:23], s[20:21], 0x0
	s_waitcnt lgkmcnt(0)
	s_or_b64 s[0:1], s[8:9], s[22:23]
	s_mov_b32 s19, s1
	s_cmp_lg_u64 s[18:19], 0
	s_cbranch_scc0 .LBB31_24
; %bb.20:                               ;   in Loop: Header=BB31_19 Depth=1
	s_ashr_i32 s24, s23, 31
	s_add_u32 s0, s22, s24
	s_mov_b32 s25, s24
	s_addc_u32 s1, s23, s24
	s_xor_b64 s[26:27], s[0:1], s[24:25]
	v_cvt_f32_u32_e32 v1, s26
	v_cvt_f32_u32_e32 v2, s27
	s_sub_u32 s0, 0, s26
	s_subb_u32 s1, 0, s27
	v_mac_f32_e32 v1, 0x4f800000, v2
	v_rcp_f32_e32 v1, v1
	v_mul_f32_e32 v1, 0x5f7ffffc, v1
	v_mul_f32_e32 v2, 0x2f800000, v1
	v_trunc_f32_e32 v2, v2
	v_mac_f32_e32 v1, 0xcf800000, v2
	v_cvt_u32_f32_e32 v2, v2
	v_cvt_u32_f32_e32 v1, v1
	v_readfirstlane_b32 s13, v2
	v_readfirstlane_b32 s19, v1
	s_mul_i32 s28, s0, s13
	s_mul_hi_u32 s30, s0, s19
	s_mul_i32 s29, s1, s19
	s_add_i32 s28, s30, s28
	s_add_i32 s28, s28, s29
	s_mul_i32 s31, s0, s19
	s_mul_hi_u32 s29, s19, s28
	s_mul_i32 s30, s19, s28
	s_mul_hi_u32 s19, s19, s31
	s_add_u32 s19, s19, s30
	s_addc_u32 s29, 0, s29
	s_mul_hi_u32 s33, s13, s31
	s_mul_i32 s31, s13, s31
	s_add_u32 s19, s19, s31
	s_mul_hi_u32 s30, s13, s28
	s_addc_u32 s19, s29, s33
	s_addc_u32 s29, s30, 0
	s_mul_i32 s28, s13, s28
	s_add_u32 s19, s19, s28
	s_addc_u32 s28, 0, s29
	v_add_co_u32_e32 v1, vcc, s19, v1
	s_cmp_lg_u64 vcc, 0
	s_addc_u32 s13, s13, s28
	v_readfirstlane_b32 s28, v1
	s_mul_i32 s19, s0, s13
	s_mul_hi_u32 s29, s0, s28
	s_add_i32 s19, s29, s19
	s_mul_i32 s1, s1, s28
	s_add_i32 s19, s19, s1
	s_mul_i32 s0, s0, s28
	s_mul_hi_u32 s29, s13, s0
	s_mul_i32 s30, s13, s0
	s_mul_i32 s33, s28, s19
	s_mul_hi_u32 s0, s28, s0
	s_mul_hi_u32 s31, s28, s19
	s_add_u32 s0, s0, s33
	s_addc_u32 s28, 0, s31
	s_add_u32 s0, s0, s30
	s_mul_hi_u32 s1, s13, s19
	s_addc_u32 s0, s28, s29
	s_addc_u32 s1, s1, 0
	s_mul_i32 s19, s13, s19
	s_add_u32 s0, s0, s19
	s_addc_u32 s1, 0, s1
	v_add_co_u32_e32 v1, vcc, s0, v1
	s_cmp_lg_u64 vcc, 0
	s_addc_u32 s13, s13, s1
	s_ashr_i32 s28, s9, 31
	s_add_u32 s0, s8, s28
	s_mov_b32 s29, s28
	s_addc_u32 s1, s9, s28
	s_xor_b64 s[30:31], s[0:1], s[28:29]
	v_readfirstlane_b32 s19, v1
	s_mul_i32 s1, s30, s13
	s_mul_hi_u32 s33, s30, s19
	s_mul_hi_u32 s0, s30, s13
	s_add_u32 s1, s33, s1
	s_addc_u32 s0, 0, s0
	s_mul_hi_u32 s34, s31, s19
	s_mul_i32 s19, s31, s19
	s_add_u32 s1, s1, s19
	s_mul_hi_u32 s33, s31, s13
	s_addc_u32 s0, s0, s34
	s_addc_u32 s1, s33, 0
	s_mul_i32 s13, s31, s13
	s_add_u32 s13, s0, s13
	s_addc_u32 s19, 0, s1
	s_mul_i32 s0, s26, s19
	s_mul_hi_u32 s1, s26, s13
	s_add_i32 s0, s1, s0
	s_mul_i32 s1, s27, s13
	s_add_i32 s33, s0, s1
	s_mul_i32 s1, s26, s13
	v_mov_b32_e32 v1, s1
	s_sub_i32 s0, s31, s33
	v_sub_co_u32_e32 v1, vcc, s30, v1
	s_cmp_lg_u64 vcc, 0
	s_subb_u32 s30, s0, s27
	v_subrev_co_u32_e64 v2, s[0:1], s26, v1
	s_cmp_lg_u64 s[0:1], 0
	s_subb_u32 s0, s30, 0
	s_cmp_ge_u32 s0, s27
	v_readfirstlane_b32 s30, v2
	s_cselect_b32 s1, -1, 0
	s_cmp_ge_u32 s30, s26
	s_cselect_b32 s30, -1, 0
	s_cmp_eq_u32 s0, s27
	s_cselect_b32 s0, s30, s1
	s_add_u32 s1, s13, 1
	s_addc_u32 s30, s19, 0
	s_add_u32 s34, s13, 2
	s_addc_u32 s35, s19, 0
	s_cmp_lg_u32 s0, 0
	s_cselect_b32 s0, s34, s1
	s_cselect_b32 s1, s35, s30
	s_cmp_lg_u64 vcc, 0
	s_subb_u32 s30, s31, s33
	s_cmp_ge_u32 s30, s27
	v_readfirstlane_b32 s33, v1
	s_cselect_b32 s31, -1, 0
	s_cmp_ge_u32 s33, s26
	s_cselect_b32 s26, -1, 0
	s_cmp_eq_u32 s30, s27
	s_cselect_b32 s26, s26, s31
	s_cmp_lg_u32 s26, 0
	s_cselect_b32 s1, s1, s19
	s_cselect_b32 s0, s0, s13
	s_xor_b64 s[24:25], s[28:29], s[24:25]
	s_xor_b64 s[0:1], s[0:1], s[24:25]
	s_sub_u32 s68, s0, s24
	s_subb_u32 s69, s1, s25
	s_cbranch_execnz .LBB31_22
.LBB31_21:                              ;   in Loop: Header=BB31_19 Depth=1
	v_cvt_f32_u32_e32 v1, s22
	s_sub_i32 s0, 0, s22
	s_mov_b32 s69, s18
	v_rcp_iflag_f32_e32 v1, v1
	v_mul_f32_e32 v1, 0x4f7ffffe, v1
	v_cvt_u32_f32_e32 v1, v1
	v_readfirstlane_b32 s1, v1
	s_mul_i32 s0, s0, s1
	s_mul_hi_u32 s0, s1, s0
	s_add_i32 s1, s1, s0
	s_mul_hi_u32 s0, s8, s1
	s_mul_i32 s13, s0, s22
	s_sub_i32 s13, s8, s13
	s_add_i32 s1, s0, 1
	s_sub_i32 s19, s13, s22
	s_cmp_ge_u32 s13, s22
	s_cselect_b32 s0, s1, s0
	s_cselect_b32 s13, s19, s13
	s_add_i32 s1, s0, 1
	s_cmp_ge_u32 s13, s22
	s_cselect_b32 s68, s1, s0
.LBB31_22:                              ;   in Loop: Header=BB31_19 Depth=1
	s_mul_i32 s0, s68, s23
	s_mul_hi_u32 s1, s68, s22
	s_add_i32 s13, s1, s0
	s_load_dwordx2 s[0:1], s[20:21], 0xc8
	s_mul_i32 s19, s69, s22
	s_add_i32 s13, s13, s19
	s_mul_i32 s19, s68, s22
	s_sub_u32 s8, s8, s19
	s_subb_u32 s9, s9, s13
	s_waitcnt lgkmcnt(0)
	s_mul_i32 s9, s0, s9
	s_mul_hi_u32 s13, s0, s8
	s_add_i32 s9, s13, s9
	s_mul_i32 s1, s1, s8
	s_add_i32 s9, s9, s1
	s_mul_i32 s0, s0, s8
	s_add_u32 s64, s0, s64
	s_addc_u32 s65, s9, s65
	s_add_i32 s7, s7, -1
	s_add_u32 s20, s20, -8
	s_addc_u32 s21, s21, -1
	s_cmp_gt_u32 s7, 2
	s_cbranch_scc0 .LBB31_26
; %bb.23:                               ;   in Loop: Header=BB31_19 Depth=1
	s_mov_b64 s[8:9], s[68:69]
	s_branch .LBB31_19
.LBB31_24:                              ;   in Loop: Header=BB31_19 Depth=1
                                        ; implicit-def: $sgpr68_sgpr69
	s_branch .LBB31_21
.LBB31_25:
	s_mov_b64 s[68:69], s[8:9]
.LBB31_26:
	s_load_dwordx2 s[0:1], s[4:5], 0x0
	s_load_dwordx2 s[8:9], s[4:5], 0x1c0
	s_mov_b32 s77, 0
                                        ; kill: killed $sgpr4 killed $sgpr5
	s_waitcnt lgkmcnt(0)
	v_writelane_b32 v70, s8, 6
	v_writelane_b32 v70, s9, 7
	s_load_dwordx2 s[8:9], s[4:5], 0x430
	s_waitcnt lgkmcnt(0)
	v_writelane_b32 v70, s8, 8
	v_writelane_b32 v70, s9, 9
	s_load_dwordx2 s[8:9], s[4:5], 0x360
	s_waitcnt lgkmcnt(0)
	v_writelane_b32 v70, s8, 10
	v_writelane_b32 v70, s9, 11
	v_cmp_eq_u32_e64 s[8:9], 0, v0
	s_mov_b64 s[4:5], exec
	v_writelane_b32 v70, s8, 12
	v_writelane_b32 v70, s9, 13
	s_and_b64 s[8:9], s[4:5], s[8:9]
	s_mov_b64 exec, s[8:9]
	s_cbranch_execz .LBB31_28
; %bb.27:
	v_mov_b32_e32 v2, 0
	v_mov_b32_e32 v4, s56
	;; [unrolled: 1-line block ×4, first 2 shown]
	ds_write_b32 v2, v2 offset:5136
	ds_write_b128 v2, v[2:5] offset:5120
.LBB31_28:
	s_or_b64 exec, exec, s[4:5]
	s_mul_i32 s4, s16, s15
	s_mul_hi_u32 s5, s16, s14
	s_add_i32 s4, s5, s4
	s_mul_i32 s5, s17, s14
	s_add_i32 s5, s4, s5
	s_mul_i32 s4, s16, s14
	s_lshl_b64 s[8:9], s[4:5], 3
	s_lshl_b64 s[80:81], s[2:3], 3
	s_add_u32 s14, s0, s8
	v_mbcnt_lo_u32_b32 v1, -1, 0
	s_addc_u32 s15, s1, s9
	v_mbcnt_hi_u32_b32 v50, -1, v1
	s_add_u32 s4, s14, s80
	v_cmp_gt_u32_e32 vcc, 64, v0
	v_cmp_gt_i32_e64 s[2:3], 4, v50
	s_addc_u32 s5, s15, s81
	s_and_b64 s[86:87], vcc, s[2:3]
	v_cmp_gt_u32_e64 s[2:3], 2, v0
	v_mov_b32_e32 v2, 0x180
	v_writelane_b32 v70, s2, 14
	v_mov_b32_e32 v3, 0
	v_mov_b32_e32 v19, 0
	v_writelane_b32 v70, s3, 15
	v_cmp_gt_i64_e64 s[2:3], s[56:57], v[2:3]
	v_mov_b32_e32 v1, v19
	v_writelane_b32 v70, s2, 16
	v_writelane_b32 v70, s3, 17
	v_cmp_gt_u64_e64 s[2:3], s[56:57], v[0:1]
	v_writelane_b32 v70, s2, 18
	v_writelane_b32 v70, s3, 19
	v_mad_u64_u32 v[2:3], s[2:3], v0, s62, 0
	v_mov_b32_e32 v4, v3
	v_mad_u64_u32 v[4:5], s[2:3], v0, s63, v[4:5]
	v_writelane_b32 v70, s5, 20
	v_writelane_b32 v70, s4, 21
	v_cmp_gt_i64_e64 s[2:3], s[56:57], v[0:1]
	v_writelane_b32 v70, s2, 22
	s_waitcnt lgkmcnt(0)
	s_barrier
	v_writelane_b32 v70, s3, 23
	s_load_dword s2, s[10:11], 0xc
	v_mov_b32_e32 v3, v4
	v_lshlrev_b64 v[4:5], 3, v[2:3]
	v_mov_b32_e32 v6, s5
	v_add_co_u32_e32 v20, vcc, s4, v4
	s_waitcnt lgkmcnt(0)
	s_and_b32 s33, s2, 0xffff
	s_bfe_u32 s3, s2, 0xa0006
	v_cmp_gt_u16_e64 s[4:5], s2, 63
	v_writelane_b32 v70, s4, 24
	s_add_u32 s2, s33, -1
	v_writelane_b32 v70, s5, 25
	s_addc_u32 s4, 0, -1
	v_writelane_b32 v70, s2, 26
	s_add_u32 s2, s2, s56
	s_addc_u32 s53, s4, s57
	s_cmp_lt_u32 s6, s12
	v_writelane_b32 v70, s2, 27
	s_cselect_b32 s2, 12, 18
	s_add_u32 s88, s10, s2
	s_addc_u32 s89, s11, 0
	s_add_i32 s2, s3, -1
	s_bfe_u32 s6, s33, 0x30006
	s_cmp_gt_u32 s2, 6
	v_writelane_b32 v70, s4, 28
	s_cselect_b64 s[4:5], -1, 0
	v_writelane_b32 v70, s4, 29
	s_and_b32 s45, s3, 0x3f8
	v_writelane_b32 v70, s5, 30
	s_cmp_lg_u32 s6, 0
	v_writelane_b32 v70, s6, 31
	s_cselect_b64 s[2:3], -1, 0
	v_writelane_b32 v70, s2, 32
	v_writelane_b32 v70, s3, 33
	s_add_u32 s2, s8, s80
	s_addc_u32 s3, s9, s81
	s_add_u32 s2, s0, s2
	v_addc_co_u32_e32 v21, vcc, v6, v5, vcc
	v_lshrrev_b32_e32 v6, 4, v0
	s_addc_u32 s3, s1, s3
	v_and_b32_e32 v53, 60, v6
	v_lshlrev_b32_e32 v6, 2, v50
	v_writelane_b32 v70, s2, 34
	v_and_b32_e32 v54, 0x100, v6
	v_lshlrev_b64 v[6:7], v50, -1
	v_writelane_b32 v70, s3, 35
	s_lshl_b64 s[2:3], s[62:63], 3
	v_lshlrev_b32_e32 v55, 5, v0
	v_not_b32_e32 v25, v7
	v_not_b32_e32 v24, v6
	v_writelane_b32 v70, s2, 36
	v_or_b32_e32 v9, 24, v55
	v_pk_mov_b32 v[6:7], s[14:15], s[14:15] op_sel:[0,1]
	v_writelane_b32 v70, s3, 37
	v_mad_u64_u32 v[26:27], s[2:3], s62, v9, v[6:7]
	v_mov_b32_e32 v8, v27
	v_mad_u64_u32 v[8:9], s[2:3], s63, v9, v[8:9]
	s_lshl_b64 s[2:3], s[62:63], 5
	v_writelane_b32 v70, s2, 38
	v_or_b32_e32 v9, 16, v55
	v_writelane_b32 v70, s3, 39
	v_mad_u64_u32 v[28:29], s[2:3], s62, v9, v[6:7]
	v_mov_b32_e32 v27, v8
	v_mov_b32_e32 v8, v29
	v_mad_u64_u32 v[8:9], s[2:3], s63, v9, v[8:9]
	v_mov_b32_e32 v29, v8
	v_or_b32_e32 v8, 8, v55
	v_mad_u64_u32 v[30:31], s[2:3], s62, v8, v[6:7]
	v_mov_b32_e32 v6, v31
	v_mad_u64_u32 v[6:7], s[2:3], s63, v8, v[6:7]
	v_lshlrev_b64 v[2:3], 5, v[2:3]
	v_writelane_b32 v70, s68, 40
	v_cmp_eq_u32_e64 s[82:83], 0, v50
	v_mov_b32_e32 v31, v6
	v_mov_b32_e32 v6, s15
	v_add_co_u32_e32 v32, vcc, s14, v2
	s_add_u32 s0, s0, s80
	v_writelane_b32 v70, s69, 41
	v_addc_co_u32_e32 v33, vcc, v6, v3, vcc
	s_addc_u32 s1, s1, s81
	v_writelane_b32 v70, s82, 42
	v_mov_b32_e32 v2, s57
	v_add_co_u32_e32 v56, vcc, s56, v0
	s_add_u32 s0, s0, s8
	v_writelane_b32 v70, s83, 43
	v_addc_co_u32_e32 v57, vcc, 0, v2, vcc
	v_mov_b32_e32 v2, 0xc00
	s_addc_u32 s1, s1, s9
	v_writelane_b32 v70, s86, 44
	v_lshl_or_b32 v58, v50, 3, v2
	v_mov_b32_e32 v2, s1
	v_add_co_u32_e32 v16, vcc, s0, v4
	s_mul_i32 s0, s63, s33
	s_mul_hi_u32 s1, s62, s33
	v_writelane_b32 v70, s87, 45
	v_lshlrev_b32_e32 v51, 3, v0
	s_add_i32 s1, s1, s0
	s_mul_i32 s0, s62, s33
	v_writelane_b32 v70, s88, 46
	v_add_u32_e32 v52, 0xc00, v51
	v_lshlrev_b32_e32 v22, 2, v0
	v_mov_b32_e32 v23, v19
	s_mov_b32 s60, s77
	v_addc_co_u32_e32 v17, vcc, v2, v5, vcc
	s_lshl_b64 s[78:79], s[0:1], 3
	s_lshl_b32 s4, s33, 3
	s_mov_b32 s47, 62
	s_mov_b64 s[66:67], 0
	v_pk_mov_b32 v[6:7], 0, 0
	v_mov_b32_e32 v2, 1
	v_cvt_f32_ubyte0_e32 v59, 0
	s_mov_b32 s61, 0
	s_mov_b64 s[2:3], 0
	s_mov_b64 s[84:85], 0
	v_writelane_b32 v70, s89, 47
                                        ; implicit-def: $sgpr40_sgpr41
                                        ; implicit-def: $sgpr42_sgpr43
                                        ; implicit-def: $sgpr10_sgpr11
                                        ; implicit-def: $sgpr48_sgpr49
                                        ; implicit-def: $sgpr0_sgpr1
                                        ; implicit-def: $sgpr8_sgpr9
	v_writelane_b32 v70, s45, 48
	s_branch .LBB31_33
.LBB31_29:                              ;   in Loop: Header=BB31_33 Depth=1
	s_xor_b32 s61, s61, 1
	s_add_i32 s5, s47, -2
	s_cmp_eq_u32 s47, 0
	s_mov_b64 s[12:13], 0
	s_cselect_b64 s[16:17], -1, 0
	s_mov_b32 s47, s5
.LBB31_30:                              ;   in Loop: Header=BB31_33 Depth=1
	s_andn2_b64 s[18:19], s[24:25], exec
	s_and_b64 s[12:13], s[12:13], exec
	s_or_b64 s[24:25], s[18:19], s[12:13]
	s_andn2_b64 s[26:27], s[26:27], exec
	s_andn2_b64 s[22:23], s[22:23], exec
	s_orn2_b64 s[16:17], s[16:17], exec
.LBB31_31:                              ;   in Loop: Header=BB31_33 Depth=1
	s_or_b64 exec, exec, s[6:7]
	s_andn2_b64 s[6:7], s[8:9], exec
	s_and_b64 s[8:9], s[24:25], exec
	s_or_b64 s[8:9], s[6:7], s[8:9]
	s_andn2_b64 s[0:1], s[0:1], exec
	s_and_b64 s[6:7], s[26:27], exec
	s_or_b64 s[0:1], s[0:1], s[6:7]
	;; [unrolled: 3-line block ×3, first 2 shown]
	s_orn2_b64 s[22:23], s[16:17], exec
.LBB31_32:                              ;   in Loop: Header=BB31_33 Depth=1
	s_or_b64 exec, exec, s[14:15]
	s_and_b64 s[6:7], exec, s[22:23]
	s_or_b64 s[66:67], s[6:7], s[66:67]
	s_andn2_b64 s[6:7], s[10:11], exec
	s_and_b64 s[10:11], s[8:9], exec
	s_or_b64 s[10:11], s[6:7], s[10:11]
	s_andn2_b64 s[6:7], s[42:43], exec
	s_and_b64 s[12:13], s[0:1], exec
	;; [unrolled: 3-line block ×3, first 2 shown]
	s_waitcnt vmcnt(0)
	v_pk_mov_b32 v[4:5], s[2:3], s[2:3] op_sel:[0,1]
	s_or_b64 s[40:41], s[6:7], s[12:13]
	s_andn2_b64 exec, exec, s[66:67]
	s_cbranch_execz .LBB31_303
.LBB31_33:                              ; =>This Loop Header: Depth=1
                                        ;     Child Loop BB31_41 Depth 2
                                        ;     Child Loop BB31_60 Depth 2
	;; [unrolled: 1-line block ×16, first 2 shown]
	ds_read_b128 v[8:11], v19 offset:5120
	s_waitcnt lgkmcnt(0)
	v_readfirstlane_b32 s95, v9
	v_readfirstlane_b32 s94, v8
	v_cmp_gt_i64_e64 s[6:7], s[94:95], 0
	s_and_b64 vcc, exec, s[6:7]
	s_cbranch_vccnz .LBB31_67
; %bb.34:                               ;   in Loop: Header=BB31_33 Depth=1
	v_readlane_b32 s6, v70, 16
	v_readlane_b32 s7, v70, 17
	s_and_b64 vcc, exec, s[6:7]
	s_cbranch_vccz .LBB31_49
; %bb.35:                               ;   in Loop: Header=BB31_33 Depth=1
	s_mov_b64 s[6:7], 0x181
	v_cmp_gt_i64_e32 vcc, s[6:7], v[10:11]
	s_mov_b64 s[14:15], 0
	s_mov_b64 s[6:7], 0
	s_cbranch_vccz .LBB31_54
; %bb.36:                               ;   in Loop: Header=BB31_33 Depth=1
	v_pk_mov_b32 v[4:5], 0, 0
	s_mov_b64 s[6:7], exec
	v_readlane_b32 s12, v70, 18
	v_readlane_b32 s13, v70, 19
	s_and_b64 s[12:13], s[6:7], s[12:13]
	s_mov_b64 exec, s[12:13]
	s_cbranch_execz .LBB31_38
; %bb.37:                               ;   in Loop: Header=BB31_33 Depth=1
	global_load_dwordx2 v[4:5], v[20:21], off
.LBB31_38:                              ;   in Loop: Header=BB31_33 Depth=1
	s_or_b64 exec, exec, s[6:7]
	s_mov_b64 s[16:17], exec
	v_readlane_b32 s6, v70, 18
	v_readlane_b32 s7, v70, 19
	s_and_b64 s[6:7], s[16:17], s[6:7]
	s_mov_b64 exec, s[6:7]
	s_cbranch_execz .LBB31_50
; %bb.39:                               ;   in Loop: Header=BB31_33 Depth=1
	global_load_ushort v3, v19, s[88:89]
	v_readlane_b32 s6, v70, 34
	v_readlane_b32 s7, v70, 35
	v_pk_mov_b32 v[8:9], s[6:7], s[6:7] op_sel:[0,1]
	v_readlane_b32 s20, v70, 36
	v_readlane_b32 s21, v70, 37
	s_mov_b64 s[18:19], 0
	s_waitcnt vmcnt(0)
	v_readfirstlane_b32 s5, v3
	s_and_b32 s5, 0xffff, s5
	v_add_u32_e32 v11, s5, v0
	v_mad_u64_u32 v[8:9], s[6:7], s20, v11, v[8:9]
	v_mov_b32_e32 v10, v9
	s_mul_i32 s12, s21, s5
	s_mul_hi_u32 s13, s20, s5
	v_mad_u64_u32 v[10:11], s[6:7], s21, v11, v[10:11]
	s_mul_i32 s5, s20, s5
	s_add_i32 s26, s13, s12
	v_mov_b32_e32 v9, v10
	v_pk_mov_b32 v[10:11], v[0:1], v[0:1] op_sel:[0,1]
	s_branch .LBB31_41
.LBB31_40:                              ;   in Loop: Header=BB31_41 Depth=2
	s_or_b64 exec, exec, s[6:7]
	v_mov_b32_e32 v4, s26
	v_add_co_u32_e32 v8, vcc, s5, v8
	v_addc_co_u32_e32 v9, vcc, v9, v4, vcc
	s_waitcnt vmcnt(0)
	v_pk_mov_b32 v[4:5], v[12:13], v[12:13] op_sel:[0,1]
	s_andn2_b64 exec, exec, s[18:19]
	s_cbranch_execz .LBB31_50
.LBB31_41:                              ;   Parent Loop BB31_33 Depth=1
                                        ; =>  This Inner Loop Header: Depth=2
	v_add_co_u32_sdwa v10, vcc, v10, v3 dst_sel:DWORD dst_unused:UNUSED_PAD src0_sel:DWORD src1_sel:WORD_0
	v_addc_co_u32_e32 v11, vcc, 0, v11, vcc
	v_cmp_gt_i64_e64 s[6:7], s[56:57], v[10:11]
	v_cmp_le_i64_e32 vcc, s[56:57], v[10:11]
	v_pk_mov_b32 v[12:13], 0, 0
	s_and_saveexec_b64 s[12:13], s[6:7]
	s_cbranch_execz .LBB31_43
; %bb.42:                               ;   in Loop: Header=BB31_41 Depth=2
	global_load_dwordx2 v[12:13], v[8:9], off
.LBB31_43:                              ;   in Loop: Header=BB31_41 Depth=2
	s_or_b64 exec, exec, s[12:13]
	s_waitcnt lgkmcnt(0)
	v_xor_b32_e32 v14, 0x80000000, v5
	v_and_b32_e32 v15, s85, v14
	v_and_b32_e32 v14, s84, v4
	v_cmp_eq_u64_e64 s[12:13], s[2:3], v[14:15]
	s_cmp_lg_u64 s[12:13], 0
	s_cselect_b64 s[6:7], -1, 0
	s_and_b64 s[6:7], s[82:83], s[6:7]
	v_mov_b32_e32 v14, 0
	s_and_saveexec_b64 s[20:21], s[6:7]
	s_cbranch_execz .LBB31_47
; %bb.44:                               ;   in Loop: Header=BB31_41 Depth=2
	s_mov_b64 s[24:25], exec
	v_mbcnt_lo_u32_b32 v14, s24, 0
	v_mbcnt_hi_u32_b32 v14, s25, v14
	s_bcnt1_i32_b64 s27, s[12:13]
	v_cmp_eq_u32_e64 s[6:7], 0, v14
                                        ; implicit-def: $vgpr15
	s_and_saveexec_b64 s[22:23], s[6:7]
	s_cbranch_execz .LBB31_46
; %bb.45:                               ;   in Loop: Header=BB31_41 Depth=2
	s_bcnt1_i32_b64 s6, s[24:25]
	s_mul_i32 s6, s27, s6
	v_mov_b32_e32 v15, s6
	ds_add_rtn_u32 v15, v19, v15 offset:5136
.LBB31_46:                              ;   in Loop: Header=BB31_41 Depth=2
	s_or_b64 exec, exec, s[22:23]
	s_waitcnt lgkmcnt(0)
	v_readfirstlane_b32 s6, v15
	v_mov_b32_e32 v15, s6
	v_mad_u32_u24 v14, s27, v14, v15
.LBB31_47:                              ;   in Loop: Header=BB31_41 Depth=2
	s_or_b64 exec, exec, s[20:21]
	ds_bpermute_b32 v14, v54, v14
	s_and_b64 s[6:7], exec, vcc
	s_or_b64 s[18:19], s[6:7], s[18:19]
	s_and_saveexec_b64 s[6:7], s[12:13]
	s_cbranch_execz .LBB31_40
; %bb.48:                               ;   in Loop: Header=BB31_41 Depth=2
	v_and_b32_e32 v18, s12, v24
	v_and_b32_e32 v15, s13, v25
	v_bcnt_u32_b32 v18, v18, 0
	v_bcnt_u32_b32 v15, v15, v18
	v_lshlrev_b32_e32 v15, 3, v15
	s_waitcnt lgkmcnt(0)
	v_lshl_add_u32 v14, v14, 3, v15
	ds_write_b64 v14, v[4:5]
	s_branch .LBB31_40
.LBB31_49:                              ;   in Loop: Header=BB31_33 Depth=1
	s_mov_b64 s[14:15], -1
	s_mov_b64 s[6:7], 0
	s_branch .LBB31_53
.LBB31_50:                              ;   in Loop: Header=BB31_33 Depth=1
	s_or_b64 exec, exec, s[16:17]
	s_waitcnt lgkmcnt(0)
	s_barrier
	s_mov_b64 s[6:7], exec
	v_readlane_b32 s12, v70, 12
	v_readlane_b32 s13, v70, 13
	s_and_b64 s[12:13], s[6:7], s[12:13]
	s_mov_b64 exec, s[12:13]
	s_cbranch_execz .LBB31_52
; %bb.51:                               ;   in Loop: Header=BB31_33 Depth=1
	s_waitcnt vmcnt(0)
	ds_read_b32 v4, v19 offset:5136
	s_waitcnt lgkmcnt(0)
	v_ashrrev_i32_e32 v5, 31, v4
	ds_write_b64 v19, v[4:5] offset:5120
.LBB31_52:                              ;   in Loop: Header=BB31_33 Depth=1
	s_or_b64 exec, exec, s[6:7]
	s_waitcnt lgkmcnt(0)
	s_barrier
	s_mov_b64 s[6:7], -1
.LBB31_53:                              ;   in Loop: Header=BB31_33 Depth=1
                                        ; implicit-def: $sgpr94_sgpr95
.LBB31_54:                              ;   in Loop: Header=BB31_33 Depth=1
	s_and_b64 vcc, exec, s[14:15]
	s_cbranch_vccz .LBB31_65
; %bb.55:                               ;   in Loop: Header=BB31_33 Depth=1
	s_waitcnt vmcnt(0)
	v_pk_mov_b32 v[4:5], 0, 0
	s_mov_b64 s[6:7], exec
	v_readlane_b32 s12, v70, 22
	v_readlane_b32 s13, v70, 23
	s_and_b64 s[12:13], s[6:7], s[12:13]
	s_mov_b64 exec, s[12:13]
	s_cbranch_execz .LBB31_57
; %bb.56:                               ;   in Loop: Header=BB31_33 Depth=1
	global_load_dwordx2 v[4:5], v[20:21], off
.LBB31_57:                              ;   in Loop: Header=BB31_33 Depth=1
	s_or_b64 exec, exec, s[6:7]
	s_mov_b64 s[12:13], exec
	v_readlane_b32 s6, v70, 22
	v_readlane_b32 s7, v70, 23
	s_and_b64 s[6:7], s[12:13], s[6:7]
	s_mov_b64 exec, s[6:7]
	s_cbranch_execz .LBB31_62
; %bb.58:                               ;   in Loop: Header=BB31_33 Depth=1
	global_load_ushort v3, v19, s[88:89]
	v_readlane_b32 s6, v70, 34
	v_readlane_b32 s7, v70, 35
	v_pk_mov_b32 v[8:9], s[6:7], s[6:7] op_sel:[0,1]
	v_readlane_b32 s20, v70, 36
	v_readlane_b32 s21, v70, 37
	s_mov_b64 s[14:15], 0
	v_mov_b32_e32 v14, v51
	s_waitcnt vmcnt(0)
	v_readfirstlane_b32 s5, v3
	s_and_b32 s6, 0xffff, s5
	v_add_u32_e32 v11, s6, v0
	s_lshl_b32 s5, s6, 3
	s_mul_i32 s16, s21, s6
	s_mul_hi_u32 s17, s20, s6
	s_mul_i32 s18, s20, s6
	v_mad_u64_u32 v[8:9], s[6:7], s20, v11, v[8:9]
	v_mov_b32_e32 v10, v9
	v_mad_u64_u32 v[10:11], s[6:7], s21, v11, v[10:11]
	s_add_i32 s19, s17, s16
	v_mov_b32_e32 v9, v10
	v_pk_mov_b32 v[10:11], v[0:1], v[0:1] op_sel:[0,1]
	s_branch .LBB31_60
.LBB31_59:                              ;   in Loop: Header=BB31_60 Depth=2
	s_or_b64 exec, exec, s[16:17]
	s_and_b64 s[6:7], exec, vcc
	ds_write_b64 v14, v[4:5]
	v_mov_b32_e32 v4, s19
	v_add_co_u32_e32 v8, vcc, s18, v8
	s_or_b64 s[14:15], s[6:7], s[14:15]
	v_add_u32_e32 v14, s5, v14
	v_addc_co_u32_e32 v9, vcc, v9, v4, vcc
	s_waitcnt vmcnt(0)
	v_pk_mov_b32 v[4:5], v[12:13], v[12:13] op_sel:[0,1]
	s_andn2_b64 exec, exec, s[14:15]
	s_cbranch_execz .LBB31_62
.LBB31_60:                              ;   Parent Loop BB31_33 Depth=1
                                        ; =>  This Inner Loop Header: Depth=2
	v_add_co_u32_sdwa v10, vcc, v10, v3 dst_sel:DWORD dst_unused:UNUSED_PAD src0_sel:DWORD src1_sel:WORD_0
	v_addc_co_u32_e32 v11, vcc, 0, v11, vcc
	v_cmp_gt_i64_e64 s[6:7], s[56:57], v[10:11]
	v_cmp_le_i64_e32 vcc, s[56:57], v[10:11]
	v_pk_mov_b32 v[12:13], 0, 0
	s_and_saveexec_b64 s[16:17], s[6:7]
	s_cbranch_execz .LBB31_59
; %bb.61:                               ;   in Loop: Header=BB31_60 Depth=2
	global_load_dwordx2 v[12:13], v[8:9], off
	s_branch .LBB31_59
.LBB31_62:                              ;   in Loop: Header=BB31_33 Depth=1
	s_or_b64 exec, exec, s[12:13]
	s_waitcnt lgkmcnt(0)
	s_barrier
	s_mov_b64 s[6:7], exec
	v_readlane_b32 s12, v70, 12
	v_readlane_b32 s13, v70, 13
	s_and_b64 s[12:13], s[6:7], s[12:13]
	s_mov_b64 exec, s[12:13]
	s_cbranch_execz .LBB31_64
; %bb.63:                               ;   in Loop: Header=BB31_33 Depth=1
	s_waitcnt vmcnt(0)
	v_pk_mov_b32 v[4:5], s[56:57], s[56:57] op_sel:[0,1]
	ds_write_b64 v19, v[4:5] offset:5120
.LBB31_64:                              ;   in Loop: Header=BB31_33 Depth=1
	s_or_b64 exec, exec, s[6:7]
	s_mov_b64 s[6:7], -1
	s_waitcnt lgkmcnt(0)
	s_barrier
                                        ; implicit-def: $sgpr94_sgpr95
.LBB31_65:                              ;   in Loop: Header=BB31_33 Depth=1
	s_and_b64 vcc, exec, s[6:7]
	s_cbranch_vccz .LBB31_67
; %bb.66:                               ;   in Loop: Header=BB31_33 Depth=1
	s_waitcnt vmcnt(0)
	ds_read_b64 v[4:5], v19 offset:5120
	s_waitcnt lgkmcnt(0)
	v_readfirstlane_b32 s94, v4
.LBB31_67:                              ;   in Loop: Header=BB31_33 Depth=1
	s_cmp_lt_i32 s94, 1
	s_cbranch_scc0 .LBB31_82
; %bb.68:                               ;   in Loop: Header=BB31_33 Depth=1
	global_load_ushort v3, v19, s[88:89]
	s_mov_b32 s6, s77
	s_mov_b32 s7, s57
	s_waitcnt vmcnt(0)
	v_readfirstlane_b32 s5, v3
	s_and_b32 s76, s5, 0xffff
	s_lshl_b32 s95, s76, 2
	s_cmp_lg_u64 s[6:7], 0
	s_cbranch_scc0 .LBB31_102
; %bb.69:                               ;   in Loop: Header=BB31_33 Depth=1
	v_cvt_f32_u32_e32 v3, s95
	s_sub_u32 s5, 0, s95
	s_subb_u32 s6, 0, 0
	v_mac_f32_e32 v3, 0x4f800000, v59
	v_rcp_f32_e32 v3, v3
	v_mul_f32_e32 v3, 0x5f7ffffc, v3
	v_mul_f32_e32 v4, 0x2f800000, v3
	v_trunc_f32_e32 v4, v4
	v_mac_f32_e32 v3, 0xcf800000, v4
	v_cvt_u32_f32_e32 v4, v4
	v_cvt_u32_f32_e32 v3, v3
	v_readfirstlane_b32 s7, v4
	v_readfirstlane_b32 s12, v3
	s_mul_i32 s13, s5, s7
	s_mul_hi_u32 s15, s5, s12
	s_mul_i32 s14, s6, s12
	s_add_i32 s13, s15, s13
	s_mul_i32 s16, s5, s12
	s_add_i32 s13, s13, s14
	s_mul_hi_u32 s15, s12, s16
	s_mul_hi_u32 s14, s12, s13
	s_mul_i32 s12, s12, s13
	s_add_u32 s12, s15, s12
	s_addc_u32 s14, 0, s14
	s_mul_hi_u32 s17, s7, s16
	s_mul_i32 s16, s7, s16
	s_add_u32 s12, s12, s16
	s_mul_hi_u32 s15, s7, s13
	s_addc_u32 s12, s14, s17
	s_addc_u32 s14, s15, 0
	s_mul_i32 s13, s7, s13
	s_add_u32 s12, s12, s13
	s_addc_u32 s13, 0, s14
	v_add_co_u32_e32 v3, vcc, s12, v3
	s_cmp_lg_u64 vcc, 0
	s_addc_u32 s7, s7, s13
	v_readfirstlane_b32 s13, v3
	s_mul_i32 s12, s5, s7
	s_mul_hi_u32 s14, s5, s13
	s_add_i32 s12, s14, s12
	s_mul_i32 s6, s6, s13
	s_add_i32 s12, s12, s6
	s_mul_i32 s5, s5, s13
	s_mul_hi_u32 s14, s7, s5
	s_mul_i32 s15, s7, s5
	s_mul_i32 s17, s13, s12
	s_mul_hi_u32 s5, s13, s5
	s_mul_hi_u32 s16, s13, s12
	s_add_u32 s5, s5, s17
	s_addc_u32 s13, 0, s16
	s_add_u32 s5, s5, s15
	s_mul_hi_u32 s6, s7, s12
	s_addc_u32 s5, s13, s14
	s_addc_u32 s6, s6, 0
	s_mul_i32 s12, s7, s12
	s_add_u32 s5, s5, s12
	s_addc_u32 s6, 0, s6
	v_add_co_u32_e32 v3, vcc, s5, v3
	s_cmp_lg_u64 vcc, 0
	s_addc_u32 s5, s7, s6
	s_ashr_i32 s6, s57, 31
	s_add_u32 s12, s56, s6
	s_mov_b32 s7, s6
	s_addc_u32 s13, s57, s6
	s_xor_b64 s[12:13], s[12:13], s[6:7]
	v_readfirstlane_b32 s15, v3
	s_mul_i32 s14, s12, s5
	s_mul_hi_u32 s16, s12, s15
	s_mul_hi_u32 s7, s12, s5
	s_add_u32 s14, s16, s14
	s_addc_u32 s7, 0, s7
	s_mul_hi_u32 s17, s13, s15
	s_mul_i32 s15, s13, s15
	s_add_u32 s14, s14, s15
	s_mul_hi_u32 s16, s13, s5
	s_addc_u32 s7, s7, s17
	s_addc_u32 s14, s16, 0
	s_mul_i32 s5, s13, s5
	s_add_u32 s5, s7, s5
	s_addc_u32 s7, 0, s14
	s_mul_hi_u32 s14, s95, s5
	s_mul_i32 s5, s95, s5
	s_mul_i32 s7, s95, s7
	v_mov_b32_e32 v3, s5
	s_add_i32 s14, s14, s7
	v_sub_co_u32_e32 v3, vcc, s12, v3
	s_cmp_lg_u64 vcc, 0
	s_subb_u32 s5, s13, s14
	v_subrev_co_u32_e32 v4, vcc, s95, v3
	s_cmp_lg_u64 vcc, 0
	s_subb_u32 s7, s5, 0
	v_subrev_co_u32_e32 v5, vcc, s95, v4
	s_cmp_lg_u64 vcc, 0
	s_subb_u32 s12, s7, 0
	v_cmp_le_u32_e32 vcc, s95, v4
	s_cmp_eq_u32 s7, 0
	v_cndmask_b32_e64 v8, 0, -1, vcc
	s_cselect_b64 vcc, -1, 0
	v_cndmask_b32_e32 v8, -1, v8, vcc
	v_mov_b32_e32 v9, s7
	v_mov_b32_e32 v10, s12
	v_cmp_ne_u32_e32 vcc, 0, v8
	v_cndmask_b32_e32 v8, v9, v10, vcc
	v_cndmask_b32_e32 v4, v4, v5, vcc
	v_cmp_le_u32_e32 vcc, s95, v3
	s_cmp_eq_u32 s5, 0
	v_cndmask_b32_e64 v5, 0, -1, vcc
	s_cselect_b64 vcc, -1, 0
	v_cndmask_b32_e32 v5, -1, v5, vcc
	v_cmp_ne_u32_e32 vcc, 0, v5
	v_mov_b32_e32 v9, s5
	v_cndmask_b32_e32 v3, v3, v4, vcc
	v_cndmask_b32_e32 v5, v9, v8, vcc
	v_xor_b32_e32 v3, s6, v3
	v_xor_b32_e32 v5, s6, v5
	v_mov_b32_e32 v8, s6
	v_subrev_co_u32_e32 v4, vcc, s6, v3
	v_subb_co_u32_e32 v5, vcc, v5, v8, vcc
	s_cbranch_execnz .LBB31_71
.LBB31_70:                              ;   in Loop: Header=BB31_33 Depth=1
	v_cvt_f32_u32_e32 v3, s95
	s_sub_i32 s5, 0, s95
	v_rcp_iflag_f32_e32 v3, v3
	v_mul_f32_e32 v3, 0x4f7ffffe, v3
	v_cvt_u32_f32_e32 v3, v3
	v_mul_lo_u32 v4, s5, v3
	v_mul_hi_u32 v4, v3, v4
	v_add_u32_e32 v3, v3, v4
	v_mul_hi_u32 v3, s56, v3
	v_mul_lo_u32 v3, v3, s95
	v_sub_u32_e32 v3, s56, v3
	v_subrev_u32_e32 v4, s95, v3
	v_cmp_le_u32_e32 vcc, s95, v3
	v_cndmask_b32_e32 v3, v3, v4, vcc
	v_subrev_u32_e32 v4, s95, v3
	v_cmp_le_u32_e32 vcc, s95, v3
	v_cndmask_b32_e32 v18, v3, v4, vcc
	v_pk_mov_b32 v[4:5], v[18:19], v[18:19] op_sel:[0,1]
.LBB31_71:                              ;   in Loop: Header=BB31_33 Depth=1
	v_mov_b32_e32 v3, s57
	v_sub_co_u32_e32 v34, vcc, s56, v4
	v_subb_co_u32_e32 v35, vcc, v3, v5, vcc
	v_pk_mov_b32 v[8:9], 0, 0
	v_cmp_gt_i64_e32 vcc, v[34:35], v[22:23]
	s_mov_b64 s[72:73], 0
	v_pk_mov_b32 v[10:11], v[8:9], v[8:9] op_sel:[0,1]
	v_pk_mov_b32 v[12:13], v[8:9], v[8:9] op_sel:[0,1]
	;; [unrolled: 1-line block ×3, first 2 shown]
	s_and_saveexec_b64 s[28:29], vcc
	s_cbranch_execz .LBB31_75
; %bb.72:                               ;   in Loop: Header=BB31_33 Depth=1
	v_readlane_b32 s12, v70, 38
	v_readlane_b32 s13, v70, 39
	s_mul_i32 s6, s13, s76
	s_mul_hi_u32 s7, s12, s76
	s_mov_b64 s[54:55], s[42:43]
	s_mov_b64 s[90:91], s[10:11]
	;; [unrolled: 1-line block ×6, first 2 shown]
	s_mov_b32 s93, s53
	s_mov_b32 s92, s47
	s_and_b32 s5, s47, 0xfe
	s_add_i32 s68, s7, s6
	s_mul_i32 s69, s12, s76
	v_pk_mov_b32 v[36:37], v[32:33], v[32:33] op_sel:[0,1]
	v_pk_mov_b32 v[38:39], v[30:31], v[30:31] op_sel:[0,1]
	;; [unrolled: 1-line block ×4, first 2 shown]
	s_mov_b64 s[82:83], 0
	s_mov_b64 s[88:89], 0
	;; [unrolled: 1-line block ×4, first 2 shown]
	v_pk_mov_b32 v[44:45], v[22:23], v[22:23] op_sel:[0,1]
.LBB31_73:                              ;   Parent Loop BB31_33 Depth=1
                                        ; =>  This Inner Loop Header: Depth=2
	v_mov_b32_e32 v3, s81
	v_add_co_u32_e32 v8, vcc, s80, v38
	v_add_co_u32_e64 v10, s[12:13], s80, v40
	v_add_co_u32_e64 v12, s[14:15], s80, v42
	;; [unrolled: 1-line block ×3, first 2 shown]
	v_addc_co_u32_e64 v61, s[20:21], v37, v3, s[20:21]
	v_addc_co_u32_e32 v9, vcc, v39, v3, vcc
	v_addc_co_u32_e64 v11, vcc, v41, v3, s[12:13]
	v_addc_co_u32_e64 v13, vcc, v43, v3, s[14:15]
	global_load_dwordx2 v[60:61], v[60:61], off
	s_nop 0
	global_load_dwordx2 v[8:9], v[8:9], off
	s_nop 0
	global_load_dwordx2 v[10:11], v[10:11], off
	s_nop 0
	global_load_dwordx2 v[12:13], v[12:13], off
	v_mov_b32_e32 v14, s68
	v_add_co_u32_e64 v42, s[6:7], s69, v42
	v_add_co_u32_e64 v40, s[16:17], s69, v40
	;; [unrolled: 1-line block ×4, first 2 shown]
	v_mov_b32_e32 v15, v19
	v_addc_co_u32_e64 v43, vcc, v43, v14, s[6:7]
	v_addc_co_u32_e64 v41, vcc, v41, v14, s[16:17]
	;; [unrolled: 1-line block ×4, first 2 shown]
	v_mov_b32_e32 v47, v19
	v_mov_b32_e32 v49, v19
	v_add_co_u32_e64 v44, s[24:25], s95, v44
	v_addc_co_u32_e64 v45, s[24:25], 0, v45, s[24:25]
	v_cmp_ge_i64_e32 vcc, v[44:45], v[34:35]
	s_waitcnt vmcnt(3)
	v_xor_b32_e32 v61, 0x80000000, v61
	s_waitcnt vmcnt(2)
	v_xor_b32_e32 v9, 0x80000000, v9
	v_and_b32_e32 v62, s84, v60
	v_and_b32_e32 v63, s85, v61
	v_lshrrev_b64 v[60:61], s5, v[60:61]
	s_waitcnt vmcnt(1)
	v_xor_b32_e32 v11, 0x80000000, v11
	v_and_b32_e32 v64, s84, v8
	v_and_b32_e32 v65, s85, v9
	v_lshrrev_b64 v[8:9], s5, v[8:9]
	v_and_b32_e32 v18, 3, v60
	s_waitcnt vmcnt(0)
	v_xor_b32_e32 v13, 0x80000000, v13
	v_and_b32_e32 v66, s84, v10
	v_and_b32_e32 v67, s85, v11
	v_lshrrev_b64 v[10:11], s5, v[10:11]
	v_cmp_eq_u64_e64 s[18:19], s[2:3], v[62:63]
	v_and_b32_e32 v14, 3, v8
	v_cmp_eq_u64_e64 s[6:7], 0, v[18:19]
	v_and_b32_e32 v68, s84, v12
	v_and_b32_e32 v69, s85, v13
	v_lshrrev_b64 v[12:13], s5, v[12:13]
	v_cmp_eq_u64_e64 s[16:17], s[2:3], v[64:65]
	v_and_b32_e32 v46, 3, v10
	v_cmp_eq_u64_e64 s[30:31], 0, v[14:15]
	s_and_b64 s[6:7], s[18:19], s[6:7]
	v_cmp_eq_u64_e64 s[14:15], s[2:3], v[66:67]
	v_and_b32_e32 v48, 3, v12
	v_cmp_eq_u64_e64 s[34:35], 0, v[46:47]
	v_cndmask_b32_e64 v3, 0, 1, s[6:7]
	s_and_b64 s[6:7], s[16:17], s[30:31]
	v_cmp_eq_u64_e64 s[12:13], s[2:3], v[68:69]
	v_cmp_eq_u64_e64 s[36:37], 0, v[48:49]
	v_cndmask_b32_e64 v8, 0, 1, s[6:7]
	s_and_b64 s[6:7], s[14:15], s[34:35]
	v_cndmask_b32_e64 v9, 0, 1, s[6:7]
	s_and_b64 s[6:7], s[12:13], s[36:37]
	v_cndmask_b32_e64 v10, 0, 1, s[6:7]
	v_cmp_ne_u32_e64 s[6:7], 0, v3
	v_cmp_ne_u32_e64 s[30:31], 0, v8
	;; [unrolled: 1-line block ×4, first 2 shown]
	s_bcnt1_i32_b64 s6, s[6:7]
	s_bcnt1_i32_b64 s7, s[30:31]
	s_bcnt1_i32_b64 s30, s[34:35]
	s_bcnt1_i32_b64 s31, s[36:37]
	s_add_u32 s6, s6, s70
	s_addc_u32 s34, 0, s71
	s_add_u32 s6, s6, s7
	s_addc_u32 s7, s34, 0
	;; [unrolled: 2-line block ×3, first 2 shown]
	v_cmp_eq_u64_e64 s[38:39], 1, v[18:19]
	s_add_u32 s70, s6, s31
	v_cmp_eq_u64_e64 s[40:41], 1, v[14:15]
	s_addc_u32 s71, s7, 0
	s_and_b64 s[6:7], s[18:19], s[38:39]
	v_cmp_eq_u64_e64 s[42:43], 1, v[46:47]
	v_cndmask_b32_e64 v3, 0, 1, s[6:7]
	s_and_b64 s[6:7], s[16:17], s[40:41]
	v_cmp_eq_u64_e64 s[44:45], 1, v[48:49]
	v_cndmask_b32_e64 v10, 0, 1, s[6:7]
	s_and_b64 s[6:7], s[14:15], s[42:43]
	v_cndmask_b32_e64 v11, 0, 1, s[6:7]
	s_and_b64 s[6:7], s[12:13], s[44:45]
	v_cndmask_b32_e64 v12, 0, 1, s[6:7]
	v_cmp_ne_u32_e64 s[6:7], 0, v3
	v_cmp_ne_u32_e64 s[30:31], 0, v10
	;; [unrolled: 1-line block ×4, first 2 shown]
	s_bcnt1_i32_b64 s6, s[6:7]
	s_bcnt1_i32_b64 s7, s[30:31]
	;; [unrolled: 1-line block ×4, first 2 shown]
	s_add_u32 s6, s6, s86
	s_addc_u32 s34, 0, s87
	s_add_u32 s6, s6, s7
	s_addc_u32 s7, s34, 0
	;; [unrolled: 2-line block ×3, first 2 shown]
	v_cmp_eq_u64_e64 s[46:47], 2, v[18:19]
	s_add_u32 s86, s6, s31
	v_cmp_eq_u64_e64 s[48:49], 2, v[14:15]
	s_addc_u32 s87, s7, 0
	s_and_b64 s[6:7], s[18:19], s[46:47]
	v_cmp_eq_u64_e64 s[50:51], 2, v[46:47]
	v_cndmask_b32_e64 v3, 0, 1, s[6:7]
	s_and_b64 s[6:7], s[16:17], s[48:49]
	v_cmp_eq_u64_e64 s[52:53], 2, v[48:49]
	v_cndmask_b32_e64 v12, 0, 1, s[6:7]
	s_and_b64 s[6:7], s[14:15], s[50:51]
	v_cndmask_b32_e64 v13, 0, 1, s[6:7]
	s_and_b64 s[6:7], s[12:13], s[52:53]
	v_cmp_eq_u64_e64 s[24:25], 3, v[14:15]
	v_cndmask_b32_e64 v14, 0, 1, s[6:7]
	v_cmp_ne_u32_e64 s[6:7], 0, v3
	v_cmp_ne_u32_e64 s[30:31], 0, v12
	;; [unrolled: 1-line block ×4, first 2 shown]
	s_bcnt1_i32_b64 s6, s[6:7]
	s_bcnt1_i32_b64 s7, s[30:31]
	;; [unrolled: 1-line block ×4, first 2 shown]
	s_add_u32 s6, s6, s88
	s_addc_u32 s34, 0, s89
	s_add_u32 s6, s6, s7
	s_addc_u32 s7, s34, 0
	;; [unrolled: 2-line block ×3, first 2 shown]
	v_cmp_eq_u64_e64 s[26:27], 3, v[18:19]
	s_add_u32 s88, s6, s31
	s_addc_u32 s89, s7, 0
	s_and_b64 s[6:7], s[18:19], s[26:27]
	v_cmp_eq_u64_e64 s[22:23], 3, v[46:47]
	v_cndmask_b32_e64 v3, 0, 1, s[6:7]
	s_and_b64 s[6:7], s[16:17], s[24:25]
	v_cmp_eq_u64_e64 s[20:21], 3, v[48:49]
	v_cndmask_b32_e64 v14, 0, 1, s[6:7]
	s_and_b64 s[6:7], s[14:15], s[22:23]
	v_cndmask_b32_e64 v15, 0, 1, s[6:7]
	s_and_b64 s[6:7], s[12:13], s[20:21]
	v_cndmask_b32_e64 v18, 0, 1, s[6:7]
	v_cmp_ne_u32_e64 s[6:7], 0, v3
	v_cmp_ne_u32_e64 s[12:13], 0, v14
	;; [unrolled: 1-line block ×4, first 2 shown]
	s_bcnt1_i32_b64 s6, s[6:7]
	s_bcnt1_i32_b64 s7, s[12:13]
	;; [unrolled: 1-line block ×4, first 2 shown]
	s_add_u32 s6, s6, s82
	s_addc_u32 s14, 0, s83
	s_add_u32 s6, s6, s7
	s_addc_u32 s7, s14, 0
	;; [unrolled: 2-line block ×4, first 2 shown]
	v_pk_mov_b32 v[8:9], s[70:71], s[70:71] op_sel:[0,1]
	v_pk_mov_b32 v[10:11], s[86:87], s[86:87] op_sel:[0,1]
	;; [unrolled: 1-line block ×3, first 2 shown]
	s_or_b64 s[72:73], vcc, s[72:73]
	v_pk_mov_b32 v[14:15], s[82:83], s[82:83] op_sel:[0,1]
	s_andn2_b64 exec, exec, s[72:73]
	s_cbranch_execnz .LBB31_73
; %bb.74:                               ;   in Loop: Header=BB31_33 Depth=1
	s_or_b64 exec, exec, s[72:73]
	v_readlane_b32 s68, v70, 40
	v_readlane_b32 s82, v70, 42
	v_readlane_b32 s86, v70, 44
	v_readlane_b32 s88, v70, 46
	v_readlane_b32 s69, v70, 41
	v_readlane_b32 s83, v70, 43
	v_readlane_b32 s87, v70, 45
	s_mov_b32 s53, s93
	v_readlane_b32 s89, v70, 47
	s_mov_b32 s47, s92
	s_mov_b64 s[48:49], s[0:1]
	s_mov_b64 s[0:1], s[8:9]
	s_mov_b64 s[8:9], s[74:75]
	s_mov_b64 s[40:41], s[10:11]
	s_mov_b64 s[10:11], s[90:91]
	s_mov_b64 s[42:43], s[54:55]
	v_readlane_b32 s45, v70, 48
.LBB31_75:                              ;   in Loop: Header=BB31_33 Depth=1
	s_or_b64 exec, exec, s[28:29]
	v_add_co_u32_e32 v34, vcc, v34, v0
	v_addc_co_u32_e32 v35, vcc, 0, v35, vcc
	v_cmp_gt_i64_e32 vcc, s[56:57], v[34:35]
	v_pk_mov_b32 v[36:37], 0, 0
	s_and_saveexec_b64 s[12:13], vcc
	s_cbranch_execz .LBB31_77
; %bb.76:                               ;   in Loop: Header=BB31_33 Depth=1
	v_mul_lo_u32 v3, v35, s62
	v_mul_lo_u32 v18, v34, s63
	v_mad_u64_u32 v[36:37], s[6:7], v34, s62, 0
	v_add3_u32 v37, v37, v18, v3
	v_readlane_b32 s5, v70, 20
	v_lshlrev_b64 v[36:37], 3, v[36:37]
	v_mov_b32_e32 v3, s5
	v_readlane_b32 s5, v70, 21
	v_add_co_u32_e64 v36, s[6:7], s5, v36
	v_addc_co_u32_e64 v37, s[6:7], v3, v37, s[6:7]
	global_load_dwordx2 v[36:37], v[36:37], off
.LBB31_77:                              ;   in Loop: Header=BB31_33 Depth=1
	s_or_b64 exec, exec, s[12:13]
	s_and_saveexec_b64 s[12:13], vcc
	s_cbranch_execz .LBB31_84
; %bb.78:                               ;   in Loop: Header=BB31_33 Depth=1
	v_mov_b32_e32 v3, s77
	v_add_co_u32_e32 v18, vcc, s76, v56
	v_addc_co_u32_e32 v3, vcc, v57, v3, vcc
	v_readlane_b32 s6, v70, 34
	v_sub_co_u32_e32 v18, vcc, v18, v4
	v_readlane_b32 s7, v70, 35
	v_subb_co_u32_e32 v3, vcc, v3, v5, vcc
	v_readlane_b32 s14, v70, 36
	v_pk_mov_b32 v[4:5], s[6:7], s[6:7] op_sel:[0,1]
	v_readlane_b32 s15, v70, 37
	v_mad_u64_u32 v[4:5], s[6:7], s14, v18, v[4:5]
	v_mul_lo_u32 v3, s14, v3
	v_mul_lo_u32 v38, s15, v18
	s_mul_i32 s6, s15, s76
	s_mul_hi_u32 s7, s14, s76
	s_and_b32 s5, s47, 0xfe
	v_add3_u32 v5, v38, v5, v3
	s_add_i32 s18, s7, s6
	s_mul_i32 s19, s14, s76
	s_mov_b64 s[14:15], 0
	s_branch .LBB31_80
.LBB31_79:                              ;   in Loop: Header=BB31_80 Depth=2
	s_or_b64 exec, exec, s[16:17]
	s_waitcnt vmcnt(0)
	v_xor_b32_e32 v37, 0x80000000, v37
	v_and_b32_e32 v41, s85, v37
	v_and_b32_e32 v40, s84, v36
	v_lshrrev_b64 v[36:37], s5, v[36:37]
	s_and_b64 s[6:7], exec, vcc
	v_and_b32_e32 v18, 3, v36
	s_or_b64 s[14:15], s[6:7], s[14:15]
	v_cmp_eq_u64_e32 vcc, s[2:3], v[40:41]
	v_cmp_eq_u64_e64 s[6:7], 0, v[18:19]
	s_and_b64 s[6:7], vcc, s[6:7]
	v_cndmask_b32_e64 v3, 0, 1, s[6:7]
	v_cmp_ne_u32_e64 s[6:7], 0, v3
	s_bcnt1_i32_b64 s6, s[6:7]
	v_add_co_u32_e64 v8, s[6:7], s6, v8
	v_addc_co_u32_e64 v9, s[6:7], 0, v9, s[6:7]
	v_cmp_eq_u64_e64 s[6:7], 1, v[18:19]
	s_and_b64 s[6:7], vcc, s[6:7]
	v_cndmask_b32_e64 v3, 0, 1, s[6:7]
	v_cmp_ne_u32_e64 s[6:7], 0, v3
	s_bcnt1_i32_b64 s6, s[6:7]
	v_add_co_u32_e64 v10, s[6:7], s6, v10
	v_addc_co_u32_e64 v11, s[6:7], 0, v11, s[6:7]
	;; [unrolled: 7-line block ×3, first 2 shown]
	v_cmp_eq_u64_e64 s[6:7], 3, v[18:19]
	s_and_b64 s[6:7], vcc, s[6:7]
	v_cndmask_b32_e64 v3, 0, 1, s[6:7]
	v_cmp_ne_u32_e32 vcc, 0, v3
	s_bcnt1_i32_b64 s6, vcc
	v_add_co_u32_e32 v14, vcc, s6, v14
	v_addc_co_u32_e32 v15, vcc, 0, v15, vcc
	v_mov_b32_e32 v3, s18
	v_add_co_u32_e32 v4, vcc, s19, v4
	v_addc_co_u32_e32 v5, vcc, v5, v3, vcc
	v_pk_mov_b32 v[36:37], v[38:39], v[38:39] op_sel:[0,1]
	s_andn2_b64 exec, exec, s[14:15]
	s_cbranch_execz .LBB31_83
.LBB31_80:                              ;   Parent Loop BB31_33 Depth=1
                                        ; =>  This Inner Loop Header: Depth=2
	v_mov_b32_e32 v3, s77
	v_add_co_u32_e32 v34, vcc, s76, v34
	v_addc_co_u32_e32 v35, vcc, v35, v3, vcc
	v_cmp_gt_i64_e64 s[6:7], s[56:57], v[34:35]
	v_cmp_le_i64_e32 vcc, s[56:57], v[34:35]
	v_pk_mov_b32 v[38:39], 0, 0
	s_and_saveexec_b64 s[16:17], s[6:7]
	s_cbranch_execz .LBB31_79
; %bb.81:                               ;   in Loop: Header=BB31_80 Depth=2
	global_load_dwordx2 v[38:39], v[4:5], off
	s_branch .LBB31_79
.LBB31_82:                              ;   in Loop: Header=BB31_33 Depth=1
                                        ; implicit-def: $vgpr14_vgpr15
                                        ; implicit-def: $vgpr10_vgpr11
	s_cbranch_execnz .LBB31_85
	s_branch .LBB31_94
.LBB31_83:                              ;   in Loop: Header=BB31_33 Depth=1
	s_or_b64 exec, exec, s[14:15]
.LBB31_84:                              ;   in Loop: Header=BB31_33 Depth=1
	s_or_b64 exec, exec, s[12:13]
	s_branch .LBB31_94
.LBB31_85:                              ;   in Loop: Header=BB31_33 Depth=1
	global_load_ushort v3, v19, s[88:89]
	v_pk_mov_b32 v[8:9], 0, 0
	s_mov_b64 s[28:29], 0
	v_pk_mov_b32 v[10:11], v[8:9], v[8:9] op_sel:[0,1]
	v_pk_mov_b32 v[12:13], v[8:9], v[8:9] op_sel:[0,1]
	;; [unrolled: 1-line block ×3, first 2 shown]
	s_waitcnt vmcnt(0)
	v_readfirstlane_b32 s5, v3
	s_and_b32 s5, 0xffff, s5
	s_lshl_b32 s5, s5, 2
	v_cvt_f32_u32_e32 v4, s5
	s_sub_i32 s6, 0, s5
	v_and_b32_e32 v3, 0xffff, v3
	v_rcp_iflag_f32_e32 v4, v4
	v_mul_f32_e32 v4, 0x4f7ffffe, v4
	v_cvt_u32_f32_e32 v4, v4
	v_readfirstlane_b32 s7, v4
	s_mul_i32 s6, s6, s7
	s_mul_hi_u32 s6, s7, s6
	s_add_i32 s7, s7, s6
	s_mul_hi_u32 s6, s94, s7
	s_mul_i32 s6, s6, s5
	s_sub_i32 s6, s94, s6
	s_sub_i32 s7, s6, s5
	s_cmp_ge_u32 s6, s5
	s_cselect_b32 s6, s7, s6
	s_sub_i32 s7, s6, s5
	s_cmp_ge_u32 s6, s5
	s_cselect_b32 s6, s7, s6
	s_sub_i32 s76, s94, s6
	v_cmp_gt_u32_e32 vcc, s76, v22
	s_and_saveexec_b64 s[70:71], vcc
	s_cbranch_execz .LBB31_89
; %bb.86:                               ;   in Loop: Header=BB31_33 Depth=1
	s_mov_b64 s[54:55], s[42:43]
	s_mov_b64 s[90:91], s[10:11]
	;; [unrolled: 1-line block ×6, first 2 shown]
	s_mov_b32 s93, s53
	s_mov_b32 s92, s47
	s_and_b32 s68, s47, 0xfe
	v_lshlrev_b32_e32 v40, 5, v3
	v_mov_b32_e32 v41, v55
	s_mov_b64 s[72:73], 0
	s_mov_b64 s[82:83], 0
	;; [unrolled: 1-line block ×4, first 2 shown]
	v_pk_mov_b32 v[4:5], v[22:23], v[22:23] op_sel:[0,1]
.LBB31_87:                              ;   Parent Loop BB31_33 Depth=1
                                        ; =>  This Inner Loop Header: Depth=2
	ds_read_b128 v[12:15], v41
	ds_read_b128 v[8:11], v41 offset:16
	v_mov_b32_e32 v35, v19
	v_mov_b32_e32 v37, v19
	;; [unrolled: 1-line block ×3, first 2 shown]
	s_waitcnt lgkmcnt(1)
	v_xor_b32_e32 v13, 0x80000000, v13
	v_xor_b32_e32 v15, 0x80000000, v15
	v_and_b32_e32 v42, s84, v12
	v_and_b32_e32 v43, s85, v13
	v_lshrrev_b64 v[12:13], s68, v[12:13]
	s_waitcnt lgkmcnt(0)
	v_xor_b32_e32 v9, 0x80000000, v9
	v_and_b32_e32 v44, s84, v14
	v_and_b32_e32 v45, s85, v15
	v_lshrrev_b64 v[14:15], s68, v[14:15]
	v_and_b32_e32 v18, 3, v12
	v_xor_b32_e32 v11, 0x80000000, v11
	v_and_b32_e32 v46, s84, v8
	v_and_b32_e32 v47, s85, v9
	v_lshrrev_b64 v[8:9], s68, v[8:9]
	v_cmp_eq_u64_e64 s[18:19], s[2:3], v[42:43]
	v_and_b32_e32 v34, 3, v14
	v_cmp_eq_u64_e64 s[6:7], 0, v[18:19]
	v_and_b32_e32 v48, s84, v10
	v_and_b32_e32 v49, s85, v11
	v_lshrrev_b64 v[10:11], s68, v[10:11]
	v_cmp_eq_u64_e64 s[16:17], s[2:3], v[44:45]
	v_and_b32_e32 v36, 3, v8
	v_cmp_eq_u64_e64 s[30:31], 0, v[34:35]
	s_and_b64 s[6:7], s[18:19], s[6:7]
	v_cmp_eq_u64_e64 s[14:15], s[2:3], v[46:47]
	v_and_b32_e32 v38, 3, v10
	v_cmp_eq_u64_e64 s[34:35], 0, v[36:37]
	v_cndmask_b32_e64 v8, 0, 1, s[6:7]
	s_and_b64 s[6:7], s[16:17], s[30:31]
	v_cmp_eq_u64_e64 s[12:13], s[2:3], v[48:49]
	v_cmp_eq_u64_e64 s[36:37], 0, v[38:39]
	v_cndmask_b32_e64 v9, 0, 1, s[6:7]
	s_and_b64 s[6:7], s[14:15], s[34:35]
	v_cndmask_b32_e64 v10, 0, 1, s[6:7]
	s_and_b64 s[6:7], s[12:13], s[36:37]
	v_cndmask_b32_e64 v11, 0, 1, s[6:7]
	v_cmp_ne_u32_e64 s[6:7], 0, v8
	v_cmp_ne_u32_e64 s[30:31], 0, v9
	v_cmp_ne_u32_e64 s[34:35], 0, v10
	v_cmp_ne_u32_e64 s[36:37], 0, v11
	s_bcnt1_i32_b64 s6, s[6:7]
	s_bcnt1_i32_b64 s7, s[30:31]
	s_bcnt1_i32_b64 s30, s[34:35]
	s_bcnt1_i32_b64 s31, s[36:37]
	s_add_u32 s6, s6, s88
	s_addc_u32 s34, 0, s89
	s_add_u32 s6, s6, s7
	s_addc_u32 s7, s34, 0
	s_add_u32 s6, s6, s30
	s_addc_u32 s7, s7, 0
	v_cmp_eq_u64_e64 s[38:39], 1, v[18:19]
	s_add_u32 s88, s6, s31
	v_cmp_eq_u64_e64 s[40:41], 1, v[34:35]
	s_addc_u32 s89, s7, 0
	s_and_b64 s[6:7], s[18:19], s[38:39]
	v_cmp_eq_u64_e64 s[42:43], 1, v[36:37]
	v_cndmask_b32_e64 v10, 0, 1, s[6:7]
	s_and_b64 s[6:7], s[16:17], s[40:41]
	v_cmp_eq_u64_e64 s[44:45], 1, v[38:39]
	v_cndmask_b32_e64 v11, 0, 1, s[6:7]
	s_and_b64 s[6:7], s[14:15], s[42:43]
	v_cndmask_b32_e64 v12, 0, 1, s[6:7]
	s_and_b64 s[6:7], s[12:13], s[44:45]
	v_cndmask_b32_e64 v13, 0, 1, s[6:7]
	v_cmp_ne_u32_e64 s[6:7], 0, v10
	v_cmp_ne_u32_e64 s[30:31], 0, v11
	v_cmp_ne_u32_e64 s[34:35], 0, v12
	v_cmp_ne_u32_e64 s[36:37], 0, v13
	s_bcnt1_i32_b64 s6, s[6:7]
	s_bcnt1_i32_b64 s7, s[30:31]
	s_bcnt1_i32_b64 s30, s[34:35]
	s_bcnt1_i32_b64 s31, s[36:37]
	s_add_u32 s6, s6, s86
	s_addc_u32 s34, 0, s87
	s_add_u32 s6, s6, s7
	s_addc_u32 s7, s34, 0
	s_add_u32 s6, s6, s30
	s_addc_u32 s7, s7, 0
	v_cmp_eq_u64_e64 s[46:47], 2, v[18:19]
	s_add_u32 s86, s6, s31
	v_cmp_eq_u64_e64 s[48:49], 2, v[34:35]
	s_addc_u32 s87, s7, 0
	s_and_b64 s[6:7], s[18:19], s[46:47]
	v_cmp_eq_u64_e64 s[50:51], 2, v[36:37]
	v_cndmask_b32_e64 v12, 0, 1, s[6:7]
	s_and_b64 s[6:7], s[16:17], s[48:49]
	;; [unrolled: 28-line block ×3, first 2 shown]
	v_cmp_eq_u64_e64 s[20:21], 3, v[38:39]
	v_cndmask_b32_e64 v15, 0, 1, s[6:7]
	s_and_b64 s[6:7], s[14:15], s[22:23]
	v_cndmask_b32_e64 v18, 0, 1, s[6:7]
	s_and_b64 s[6:7], s[12:13], s[20:21]
	v_cndmask_b32_e64 v34, 0, 1, s[6:7]
	v_cmp_ne_u32_e64 s[6:7], 0, v14
	v_cmp_ne_u32_e64 s[12:13], 0, v15
	;; [unrolled: 1-line block ×4, first 2 shown]
	s_bcnt1_i32_b64 s6, s[6:7]
	s_bcnt1_i32_b64 s7, s[12:13]
	s_bcnt1_i32_b64 s12, s[14:15]
	s_bcnt1_i32_b64 s13, s[16:17]
	s_add_u32 s6, s6, s72
	s_addc_u32 s14, 0, s73
	s_add_u32 s6, s6, s7
	s_addc_u32 s7, s14, 0
	s_add_u32 s6, s6, s12
	v_add_co_u32_e32 v4, vcc, s5, v4
	s_addc_u32 s7, s7, 0
	v_addc_co_u32_e32 v5, vcc, 0, v5, vcc
	s_add_u32 s72, s6, s13
	v_cmp_le_u64_e32 vcc, s[76:77], v[4:5]
	s_addc_u32 s73, s7, 0
	v_add_u32_e32 v41, v41, v40
	v_pk_mov_b32 v[8:9], s[88:89], s[88:89] op_sel:[0,1]
	v_pk_mov_b32 v[10:11], s[86:87], s[86:87] op_sel:[0,1]
	;; [unrolled: 1-line block ×3, first 2 shown]
	s_or_b64 s[28:29], vcc, s[28:29]
	v_pk_mov_b32 v[14:15], s[72:73], s[72:73] op_sel:[0,1]
	s_andn2_b64 exec, exec, s[28:29]
	s_cbranch_execnz .LBB31_87
; %bb.88:                               ;   in Loop: Header=BB31_33 Depth=1
	s_or_b64 exec, exec, s[28:29]
	v_readlane_b32 s68, v70, 40
	v_readlane_b32 s82, v70, 42
	;; [unrolled: 1-line block ×7, first 2 shown]
	s_mov_b32 s53, s93
	v_readlane_b32 s89, v70, 47
	s_mov_b32 s47, s92
	s_mov_b64 s[48:49], s[0:1]
	s_mov_b64 s[0:1], s[8:9]
	;; [unrolled: 1-line block ×6, first 2 shown]
	v_readlane_b32 s45, v70, 48
.LBB31_89:                              ;   in Loop: Header=BB31_33 Depth=1
	s_or_b64 exec, exec, s[70:71]
	v_add_u32_e32 v18, s76, v0
	v_cmp_gt_u32_e32 vcc, s94, v18
	s_and_saveexec_b64 s[20:21], vcc
	s_cbranch_execz .LBB31_93
; %bb.90:                               ;   in Loop: Header=BB31_33 Depth=1
	s_and_b32 s76, s94, 0x7fffffff
	s_and_b32 s5, s47, 0xfe
	v_lshlrev_b32_e32 v34, 3, v18
	v_lshlrev_b32_e32 v35, 3, v3
	s_mov_b64 s[22:23], 0
	v_pk_mov_b32 v[4:5], v[18:19], v[18:19] op_sel:[0,1]
.LBB31_91:                              ;   Parent Loop BB31_33 Depth=1
                                        ; =>  This Inner Loop Header: Depth=2
	ds_read_b64 v[36:37], v34
	v_add_co_u32_e32 v4, vcc, v4, v3
	v_addc_co_u32_e32 v5, vcc, 0, v5, vcc
	s_waitcnt lgkmcnt(0)
	v_xor_b32_e32 v37, 0x80000000, v37
	v_and_b32_e32 v38, s84, v36
	v_and_b32_e32 v39, s85, v37
	v_lshrrev_b64 v[36:37], s5, v[36:37]
	v_and_b32_e32 v18, 3, v36
	v_cmp_eq_u64_e64 s[6:7], s[2:3], v[38:39]
	v_cmp_eq_u64_e64 s[12:13], 0, v[18:19]
	;; [unrolled: 1-line block ×3, first 2 shown]
	s_and_b64 s[12:13], s[6:7], s[12:13]
	v_cmp_eq_u64_e64 s[16:17], 2, v[18:19]
	v_cmp_eq_u64_e64 s[18:19], 3, v[18:19]
	v_cndmask_b32_e64 v18, 0, 1, s[12:13]
	s_and_b64 s[12:13], s[6:7], s[14:15]
	v_cndmask_b32_e64 v36, 0, 1, s[12:13]
	s_and_b64 s[12:13], s[6:7], s[16:17]
	s_and_b64 s[6:7], s[6:7], s[18:19]
	v_cndmask_b32_e64 v37, 0, 1, s[12:13]
	v_cndmask_b32_e64 v38, 0, 1, s[6:7]
	v_cmp_ne_u32_e64 s[6:7], 0, v18
	v_cmp_ne_u32_e64 s[12:13], 0, v36
	;; [unrolled: 1-line block ×4, first 2 shown]
	v_cmp_le_u64_e32 vcc, s[76:77], v[4:5]
	s_bcnt1_i32_b64 s6, s[6:7]
	s_bcnt1_i32_b64 s7, s[12:13]
	s_bcnt1_i32_b64 s12, s[14:15]
	s_bcnt1_i32_b64 s13, s[16:17]
	s_or_b64 s[22:23], vcc, s[22:23]
	v_add_co_u32_e32 v8, vcc, s6, v8
	v_addc_co_u32_e32 v9, vcc, 0, v9, vcc
	v_add_co_u32_e32 v10, vcc, s7, v10
	v_addc_co_u32_e32 v11, vcc, 0, v11, vcc
	;; [unrolled: 2-line block ×3, first 2 shown]
	v_add_co_u32_e32 v14, vcc, s13, v14
	v_add_u32_e32 v34, v34, v35
	v_addc_co_u32_e32 v15, vcc, 0, v15, vcc
	s_andn2_b64 exec, exec, s[22:23]
	s_cbranch_execnz .LBB31_91
; %bb.92:                               ;   in Loop: Header=BB31_33 Depth=1
	s_or_b64 exec, exec, s[22:23]
.LBB31_93:                              ;   in Loop: Header=BB31_33 Depth=1
	s_or_b64 exec, exec, s[20:21]
.LBB31_94:                              ;   in Loop: Header=BB31_33 Depth=1
	s_lshl_b32 s5, s61, 6
	s_and_saveexec_b64 s[6:7], s[82:83]
	s_cbranch_execz .LBB31_96
; %bb.95:                               ;   in Loop: Header=BB31_33 Depth=1
	v_or_b32_e32 v3, s5, v53
	v_lshlrev_b32_e32 v3, 3, v3
	ds_write_b128 v3, v[8:11] offset:3072
	ds_write_b128 v3, v[12:15] offset:3088
.LBB31_96:                              ;   in Loop: Header=BB31_33 Depth=1
	s_or_b64 exec, exec, s[6:7]
	s_waitcnt lgkmcnt(0)
	s_barrier
	s_and_saveexec_b64 s[6:7], s[86:87]
	s_cbranch_execz .LBB31_108
; %bb.97:                               ;   in Loop: Header=BB31_33 Depth=1
	v_readlane_b32 s12, v70, 24
	v_readlane_b32 s13, v70, 25
	s_andn2_b64 vcc, exec, s[12:13]
	s_waitcnt vmcnt(0)
	v_pk_mov_b32 v[4:5], 0, 0
	s_cbranch_vccnz .LBB31_107
; %bb.98:                               ;   in Loop: Header=BB31_33 Depth=1
	v_readlane_b32 s12, v70, 29
	v_readlane_b32 s13, v70, 30
	s_andn2_b64 vcc, exec, s[12:13]
	s_cbranch_vccnz .LBB31_103
; %bb.99:                               ;   in Loop: Header=BB31_33 Depth=1
	v_lshl_add_u32 v3, s61, 9, v58
	s_mov_b32 s12, 0
	v_pk_mov_b32 v[4:5], 0, 0
.LBB31_100:                             ;   Parent Loop BB31_33 Depth=1
                                        ; =>  This Inner Loop Header: Depth=2
	ds_read2_b64 v[8:11], v3 offset1:4
	ds_read2_b64 v[12:15], v3 offset0:8 offset1:12
	ds_read2_b64 v[34:37], v3 offset0:16 offset1:20
	;; [unrolled: 1-line block ×3, first 2 shown]
	s_add_i32 s12, s12, 8
	s_waitcnt lgkmcnt(3)
	v_add_co_u32_e32 v4, vcc, v8, v4
	v_addc_co_u32_e32 v5, vcc, v9, v5, vcc
	v_add_co_u32_e32 v4, vcc, v10, v4
	v_addc_co_u32_e32 v5, vcc, v11, v5, vcc
	s_waitcnt lgkmcnt(2)
	v_add_co_u32_e32 v4, vcc, v12, v4
	v_addc_co_u32_e32 v5, vcc, v13, v5, vcc
	v_add_co_u32_e32 v4, vcc, v14, v4
	v_addc_co_u32_e32 v5, vcc, v15, v5, vcc
	;; [unrolled: 5-line block ×3, first 2 shown]
	s_waitcnt lgkmcnt(0)
	v_add_co_u32_e32 v4, vcc, v38, v4
	v_addc_co_u32_e32 v5, vcc, v39, v5, vcc
	v_add_co_u32_e32 v4, vcc, v40, v4
	v_add_u32_e32 v3, 0x100, v3
	s_cmp_eq_u32 s45, s12
	v_addc_co_u32_e32 v5, vcc, v41, v5, vcc
	s_cbranch_scc0 .LBB31_100
; %bb.101:                              ;   in Loop: Header=BB31_33 Depth=1
	s_mov_b32 s12, s45
	s_branch .LBB31_104
.LBB31_102:                             ;   in Loop: Header=BB31_33 Depth=1
                                        ; implicit-def: $vgpr4_vgpr5
	s_branch .LBB31_70
.LBB31_103:                             ;   in Loop: Header=BB31_33 Depth=1
	s_mov_b32 s12, 0
	v_pk_mov_b32 v[4:5], 0, 0
.LBB31_104:                             ;   in Loop: Header=BB31_33 Depth=1
	v_readlane_b32 s14, v70, 32
	v_readlane_b32 s15, v70, 33
	s_andn2_b64 vcc, exec, s[14:15]
	s_cbranch_vccnz .LBB31_107
; %bb.105:                              ;   in Loop: Header=BB31_33 Depth=1
	s_lshl_b32 s13, s61, 9
	s_lshl_b32 s12, s12, 5
	s_add_i32 s13, s13, s12
	v_add_u32_e32 v3, s13, v58
	v_readlane_b32 s12, v70, 31
.LBB31_106:                             ;   Parent Loop BB31_33 Depth=1
                                        ; =>  This Inner Loop Header: Depth=2
	ds_read_b64 v[8:9], v3
	s_add_i32 s12, s12, -1
	v_add_u32_e32 v3, 32, v3
	s_cmp_lg_u32 s12, 0
	s_waitcnt lgkmcnt(0)
	v_add_co_u32_e32 v4, vcc, v8, v4
	v_addc_co_u32_e32 v5, vcc, v9, v5, vcc
	s_cbranch_scc1 .LBB31_106
.LBB31_107:                             ;   in Loop: Header=BB31_33 Depth=1
	v_add_lshl_u32 v3, s5, v50, 3
	ds_write_b64 v3, v[4:5] offset:3072
.LBB31_108:                             ;   in Loop: Header=BB31_33 Depth=1
	s_or_b64 exec, exec, s[6:7]
	s_lshl_b32 s5, s5, 3
	v_mov_b32_e32 v3, s5
	s_waitcnt lgkmcnt(0)
	s_barrier
	ds_read_b128 v[8:11], v3 offset:3072
	ds_read_b128 v[12:15], v3 offset:3088
	s_and_b32 s46, s47, 0xfe
	s_lshl_b64 s[12:13], 3, s46
	s_not_b64 s[20:21], s[12:13]
	s_waitcnt lgkmcnt(1)
	v_readfirstlane_b32 s17, v9
	v_readfirstlane_b32 s16, v8
	s_cmp_eq_u64 s[16:17], 1
	s_cselect_b64 s[14:15], -1, 0
	s_cmp_eq_u64 s[58:59], 1
	s_cselect_b64 s[22:23], -1, 0
	s_and_b64 s[24:25], s[14:15], s[22:23]
	v_readfirstlane_b32 s34, v10
	v_readfirstlane_b32 s35, v11
	s_waitcnt lgkmcnt(0)
	v_readfirstlane_b32 s18, v12
	v_readfirstlane_b32 s19, v13
	;; [unrolled: 1-line block ×4, first 2 shown]
	s_mov_b64 s[22:23], -1
	s_and_b64 vcc, exec, s[24:25]
	s_cbranch_vccz .LBB31_123
; %bb.109:                              ;   in Loop: Header=BB31_33 Depth=1
	s_waitcnt vmcnt(0)
	ds_read_b64 v[4:5], v19 offset:5120
	s_waitcnt lgkmcnt(0)
	s_barrier
	v_readfirstlane_b32 s14, v4
	v_readfirstlane_b32 s15, v5
	s_mov_b64 s[26:27], exec
	v_readlane_b32 s28, v70, 14
	v_readlane_b32 s29, v70, 15
	s_and_b64 s[28:29], s[26:27], s[28:29]
	s_mov_b64 exec, s[28:29]
	s_cbranch_execz .LBB31_111
; %bb.110:                              ;   in Loop: Header=BB31_33 Depth=1
	v_mov_b32_e32 v18, v19
	ds_write_b64 v52, v[18:19]
.LBB31_111:                             ;   in Loop: Header=BB31_33 Depth=1
	s_or_b64 exec, exec, s[26:27]
	v_cmp_lt_i64_e64 s[26:27], s[14:15], 1
	s_and_b64 s[2:3], s[2:3], s[20:21]
	s_or_b64 s[84:85], s[84:85], s[12:13]
	s_and_b64 vcc, exec, s[26:27]
	s_waitcnt lgkmcnt(0)
	s_barrier
	s_cbranch_vccz .LBB31_124
; %bb.112:                              ;   in Loop: Header=BB31_33 Depth=1
	s_mov_b32 s52, s77
	s_cmp_lg_u64 s[52:53], 0
	s_cbranch_scc0 .LBB31_169
; %bb.113:                              ;   in Loop: Header=BB31_33 Depth=1
	v_cvt_f32_u32_e32 v3, s33
	s_sub_u32 s5, 0, s33
	s_subb_u32 s26, 0, 0
	v_mac_f32_e32 v3, 0x4f800000, v59
	v_rcp_f32_e32 v3, v3
	v_mul_f32_e32 v3, 0x5f7ffffc, v3
	v_mul_f32_e32 v4, 0x2f800000, v3
	v_trunc_f32_e32 v4, v4
	v_mac_f32_e32 v3, 0xcf800000, v4
	v_cvt_u32_f32_e32 v4, v4
	v_cvt_u32_f32_e32 v3, v3
	v_readfirstlane_b32 s27, v4
	v_readfirstlane_b32 s28, v3
	s_mul_i32 s29, s5, s27
	s_mul_hi_u32 s31, s5, s28
	s_mul_i32 s30, s26, s28
	s_add_i32 s29, s31, s29
	s_mul_i32 s36, s5, s28
	s_add_i32 s29, s29, s30
	s_mul_hi_u32 s31, s28, s36
	s_mul_hi_u32 s30, s28, s29
	s_mul_i32 s28, s28, s29
	s_add_u32 s28, s31, s28
	s_addc_u32 s30, 0, s30
	s_mul_hi_u32 s37, s27, s36
	s_mul_i32 s36, s27, s36
	s_add_u32 s28, s28, s36
	s_mul_hi_u32 s31, s27, s29
	s_addc_u32 s28, s30, s37
	s_addc_u32 s30, s31, 0
	s_mul_i32 s29, s27, s29
	s_add_u32 s28, s28, s29
	s_addc_u32 s29, 0, s30
	v_add_co_u32_e32 v3, vcc, s28, v3
	s_cmp_lg_u64 vcc, 0
	s_addc_u32 s27, s27, s29
	v_readfirstlane_b32 s29, v3
	s_mul_i32 s28, s5, s27
	s_mul_hi_u32 s30, s5, s29
	s_add_i32 s28, s30, s28
	s_mul_i32 s26, s26, s29
	s_add_i32 s28, s28, s26
	s_mul_i32 s5, s5, s29
	s_mul_hi_u32 s30, s27, s5
	s_mul_i32 s31, s27, s5
	s_mul_i32 s37, s29, s28
	s_mul_hi_u32 s5, s29, s5
	s_mul_hi_u32 s36, s29, s28
	s_add_u32 s5, s5, s37
	s_addc_u32 s29, 0, s36
	s_add_u32 s5, s5, s31
	s_mul_hi_u32 s26, s27, s28
	s_addc_u32 s5, s29, s30
	s_addc_u32 s26, s26, 0
	s_mul_i32 s28, s27, s28
	s_add_u32 s5, s5, s28
	s_addc_u32 s26, 0, s26
	v_add_co_u32_e32 v3, vcc, s5, v3
	s_cmp_lg_u64 vcc, 0
	s_addc_u32 s5, s27, s26
	s_ashr_i32 s26, s53, 31
	v_readlane_b32 s28, v70, 27
	s_add_u32 s28, s28, s26
	s_mov_b32 s27, s26
	s_addc_u32 s29, s53, s26
	s_xor_b64 s[28:29], s[28:29], s[26:27]
	v_readfirstlane_b32 s31, v3
	s_mul_i32 s30, s28, s5
	s_mul_hi_u32 s36, s28, s31
	s_mul_hi_u32 s27, s28, s5
	s_add_u32 s30, s36, s30
	s_addc_u32 s27, 0, s27
	s_mul_hi_u32 s37, s29, s31
	s_mul_i32 s31, s29, s31
	s_add_u32 s30, s30, s31
	s_mul_hi_u32 s36, s29, s5
	s_addc_u32 s27, s27, s37
	s_addc_u32 s30, s36, 0
	s_mul_i32 s5, s29, s5
	s_add_u32 s5, s27, s5
	s_addc_u32 s27, 0, s30
	s_mul_hi_u32 s30, s33, s5
	s_mul_i32 s5, s33, s5
	s_mul_i32 s27, s33, s27
	v_mov_b32_e32 v3, s5
	s_add_i32 s30, s30, s27
	v_sub_co_u32_e32 v3, vcc, s28, v3
	s_cmp_lg_u64 vcc, 0
	s_subb_u32 s5, s29, s30
	v_subrev_co_u32_e32 v4, vcc, s33, v3
	s_cmp_lg_u64 vcc, 0
	s_subb_u32 s27, s5, 0
	v_subrev_co_u32_e32 v5, vcc, s33, v4
	s_cmp_lg_u64 vcc, 0
	s_subb_u32 s28, s27, 0
	v_cmp_le_u32_e32 vcc, s33, v4
	s_cmp_eq_u32 s27, 0
	v_cndmask_b32_e64 v6, 0, -1, vcc
	s_cselect_b64 vcc, -1, 0
	v_cndmask_b32_e32 v6, -1, v6, vcc
	v_mov_b32_e32 v7, s27
	v_mov_b32_e32 v8, s28
	v_cmp_ne_u32_e32 vcc, 0, v6
	v_cndmask_b32_e32 v6, v7, v8, vcc
	v_cndmask_b32_e32 v4, v4, v5, vcc
	v_cmp_le_u32_e32 vcc, s33, v3
	s_cmp_eq_u32 s5, 0
	v_cndmask_b32_e64 v5, 0, -1, vcc
	s_cselect_b64 vcc, -1, 0
	v_cndmask_b32_e32 v5, -1, v5, vcc
	v_cmp_ne_u32_e32 vcc, 0, v5
	v_mov_b32_e32 v7, s5
	v_cndmask_b32_e32 v3, v3, v4, vcc
	v_cndmask_b32_e32 v5, v7, v6, vcc
	v_xor_b32_e32 v3, s26, v3
	v_xor_b32_e32 v5, s26, v5
	v_mov_b32_e32 v6, s26
	v_subrev_co_u32_e32 v4, vcc, s26, v3
	v_subb_co_u32_e32 v5, vcc, v5, v6, vcc
	s_cbranch_execnz .LBB31_115
.LBB31_114:                             ;   in Loop: Header=BB31_33 Depth=1
	v_cvt_f32_u32_e32 v3, s33
	s_sub_i32 s5, 0, s33
	v_rcp_iflag_f32_e32 v3, v3
	v_mul_f32_e32 v3, 0x4f7ffffe, v3
	v_cvt_u32_f32_e32 v3, v3
	v_mul_lo_u32 v4, s5, v3
	v_mul_hi_u32 v4, v3, v4
	v_add_u32_e32 v3, v3, v4
	v_readlane_b32 s5, v70, 27
	v_mul_hi_u32 v3, s5, v3
	v_mul_lo_u32 v3, v3, s33
	v_sub_u32_e32 v3, s5, v3
	v_subrev_u32_e32 v4, s33, v3
	v_cmp_le_u32_e32 vcc, s33, v3
	v_cndmask_b32_e32 v3, v3, v4, vcc
	v_subrev_u32_e32 v4, s33, v3
	v_cmp_le_u32_e32 vcc, s33, v3
	v_cndmask_b32_e32 v18, v3, v4, vcc
	v_pk_mov_b32 v[4:5], v[18:19], v[18:19] op_sel:[0,1]
.LBB31_115:                             ;   in Loop: Header=BB31_33 Depth=1
	v_readlane_b32 s5, v70, 27
	v_mov_b32_e32 v3, s53
	v_sub_co_u32_e32 v8, vcc, s5, v4
	v_subb_co_u32_e32 v9, vcc, v3, v5, vcc
	v_cmp_gt_i64_e32 vcc, v[8:9], v[0:1]
	s_mov_b64 s[26:27], 0
                                        ; implicit-def: $vgpr6_vgpr7
	s_and_saveexec_b64 s[28:29], vcc
	s_cbranch_execz .LBB31_126
; %bb.116:                              ;   in Loop: Header=BB31_33 Depth=1
	s_mov_b64 s[30:31], 0
	v_pk_mov_b32 v[10:11], v[16:17], v[16:17] op_sel:[0,1]
	v_pk_mov_b32 v[12:13], v[0:1], v[0:1] op_sel:[0,1]
                                        ; implicit-def: $sgpr26_sgpr27
	s_branch .LBB31_118
.LBB31_117:                             ;   in Loop: Header=BB31_118 Depth=2
	s_or_b64 exec, exec, s[36:37]
	s_waitcnt lgkmcnt(0)
	s_barrier
	s_waitcnt vmcnt(0)
	ds_read_b128 v[4:7], v19 offset:3072
	v_mov_b32_e32 v3, s60
	v_add_co_u32_e32 v12, vcc, s33, v12
	v_addc_co_u32_e32 v13, vcc, v13, v3, vcc
	s_waitcnt lgkmcnt(0)
	v_readfirstlane_b32 s37, v5
	v_readfirstlane_b32 s36, v4
	s_cmp_lg_u64 s[36:37], 0
	s_cselect_b64 s[36:37], -1, 0
	v_cmp_ge_i64_e32 vcc, v[12:13], v[8:9]
	s_or_b64 s[38:39], s[36:37], vcc
	s_and_b64 s[38:39], exec, s[38:39]
	s_or_b64 s[30:31], s[38:39], s[30:31]
	v_mov_b32_e32 v3, s79
	v_add_co_u32_e32 v10, vcc, s78, v10
	s_andn2_b64 s[26:27], s[26:27], exec
	s_and_b64 s[36:37], s[36:37], exec
	v_addc_co_u32_e32 v11, vcc, v11, v3, vcc
	s_or_b64 s[26:27], s[26:27], s[36:37]
	s_barrier
	s_andn2_b64 exec, exec, s[30:31]
	s_cbranch_execz .LBB31_125
.LBB31_118:                             ;   Parent Loop BB31_33 Depth=1
                                        ; =>  This Inner Loop Header: Depth=2
	v_cmp_gt_i64_e32 vcc, s[56:57], v[12:13]
	v_pk_mov_b32 v[4:5], 0, 0
	s_and_saveexec_b64 s[36:37], vcc
	s_cbranch_execz .LBB31_120
; %bb.119:                              ;   in Loop: Header=BB31_118 Depth=2
	global_load_dwordx2 v[4:5], v[10:11], off
.LBB31_120:                             ;   in Loop: Header=BB31_118 Depth=2
	s_or_b64 exec, exec, s[36:37]
	s_and_saveexec_b64 s[36:37], vcc
	s_cbranch_execz .LBB31_117
; %bb.121:                              ;   in Loop: Header=BB31_118 Depth=2
	s_waitcnt vmcnt(0)
	v_xor_b32_e32 v3, 0x80000000, v5
	v_and_b32_e32 v7, s85, v3
	v_and_b32_e32 v6, s84, v4
	v_cmp_eq_u64_e32 vcc, s[2:3], v[6:7]
	s_and_b64 exec, exec, vcc
	s_cbranch_execz .LBB31_117
; %bb.122:                              ;   in Loop: Header=BB31_118 Depth=2
	v_mov_b32_e32 v3, v19
	ds_write_b128 v19, v[2:5] offset:3072
	s_branch .LBB31_117
.LBB31_123:                             ;   in Loop: Header=BB31_33 Depth=1
	s_mov_b64 s[26:27], -1
                                        ; implicit-def: $sgpr28_sgpr29
                                        ; implicit-def: $sgpr36_sgpr37
                                        ; implicit-def: $sgpr30_sgpr31
	s_branch .LBB31_140
.LBB31_124:                             ;   in Loop: Header=BB31_33 Depth=1
	s_mov_b64 s[28:29], -1
	s_mov_b64 s[26:27], 0
                                        ; implicit-def: $sgpr30_sgpr31
                                        ; implicit-def: $vgpr6_vgpr7
	s_mov_b64 s[36:37], s[28:29]
	s_cbranch_execnz .LBB31_127
	s_branch .LBB31_140
.LBB31_125:                             ;   in Loop: Header=BB31_33 Depth=1
	s_or_b64 exec, exec, s[30:31]
	s_and_b64 s[26:27], s[26:27], exec
.LBB31_126:                             ;   in Loop: Header=BB31_33 Depth=1
	s_or_b64 exec, exec, s[28:29]
	s_mov_b64 s[30:31], -1
	s_mov_b64 s[28:29], 0
	s_mov_b64 s[36:37], s[28:29]
	s_branch .LBB31_140
.LBB31_127:                             ;   in Loop: Header=BB31_33 Depth=1
	v_readlane_b32 s5, v70, 26
	s_add_u32 s5, s5, s14
	v_readlane_b32 s26, v70, 28
	s_addc_u32 s27, s26, s15
	s_mov_b32 s26, s77
	s_cmp_lg_u64 s[26:27], 0
	s_cbranch_scc0 .LBB31_170
; %bb.128:                              ;   in Loop: Header=BB31_33 Depth=1
	v_cvt_f32_u32_e32 v3, s33
	s_sub_u32 s26, 0, s33
	s_subb_u32 s28, 0, 0
	v_mac_f32_e32 v3, 0x4f800000, v59
	v_rcp_f32_e32 v3, v3
	v_mul_f32_e32 v3, 0x5f7ffffc, v3
	v_mul_f32_e32 v4, 0x2f800000, v3
	v_trunc_f32_e32 v4, v4
	v_mac_f32_e32 v3, 0xcf800000, v4
	v_cvt_u32_f32_e32 v4, v4
	v_cvt_u32_f32_e32 v3, v3
	v_readfirstlane_b32 s29, v4
	v_readfirstlane_b32 s30, v3
	s_mul_i32 s31, s26, s29
	s_mul_hi_u32 s37, s26, s30
	s_mul_i32 s36, s28, s30
	s_add_i32 s31, s37, s31
	s_mul_i32 s38, s26, s30
	s_add_i32 s31, s31, s36
	s_mul_hi_u32 s37, s30, s38
	s_mul_hi_u32 s36, s30, s31
	s_mul_i32 s30, s30, s31
	s_add_u32 s30, s37, s30
	s_addc_u32 s36, 0, s36
	s_mul_hi_u32 s39, s29, s38
	s_mul_i32 s38, s29, s38
	s_add_u32 s30, s30, s38
	s_mul_hi_u32 s37, s29, s31
	s_addc_u32 s30, s36, s39
	s_addc_u32 s36, s37, 0
	s_mul_i32 s31, s29, s31
	s_add_u32 s30, s30, s31
	s_addc_u32 s31, 0, s36
	v_add_co_u32_e32 v3, vcc, s30, v3
	s_cmp_lg_u64 vcc, 0
	s_addc_u32 s29, s29, s31
	v_readfirstlane_b32 s31, v3
	s_mul_i32 s30, s26, s29
	s_mul_hi_u32 s36, s26, s31
	s_add_i32 s30, s36, s30
	s_mul_i32 s28, s28, s31
	s_add_i32 s30, s30, s28
	s_mul_i32 s26, s26, s31
	s_mul_hi_u32 s36, s29, s26
	s_mul_i32 s37, s29, s26
	s_mul_i32 s39, s31, s30
	s_mul_hi_u32 s26, s31, s26
	s_mul_hi_u32 s38, s31, s30
	s_add_u32 s26, s26, s39
	s_addc_u32 s31, 0, s38
	s_add_u32 s26, s26, s37
	s_mul_hi_u32 s28, s29, s30
	s_addc_u32 s26, s31, s36
	s_addc_u32 s28, s28, 0
	s_mul_i32 s30, s29, s30
	s_add_u32 s26, s26, s30
	s_addc_u32 s28, 0, s28
	v_add_co_u32_e32 v3, vcc, s26, v3
	s_cmp_lg_u64 vcc, 0
	s_addc_u32 s26, s29, s28
	s_ashr_i32 s28, s27, 31
	s_add_u32 s30, s5, s28
	s_mov_b32 s29, s28
	s_addc_u32 s31, s27, s28
	s_xor_b64 s[30:31], s[30:31], s[28:29]
	v_readfirstlane_b32 s37, v3
	s_mul_i32 s36, s30, s26
	s_mul_hi_u32 s38, s30, s37
	s_mul_hi_u32 s29, s30, s26
	s_add_u32 s36, s38, s36
	s_addc_u32 s29, 0, s29
	s_mul_hi_u32 s39, s31, s37
	s_mul_i32 s37, s31, s37
	s_add_u32 s36, s36, s37
	s_mul_hi_u32 s38, s31, s26
	s_addc_u32 s29, s29, s39
	s_addc_u32 s36, s38, 0
	s_mul_i32 s26, s31, s26
	s_add_u32 s26, s29, s26
	s_addc_u32 s29, 0, s36
	s_mul_hi_u32 s36, s33, s26
	s_mul_i32 s26, s33, s26
	s_mul_i32 s29, s33, s29
	v_mov_b32_e32 v3, s26
	s_add_i32 s36, s36, s29
	v_sub_co_u32_e32 v3, vcc, s30, v3
	s_cmp_lg_u64 vcc, 0
	s_subb_u32 s26, s31, s36
	v_subrev_co_u32_e32 v4, vcc, s33, v3
	s_cmp_lg_u64 vcc, 0
	s_subb_u32 s29, s26, 0
	v_subrev_co_u32_e32 v5, vcc, s33, v4
	s_cmp_lg_u64 vcc, 0
	s_subb_u32 s30, s29, 0
	v_cmp_le_u32_e32 vcc, s33, v4
	s_cmp_eq_u32 s29, 0
	v_cndmask_b32_e64 v6, 0, -1, vcc
	s_cselect_b64 vcc, -1, 0
	v_cndmask_b32_e32 v6, -1, v6, vcc
	v_mov_b32_e32 v7, s29
	v_mov_b32_e32 v8, s30
	v_cmp_ne_u32_e32 vcc, 0, v6
	v_cndmask_b32_e32 v6, v7, v8, vcc
	v_cndmask_b32_e32 v4, v4, v5, vcc
	v_cmp_le_u32_e32 vcc, s33, v3
	s_cmp_eq_u32 s26, 0
	v_cndmask_b32_e64 v5, 0, -1, vcc
	s_cselect_b64 vcc, -1, 0
	v_cndmask_b32_e32 v5, -1, v5, vcc
	v_cmp_ne_u32_e32 vcc, 0, v5
	v_mov_b32_e32 v7, s26
	v_cndmask_b32_e32 v3, v3, v4, vcc
	v_cndmask_b32_e32 v5, v7, v6, vcc
	v_xor_b32_e32 v3, s28, v3
	v_xor_b32_e32 v5, s28, v5
	v_mov_b32_e32 v6, s28
	v_subrev_co_u32_e32 v4, vcc, s28, v3
	v_subb_co_u32_e32 v5, vcc, v5, v6, vcc
	s_cbranch_execnz .LBB31_130
.LBB31_129:                             ;   in Loop: Header=BB31_33 Depth=1
	v_cvt_f32_u32_e32 v3, s33
	s_sub_i32 s26, 0, s33
	v_rcp_iflag_f32_e32 v3, v3
	v_mul_f32_e32 v3, 0x4f7ffffe, v3
	v_cvt_u32_f32_e32 v3, v3
	v_mul_lo_u32 v4, s26, v3
	v_mul_hi_u32 v4, v3, v4
	v_add_u32_e32 v3, v3, v4
	v_mul_hi_u32 v3, s5, v3
	v_mul_lo_u32 v3, v3, s33
	v_sub_u32_e32 v3, s5, v3
	v_subrev_u32_e32 v4, s33, v3
	v_cmp_le_u32_e32 vcc, s33, v3
	v_cndmask_b32_e32 v3, v3, v4, vcc
	v_subrev_u32_e32 v4, s33, v3
	v_cmp_le_u32_e32 vcc, s33, v3
	v_cndmask_b32_e32 v18, v3, v4, vcc
	v_pk_mov_b32 v[4:5], v[18:19], v[18:19] op_sel:[0,1]
.LBB31_130:                             ;   in Loop: Header=BB31_33 Depth=1
	v_mov_b32_e32 v3, s27
	v_sub_co_u32_e32 v8, vcc, s5, v4
	v_subb_co_u32_e32 v9, vcc, v3, v5, vcc
	v_cmp_gt_i64_e32 vcc, v[8:9], v[0:1]
	s_mov_b64 s[26:27], 0
                                        ; implicit-def: $vgpr6_vgpr7
	s_and_saveexec_b64 s[28:29], vcc
	s_cbranch_execz .LBB31_139
; %bb.131:                              ;   in Loop: Header=BB31_33 Depth=1
	s_mov_b64 s[30:31], 0
	v_mov_b32_e32 v12, v51
	v_pk_mov_b32 v[10:11], v[0:1], v[0:1] op_sel:[0,1]
                                        ; implicit-def: $sgpr26_sgpr27
	s_branch .LBB31_133
.LBB31_132:                             ;   in Loop: Header=BB31_133 Depth=2
	s_or_b64 exec, exec, s[36:37]
	s_waitcnt lgkmcnt(0)
	s_barrier
	ds_read_b128 v[4:7], v19 offset:3072
	v_mov_b32_e32 v3, s60
	v_add_co_u32_e32 v10, vcc, s33, v10
	v_addc_co_u32_e32 v11, vcc, v11, v3, vcc
	s_waitcnt lgkmcnt(0)
	v_readfirstlane_b32 s37, v5
	v_readfirstlane_b32 s36, v4
	s_cmp_lg_u64 s[36:37], 0
	s_cselect_b64 s[36:37], -1, 0
	v_cmp_ge_i64_e32 vcc, v[10:11], v[8:9]
	s_or_b64 s[38:39], s[36:37], vcc
	s_and_b64 s[38:39], exec, s[38:39]
	s_or_b64 s[30:31], s[38:39], s[30:31]
	s_andn2_b64 s[26:27], s[26:27], exec
	s_and_b64 s[36:37], s[36:37], exec
	v_add_u32_e32 v12, s4, v12
	s_or_b64 s[26:27], s[26:27], s[36:37]
	s_barrier
	s_andn2_b64 exec, exec, s[30:31]
	s_cbranch_execz .LBB31_138
.LBB31_133:                             ;   Parent Loop BB31_33 Depth=1
                                        ; =>  This Inner Loop Header: Depth=2
	v_cmp_gt_i64_e32 vcc, s[14:15], v[10:11]
	v_pk_mov_b32 v[4:5], 0, 0
	s_and_saveexec_b64 s[36:37], vcc
	s_cbranch_execz .LBB31_135
; %bb.134:                              ;   in Loop: Header=BB31_133 Depth=2
	ds_read_b64 v[4:5], v12
.LBB31_135:                             ;   in Loop: Header=BB31_133 Depth=2
	s_or_b64 exec, exec, s[36:37]
	s_and_saveexec_b64 s[36:37], vcc
	s_cbranch_execz .LBB31_132
; %bb.136:                              ;   in Loop: Header=BB31_133 Depth=2
	s_waitcnt lgkmcnt(0)
	v_xor_b32_e32 v3, 0x80000000, v5
	v_and_b32_e32 v7, s85, v3
	v_and_b32_e32 v6, s84, v4
	v_cmp_eq_u64_e32 vcc, s[2:3], v[6:7]
	s_and_b64 exec, exec, vcc
	s_cbranch_execz .LBB31_132
; %bb.137:                              ;   in Loop: Header=BB31_133 Depth=2
	v_mov_b32_e32 v3, v19
	ds_write_b128 v19, v[2:5] offset:3072
	s_branch .LBB31_132
.LBB31_138:                             ;   in Loop: Header=BB31_33 Depth=1
	s_or_b64 exec, exec, s[30:31]
	s_and_b64 s[26:27], s[26:27], exec
.LBB31_139:                             ;   in Loop: Header=BB31_33 Depth=1
	s_or_b64 exec, exec, s[28:29]
	s_mov_b64 s[36:37], -1
	s_mov_b64 s[28:29], 0
	s_mov_b64 s[30:31], 0
.LBB31_140:                             ;   in Loop: Header=BB31_33 Depth=1
	s_andn2_b64 s[8:9], s[8:9], exec
	s_and_b64 s[14:15], s[28:29], exec
	s_or_b64 s[8:9], s[8:9], s[14:15]
	s_andn2_b64 s[0:1], s[0:1], exec
	s_and_b64 s[14:15], s[36:37], exec
	s_or_b64 s[0:1], s[0:1], s[14:15]
	;; [unrolled: 3-line block ×3, first 2 shown]
	s_and_saveexec_b64 s[14:15], s[26:27]
	s_cbranch_execz .LBB31_32
; %bb.141:                              ;   in Loop: Header=BB31_33 Depth=1
	s_xor_b64 s[22:23], s[24:25], -1
	s_andn2_b64 vcc, exec, s[22:23]
	s_mov_b32 s52, 1
	s_cbranch_vccnz .LBB31_152
; %bb.142:                              ;   in Loop: Header=BB31_33 Depth=1
	s_waitcnt vmcnt(0)
	v_pk_mov_b32 v[4:5], s[16:17], s[16:17] op_sel:[0,1]
	v_cmp_gt_i64_e32 vcc, s[58:59], v[4:5]
	s_mov_b64 s[22:23], -1
                                        ; implicit-def: $sgpr52
                                        ; implicit-def: $sgpr24_sgpr25
                                        ; implicit-def: $sgpr26_sgpr27
	s_cbranch_vccnz .LBB31_148
; %bb.143:                              ;   in Loop: Header=BB31_33 Depth=1
	ds_read_b64 v[4:5], v19 offset:5120
	s_waitcnt lgkmcnt(0)
	v_cmp_ne_u64_e32 vcc, 0, v[4:5]
	s_cbranch_vccnz .LBB31_147
; %bb.144:                              ;   in Loop: Header=BB31_33 Depth=1
	s_mov_b64 s[22:23], exec
	v_readlane_b32 s24, v70, 12
	v_readlane_b32 s25, v70, 13
	s_and_b64 s[24:25], s[22:23], s[24:25]
	s_mov_b64 exec, s[24:25]
	s_cbranch_execz .LBB31_146
; %bb.145:                              ;   in Loop: Header=BB31_33 Depth=1
	v_pk_mov_b32 v[4:5], s[16:17], s[16:17] op_sel:[0,1]
	ds_write_b64 v19, v[4:5] offset:5128
.LBB31_146:                             ;   in Loop: Header=BB31_33 Depth=1
	s_or_b64 exec, exec, s[22:23]
	s_waitcnt lgkmcnt(0)
	s_barrier
.LBB31_147:                             ;   in Loop: Header=BB31_33 Depth=1
	s_and_b64 s[24:25], s[2:3], s[20:21]
	s_or_b64 s[26:27], s[84:85], s[12:13]
	s_mov_b64 s[22:23], 0
	s_mov_b32 s52, 8
.LBB31_148:                             ;   in Loop: Header=BB31_33 Depth=1
	s_andn2_b64 vcc, exec, s[22:23]
	s_cbranch_vccnz .LBB31_150
; %bb.149:                              ;   in Loop: Header=BB31_33 Depth=1
	s_sub_u32 s58, s58, s16
	s_subb_u32 s59, s59, s17
	s_mov_b64 s[22:23], -1
	s_mov_b32 s52, 0
	s_mov_b64 s[24:25], s[2:3]
	s_mov_b64 s[26:27], s[84:85]
.LBB31_150:                             ;   in Loop: Header=BB31_33 Depth=1
	s_mov_b64 s[84:85], s[26:27]
	s_mov_b64 s[2:3], s[24:25]
	s_mov_b64 s[16:17], -1
	s_and_b64 vcc, exec, s[22:23]
	s_cbranch_vccnz .LBB31_153
.LBB31_151:                             ;   in Loop: Header=BB31_33 Depth=1
	s_mov_b64 s[38:39], -1
                                        ; implicit-def: $sgpr22_sgpr23
                                        ; implicit-def: $sgpr26_sgpr27
                                        ; implicit-def: $sgpr24_sgpr25
	s_and_saveexec_b64 s[6:7], s[38:39]
	s_xor_b64 s[6:7], exec, s[6:7]
	s_cbranch_execz .LBB31_31
	s_branch .LBB31_299
.LBB31_152:                             ;   in Loop: Header=BB31_33 Depth=1
	s_mov_b64 s[58:59], 1
	s_mov_b64 s[16:17], -1
	s_branch .LBB31_151
.LBB31_153:                             ;   in Loop: Header=BB31_33 Depth=1
	s_cmp_eq_u64 s[34:35], 1
	s_cselect_b64 s[22:23], -1, 0
	s_cmp_eq_u64 s[58:59], 1
	s_cselect_b64 s[24:25], -1, 0
	s_and_b64 s[36:37], s[22:23], s[24:25]
	s_mov_b64 s[28:29], -1
	s_and_b64 vcc, exec, s[36:37]
	s_cbranch_vccz .LBB31_168
; %bb.154:                              ;   in Loop: Header=BB31_33 Depth=1
	s_waitcnt vmcnt(0)
	ds_read_b64 v[4:5], v19 offset:5120
	s_waitcnt lgkmcnt(0)
	s_barrier
	v_readfirstlane_b32 s30, v4
	v_readfirstlane_b32 s31, v5
	s_mov_b64 s[22:23], exec
	v_readlane_b32 s24, v70, 14
	v_readlane_b32 s25, v70, 15
	s_and_b64 s[24:25], s[22:23], s[24:25]
	s_mov_b64 exec, s[24:25]
	s_cbranch_execz .LBB31_156
; %bb.155:                              ;   in Loop: Header=BB31_33 Depth=1
	v_mov_b32_e32 v18, v19
	ds_write_b64 v52, v[18:19]
.LBB31_156:                             ;   in Loop: Header=BB31_33 Depth=1
	s_or_b64 exec, exec, s[22:23]
	s_lshl_b64 s[22:23], 1, s46
	s_and_b64 s[2:3], s[2:3], s[20:21]
	s_or_b64 s[2:3], s[2:3], s[22:23]
	v_cmp_gt_i64_e64 s[22:23], s[30:31], 0
	s_or_b64 s[84:85], s[84:85], s[12:13]
	s_and_b64 vcc, exec, s[22:23]
	s_waitcnt lgkmcnt(0)
	s_barrier
	s_cbranch_vccnz .LBB31_171
; %bb.157:                              ;   in Loop: Header=BB31_33 Depth=1
	s_mov_b32 s52, s77
	s_cmp_lg_u64 s[52:53], 0
	s_cbranch_scc0 .LBB31_216
; %bb.158:                              ;   in Loop: Header=BB31_33 Depth=1
	v_cvt_f32_u32_e32 v3, s33
	s_sub_u32 s5, 0, s33
	s_subb_u32 s22, 0, 0
	v_mac_f32_e32 v3, 0x4f800000, v59
	v_rcp_f32_e32 v3, v3
	v_mul_f32_e32 v3, 0x5f7ffffc, v3
	v_mul_f32_e32 v4, 0x2f800000, v3
	v_trunc_f32_e32 v4, v4
	v_mac_f32_e32 v3, 0xcf800000, v4
	v_cvt_u32_f32_e32 v4, v4
	v_cvt_u32_f32_e32 v3, v3
	v_readfirstlane_b32 s23, v4
	v_readfirstlane_b32 s24, v3
	s_mul_i32 s25, s5, s23
	s_mul_hi_u32 s27, s5, s24
	s_mul_i32 s26, s22, s24
	s_add_i32 s25, s27, s25
	s_mul_i32 s28, s5, s24
	s_add_i32 s25, s25, s26
	s_mul_hi_u32 s27, s24, s28
	s_mul_hi_u32 s26, s24, s25
	s_mul_i32 s24, s24, s25
	s_add_u32 s24, s27, s24
	s_addc_u32 s26, 0, s26
	s_mul_hi_u32 s29, s23, s28
	s_mul_i32 s28, s23, s28
	s_add_u32 s24, s24, s28
	s_mul_hi_u32 s27, s23, s25
	s_addc_u32 s24, s26, s29
	s_addc_u32 s26, s27, 0
	s_mul_i32 s25, s23, s25
	s_add_u32 s24, s24, s25
	s_addc_u32 s25, 0, s26
	v_add_co_u32_e32 v3, vcc, s24, v3
	s_cmp_lg_u64 vcc, 0
	s_addc_u32 s23, s23, s25
	v_readfirstlane_b32 s25, v3
	s_mul_i32 s24, s5, s23
	s_mul_hi_u32 s26, s5, s25
	s_add_i32 s24, s26, s24
	s_mul_i32 s22, s22, s25
	s_add_i32 s24, s24, s22
	s_mul_i32 s5, s5, s25
	s_mul_hi_u32 s26, s23, s5
	s_mul_i32 s27, s23, s5
	s_mul_i32 s29, s25, s24
	s_mul_hi_u32 s5, s25, s5
	s_mul_hi_u32 s28, s25, s24
	s_add_u32 s5, s5, s29
	s_addc_u32 s25, 0, s28
	s_add_u32 s5, s5, s27
	s_mul_hi_u32 s22, s23, s24
	s_addc_u32 s5, s25, s26
	s_addc_u32 s22, s22, 0
	s_mul_i32 s24, s23, s24
	s_add_u32 s5, s5, s24
	s_addc_u32 s22, 0, s22
	v_add_co_u32_e32 v3, vcc, s5, v3
	s_cmp_lg_u64 vcc, 0
	s_addc_u32 s5, s23, s22
	s_ashr_i32 s22, s53, 31
	v_readlane_b32 s24, v70, 27
	s_add_u32 s24, s24, s22
	s_mov_b32 s23, s22
	s_addc_u32 s25, s53, s22
	s_xor_b64 s[24:25], s[24:25], s[22:23]
	v_readfirstlane_b32 s27, v3
	s_mul_i32 s26, s24, s5
	s_mul_hi_u32 s28, s24, s27
	s_mul_hi_u32 s23, s24, s5
	s_add_u32 s26, s28, s26
	s_addc_u32 s23, 0, s23
	s_mul_hi_u32 s29, s25, s27
	s_mul_i32 s27, s25, s27
	s_add_u32 s26, s26, s27
	s_mul_hi_u32 s28, s25, s5
	s_addc_u32 s23, s23, s29
	s_addc_u32 s26, s28, 0
	s_mul_i32 s5, s25, s5
	s_add_u32 s5, s23, s5
	s_addc_u32 s23, 0, s26
	s_mul_hi_u32 s26, s33, s5
	s_mul_i32 s5, s33, s5
	s_mul_i32 s23, s33, s23
	v_mov_b32_e32 v3, s5
	s_add_i32 s26, s26, s23
	v_sub_co_u32_e32 v3, vcc, s24, v3
	s_cmp_lg_u64 vcc, 0
	s_subb_u32 s5, s25, s26
	v_subrev_co_u32_e32 v4, vcc, s33, v3
	s_cmp_lg_u64 vcc, 0
	s_subb_u32 s23, s5, 0
	v_subrev_co_u32_e32 v5, vcc, s33, v4
	s_cmp_lg_u64 vcc, 0
	s_subb_u32 s24, s23, 0
	v_cmp_le_u32_e32 vcc, s33, v4
	s_cmp_eq_u32 s23, 0
	v_cndmask_b32_e64 v6, 0, -1, vcc
	s_cselect_b64 vcc, -1, 0
	v_cndmask_b32_e32 v6, -1, v6, vcc
	v_mov_b32_e32 v7, s23
	v_mov_b32_e32 v8, s24
	v_cmp_ne_u32_e32 vcc, 0, v6
	v_cndmask_b32_e32 v6, v7, v8, vcc
	v_cndmask_b32_e32 v4, v4, v5, vcc
	v_cmp_le_u32_e32 vcc, s33, v3
	s_cmp_eq_u32 s5, 0
	v_cndmask_b32_e64 v5, 0, -1, vcc
	s_cselect_b64 vcc, -1, 0
	v_cndmask_b32_e32 v5, -1, v5, vcc
	v_cmp_ne_u32_e32 vcc, 0, v5
	v_mov_b32_e32 v7, s5
	v_cndmask_b32_e32 v3, v3, v4, vcc
	v_cndmask_b32_e32 v5, v7, v6, vcc
	v_xor_b32_e32 v3, s22, v3
	v_xor_b32_e32 v5, s22, v5
	v_mov_b32_e32 v6, s22
	v_subrev_co_u32_e32 v4, vcc, s22, v3
	v_subb_co_u32_e32 v5, vcc, v5, v6, vcc
	s_cbranch_execnz .LBB31_160
.LBB31_159:                             ;   in Loop: Header=BB31_33 Depth=1
	v_cvt_f32_u32_e32 v3, s33
	s_sub_i32 s5, 0, s33
	v_rcp_iflag_f32_e32 v3, v3
	v_mul_f32_e32 v3, 0x4f7ffffe, v3
	v_cvt_u32_f32_e32 v3, v3
	v_mul_lo_u32 v4, s5, v3
	v_mul_hi_u32 v4, v3, v4
	v_add_u32_e32 v3, v3, v4
	v_readlane_b32 s5, v70, 27
	v_mul_hi_u32 v3, s5, v3
	v_mul_lo_u32 v3, v3, s33
	v_sub_u32_e32 v3, s5, v3
	v_subrev_u32_e32 v4, s33, v3
	v_cmp_le_u32_e32 vcc, s33, v3
	v_cndmask_b32_e32 v3, v3, v4, vcc
	v_subrev_u32_e32 v4, s33, v3
	v_cmp_le_u32_e32 vcc, s33, v3
	v_cndmask_b32_e32 v18, v3, v4, vcc
	v_pk_mov_b32 v[4:5], v[18:19], v[18:19] op_sel:[0,1]
.LBB31_160:                             ;   in Loop: Header=BB31_33 Depth=1
	v_readlane_b32 s5, v70, 27
	v_mov_b32_e32 v3, s53
	v_sub_co_u32_e32 v8, vcc, s5, v4
	v_subb_co_u32_e32 v9, vcc, v3, v5, vcc
	v_cmp_gt_i64_e32 vcc, v[8:9], v[0:1]
	s_mov_b64 s[28:29], 0
                                        ; implicit-def: $vgpr6_vgpr7
	s_and_saveexec_b64 s[22:23], vcc
	s_cbranch_execz .LBB31_173
; %bb.161:                              ;   in Loop: Header=BB31_33 Depth=1
	s_mov_b64 s[26:27], 0
	v_pk_mov_b32 v[10:11], v[16:17], v[16:17] op_sel:[0,1]
	v_pk_mov_b32 v[12:13], v[0:1], v[0:1] op_sel:[0,1]
                                        ; implicit-def: $sgpr24_sgpr25
	s_branch .LBB31_163
.LBB31_162:                             ;   in Loop: Header=BB31_163 Depth=2
	s_or_b64 exec, exec, s[28:29]
	s_waitcnt lgkmcnt(0)
	s_barrier
	s_waitcnt vmcnt(0)
	ds_read_b128 v[4:7], v19 offset:3072
	v_mov_b32_e32 v3, s60
	v_add_co_u32_e32 v12, vcc, s33, v12
	v_addc_co_u32_e32 v13, vcc, v13, v3, vcc
	s_waitcnt lgkmcnt(0)
	v_readfirstlane_b32 s29, v5
	v_readfirstlane_b32 s28, v4
	s_cmp_lg_u64 s[28:29], 0
	s_cselect_b64 s[28:29], -1, 0
	v_cmp_ge_i64_e32 vcc, v[12:13], v[8:9]
	s_or_b64 s[38:39], s[28:29], vcc
	s_and_b64 s[38:39], exec, s[38:39]
	s_or_b64 s[26:27], s[38:39], s[26:27]
	v_mov_b32_e32 v3, s79
	v_add_co_u32_e32 v10, vcc, s78, v10
	s_andn2_b64 s[24:25], s[24:25], exec
	s_and_b64 s[28:29], s[28:29], exec
	v_addc_co_u32_e32 v11, vcc, v11, v3, vcc
	s_or_b64 s[24:25], s[24:25], s[28:29]
	s_barrier
	s_andn2_b64 exec, exec, s[26:27]
	s_cbranch_execz .LBB31_172
.LBB31_163:                             ;   Parent Loop BB31_33 Depth=1
                                        ; =>  This Inner Loop Header: Depth=2
	v_cmp_gt_i64_e32 vcc, s[56:57], v[12:13]
	v_pk_mov_b32 v[4:5], 0, 0
	s_and_saveexec_b64 s[28:29], vcc
	s_cbranch_execz .LBB31_165
; %bb.164:                              ;   in Loop: Header=BB31_163 Depth=2
	global_load_dwordx2 v[4:5], v[10:11], off
.LBB31_165:                             ;   in Loop: Header=BB31_163 Depth=2
	s_or_b64 exec, exec, s[28:29]
	s_and_saveexec_b64 s[28:29], vcc
	s_cbranch_execz .LBB31_162
; %bb.166:                              ;   in Loop: Header=BB31_163 Depth=2
	s_waitcnt vmcnt(0)
	v_xor_b32_e32 v3, 0x80000000, v5
	v_and_b32_e32 v7, s85, v3
	v_and_b32_e32 v6, s84, v4
	v_cmp_eq_u64_e32 vcc, s[2:3], v[6:7]
	s_and_b64 exec, exec, vcc
	s_cbranch_execz .LBB31_162
; %bb.167:                              ;   in Loop: Header=BB31_163 Depth=2
	v_mov_b32_e32 v3, v19
	ds_write_b128 v19, v[2:5] offset:3072
	s_branch .LBB31_162
.LBB31_168:                             ;   in Loop: Header=BB31_33 Depth=1
                                        ; implicit-def: $sgpr24_sgpr25
                                        ; implicit-def: $sgpr26_sgpr27
                                        ; implicit-def: $sgpr22_sgpr23
	s_branch .LBB31_187
.LBB31_169:                             ;   in Loop: Header=BB31_33 Depth=1
                                        ; implicit-def: $vgpr4_vgpr5
	s_branch .LBB31_114
.LBB31_170:                             ;   in Loop: Header=BB31_33 Depth=1
                                        ; implicit-def: $vgpr4_vgpr5
	s_branch .LBB31_129
.LBB31_171:                             ;   in Loop: Header=BB31_33 Depth=1
	s_mov_b64 s[24:25], -1
	s_mov_b64 s[28:29], 0
                                        ; implicit-def: $sgpr22_sgpr23
                                        ; implicit-def: $vgpr6_vgpr7
	s_mov_b64 s[26:27], s[24:25]
	s_cbranch_execnz .LBB31_174
	s_branch .LBB31_187
.LBB31_172:                             ;   in Loop: Header=BB31_33 Depth=1
	s_or_b64 exec, exec, s[26:27]
	s_and_b64 s[28:29], s[24:25], exec
.LBB31_173:                             ;   in Loop: Header=BB31_33 Depth=1
	s_or_b64 exec, exec, s[22:23]
	s_mov_b64 s[22:23], -1
	s_mov_b64 s[24:25], 0
	s_mov_b64 s[26:27], s[24:25]
	s_branch .LBB31_187
.LBB31_174:                             ;   in Loop: Header=BB31_33 Depth=1
	v_readlane_b32 s5, v70, 26
	s_add_u32 s5, s5, s30
	v_readlane_b32 s22, v70, 28
	s_addc_u32 s23, s22, s31
	s_mov_b32 s22, s77
	s_cmp_lg_u64 s[22:23], 0
	s_cbranch_scc0 .LBB31_217
; %bb.175:                              ;   in Loop: Header=BB31_33 Depth=1
	v_cvt_f32_u32_e32 v3, s33
	s_sub_u32 s22, 0, s33
	s_subb_u32 s24, 0, 0
	v_mac_f32_e32 v3, 0x4f800000, v59
	v_rcp_f32_e32 v3, v3
	v_mul_f32_e32 v3, 0x5f7ffffc, v3
	v_mul_f32_e32 v4, 0x2f800000, v3
	v_trunc_f32_e32 v4, v4
	v_mac_f32_e32 v3, 0xcf800000, v4
	v_cvt_u32_f32_e32 v4, v4
	v_cvt_u32_f32_e32 v3, v3
	v_readfirstlane_b32 s25, v4
	v_readfirstlane_b32 s26, v3
	s_mul_i32 s27, s22, s25
	s_mul_hi_u32 s29, s22, s26
	s_mul_i32 s28, s24, s26
	s_add_i32 s27, s29, s27
	s_mul_i32 s38, s22, s26
	s_add_i32 s27, s27, s28
	s_mul_hi_u32 s29, s26, s38
	s_mul_hi_u32 s28, s26, s27
	s_mul_i32 s26, s26, s27
	s_add_u32 s26, s29, s26
	s_addc_u32 s28, 0, s28
	s_mul_hi_u32 s39, s25, s38
	s_mul_i32 s38, s25, s38
	s_add_u32 s26, s26, s38
	s_mul_hi_u32 s29, s25, s27
	s_addc_u32 s26, s28, s39
	s_addc_u32 s28, s29, 0
	s_mul_i32 s27, s25, s27
	s_add_u32 s26, s26, s27
	s_addc_u32 s27, 0, s28
	v_add_co_u32_e32 v3, vcc, s26, v3
	s_cmp_lg_u64 vcc, 0
	s_addc_u32 s25, s25, s27
	v_readfirstlane_b32 s27, v3
	s_mul_i32 s26, s22, s25
	s_mul_hi_u32 s28, s22, s27
	s_add_i32 s26, s28, s26
	s_mul_i32 s24, s24, s27
	s_add_i32 s26, s26, s24
	s_mul_i32 s22, s22, s27
	s_mul_hi_u32 s28, s25, s22
	s_mul_i32 s29, s25, s22
	s_mul_i32 s39, s27, s26
	s_mul_hi_u32 s22, s27, s22
	s_mul_hi_u32 s38, s27, s26
	s_add_u32 s22, s22, s39
	s_addc_u32 s27, 0, s38
	s_add_u32 s22, s22, s29
	s_mul_hi_u32 s24, s25, s26
	s_addc_u32 s22, s27, s28
	s_addc_u32 s24, s24, 0
	s_mul_i32 s26, s25, s26
	s_add_u32 s22, s22, s26
	s_addc_u32 s24, 0, s24
	v_add_co_u32_e32 v3, vcc, s22, v3
	s_cmp_lg_u64 vcc, 0
	s_addc_u32 s22, s25, s24
	s_ashr_i32 s24, s23, 31
	s_add_u32 s26, s5, s24
	s_mov_b32 s25, s24
	s_addc_u32 s27, s23, s24
	s_xor_b64 s[26:27], s[26:27], s[24:25]
	v_readfirstlane_b32 s29, v3
	s_mul_i32 s28, s26, s22
	s_mul_hi_u32 s38, s26, s29
	s_mul_hi_u32 s25, s26, s22
	s_add_u32 s28, s38, s28
	s_addc_u32 s25, 0, s25
	s_mul_hi_u32 s39, s27, s29
	s_mul_i32 s29, s27, s29
	s_add_u32 s28, s28, s29
	s_mul_hi_u32 s38, s27, s22
	s_addc_u32 s25, s25, s39
	s_addc_u32 s28, s38, 0
	s_mul_i32 s22, s27, s22
	s_add_u32 s22, s25, s22
	s_addc_u32 s25, 0, s28
	s_mul_hi_u32 s28, s33, s22
	s_mul_i32 s22, s33, s22
	s_mul_i32 s25, s33, s25
	v_mov_b32_e32 v3, s22
	s_add_i32 s28, s28, s25
	v_sub_co_u32_e32 v3, vcc, s26, v3
	s_cmp_lg_u64 vcc, 0
	s_subb_u32 s22, s27, s28
	v_subrev_co_u32_e32 v4, vcc, s33, v3
	s_cmp_lg_u64 vcc, 0
	s_subb_u32 s25, s22, 0
	v_subrev_co_u32_e32 v5, vcc, s33, v4
	s_cmp_lg_u64 vcc, 0
	s_subb_u32 s26, s25, 0
	v_cmp_le_u32_e32 vcc, s33, v4
	s_cmp_eq_u32 s25, 0
	v_cndmask_b32_e64 v6, 0, -1, vcc
	s_cselect_b64 vcc, -1, 0
	v_cndmask_b32_e32 v6, -1, v6, vcc
	v_mov_b32_e32 v7, s25
	v_mov_b32_e32 v8, s26
	v_cmp_ne_u32_e32 vcc, 0, v6
	v_cndmask_b32_e32 v6, v7, v8, vcc
	v_cndmask_b32_e32 v4, v4, v5, vcc
	v_cmp_le_u32_e32 vcc, s33, v3
	s_cmp_eq_u32 s22, 0
	v_cndmask_b32_e64 v5, 0, -1, vcc
	s_cselect_b64 vcc, -1, 0
	v_cndmask_b32_e32 v5, -1, v5, vcc
	v_cmp_ne_u32_e32 vcc, 0, v5
	v_mov_b32_e32 v7, s22
	v_cndmask_b32_e32 v3, v3, v4, vcc
	v_cndmask_b32_e32 v5, v7, v6, vcc
	v_xor_b32_e32 v3, s24, v3
	v_xor_b32_e32 v5, s24, v5
	v_mov_b32_e32 v6, s24
	v_subrev_co_u32_e32 v4, vcc, s24, v3
	v_subb_co_u32_e32 v5, vcc, v5, v6, vcc
	s_cbranch_execnz .LBB31_177
.LBB31_176:                             ;   in Loop: Header=BB31_33 Depth=1
	v_cvt_f32_u32_e32 v3, s33
	s_sub_i32 s22, 0, s33
	v_rcp_iflag_f32_e32 v3, v3
	v_mul_f32_e32 v3, 0x4f7ffffe, v3
	v_cvt_u32_f32_e32 v3, v3
	v_mul_lo_u32 v4, s22, v3
	v_mul_hi_u32 v4, v3, v4
	v_add_u32_e32 v3, v3, v4
	v_mul_hi_u32 v3, s5, v3
	v_mul_lo_u32 v3, v3, s33
	v_sub_u32_e32 v3, s5, v3
	v_subrev_u32_e32 v4, s33, v3
	v_cmp_le_u32_e32 vcc, s33, v3
	v_cndmask_b32_e32 v3, v3, v4, vcc
	v_subrev_u32_e32 v4, s33, v3
	v_cmp_le_u32_e32 vcc, s33, v3
	v_cndmask_b32_e32 v18, v3, v4, vcc
	v_pk_mov_b32 v[4:5], v[18:19], v[18:19] op_sel:[0,1]
.LBB31_177:                             ;   in Loop: Header=BB31_33 Depth=1
	v_mov_b32_e32 v3, s23
	v_sub_co_u32_e32 v8, vcc, s5, v4
	v_subb_co_u32_e32 v9, vcc, v3, v5, vcc
	v_cmp_gt_i64_e32 vcc, v[8:9], v[0:1]
	s_mov_b64 s[28:29], 0
                                        ; implicit-def: $vgpr6_vgpr7
	s_and_saveexec_b64 s[22:23], vcc
	s_cbranch_execz .LBB31_186
; %bb.178:                              ;   in Loop: Header=BB31_33 Depth=1
	s_mov_b64 s[26:27], 0
	v_mov_b32_e32 v12, v51
	v_pk_mov_b32 v[10:11], v[0:1], v[0:1] op_sel:[0,1]
                                        ; implicit-def: $sgpr24_sgpr25
	s_branch .LBB31_180
.LBB31_179:                             ;   in Loop: Header=BB31_180 Depth=2
	s_or_b64 exec, exec, s[28:29]
	s_waitcnt lgkmcnt(0)
	s_barrier
	ds_read_b128 v[4:7], v19 offset:3072
	v_mov_b32_e32 v3, s60
	v_add_co_u32_e32 v10, vcc, s33, v10
	v_addc_co_u32_e32 v11, vcc, v11, v3, vcc
	s_waitcnt lgkmcnt(0)
	v_readfirstlane_b32 s29, v5
	v_readfirstlane_b32 s28, v4
	s_cmp_lg_u64 s[28:29], 0
	s_cselect_b64 s[28:29], -1, 0
	v_cmp_ge_i64_e32 vcc, v[10:11], v[8:9]
	s_or_b64 s[38:39], s[28:29], vcc
	s_and_b64 s[38:39], exec, s[38:39]
	s_or_b64 s[26:27], s[38:39], s[26:27]
	s_andn2_b64 s[24:25], s[24:25], exec
	s_and_b64 s[28:29], s[28:29], exec
	v_add_u32_e32 v12, s4, v12
	s_or_b64 s[24:25], s[24:25], s[28:29]
	s_barrier
	s_andn2_b64 exec, exec, s[26:27]
	s_cbranch_execz .LBB31_185
.LBB31_180:                             ;   Parent Loop BB31_33 Depth=1
                                        ; =>  This Inner Loop Header: Depth=2
	v_cmp_gt_i64_e32 vcc, s[30:31], v[10:11]
	v_pk_mov_b32 v[4:5], 0, 0
	s_and_saveexec_b64 s[28:29], vcc
	s_cbranch_execz .LBB31_182
; %bb.181:                              ;   in Loop: Header=BB31_180 Depth=2
	ds_read_b64 v[4:5], v12
.LBB31_182:                             ;   in Loop: Header=BB31_180 Depth=2
	s_or_b64 exec, exec, s[28:29]
	s_and_saveexec_b64 s[28:29], vcc
	s_cbranch_execz .LBB31_179
; %bb.183:                              ;   in Loop: Header=BB31_180 Depth=2
	s_waitcnt lgkmcnt(0)
	v_xor_b32_e32 v3, 0x80000000, v5
	v_and_b32_e32 v7, s85, v3
	v_and_b32_e32 v6, s84, v4
	v_cmp_eq_u64_e32 vcc, s[2:3], v[6:7]
	s_and_b64 exec, exec, vcc
	s_cbranch_execz .LBB31_179
; %bb.184:                              ;   in Loop: Header=BB31_180 Depth=2
	v_mov_b32_e32 v3, v19
	ds_write_b128 v19, v[2:5] offset:3072
	s_branch .LBB31_179
.LBB31_185:                             ;   in Loop: Header=BB31_33 Depth=1
	s_or_b64 exec, exec, s[26:27]
	s_and_b64 s[28:29], s[24:25], exec
.LBB31_186:                             ;   in Loop: Header=BB31_33 Depth=1
	s_or_b64 exec, exec, s[22:23]
	s_mov_b64 s[26:27], -1
	s_mov_b64 s[24:25], 0
	s_mov_b64 s[22:23], 0
.LBB31_187:                             ;   in Loop: Header=BB31_33 Depth=1
	s_mov_b64 s[38:39], 0
                                        ; implicit-def: $sgpr52
	s_and_saveexec_b64 s[30:31], s[28:29]
	s_cbranch_execz .LBB31_298
; %bb.188:                              ;   in Loop: Header=BB31_33 Depth=1
	s_xor_b64 s[28:29], s[36:37], -1
	s_andn2_b64 vcc, exec, s[28:29]
	s_mov_b32 s52, 1
	s_cbranch_vccnz .LBB31_199
; %bb.189:                              ;   in Loop: Header=BB31_33 Depth=1
	s_waitcnt vmcnt(0)
	v_pk_mov_b32 v[4:5], s[34:35], s[34:35] op_sel:[0,1]
	v_cmp_gt_i64_e32 vcc, s[58:59], v[4:5]
	s_mov_b64 s[28:29], -1
                                        ; implicit-def: $sgpr52
                                        ; implicit-def: $sgpr36_sgpr37
                                        ; implicit-def: $sgpr38_sgpr39
	s_cbranch_vccnz .LBB31_195
; %bb.190:                              ;   in Loop: Header=BB31_33 Depth=1
	ds_read_b64 v[4:5], v19 offset:5120
	s_waitcnt lgkmcnt(0)
	v_cmp_ne_u64_e32 vcc, 0, v[4:5]
	s_cbranch_vccnz .LBB31_194
; %bb.191:                              ;   in Loop: Header=BB31_33 Depth=1
	s_mov_b64 s[28:29], exec
	v_readlane_b32 s36, v70, 12
	v_readlane_b32 s37, v70, 13
	s_and_b64 s[36:37], s[28:29], s[36:37]
	s_mov_b64 exec, s[36:37]
	s_cbranch_execz .LBB31_193
; %bb.192:                              ;   in Loop: Header=BB31_33 Depth=1
	v_pk_mov_b32 v[4:5], s[34:35], s[34:35] op_sel:[0,1]
	ds_write_b64 v19, v[4:5] offset:5128
.LBB31_193:                             ;   in Loop: Header=BB31_33 Depth=1
	s_or_b64 exec, exec, s[28:29]
	s_waitcnt lgkmcnt(0)
	s_barrier
.LBB31_194:                             ;   in Loop: Header=BB31_33 Depth=1
	s_lshl_b64 s[28:29], 1, s46
	s_and_b64 s[36:37], s[2:3], s[20:21]
	s_or_b64 s[36:37], s[36:37], s[28:29]
	s_or_b64 s[38:39], s[84:85], s[12:13]
	s_mov_b64 s[28:29], 0
	s_mov_b32 s52, 8
.LBB31_195:                             ;   in Loop: Header=BB31_33 Depth=1
	s_andn2_b64 vcc, exec, s[28:29]
	s_cbranch_vccnz .LBB31_197
; %bb.196:                              ;   in Loop: Header=BB31_33 Depth=1
	s_sub_u32 s58, s58, s34
	s_subb_u32 s59, s59, s35
	s_mov_b64 s[28:29], -1
	s_mov_b32 s52, 0
	s_mov_b64 s[36:37], s[2:3]
	s_mov_b64 s[38:39], s[84:85]
.LBB31_197:                             ;   in Loop: Header=BB31_33 Depth=1
	s_mov_b64 s[84:85], s[38:39]
	s_mov_b64 s[2:3], s[36:37]
	s_andn2_b64 vcc, exec, s[28:29]
	s_mov_b64 s[44:45], -1
	s_cbranch_vccz .LBB31_200
.LBB31_198:                             ;   in Loop: Header=BB31_33 Depth=1
                                        ; implicit-def: $sgpr36_sgpr37
                                        ; implicit-def: $sgpr38_sgpr39
                                        ; implicit-def: $sgpr34_sgpr35
	s_branch .LBB31_297
.LBB31_199:                             ;   in Loop: Header=BB31_33 Depth=1
	s_mov_b64 s[58:59], 1
	s_mov_b64 s[44:45], -1
	s_cbranch_execnz .LBB31_198
.LBB31_200:                             ;   in Loop: Header=BB31_33 Depth=1
	s_cmp_eq_u64 s[18:19], 1
	s_cselect_b64 s[28:29], -1, 0
	s_cmp_eq_u64 s[58:59], 1
	s_cselect_b64 s[34:35], -1, 0
	s_mov_b64 s[90:91], s[42:43]
	s_and_b64 s[42:43], s[28:29], s[34:35]
	s_mov_b64 s[74:75], s[40:41]
	s_mov_b64 s[28:29], -1
	s_and_b64 vcc, exec, s[42:43]
	s_cbranch_vccz .LBB31_215
; %bb.201:                              ;   in Loop: Header=BB31_33 Depth=1
	s_waitcnt vmcnt(0)
	ds_read_b64 v[4:5], v19 offset:5120
	s_waitcnt lgkmcnt(0)
	s_barrier
	v_readfirstlane_b32 s40, v4
	v_readfirstlane_b32 s41, v5
	s_mov_b64 s[28:29], exec
	v_readlane_b32 s34, v70, 14
	v_readlane_b32 s35, v70, 15
	s_and_b64 s[34:35], s[28:29], s[34:35]
	s_mov_b64 exec, s[34:35]
	s_cbranch_execz .LBB31_203
; %bb.202:                              ;   in Loop: Header=BB31_33 Depth=1
	v_mov_b32_e32 v18, v19
	ds_write_b64 v52, v[18:19]
.LBB31_203:                             ;   in Loop: Header=BB31_33 Depth=1
	s_or_b64 exec, exec, s[28:29]
	s_lshl_b64 s[28:29], 2, s46
	s_and_b64 s[2:3], s[2:3], s[20:21]
	s_or_b64 s[2:3], s[2:3], s[28:29]
	v_cmp_gt_i64_e64 s[28:29], s[40:41], 0
	s_or_b64 s[84:85], s[84:85], s[12:13]
	s_and_b64 vcc, exec, s[28:29]
	s_waitcnt lgkmcnt(0)
	s_barrier
	s_cbranch_vccnz .LBB31_218
; %bb.204:                              ;   in Loop: Header=BB31_33 Depth=1
	s_mov_b32 s52, s77
	s_cmp_lg_u64 s[52:53], 0
	s_cbranch_scc0 .LBB31_263
; %bb.205:                              ;   in Loop: Header=BB31_33 Depth=1
	v_cvt_f32_u32_e32 v3, s33
	s_sub_u32 s5, 0, s33
	s_subb_u32 s28, 0, 0
	v_mac_f32_e32 v3, 0x4f800000, v59
	v_rcp_f32_e32 v3, v3
	v_mul_f32_e32 v3, 0x5f7ffffc, v3
	v_mul_f32_e32 v4, 0x2f800000, v3
	v_trunc_f32_e32 v4, v4
	v_mac_f32_e32 v3, 0xcf800000, v4
	v_cvt_u32_f32_e32 v4, v4
	v_cvt_u32_f32_e32 v3, v3
	v_readfirstlane_b32 s29, v4
	v_readfirstlane_b32 s34, v3
	s_mul_i32 s35, s5, s29
	s_mul_hi_u32 s37, s5, s34
	s_mul_i32 s36, s28, s34
	s_add_i32 s35, s37, s35
	s_mul_i32 s38, s5, s34
	s_add_i32 s35, s35, s36
	s_mul_hi_u32 s37, s34, s38
	s_mul_hi_u32 s36, s34, s35
	s_mul_i32 s34, s34, s35
	s_add_u32 s34, s37, s34
	s_addc_u32 s36, 0, s36
	s_mul_hi_u32 s39, s29, s38
	s_mul_i32 s38, s29, s38
	s_add_u32 s34, s34, s38
	s_mul_hi_u32 s37, s29, s35
	s_addc_u32 s34, s36, s39
	s_addc_u32 s36, s37, 0
	s_mul_i32 s35, s29, s35
	s_add_u32 s34, s34, s35
	s_addc_u32 s35, 0, s36
	v_add_co_u32_e32 v3, vcc, s34, v3
	s_cmp_lg_u64 vcc, 0
	s_addc_u32 s29, s29, s35
	v_readfirstlane_b32 s35, v3
	s_mul_i32 s34, s5, s29
	s_mul_hi_u32 s36, s5, s35
	s_add_i32 s34, s36, s34
	s_mul_i32 s28, s28, s35
	s_add_i32 s34, s34, s28
	s_mul_i32 s5, s5, s35
	s_mul_hi_u32 s36, s29, s5
	s_mul_i32 s37, s29, s5
	s_mul_i32 s39, s35, s34
	s_mul_hi_u32 s5, s35, s5
	s_mul_hi_u32 s38, s35, s34
	s_add_u32 s5, s5, s39
	s_addc_u32 s35, 0, s38
	s_add_u32 s5, s5, s37
	s_mul_hi_u32 s28, s29, s34
	s_addc_u32 s5, s35, s36
	s_addc_u32 s28, s28, 0
	s_mul_i32 s34, s29, s34
	s_add_u32 s5, s5, s34
	s_addc_u32 s28, 0, s28
	v_add_co_u32_e32 v3, vcc, s5, v3
	s_cmp_lg_u64 vcc, 0
	s_addc_u32 s5, s29, s28
	s_ashr_i32 s28, s53, 31
	v_readlane_b32 s34, v70, 27
	s_add_u32 s34, s34, s28
	s_mov_b32 s29, s28
	s_addc_u32 s35, s53, s28
	s_xor_b64 s[34:35], s[34:35], s[28:29]
	v_readfirstlane_b32 s37, v3
	s_mul_i32 s36, s34, s5
	s_mul_hi_u32 s38, s34, s37
	s_mul_hi_u32 s29, s34, s5
	s_add_u32 s36, s38, s36
	s_addc_u32 s29, 0, s29
	s_mul_hi_u32 s39, s35, s37
	s_mul_i32 s37, s35, s37
	s_add_u32 s36, s36, s37
	s_mul_hi_u32 s38, s35, s5
	s_addc_u32 s29, s29, s39
	s_addc_u32 s36, s38, 0
	s_mul_i32 s5, s35, s5
	s_add_u32 s5, s29, s5
	s_addc_u32 s29, 0, s36
	s_mul_hi_u32 s36, s33, s5
	s_mul_i32 s5, s33, s5
	s_mul_i32 s29, s33, s29
	v_mov_b32_e32 v3, s5
	s_add_i32 s36, s36, s29
	v_sub_co_u32_e32 v3, vcc, s34, v3
	s_cmp_lg_u64 vcc, 0
	s_subb_u32 s5, s35, s36
	v_subrev_co_u32_e32 v4, vcc, s33, v3
	s_cmp_lg_u64 vcc, 0
	s_subb_u32 s29, s5, 0
	v_subrev_co_u32_e32 v5, vcc, s33, v4
	s_cmp_lg_u64 vcc, 0
	s_subb_u32 s34, s29, 0
	v_cmp_le_u32_e32 vcc, s33, v4
	s_cmp_eq_u32 s29, 0
	v_cndmask_b32_e64 v6, 0, -1, vcc
	s_cselect_b64 vcc, -1, 0
	v_cndmask_b32_e32 v6, -1, v6, vcc
	v_mov_b32_e32 v7, s29
	v_mov_b32_e32 v8, s34
	v_cmp_ne_u32_e32 vcc, 0, v6
	v_cndmask_b32_e32 v6, v7, v8, vcc
	v_cndmask_b32_e32 v4, v4, v5, vcc
	v_cmp_le_u32_e32 vcc, s33, v3
	s_cmp_eq_u32 s5, 0
	v_cndmask_b32_e64 v5, 0, -1, vcc
	s_cselect_b64 vcc, -1, 0
	v_cndmask_b32_e32 v5, -1, v5, vcc
	v_cmp_ne_u32_e32 vcc, 0, v5
	v_mov_b32_e32 v7, s5
	v_cndmask_b32_e32 v3, v3, v4, vcc
	v_cndmask_b32_e32 v5, v7, v6, vcc
	v_xor_b32_e32 v3, s28, v3
	v_xor_b32_e32 v5, s28, v5
	v_mov_b32_e32 v6, s28
	v_subrev_co_u32_e32 v4, vcc, s28, v3
	v_subb_co_u32_e32 v5, vcc, v5, v6, vcc
	s_cbranch_execnz .LBB31_207
.LBB31_206:                             ;   in Loop: Header=BB31_33 Depth=1
	v_cvt_f32_u32_e32 v3, s33
	s_sub_i32 s5, 0, s33
	v_rcp_iflag_f32_e32 v3, v3
	v_mul_f32_e32 v3, 0x4f7ffffe, v3
	v_cvt_u32_f32_e32 v3, v3
	v_mul_lo_u32 v4, s5, v3
	v_mul_hi_u32 v4, v3, v4
	v_add_u32_e32 v3, v3, v4
	v_readlane_b32 s5, v70, 27
	v_mul_hi_u32 v3, s5, v3
	v_mul_lo_u32 v3, v3, s33
	v_sub_u32_e32 v3, s5, v3
	v_subrev_u32_e32 v4, s33, v3
	v_cmp_le_u32_e32 vcc, s33, v3
	v_cndmask_b32_e32 v3, v3, v4, vcc
	v_subrev_u32_e32 v4, s33, v3
	v_cmp_le_u32_e32 vcc, s33, v3
	v_cndmask_b32_e32 v18, v3, v4, vcc
	v_pk_mov_b32 v[4:5], v[18:19], v[18:19] op_sel:[0,1]
.LBB31_207:                             ;   in Loop: Header=BB31_33 Depth=1
	v_readlane_b32 s5, v70, 27
	v_mov_b32_e32 v3, s53
	v_sub_co_u32_e32 v8, vcc, s5, v4
	v_subb_co_u32_e32 v9, vcc, v3, v5, vcc
	v_cmp_gt_i64_e32 vcc, v[8:9], v[0:1]
	s_mov_b64 s[28:29], 0
                                        ; implicit-def: $vgpr6_vgpr7
	s_and_saveexec_b64 s[34:35], vcc
	s_cbranch_execz .LBB31_220
; %bb.208:                              ;   in Loop: Header=BB31_33 Depth=1
	s_mov_b64 s[36:37], 0
	v_pk_mov_b32 v[10:11], v[16:17], v[16:17] op_sel:[0,1]
	v_pk_mov_b32 v[12:13], v[0:1], v[0:1] op_sel:[0,1]
                                        ; implicit-def: $sgpr28_sgpr29
	s_branch .LBB31_210
.LBB31_209:                             ;   in Loop: Header=BB31_210 Depth=2
	s_or_b64 exec, exec, s[38:39]
	s_waitcnt lgkmcnt(0)
	s_barrier
	s_waitcnt vmcnt(0)
	ds_read_b128 v[4:7], v19 offset:3072
	v_mov_b32_e32 v3, s60
	v_add_co_u32_e32 v12, vcc, s33, v12
	v_addc_co_u32_e32 v13, vcc, v13, v3, vcc
	s_waitcnt lgkmcnt(0)
	v_readfirstlane_b32 s39, v5
	v_readfirstlane_b32 s38, v4
	s_cmp_lg_u64 s[38:39], 0
	s_cselect_b64 s[38:39], -1, 0
	v_cmp_ge_i64_e32 vcc, v[12:13], v[8:9]
	s_or_b64 s[44:45], s[38:39], vcc
	s_and_b64 s[44:45], exec, s[44:45]
	s_or_b64 s[36:37], s[44:45], s[36:37]
	v_mov_b32_e32 v3, s79
	v_add_co_u32_e32 v10, vcc, s78, v10
	s_andn2_b64 s[28:29], s[28:29], exec
	s_and_b64 s[38:39], s[38:39], exec
	v_addc_co_u32_e32 v11, vcc, v11, v3, vcc
	s_or_b64 s[28:29], s[28:29], s[38:39]
	s_barrier
	s_andn2_b64 exec, exec, s[36:37]
	s_cbranch_execz .LBB31_219
.LBB31_210:                             ;   Parent Loop BB31_33 Depth=1
                                        ; =>  This Inner Loop Header: Depth=2
	v_cmp_gt_i64_e32 vcc, s[56:57], v[12:13]
	v_pk_mov_b32 v[4:5], 0, 0
	s_and_saveexec_b64 s[38:39], vcc
	s_cbranch_execz .LBB31_212
; %bb.211:                              ;   in Loop: Header=BB31_210 Depth=2
	global_load_dwordx2 v[4:5], v[10:11], off
.LBB31_212:                             ;   in Loop: Header=BB31_210 Depth=2
	s_or_b64 exec, exec, s[38:39]
	s_and_saveexec_b64 s[38:39], vcc
	s_cbranch_execz .LBB31_209
; %bb.213:                              ;   in Loop: Header=BB31_210 Depth=2
	s_waitcnt vmcnt(0)
	v_xor_b32_e32 v3, 0x80000000, v5
	v_and_b32_e32 v7, s85, v3
	v_and_b32_e32 v6, s84, v4
	v_cmp_eq_u64_e32 vcc, s[2:3], v[6:7]
	s_and_b64 exec, exec, vcc
	s_cbranch_execz .LBB31_209
; %bb.214:                              ;   in Loop: Header=BB31_210 Depth=2
	v_mov_b32_e32 v3, v19
	ds_write_b128 v19, v[2:5] offset:3072
	s_branch .LBB31_209
.LBB31_215:                             ;   in Loop: Header=BB31_33 Depth=1
                                        ; implicit-def: $sgpr34_sgpr35
                                        ; implicit-def: $sgpr38_sgpr39
                                        ; implicit-def: $sgpr36_sgpr37
	s_branch .LBB31_234
.LBB31_216:                             ;   in Loop: Header=BB31_33 Depth=1
                                        ; implicit-def: $vgpr4_vgpr5
	s_branch .LBB31_159
.LBB31_217:                             ;   in Loop: Header=BB31_33 Depth=1
                                        ; implicit-def: $vgpr4_vgpr5
	s_branch .LBB31_176
.LBB31_218:                             ;   in Loop: Header=BB31_33 Depth=1
	s_mov_b64 s[34:35], -1
	s_mov_b64 s[28:29], 0
                                        ; implicit-def: $sgpr36_sgpr37
                                        ; implicit-def: $vgpr6_vgpr7
	s_mov_b64 s[38:39], s[34:35]
	s_cbranch_execnz .LBB31_221
	s_branch .LBB31_234
.LBB31_219:                             ;   in Loop: Header=BB31_33 Depth=1
	s_or_b64 exec, exec, s[36:37]
	s_and_b64 s[28:29], s[28:29], exec
.LBB31_220:                             ;   in Loop: Header=BB31_33 Depth=1
	s_or_b64 exec, exec, s[34:35]
	s_mov_b64 s[36:37], -1
	s_mov_b64 s[34:35], 0
	s_mov_b64 s[38:39], s[34:35]
	s_branch .LBB31_234
.LBB31_221:                             ;   in Loop: Header=BB31_33 Depth=1
	v_readlane_b32 s5, v70, 26
	s_add_u32 s5, s5, s40
	v_readlane_b32 s28, v70, 28
	s_addc_u32 s29, s28, s41
	s_mov_b32 s28, s77
	s_cmp_lg_u64 s[28:29], 0
	s_cbranch_scc0 .LBB31_264
; %bb.222:                              ;   in Loop: Header=BB31_33 Depth=1
	v_cvt_f32_u32_e32 v3, s33
	s_sub_u32 s28, 0, s33
	s_subb_u32 s34, 0, 0
	v_mac_f32_e32 v3, 0x4f800000, v59
	v_rcp_f32_e32 v3, v3
	v_mul_f32_e32 v3, 0x5f7ffffc, v3
	v_mul_f32_e32 v4, 0x2f800000, v3
	v_trunc_f32_e32 v4, v4
	v_mac_f32_e32 v3, 0xcf800000, v4
	v_cvt_u32_f32_e32 v4, v4
	v_cvt_u32_f32_e32 v3, v3
	v_readfirstlane_b32 s35, v4
	v_readfirstlane_b32 s36, v3
	s_mul_i32 s37, s28, s35
	s_mul_hi_u32 s39, s28, s36
	s_mul_i32 s38, s34, s36
	s_add_i32 s37, s39, s37
	s_mul_i32 s44, s28, s36
	s_add_i32 s37, s37, s38
	s_mul_hi_u32 s39, s36, s44
	s_mul_hi_u32 s38, s36, s37
	s_mul_i32 s36, s36, s37
	s_add_u32 s36, s39, s36
	s_addc_u32 s38, 0, s38
	s_mul_hi_u32 s45, s35, s44
	s_mul_i32 s44, s35, s44
	s_add_u32 s36, s36, s44
	s_mul_hi_u32 s39, s35, s37
	s_addc_u32 s36, s38, s45
	s_addc_u32 s38, s39, 0
	s_mul_i32 s37, s35, s37
	s_add_u32 s36, s36, s37
	s_addc_u32 s37, 0, s38
	v_add_co_u32_e32 v3, vcc, s36, v3
	s_cmp_lg_u64 vcc, 0
	s_addc_u32 s35, s35, s37
	v_readfirstlane_b32 s37, v3
	s_mul_i32 s36, s28, s35
	s_mul_hi_u32 s38, s28, s37
	s_add_i32 s36, s38, s36
	s_mul_i32 s34, s34, s37
	s_add_i32 s36, s36, s34
	s_mul_i32 s28, s28, s37
	s_mul_hi_u32 s38, s35, s28
	s_mul_i32 s39, s35, s28
	s_mul_i32 s45, s37, s36
	s_mul_hi_u32 s28, s37, s28
	s_mul_hi_u32 s44, s37, s36
	s_add_u32 s28, s28, s45
	s_addc_u32 s37, 0, s44
	s_add_u32 s28, s28, s39
	s_mul_hi_u32 s34, s35, s36
	s_addc_u32 s28, s37, s38
	s_addc_u32 s34, s34, 0
	s_mul_i32 s36, s35, s36
	s_add_u32 s28, s28, s36
	s_addc_u32 s34, 0, s34
	v_add_co_u32_e32 v3, vcc, s28, v3
	s_cmp_lg_u64 vcc, 0
	s_addc_u32 s28, s35, s34
	s_ashr_i32 s34, s29, 31
	s_add_u32 s36, s5, s34
	s_mov_b32 s35, s34
	s_addc_u32 s37, s29, s34
	s_xor_b64 s[36:37], s[36:37], s[34:35]
	v_readfirstlane_b32 s39, v3
	s_mul_i32 s38, s36, s28
	s_mul_hi_u32 s44, s36, s39
	s_mul_hi_u32 s35, s36, s28
	s_add_u32 s38, s44, s38
	s_addc_u32 s35, 0, s35
	s_mul_hi_u32 s45, s37, s39
	s_mul_i32 s39, s37, s39
	s_add_u32 s38, s38, s39
	s_mul_hi_u32 s44, s37, s28
	s_addc_u32 s35, s35, s45
	s_addc_u32 s38, s44, 0
	s_mul_i32 s28, s37, s28
	s_add_u32 s28, s35, s28
	s_addc_u32 s35, 0, s38
	s_mul_hi_u32 s38, s33, s28
	s_mul_i32 s28, s33, s28
	s_mul_i32 s35, s33, s35
	v_mov_b32_e32 v3, s28
	s_add_i32 s38, s38, s35
	v_sub_co_u32_e32 v3, vcc, s36, v3
	s_cmp_lg_u64 vcc, 0
	s_subb_u32 s28, s37, s38
	v_subrev_co_u32_e32 v4, vcc, s33, v3
	s_cmp_lg_u64 vcc, 0
	s_subb_u32 s35, s28, 0
	v_subrev_co_u32_e32 v5, vcc, s33, v4
	s_cmp_lg_u64 vcc, 0
	s_subb_u32 s36, s35, 0
	v_cmp_le_u32_e32 vcc, s33, v4
	s_cmp_eq_u32 s35, 0
	v_cndmask_b32_e64 v6, 0, -1, vcc
	s_cselect_b64 vcc, -1, 0
	v_cndmask_b32_e32 v6, -1, v6, vcc
	v_mov_b32_e32 v7, s35
	v_mov_b32_e32 v8, s36
	v_cmp_ne_u32_e32 vcc, 0, v6
	v_cndmask_b32_e32 v6, v7, v8, vcc
	v_cndmask_b32_e32 v4, v4, v5, vcc
	v_cmp_le_u32_e32 vcc, s33, v3
	s_cmp_eq_u32 s28, 0
	v_cndmask_b32_e64 v5, 0, -1, vcc
	s_cselect_b64 vcc, -1, 0
	v_cndmask_b32_e32 v5, -1, v5, vcc
	v_cmp_ne_u32_e32 vcc, 0, v5
	v_mov_b32_e32 v7, s28
	v_cndmask_b32_e32 v3, v3, v4, vcc
	v_cndmask_b32_e32 v5, v7, v6, vcc
	v_xor_b32_e32 v3, s34, v3
	v_xor_b32_e32 v5, s34, v5
	v_mov_b32_e32 v6, s34
	v_subrev_co_u32_e32 v4, vcc, s34, v3
	v_subb_co_u32_e32 v5, vcc, v5, v6, vcc
	s_cbranch_execnz .LBB31_224
.LBB31_223:                             ;   in Loop: Header=BB31_33 Depth=1
	v_cvt_f32_u32_e32 v3, s33
	s_sub_i32 s28, 0, s33
	v_rcp_iflag_f32_e32 v3, v3
	v_mul_f32_e32 v3, 0x4f7ffffe, v3
	v_cvt_u32_f32_e32 v3, v3
	v_mul_lo_u32 v4, s28, v3
	v_mul_hi_u32 v4, v3, v4
	v_add_u32_e32 v3, v3, v4
	v_mul_hi_u32 v3, s5, v3
	v_mul_lo_u32 v3, v3, s33
	v_sub_u32_e32 v3, s5, v3
	v_subrev_u32_e32 v4, s33, v3
	v_cmp_le_u32_e32 vcc, s33, v3
	v_cndmask_b32_e32 v3, v3, v4, vcc
	v_subrev_u32_e32 v4, s33, v3
	v_cmp_le_u32_e32 vcc, s33, v3
	v_cndmask_b32_e32 v18, v3, v4, vcc
	v_pk_mov_b32 v[4:5], v[18:19], v[18:19] op_sel:[0,1]
.LBB31_224:                             ;   in Loop: Header=BB31_33 Depth=1
	v_mov_b32_e32 v3, s29
	v_sub_co_u32_e32 v8, vcc, s5, v4
	v_subb_co_u32_e32 v9, vcc, v3, v5, vcc
	v_cmp_gt_i64_e32 vcc, v[8:9], v[0:1]
	s_mov_b64 s[28:29], 0
                                        ; implicit-def: $vgpr6_vgpr7
	s_and_saveexec_b64 s[34:35], vcc
	s_cbranch_execz .LBB31_233
; %bb.225:                              ;   in Loop: Header=BB31_33 Depth=1
	s_mov_b64 s[36:37], 0
	v_mov_b32_e32 v12, v51
	v_pk_mov_b32 v[10:11], v[0:1], v[0:1] op_sel:[0,1]
                                        ; implicit-def: $sgpr28_sgpr29
	s_branch .LBB31_227
.LBB31_226:                             ;   in Loop: Header=BB31_227 Depth=2
	s_or_b64 exec, exec, s[38:39]
	s_waitcnt lgkmcnt(0)
	s_barrier
	ds_read_b128 v[4:7], v19 offset:3072
	v_mov_b32_e32 v3, s60
	v_add_co_u32_e32 v10, vcc, s33, v10
	v_addc_co_u32_e32 v11, vcc, v11, v3, vcc
	s_waitcnt lgkmcnt(0)
	v_readfirstlane_b32 s39, v5
	v_readfirstlane_b32 s38, v4
	s_cmp_lg_u64 s[38:39], 0
	s_cselect_b64 s[38:39], -1, 0
	v_cmp_ge_i64_e32 vcc, v[10:11], v[8:9]
	s_or_b64 s[44:45], s[38:39], vcc
	s_and_b64 s[44:45], exec, s[44:45]
	s_or_b64 s[36:37], s[44:45], s[36:37]
	s_andn2_b64 s[28:29], s[28:29], exec
	s_and_b64 s[38:39], s[38:39], exec
	v_add_u32_e32 v12, s4, v12
	s_or_b64 s[28:29], s[28:29], s[38:39]
	s_barrier
	s_andn2_b64 exec, exec, s[36:37]
	s_cbranch_execz .LBB31_232
.LBB31_227:                             ;   Parent Loop BB31_33 Depth=1
                                        ; =>  This Inner Loop Header: Depth=2
	v_cmp_gt_i64_e32 vcc, s[40:41], v[10:11]
	v_pk_mov_b32 v[4:5], 0, 0
	s_and_saveexec_b64 s[38:39], vcc
	s_cbranch_execz .LBB31_229
; %bb.228:                              ;   in Loop: Header=BB31_227 Depth=2
	ds_read_b64 v[4:5], v12
.LBB31_229:                             ;   in Loop: Header=BB31_227 Depth=2
	s_or_b64 exec, exec, s[38:39]
	s_and_saveexec_b64 s[38:39], vcc
	s_cbranch_execz .LBB31_226
; %bb.230:                              ;   in Loop: Header=BB31_227 Depth=2
	s_waitcnt lgkmcnt(0)
	v_xor_b32_e32 v3, 0x80000000, v5
	v_and_b32_e32 v7, s85, v3
	v_and_b32_e32 v6, s84, v4
	v_cmp_eq_u64_e32 vcc, s[2:3], v[6:7]
	s_and_b64 exec, exec, vcc
	s_cbranch_execz .LBB31_226
; %bb.231:                              ;   in Loop: Header=BB31_227 Depth=2
	v_mov_b32_e32 v3, v19
	ds_write_b128 v19, v[2:5] offset:3072
	s_branch .LBB31_226
.LBB31_232:                             ;   in Loop: Header=BB31_33 Depth=1
	s_or_b64 exec, exec, s[36:37]
	s_and_b64 s[28:29], s[28:29], exec
.LBB31_233:                             ;   in Loop: Header=BB31_33 Depth=1
	s_or_b64 exec, exec, s[34:35]
	s_mov_b64 s[38:39], -1
	s_mov_b64 s[34:35], 0
	s_mov_b64 s[36:37], 0
.LBB31_234:                             ;   in Loop: Header=BB31_33 Depth=1
	s_mov_b64 s[44:45], 0
                                        ; implicit-def: $sgpr52
	s_and_saveexec_b64 s[40:41], s[28:29]
	s_cbranch_execz .LBB31_296
; %bb.235:                              ;   in Loop: Header=BB31_33 Depth=1
	s_xor_b64 s[28:29], s[42:43], -1
	s_andn2_b64 vcc, exec, s[28:29]
	s_mov_b32 s52, 1
	s_cbranch_vccnz .LBB31_246
; %bb.236:                              ;   in Loop: Header=BB31_33 Depth=1
	s_waitcnt vmcnt(0)
	v_pk_mov_b32 v[4:5], s[18:19], s[18:19] op_sel:[0,1]
	v_cmp_gt_i64_e32 vcc, s[58:59], v[4:5]
	s_mov_b64 s[28:29], -1
                                        ; implicit-def: $sgpr52
                                        ; implicit-def: $sgpr42_sgpr43
                                        ; implicit-def: $sgpr44_sgpr45
	s_cbranch_vccnz .LBB31_242
; %bb.237:                              ;   in Loop: Header=BB31_33 Depth=1
	ds_read_b64 v[4:5], v19 offset:5120
	s_waitcnt lgkmcnt(0)
	v_cmp_ne_u64_e32 vcc, 0, v[4:5]
	s_cbranch_vccnz .LBB31_241
; %bb.238:                              ;   in Loop: Header=BB31_33 Depth=1
	s_mov_b64 s[28:29], exec
	v_readlane_b32 s42, v70, 12
	v_readlane_b32 s43, v70, 13
	s_and_b64 s[42:43], s[28:29], s[42:43]
	s_mov_b64 exec, s[42:43]
	s_cbranch_execz .LBB31_240
; %bb.239:                              ;   in Loop: Header=BB31_33 Depth=1
	v_pk_mov_b32 v[4:5], s[18:19], s[18:19] op_sel:[0,1]
	ds_write_b64 v19, v[4:5] offset:5128
.LBB31_240:                             ;   in Loop: Header=BB31_33 Depth=1
	s_or_b64 exec, exec, s[28:29]
	s_waitcnt lgkmcnt(0)
	s_barrier
.LBB31_241:                             ;   in Loop: Header=BB31_33 Depth=1
	s_lshl_b64 s[28:29], 2, s46
	s_and_b64 s[20:21], s[2:3], s[20:21]
	s_or_b64 s[42:43], s[20:21], s[28:29]
	s_or_b64 s[44:45], s[84:85], s[12:13]
	s_mov_b64 s[28:29], 0
	s_mov_b32 s52, 8
.LBB31_242:                             ;   in Loop: Header=BB31_33 Depth=1
	s_mov_b64 s[72:73], s[48:49]
	s_andn2_b64 vcc, exec, s[28:29]
	s_cbranch_vccnz .LBB31_244
; %bb.243:                              ;   in Loop: Header=BB31_33 Depth=1
	s_sub_u32 s58, s58, s18
	s_subb_u32 s59, s59, s19
	s_mov_b64 s[28:29], -1
	s_mov_b32 s52, 0
	s_mov_b64 s[42:43], s[2:3]
	s_mov_b64 s[44:45], s[84:85]
.LBB31_244:                             ;   in Loop: Header=BB31_33 Depth=1
	s_mov_b64 s[84:85], s[44:45]
	s_mov_b64 s[2:3], s[42:43]
	s_andn2_b64 vcc, exec, s[28:29]
	s_mov_b64 s[48:49], -1
	s_cbranch_vccz .LBB31_247
.LBB31_245:                             ;   in Loop: Header=BB31_33 Depth=1
                                        ; implicit-def: $sgpr28_sgpr29
                                        ; implicit-def: $sgpr44_sgpr45
                                        ; implicit-def: $sgpr42_sgpr43
	s_branch .LBB31_295
.LBB31_246:                             ;   in Loop: Header=BB31_33 Depth=1
	s_mov_b64 s[72:73], s[48:49]
	s_mov_b64 s[58:59], 1
	s_mov_b64 s[48:49], -1
	s_cbranch_execnz .LBB31_245
.LBB31_247:                             ;   in Loop: Header=BB31_33 Depth=1
	s_cmp_eq_u64 s[6:7], 1
	s_cselect_b64 s[18:19], -1, 0
	s_cmp_eq_u64 s[58:59], 1
	s_cselect_b64 s[20:21], -1, 0
	s_and_b64 s[18:19], s[18:19], s[20:21]
	s_mov_b32 s70, s47
	s_mov_b64 s[46:47], -1
	s_and_b64 vcc, exec, s[18:19]
	s_cbranch_vccz .LBB31_262
; %bb.248:                              ;   in Loop: Header=BB31_33 Depth=1
	s_waitcnt vmcnt(0)
	ds_read_b64 v[4:5], v19 offset:5120
	s_waitcnt lgkmcnt(0)
	s_barrier
	v_readfirstlane_b32 s20, v4
	v_readfirstlane_b32 s21, v5
	s_mov_b64 s[28:29], exec
	v_readlane_b32 s42, v70, 14
	v_readlane_b32 s43, v70, 15
	s_and_b64 s[42:43], s[28:29], s[42:43]
	s_mov_b64 exec, s[42:43]
	s_cbranch_execz .LBB31_250
; %bb.249:                              ;   in Loop: Header=BB31_33 Depth=1
	v_mov_b32_e32 v18, v19
	ds_write_b64 v52, v[18:19]
.LBB31_250:                             ;   in Loop: Header=BB31_33 Depth=1
	s_or_b64 exec, exec, s[28:29]
	v_cmp_gt_i64_e64 s[28:29], s[20:21], 0
	s_or_b64 s[2:3], s[2:3], s[12:13]
	s_or_b64 s[84:85], s[84:85], s[12:13]
	s_and_b64 vcc, exec, s[28:29]
	s_waitcnt lgkmcnt(0)
	s_barrier
	s_cbranch_vccnz .LBB31_265
; %bb.251:                              ;   in Loop: Header=BB31_33 Depth=1
	s_mov_b32 s52, s77
	s_cmp_lg_u64 s[52:53], 0
	s_cbranch_scc0 .LBB31_301
; %bb.252:                              ;   in Loop: Header=BB31_33 Depth=1
	v_cvt_f32_u32_e32 v3, s33
	s_sub_u32 s5, 0, s33
	s_subb_u32 s28, 0, 0
	v_mac_f32_e32 v3, 0x4f800000, v59
	v_rcp_f32_e32 v3, v3
	v_mul_f32_e32 v3, 0x5f7ffffc, v3
	v_mul_f32_e32 v4, 0x2f800000, v3
	v_trunc_f32_e32 v4, v4
	v_mac_f32_e32 v3, 0xcf800000, v4
	v_cvt_u32_f32_e32 v4, v4
	v_cvt_u32_f32_e32 v3, v3
	v_readfirstlane_b32 s29, v4
	v_readfirstlane_b32 s42, v3
	s_mul_i32 s43, s5, s29
	s_mul_hi_u32 s45, s5, s42
	s_mul_i32 s44, s28, s42
	s_add_i32 s43, s45, s43
	s_mul_i32 s46, s5, s42
	s_add_i32 s43, s43, s44
	s_mul_hi_u32 s45, s42, s46
	s_mul_hi_u32 s44, s42, s43
	s_mul_i32 s42, s42, s43
	s_add_u32 s42, s45, s42
	s_addc_u32 s44, 0, s44
	s_mul_hi_u32 s47, s29, s46
	s_mul_i32 s46, s29, s46
	s_add_u32 s42, s42, s46
	s_mul_hi_u32 s45, s29, s43
	s_addc_u32 s42, s44, s47
	s_addc_u32 s44, s45, 0
	s_mul_i32 s43, s29, s43
	s_add_u32 s42, s42, s43
	s_addc_u32 s43, 0, s44
	v_add_co_u32_e32 v3, vcc, s42, v3
	s_cmp_lg_u64 vcc, 0
	s_addc_u32 s29, s29, s43
	v_readfirstlane_b32 s43, v3
	s_mul_i32 s42, s5, s29
	s_mul_hi_u32 s44, s5, s43
	s_add_i32 s42, s44, s42
	s_mul_i32 s28, s28, s43
	s_add_i32 s42, s42, s28
	s_mul_i32 s5, s5, s43
	s_mul_hi_u32 s44, s29, s5
	s_mul_i32 s45, s29, s5
	s_mul_i32 s47, s43, s42
	s_mul_hi_u32 s5, s43, s5
	s_mul_hi_u32 s46, s43, s42
	s_add_u32 s5, s5, s47
	s_addc_u32 s43, 0, s46
	s_add_u32 s5, s5, s45
	s_mul_hi_u32 s28, s29, s42
	s_addc_u32 s5, s43, s44
	s_addc_u32 s28, s28, 0
	s_mul_i32 s42, s29, s42
	s_add_u32 s5, s5, s42
	s_addc_u32 s28, 0, s28
	v_add_co_u32_e32 v3, vcc, s5, v3
	s_cmp_lg_u64 vcc, 0
	s_addc_u32 s5, s29, s28
	s_ashr_i32 s28, s53, 31
	v_readlane_b32 s42, v70, 27
	s_add_u32 s42, s42, s28
	s_mov_b32 s29, s28
	s_addc_u32 s43, s53, s28
	s_xor_b64 s[42:43], s[42:43], s[28:29]
	v_readfirstlane_b32 s45, v3
	s_mul_i32 s44, s42, s5
	s_mul_hi_u32 s46, s42, s45
	s_mul_hi_u32 s29, s42, s5
	s_add_u32 s44, s46, s44
	s_addc_u32 s29, 0, s29
	s_mul_hi_u32 s47, s43, s45
	s_mul_i32 s45, s43, s45
	s_add_u32 s44, s44, s45
	s_mul_hi_u32 s46, s43, s5
	s_addc_u32 s29, s29, s47
	s_addc_u32 s44, s46, 0
	s_mul_i32 s5, s43, s5
	s_add_u32 s5, s29, s5
	s_addc_u32 s29, 0, s44
	s_mul_hi_u32 s44, s33, s5
	s_mul_i32 s5, s33, s5
	s_mul_i32 s29, s33, s29
	v_mov_b32_e32 v3, s5
	s_add_i32 s44, s44, s29
	v_sub_co_u32_e32 v3, vcc, s42, v3
	s_cmp_lg_u64 vcc, 0
	s_subb_u32 s5, s43, s44
	v_subrev_co_u32_e32 v4, vcc, s33, v3
	s_cmp_lg_u64 vcc, 0
	s_subb_u32 s29, s5, 0
	v_subrev_co_u32_e32 v5, vcc, s33, v4
	s_cmp_lg_u64 vcc, 0
	s_subb_u32 s42, s29, 0
	v_cmp_le_u32_e32 vcc, s33, v4
	s_cmp_eq_u32 s29, 0
	v_cndmask_b32_e64 v6, 0, -1, vcc
	s_cselect_b64 vcc, -1, 0
	v_cndmask_b32_e32 v6, -1, v6, vcc
	v_mov_b32_e32 v7, s29
	v_mov_b32_e32 v8, s42
	v_cmp_ne_u32_e32 vcc, 0, v6
	v_cndmask_b32_e32 v6, v7, v8, vcc
	v_cndmask_b32_e32 v4, v4, v5, vcc
	v_cmp_le_u32_e32 vcc, s33, v3
	s_cmp_eq_u32 s5, 0
	v_cndmask_b32_e64 v5, 0, -1, vcc
	s_cselect_b64 vcc, -1, 0
	v_cndmask_b32_e32 v5, -1, v5, vcc
	v_cmp_ne_u32_e32 vcc, 0, v5
	v_mov_b32_e32 v7, s5
	v_cndmask_b32_e32 v3, v3, v4, vcc
	v_cndmask_b32_e32 v5, v7, v6, vcc
	v_xor_b32_e32 v3, s28, v3
	v_xor_b32_e32 v5, s28, v5
	v_mov_b32_e32 v6, s28
	v_subrev_co_u32_e32 v4, vcc, s28, v3
	v_subb_co_u32_e32 v5, vcc, v5, v6, vcc
	s_cbranch_execnz .LBB31_254
.LBB31_253:                             ;   in Loop: Header=BB31_33 Depth=1
	v_cvt_f32_u32_e32 v3, s33
	s_sub_i32 s5, 0, s33
	v_rcp_iflag_f32_e32 v3, v3
	v_mul_f32_e32 v3, 0x4f7ffffe, v3
	v_cvt_u32_f32_e32 v3, v3
	v_mul_lo_u32 v4, s5, v3
	v_mul_hi_u32 v4, v3, v4
	v_add_u32_e32 v3, v3, v4
	v_readlane_b32 s5, v70, 27
	v_mul_hi_u32 v3, s5, v3
	v_mul_lo_u32 v3, v3, s33
	v_sub_u32_e32 v3, s5, v3
	v_subrev_u32_e32 v4, s33, v3
	v_cmp_le_u32_e32 vcc, s33, v3
	v_cndmask_b32_e32 v3, v3, v4, vcc
	v_subrev_u32_e32 v4, s33, v3
	v_cmp_le_u32_e32 vcc, s33, v3
	v_cndmask_b32_e32 v18, v3, v4, vcc
	v_pk_mov_b32 v[4:5], v[18:19], v[18:19] op_sel:[0,1]
.LBB31_254:                             ;   in Loop: Header=BB31_33 Depth=1
	v_readlane_b32 s5, v70, 27
	v_mov_b32_e32 v3, s53
	v_sub_co_u32_e32 v8, vcc, s5, v4
	v_subb_co_u32_e32 v9, vcc, v3, v5, vcc
	v_cmp_gt_i64_e32 vcc, v[8:9], v[0:1]
	s_mov_b64 s[46:47], 0
                                        ; implicit-def: $vgpr6_vgpr7
	s_and_saveexec_b64 s[28:29], vcc
	s_cbranch_execz .LBB31_267
; %bb.255:                              ;   in Loop: Header=BB31_33 Depth=1
	s_mov_b64 s[44:45], 0
	v_pk_mov_b32 v[10:11], v[16:17], v[16:17] op_sel:[0,1]
	v_pk_mov_b32 v[12:13], v[0:1], v[0:1] op_sel:[0,1]
                                        ; implicit-def: $sgpr42_sgpr43
	s_branch .LBB31_257
.LBB31_256:                             ;   in Loop: Header=BB31_257 Depth=2
	s_or_b64 exec, exec, s[46:47]
	s_waitcnt lgkmcnt(0)
	s_barrier
	s_waitcnt vmcnt(0)
	ds_read_b128 v[4:7], v19 offset:3072
	v_mov_b32_e32 v3, s60
	v_add_co_u32_e32 v12, vcc, s33, v12
	v_addc_co_u32_e32 v13, vcc, v13, v3, vcc
	s_waitcnt lgkmcnt(0)
	v_readfirstlane_b32 s47, v5
	v_readfirstlane_b32 s46, v4
	s_cmp_lg_u64 s[46:47], 0
	s_cselect_b64 s[46:47], -1, 0
	v_cmp_ge_i64_e32 vcc, v[12:13], v[8:9]
	s_or_b64 s[48:49], s[46:47], vcc
	s_and_b64 s[48:49], exec, s[48:49]
	s_or_b64 s[44:45], s[48:49], s[44:45]
	v_mov_b32_e32 v3, s79
	v_add_co_u32_e32 v10, vcc, s78, v10
	s_andn2_b64 s[42:43], s[42:43], exec
	s_and_b64 s[46:47], s[46:47], exec
	v_addc_co_u32_e32 v11, vcc, v11, v3, vcc
	s_or_b64 s[42:43], s[42:43], s[46:47]
	s_barrier
	s_andn2_b64 exec, exec, s[44:45]
	s_cbranch_execz .LBB31_266
.LBB31_257:                             ;   Parent Loop BB31_33 Depth=1
                                        ; =>  This Inner Loop Header: Depth=2
	v_cmp_gt_i64_e32 vcc, s[56:57], v[12:13]
	v_pk_mov_b32 v[4:5], 0, 0
	s_and_saveexec_b64 s[46:47], vcc
	s_cbranch_execz .LBB31_259
; %bb.258:                              ;   in Loop: Header=BB31_257 Depth=2
	global_load_dwordx2 v[4:5], v[10:11], off
.LBB31_259:                             ;   in Loop: Header=BB31_257 Depth=2
	s_or_b64 exec, exec, s[46:47]
	s_and_saveexec_b64 s[46:47], vcc
	s_cbranch_execz .LBB31_256
; %bb.260:                              ;   in Loop: Header=BB31_257 Depth=2
	s_waitcnt vmcnt(0)
	v_xor_b32_e32 v3, 0x80000000, v5
	v_and_b32_e32 v7, s85, v3
	v_and_b32_e32 v6, s84, v4
	v_cmp_eq_u64_e32 vcc, s[2:3], v[6:7]
	s_and_b64 exec, exec, vcc
	s_cbranch_execz .LBB31_256
; %bb.261:                              ;   in Loop: Header=BB31_257 Depth=2
	v_mov_b32_e32 v3, v19
	ds_write_b128 v19, v[2:5] offset:3072
	s_branch .LBB31_256
.LBB31_262:                             ;   in Loop: Header=BB31_33 Depth=1
                                        ; implicit-def: $sgpr28_sgpr29
                                        ; implicit-def: $sgpr44_sgpr45
                                        ; implicit-def: $sgpr42_sgpr43
	s_branch .LBB31_281
.LBB31_263:                             ;   in Loop: Header=BB31_33 Depth=1
                                        ; implicit-def: $vgpr4_vgpr5
	s_branch .LBB31_206
.LBB31_264:                             ;   in Loop: Header=BB31_33 Depth=1
                                        ; implicit-def: $vgpr4_vgpr5
	s_branch .LBB31_223
.LBB31_265:                             ;   in Loop: Header=BB31_33 Depth=1
	s_mov_b64 s[28:29], -1
	s_mov_b64 s[46:47], 0
                                        ; implicit-def: $sgpr42_sgpr43
                                        ; implicit-def: $vgpr6_vgpr7
	s_mov_b64 s[44:45], s[28:29]
	s_cbranch_execnz .LBB31_268
	s_branch .LBB31_281
.LBB31_266:                             ;   in Loop: Header=BB31_33 Depth=1
	s_or_b64 exec, exec, s[44:45]
	s_and_b64 s[46:47], s[42:43], exec
.LBB31_267:                             ;   in Loop: Header=BB31_33 Depth=1
	s_or_b64 exec, exec, s[28:29]
	s_mov_b64 s[42:43], -1
	s_mov_b64 s[28:29], 0
	s_mov_b64 s[44:45], s[28:29]
	s_branch .LBB31_281
.LBB31_268:                             ;   in Loop: Header=BB31_33 Depth=1
	v_readlane_b32 s5, v70, 26
	s_add_u32 s5, s5, s20
	v_readlane_b32 s28, v70, 28
	s_addc_u32 s29, s28, s21
	s_mov_b32 s28, s77
	s_cmp_lg_u64 s[28:29], 0
	s_cbranch_scc0 .LBB31_302
; %bb.269:                              ;   in Loop: Header=BB31_33 Depth=1
	v_cvt_f32_u32_e32 v3, s33
	s_sub_u32 s28, 0, s33
	s_subb_u32 s42, 0, 0
	v_mac_f32_e32 v3, 0x4f800000, v59
	v_rcp_f32_e32 v3, v3
	v_mul_f32_e32 v3, 0x5f7ffffc, v3
	v_mul_f32_e32 v4, 0x2f800000, v3
	v_trunc_f32_e32 v4, v4
	v_mac_f32_e32 v3, 0xcf800000, v4
	v_cvt_u32_f32_e32 v4, v4
	v_cvt_u32_f32_e32 v3, v3
	v_readfirstlane_b32 s43, v4
	v_readfirstlane_b32 s44, v3
	s_mul_i32 s45, s28, s43
	s_mul_hi_u32 s47, s28, s44
	s_mul_i32 s46, s42, s44
	s_add_i32 s45, s47, s45
	s_mul_i32 s48, s28, s44
	s_add_i32 s45, s45, s46
	s_mul_hi_u32 s47, s44, s48
	s_mul_hi_u32 s46, s44, s45
	s_mul_i32 s44, s44, s45
	s_add_u32 s44, s47, s44
	s_addc_u32 s46, 0, s46
	s_mul_hi_u32 s49, s43, s48
	s_mul_i32 s48, s43, s48
	s_add_u32 s44, s44, s48
	s_mul_hi_u32 s47, s43, s45
	s_addc_u32 s44, s46, s49
	s_addc_u32 s46, s47, 0
	s_mul_i32 s45, s43, s45
	s_add_u32 s44, s44, s45
	s_addc_u32 s45, 0, s46
	v_add_co_u32_e32 v3, vcc, s44, v3
	s_cmp_lg_u64 vcc, 0
	s_addc_u32 s43, s43, s45
	v_readfirstlane_b32 s45, v3
	s_mul_i32 s44, s28, s43
	s_mul_hi_u32 s46, s28, s45
	s_add_i32 s44, s46, s44
	s_mul_i32 s42, s42, s45
	s_add_i32 s44, s44, s42
	s_mul_i32 s28, s28, s45
	s_mul_hi_u32 s46, s43, s28
	s_mul_i32 s47, s43, s28
	s_mul_i32 s49, s45, s44
	s_mul_hi_u32 s28, s45, s28
	s_mul_hi_u32 s48, s45, s44
	s_add_u32 s28, s28, s49
	s_addc_u32 s45, 0, s48
	s_add_u32 s28, s28, s47
	s_mul_hi_u32 s42, s43, s44
	s_addc_u32 s28, s45, s46
	s_addc_u32 s42, s42, 0
	s_mul_i32 s44, s43, s44
	s_add_u32 s28, s28, s44
	s_addc_u32 s42, 0, s42
	v_add_co_u32_e32 v3, vcc, s28, v3
	s_cmp_lg_u64 vcc, 0
	s_addc_u32 s28, s43, s42
	s_ashr_i32 s42, s29, 31
	s_add_u32 s44, s5, s42
	s_mov_b32 s43, s42
	s_addc_u32 s45, s29, s42
	s_xor_b64 s[44:45], s[44:45], s[42:43]
	v_readfirstlane_b32 s47, v3
	s_mul_i32 s46, s44, s28
	s_mul_hi_u32 s48, s44, s47
	s_mul_hi_u32 s43, s44, s28
	s_add_u32 s46, s48, s46
	s_addc_u32 s43, 0, s43
	s_mul_hi_u32 s49, s45, s47
	s_mul_i32 s47, s45, s47
	s_add_u32 s46, s46, s47
	s_mul_hi_u32 s48, s45, s28
	s_addc_u32 s43, s43, s49
	s_addc_u32 s46, s48, 0
	s_mul_i32 s28, s45, s28
	s_add_u32 s28, s43, s28
	s_addc_u32 s43, 0, s46
	s_mul_hi_u32 s46, s33, s28
	s_mul_i32 s28, s33, s28
	s_mul_i32 s43, s33, s43
	v_mov_b32_e32 v3, s28
	s_add_i32 s46, s46, s43
	v_sub_co_u32_e32 v3, vcc, s44, v3
	s_cmp_lg_u64 vcc, 0
	s_subb_u32 s28, s45, s46
	v_subrev_co_u32_e32 v4, vcc, s33, v3
	s_cmp_lg_u64 vcc, 0
	s_subb_u32 s43, s28, 0
	v_subrev_co_u32_e32 v5, vcc, s33, v4
	s_cmp_lg_u64 vcc, 0
	s_subb_u32 s44, s43, 0
	v_cmp_le_u32_e32 vcc, s33, v4
	s_cmp_eq_u32 s43, 0
	v_cndmask_b32_e64 v6, 0, -1, vcc
	s_cselect_b64 vcc, -1, 0
	v_cndmask_b32_e32 v6, -1, v6, vcc
	v_mov_b32_e32 v7, s43
	v_mov_b32_e32 v8, s44
	v_cmp_ne_u32_e32 vcc, 0, v6
	v_cndmask_b32_e32 v6, v7, v8, vcc
	v_cndmask_b32_e32 v4, v4, v5, vcc
	v_cmp_le_u32_e32 vcc, s33, v3
	s_cmp_eq_u32 s28, 0
	v_cndmask_b32_e64 v5, 0, -1, vcc
	s_cselect_b64 vcc, -1, 0
	v_cndmask_b32_e32 v5, -1, v5, vcc
	v_cmp_ne_u32_e32 vcc, 0, v5
	v_mov_b32_e32 v7, s28
	v_cndmask_b32_e32 v3, v3, v4, vcc
	v_cndmask_b32_e32 v5, v7, v6, vcc
	v_xor_b32_e32 v3, s42, v3
	v_xor_b32_e32 v5, s42, v5
	v_mov_b32_e32 v6, s42
	v_subrev_co_u32_e32 v4, vcc, s42, v3
	v_subb_co_u32_e32 v5, vcc, v5, v6, vcc
	s_cbranch_execnz .LBB31_271
.LBB31_270:                             ;   in Loop: Header=BB31_33 Depth=1
	v_cvt_f32_u32_e32 v3, s33
	s_sub_i32 s28, 0, s33
	v_rcp_iflag_f32_e32 v3, v3
	v_mul_f32_e32 v3, 0x4f7ffffe, v3
	v_cvt_u32_f32_e32 v3, v3
	v_mul_lo_u32 v4, s28, v3
	v_mul_hi_u32 v4, v3, v4
	v_add_u32_e32 v3, v3, v4
	v_mul_hi_u32 v3, s5, v3
	v_mul_lo_u32 v3, v3, s33
	v_sub_u32_e32 v3, s5, v3
	v_subrev_u32_e32 v4, s33, v3
	v_cmp_le_u32_e32 vcc, s33, v3
	v_cndmask_b32_e32 v3, v3, v4, vcc
	v_subrev_u32_e32 v4, s33, v3
	v_cmp_le_u32_e32 vcc, s33, v3
	v_cndmask_b32_e32 v18, v3, v4, vcc
	v_pk_mov_b32 v[4:5], v[18:19], v[18:19] op_sel:[0,1]
.LBB31_271:                             ;   in Loop: Header=BB31_33 Depth=1
	v_mov_b32_e32 v3, s29
	v_sub_co_u32_e32 v8, vcc, s5, v4
	v_subb_co_u32_e32 v9, vcc, v3, v5, vcc
	v_cmp_gt_i64_e32 vcc, v[8:9], v[0:1]
	s_mov_b64 s[46:47], 0
                                        ; implicit-def: $vgpr6_vgpr7
	s_and_saveexec_b64 s[28:29], vcc
	s_cbranch_execz .LBB31_280
; %bb.272:                              ;   in Loop: Header=BB31_33 Depth=1
	s_mov_b64 s[44:45], 0
	v_mov_b32_e32 v12, v51
	v_pk_mov_b32 v[10:11], v[0:1], v[0:1] op_sel:[0,1]
                                        ; implicit-def: $sgpr42_sgpr43
	s_branch .LBB31_274
.LBB31_273:                             ;   in Loop: Header=BB31_274 Depth=2
	s_or_b64 exec, exec, s[46:47]
	s_waitcnt lgkmcnt(0)
	s_barrier
	ds_read_b128 v[4:7], v19 offset:3072
	v_mov_b32_e32 v3, s60
	v_add_co_u32_e32 v10, vcc, s33, v10
	v_addc_co_u32_e32 v11, vcc, v11, v3, vcc
	s_waitcnt lgkmcnt(0)
	v_readfirstlane_b32 s47, v5
	v_readfirstlane_b32 s46, v4
	s_cmp_lg_u64 s[46:47], 0
	s_cselect_b64 s[46:47], -1, 0
	v_cmp_ge_i64_e32 vcc, v[10:11], v[8:9]
	s_or_b64 s[48:49], s[46:47], vcc
	s_and_b64 s[48:49], exec, s[48:49]
	s_or_b64 s[44:45], s[48:49], s[44:45]
	s_andn2_b64 s[42:43], s[42:43], exec
	s_and_b64 s[46:47], s[46:47], exec
	v_add_u32_e32 v12, s4, v12
	s_or_b64 s[42:43], s[42:43], s[46:47]
	s_barrier
	s_andn2_b64 exec, exec, s[44:45]
	s_cbranch_execz .LBB31_279
.LBB31_274:                             ;   Parent Loop BB31_33 Depth=1
                                        ; =>  This Inner Loop Header: Depth=2
	v_cmp_gt_i64_e32 vcc, s[20:21], v[10:11]
	v_pk_mov_b32 v[4:5], 0, 0
	s_and_saveexec_b64 s[46:47], vcc
	s_cbranch_execz .LBB31_276
; %bb.275:                              ;   in Loop: Header=BB31_274 Depth=2
	ds_read_b64 v[4:5], v12
.LBB31_276:                             ;   in Loop: Header=BB31_274 Depth=2
	s_or_b64 exec, exec, s[46:47]
	s_and_saveexec_b64 s[46:47], vcc
	s_cbranch_execz .LBB31_273
; %bb.277:                              ;   in Loop: Header=BB31_274 Depth=2
	s_waitcnt lgkmcnt(0)
	v_xor_b32_e32 v3, 0x80000000, v5
	v_and_b32_e32 v7, s85, v3
	v_and_b32_e32 v6, s84, v4
	v_cmp_eq_u64_e32 vcc, s[2:3], v[6:7]
	s_and_b64 exec, exec, vcc
	s_cbranch_execz .LBB31_273
; %bb.278:                              ;   in Loop: Header=BB31_274 Depth=2
	v_mov_b32_e32 v3, v19
	ds_write_b128 v19, v[2:5] offset:3072
	s_branch .LBB31_273
.LBB31_279:                             ;   in Loop: Header=BB31_33 Depth=1
	s_or_b64 exec, exec, s[44:45]
	s_and_b64 s[46:47], s[42:43], exec
.LBB31_280:                             ;   in Loop: Header=BB31_33 Depth=1
	s_or_b64 exec, exec, s[28:29]
	s_mov_b64 s[44:45], -1
	s_mov_b64 s[28:29], 0
	s_mov_b64 s[42:43], 0
.LBB31_281:                             ;   in Loop: Header=BB31_33 Depth=1
	s_mov_b64 s[48:49], 0
                                        ; implicit-def: $sgpr52
                                        ; implicit-def: $sgpr50_sgpr51
	s_and_saveexec_b64 s[20:21], s[46:47]
	s_cbranch_execz .LBB31_294
; %bb.282:                              ;   in Loop: Header=BB31_33 Depth=1
	s_xor_b64 s[18:19], s[18:19], -1
	s_mov_b64 s[50:51], 1
	s_andn2_b64 vcc, exec, s[18:19]
	s_mov_b32 s52, 1
	s_cbranch_vccnz .LBB31_293
; %bb.283:                              ;   in Loop: Header=BB31_33 Depth=1
	s_waitcnt vmcnt(0)
	v_pk_mov_b32 v[4:5], s[6:7], s[6:7] op_sel:[0,1]
	v_cmp_gt_i64_e32 vcc, s[58:59], v[4:5]
	s_cbranch_vccnz .LBB31_289
; %bb.284:                              ;   in Loop: Header=BB31_33 Depth=1
	ds_read_b64 v[4:5], v19 offset:5120
	s_waitcnt lgkmcnt(0)
	v_cmp_ne_u64_e32 vcc, 0, v[4:5]
	s_cbranch_vccnz .LBB31_288
; %bb.285:                              ;   in Loop: Header=BB31_33 Depth=1
	s_mov_b64 s[18:19], exec
	v_readlane_b32 s46, v70, 12
	v_readlane_b32 s47, v70, 13
	s_and_b64 s[46:47], s[18:19], s[46:47]
	s_mov_b64 exec, s[46:47]
	s_cbranch_execz .LBB31_287
; %bb.286:                              ;   in Loop: Header=BB31_33 Depth=1
	v_pk_mov_b32 v[4:5], s[6:7], s[6:7] op_sel:[0,1]
	ds_write_b64 v19, v[4:5] offset:5128
.LBB31_287:                             ;   in Loop: Header=BB31_33 Depth=1
	s_or_b64 exec, exec, s[18:19]
	s_waitcnt lgkmcnt(0)
	s_barrier
.LBB31_288:                             ;   in Loop: Header=BB31_33 Depth=1
	s_or_b64 s[18:19], s[2:3], s[12:13]
	s_or_b64 s[12:13], s[84:85], s[12:13]
	s_mov_b64 s[46:47], 0
	s_mov_b32 s52, 8
	s_branch .LBB31_290
.LBB31_289:                             ;   in Loop: Header=BB31_33 Depth=1
	s_mov_b64 s[46:47], -1
                                        ; implicit-def: $sgpr52
                                        ; implicit-def: $sgpr18_sgpr19
                                        ; implicit-def: $sgpr12_sgpr13
.LBB31_290:                             ;   in Loop: Header=BB31_33 Depth=1
	s_andn2_b64 vcc, exec, s[46:47]
	s_cbranch_vccnz .LBB31_292
; %bb.291:                              ;   in Loop: Header=BB31_33 Depth=1
	s_sub_u32 s58, s58, s6
	s_subb_u32 s59, s59, s7
	s_mov_b32 s52, 8
	s_mov_b64 s[18:19], s[2:3]
	s_mov_b64 s[12:13], s[84:85]
.LBB31_292:                             ;   in Loop: Header=BB31_33 Depth=1
	s_mov_b64 s[50:51], s[58:59]
	s_mov_b64 s[2:3], s[18:19]
	;; [unrolled: 1-line block ×3, first 2 shown]
.LBB31_293:                             ;   in Loop: Header=BB31_33 Depth=1
	s_mov_b64 s[48:49], exec
.LBB31_294:                             ;   in Loop: Header=BB31_33 Depth=1
	s_or_b64 exec, exec, s[20:21]
	s_mov_b64 s[58:59], s[50:51]
	s_mov_b32 s47, s70
.LBB31_295:                             ;   in Loop: Header=BB31_33 Depth=1
	s_andn2_b64 s[6:7], s[34:35], exec
	s_and_b64 s[12:13], s[28:29], exec
	s_or_b64 s[34:35], s[6:7], s[12:13]
	s_andn2_b64 s[6:7], s[38:39], exec
	s_and_b64 s[12:13], s[44:45], exec
	s_or_b64 s[38:39], s[6:7], s[12:13]
	;; [unrolled: 3-line block ×3, first 2 shown]
	s_and_b64 s[44:45], s[48:49], exec
	s_mov_b64 s[48:49], s[72:73]
.LBB31_296:                             ;   in Loop: Header=BB31_33 Depth=1
	s_or_b64 exec, exec, s[40:41]
	s_mov_b64 s[40:41], s[74:75]
	s_mov_b64 s[42:43], s[90:91]
.LBB31_297:                             ;   in Loop: Header=BB31_33 Depth=1
	s_andn2_b64 s[6:7], s[24:25], exec
	s_and_b64 s[12:13], s[34:35], exec
	s_or_b64 s[24:25], s[6:7], s[12:13]
	s_andn2_b64 s[6:7], s[26:27], exec
	s_and_b64 s[12:13], s[38:39], exec
	s_or_b64 s[26:27], s[6:7], s[12:13]
	;; [unrolled: 3-line block ×3, first 2 shown]
	s_and_b64 s[38:39], s[44:45], exec
	v_readlane_b32 s45, v70, 48
.LBB31_298:                             ;   in Loop: Header=BB31_33 Depth=1
	s_or_b64 exec, exec, s[30:31]
	s_and_saveexec_b64 s[6:7], s[38:39]
	s_xor_b64 s[6:7], exec, s[6:7]
	s_cbranch_execz .LBB31_31
.LBB31_299:                             ;   in Loop: Header=BB31_33 Depth=1
	s_and_b32 s5, s52, -9
	s_cmp_eq_u32 s5, 0
	s_cbranch_scc1 .LBB31_29
; %bb.300:                              ;   in Loop: Header=BB31_33 Depth=1
	s_mov_b64 s[12:13], -1
                                        ; implicit-def: $sgpr84_sgpr85
                                        ; implicit-def: $sgpr47
                                        ; implicit-def: $sgpr61
	s_mov_b64 s[16:17], -1
	s_branch .LBB31_30
.LBB31_301:                             ;   in Loop: Header=BB31_33 Depth=1
                                        ; implicit-def: $vgpr4_vgpr5
	s_branch .LBB31_253
.LBB31_302:                             ;   in Loop: Header=BB31_33 Depth=1
                                        ; implicit-def: $vgpr4_vgpr5
	s_branch .LBB31_270
.LBB31_303:
	s_or_b64 exec, exec, s[66:67]
	s_xor_b64 s[6:7], s[42:43], -1
	s_xor_b64 s[0:1], s[40:41], -1
	;; [unrolled: 1-line block ×3, first 2 shown]
	s_mov_b64 s[2:3], 0
	s_and_saveexec_b64 s[8:9], s[0:1]
	s_xor_b64 s[0:1], exec, s[8:9]
	s_cbranch_execnz .LBB31_308
; %bb.304:
	s_andn2_saveexec_b64 s[0:1], s[0:1]
	s_cbranch_execnz .LBB31_330
.LBB31_305:
	s_or_b64 exec, exec, s[0:1]
	s_and_saveexec_b64 s[0:1], s[2:3]
.LBB31_306:
	; divergent unreachable
.LBB31_307:
	s_endpgm
.LBB31_308:
	s_and_saveexec_b64 s[2:3], s[6:7]
	s_xor_b64 s[2:3], exec, s[2:3]
	s_cbranch_execz .LBB31_328
; %bb.309:
	s_and_saveexec_b64 s[6:7], s[4:5]
	s_xor_b64 s[4:5], exec, s[6:7]
; %bb.310:
	v_xor_b32_e32 v5, 0x80000000, v5
	v_pk_mov_b32 v[6:7], v[4:5], v[4:5] op_sel:[0,1]
; %bb.311:
	s_or_b64 exec, exec, s[4:5]
	s_mov_b64 s[4:5], exec
	v_readlane_b32 s6, v70, 12
	v_readlane_b32 s7, v70, 13
	s_and_b64 s[6:7], s[4:5], s[6:7]
	s_mov_b64 exec, s[6:7]
	s_cbranch_execz .LBB31_313
; %bb.312:
	v_mov_b32_e32 v2, 0
	v_mov_b32_e32 v3, s56
	ds_write_b32 v2, v3 offset:5140
.LBB31_313:
	s_or_b64 exec, exec, s[4:5]
	s_waitcnt lgkmcnt(0)
	s_barrier
	s_mov_b64 s[4:5], exec
	v_readlane_b32 s6, v70, 22
	v_readlane_b32 s7, v70, 23
	s_and_b64 s[6:7], s[4:5], s[6:7]
	s_mov_b64 exec, s[6:7]
	s_cbranch_execz .LBB31_325
; %bb.314:
	v_mov_b32_e32 v2, 0
	ds_read_b32 v4, v2 offset:5140
	s_mov_b64 s[6:7], 0
                                        ; implicit-def: $sgpr8_sgpr9
                                        ; implicit-def: $sgpr10_sgpr11
                                        ; implicit-def: $sgpr12_sgpr13
	s_waitcnt lgkmcnt(0)
	v_ashrrev_i32_e32 v5, 31, v4
	s_branch .LBB31_317
.LBB31_315:                             ;   in Loop: Header=BB31_317 Depth=1
	s_or_b64 exec, exec, s[18:19]
	s_andn2_b64 s[12:13], s[12:13], exec
	s_and_b64 s[16:17], s[16:17], exec
	s_or_b64 s[12:13], s[12:13], s[16:17]
	s_andn2_b64 s[10:11], s[10:11], exec
	s_and_b64 s[16:17], s[20:21], exec
	s_or_b64 s[10:11], s[10:11], s[16:17]
.LBB31_316:                             ;   in Loop: Header=BB31_317 Depth=1
	s_or_b64 exec, exec, s[14:15]
	s_and_b64 s[14:15], exec, s[10:11]
	s_or_b64 s[6:7], s[14:15], s[6:7]
	s_andn2_b64 s[8:9], s[8:9], exec
	s_and_b64 s[14:15], s[12:13], exec
	s_or_b64 s[8:9], s[8:9], s[14:15]
	s_andn2_b64 exec, exec, s[6:7]
	s_cbranch_execz .LBB31_320
.LBB31_317:                             ; =>This Inner Loop Header: Depth=1
	v_pk_mov_b32 v[2:3], v[0:1], v[0:1] op_sel:[0,1]
	v_cmp_lt_i64_e32 vcc, v[2:3], v[4:5]
	s_or_b64 s[12:13], s[12:13], exec
	s_or_b64 s[10:11], s[10:11], exec
                                        ; implicit-def: $vgpr0_vgpr1
	s_and_saveexec_b64 s[14:15], vcc
	s_cbranch_execz .LBB31_316
; %bb.318:                              ;   in Loop: Header=BB31_317 Depth=1
	global_load_dwordx2 v[0:1], v[16:17], off
	s_mov_b64 s[20:21], -1
	s_mov_b64 s[16:17], 0
	s_waitcnt vmcnt(0)
	v_cmp_ne_u64_e32 vcc, v[0:1], v[6:7]
                                        ; implicit-def: $vgpr0_vgpr1
	s_and_saveexec_b64 s[18:19], vcc
	s_cbranch_execz .LBB31_315
; %bb.319:                              ;   in Loop: Header=BB31_317 Depth=1
	v_mov_b32_e32 v1, s60
	v_add_co_u32_e32 v0, vcc, s33, v2
	v_addc_co_u32_e32 v1, vcc, v3, v1, vcc
	v_mov_b32_e32 v3, s79
	v_add_co_u32_e32 v16, vcc, s78, v16
	v_addc_co_u32_e32 v17, vcc, v17, v3, vcc
	v_cmp_le_i64_e32 vcc, s[56:57], v[0:1]
	s_mov_b64 s[16:17], exec
	s_orn2_b64 s[20:21], vcc, exec
	s_branch .LBB31_315
.LBB31_320:
	s_or_b64 exec, exec, s[6:7]
	s_xor_b64 s[6:7], s[8:9], -1
	s_and_saveexec_b64 s[8:9], s[6:7]
	s_xor_b64 s[8:9], exec, s[8:9]
	s_cbranch_execz .LBB31_325
; %bb.321:
	s_mov_b64 s[6:7], exec
	s_brev_b32 s8, -2
.LBB31_322:                             ; =>This Inner Loop Header: Depth=1
	s_ff1_i32_b64 s9, s[6:7]
	v_readlane_b32 s12, v2, s9
	s_lshl_b64 s[10:11], 1, s9
	s_min_i32 s8, s8, s12
	s_andn2_b64 s[6:7], s[6:7], s[10:11]
	s_cmp_lg_u64 s[6:7], 0
	s_cbranch_scc1 .LBB31_322
; %bb.323:
	v_mbcnt_lo_u32_b32 v0, exec_lo, 0
	v_mbcnt_hi_u32_b32 v0, exec_hi, v0
	v_cmp_eq_u32_e32 vcc, 0, v0
	s_and_saveexec_b64 s[6:7], vcc
	s_xor_b64 s[6:7], exec, s[6:7]
	s_cbranch_execz .LBB31_325
; %bb.324:
	v_mov_b32_e32 v0, 0
	v_mov_b32_e32 v1, s8
	ds_min_i32 v0, v1 offset:5140
.LBB31_325:
	s_or_b64 exec, exec, s[4:5]
	s_waitcnt lgkmcnt(0)
	s_barrier
	s_mov_b64 s[4:5], exec
	v_readlane_b32 s6, v70, 12
	v_readlane_b32 s7, v70, 13
	s_and_b64 s[6:7], s[4:5], s[6:7]
	s_mov_b64 exec, s[6:7]
	s_cbranch_execz .LBB31_327
; %bb.326:
	v_readlane_b32 s8, v70, 2
	v_readlane_b32 s9, v70, 3
	v_readlane_b32 s10, v70, 4
	v_readlane_b32 s11, v70, 5
	s_mul_i32 s6, s10, s9
	s_mul_hi_u32 s7, s10, s8
	s_add_i32 s6, s7, s6
	s_mul_i32 s7, s11, s8
	s_add_i32 s7, s6, s7
	s_mul_i32 s6, s10, s8
	v_readlane_b32 s10, v70, 8
	v_readlane_b32 s11, v70, 9
	s_mul_i32 s8, s10, s69
	s_mul_hi_u32 s9, s10, s68
	s_add_i32 s8, s9, s8
	s_mul_i32 s9, s11, s68
	s_add_i32 s9, s8, s9
	s_mul_i32 s8, s10, s68
	s_lshl_b64 s[6:7], s[6:7], 3
	v_readlane_b32 s10, v70, 6
	v_readlane_b32 s11, v70, 7
	s_add_u32 s10, s10, s6
	s_addc_u32 s11, s11, s7
	v_readlane_b32 s6, v70, 0
	v_readlane_b32 s7, v70, 1
	s_lshl_b64 s[6:7], s[6:7], 3
	v_mov_b32_e32 v2, 0
	s_add_u32 s6, s10, s6
	ds_read_b32 v0, v2 offset:5140
	s_addc_u32 s7, s11, s7
	s_lshl_b64 s[8:9], s[8:9], 3
	v_readlane_b32 s10, v70, 10
	v_readlane_b32 s11, v70, 11
	s_add_u32 s10, s10, s8
	s_addc_u32 s11, s11, s9
	s_lshl_b64 s[8:9], s[64:65], 3
	s_add_u32 s8, s10, s8
	s_addc_u32 s9, s11, s9
	s_waitcnt lgkmcnt(0)
	v_ashrrev_i32_e32 v1, 31, v0
	global_store_dwordx2 v2, v[0:1], s[8:9]
	global_store_dwordx2 v2, v[6:7], s[6:7]
.LBB31_327:
	s_or_b64 exec, exec, s[4:5]
.LBB31_328:
	s_or_saveexec_b64 s[2:3], s[2:3]
	s_mov_b64 s[4:5], 0
	s_xor_b64 exec, exec, s[2:3]
	s_cbranch_execnz .LBB31_331
.LBB31_329:
	s_or_b64 exec, exec, s[2:3]
	s_and_b64 s[2:3], s[4:5], exec
	s_andn2_saveexec_b64 s[0:1], s[0:1]
	s_cbranch_execz .LBB31_305
.LBB31_330:
	s_or_b64 s[2:3], s[2:3], exec
	s_trap 2
	s_or_b64 exec, exec, s[0:1]
	s_and_saveexec_b64 s[0:1], s[2:3]
	s_cbranch_execnz .LBB31_306
	s_branch .LBB31_307
.LBB31_331:
	s_mov_b64 s[4:5], exec
	s_trap 2
	s_branch .LBB31_329
	.section	.rodata,"a",@progbits
	.p2align	6, 0x0
	.amdhsa_kernel _ZN2at6native12_GLOBAL__N_114gatherKthValueIllLin1EEEvNS_4cuda6detail10TensorInfoIKT_T0_EES8_S8_S8_S8_NS5_IS6_S8_EENS5_IlS8_EE
		.amdhsa_group_segment_fixed_size 5144
		.amdhsa_private_segment_fixed_size 0
		.amdhsa_kernarg_size 1536
		.amdhsa_user_sgpr_count 6
		.amdhsa_user_sgpr_private_segment_buffer 1
		.amdhsa_user_sgpr_dispatch_ptr 0
		.amdhsa_user_sgpr_queue_ptr 0
		.amdhsa_user_sgpr_kernarg_segment_ptr 1
		.amdhsa_user_sgpr_dispatch_id 0
		.amdhsa_user_sgpr_flat_scratch_init 0
		.amdhsa_user_sgpr_kernarg_preload_length 0
		.amdhsa_user_sgpr_kernarg_preload_offset 0
		.amdhsa_user_sgpr_private_segment_size 0
		.amdhsa_uses_dynamic_stack 0
		.amdhsa_system_sgpr_private_segment_wavefront_offset 0
		.amdhsa_system_sgpr_workgroup_id_x 1
		.amdhsa_system_sgpr_workgroup_id_y 1
		.amdhsa_system_sgpr_workgroup_id_z 1
		.amdhsa_system_sgpr_workgroup_info 0
		.amdhsa_system_vgpr_workitem_id 0
		.amdhsa_next_free_vgpr 71
		.amdhsa_next_free_sgpr 96
		.amdhsa_accum_offset 72
		.amdhsa_reserve_vcc 1
		.amdhsa_reserve_flat_scratch 0
		.amdhsa_float_round_mode_32 0
		.amdhsa_float_round_mode_16_64 0
		.amdhsa_float_denorm_mode_32 3
		.amdhsa_float_denorm_mode_16_64 3
		.amdhsa_dx10_clamp 1
		.amdhsa_ieee_mode 1
		.amdhsa_fp16_overflow 0
		.amdhsa_tg_split 0
		.amdhsa_exception_fp_ieee_invalid_op 0
		.amdhsa_exception_fp_denorm_src 0
		.amdhsa_exception_fp_ieee_div_zero 0
		.amdhsa_exception_fp_ieee_overflow 0
		.amdhsa_exception_fp_ieee_underflow 0
		.amdhsa_exception_fp_ieee_inexact 0
		.amdhsa_exception_int_div_zero 0
	.end_amdhsa_kernel
	.section	.text._ZN2at6native12_GLOBAL__N_114gatherKthValueIllLin1EEEvNS_4cuda6detail10TensorInfoIKT_T0_EES8_S8_S8_S8_NS5_IS6_S8_EENS5_IlS8_EE,"axG",@progbits,_ZN2at6native12_GLOBAL__N_114gatherKthValueIllLin1EEEvNS_4cuda6detail10TensorInfoIKT_T0_EES8_S8_S8_S8_NS5_IS6_S8_EENS5_IlS8_EE,comdat
.Lfunc_end31:
	.size	_ZN2at6native12_GLOBAL__N_114gatherKthValueIllLin1EEEvNS_4cuda6detail10TensorInfoIKT_T0_EES8_S8_S8_S8_NS5_IS6_S8_EENS5_IlS8_EE, .Lfunc_end31-_ZN2at6native12_GLOBAL__N_114gatherKthValueIllLin1EEEvNS_4cuda6detail10TensorInfoIKT_T0_EES8_S8_S8_S8_NS5_IS6_S8_EENS5_IlS8_EE
                                        ; -- End function
	.section	.AMDGPU.csdata,"",@progbits
; Kernel info:
; codeLenInByte = 19412
; NumSgprs: 100
; NumVgprs: 71
; NumAgprs: 0
; TotalNumVgprs: 71
; ScratchSize: 0
; MemoryBound: 0
; FloatMode: 240
; IeeeMode: 1
; LDSByteSize: 5144 bytes/workgroup (compile time only)
; SGPRBlocks: 12
; VGPRBlocks: 8
; NumSGPRsForWavesPerEU: 100
; NumVGPRsForWavesPerEU: 71
; AccumOffset: 72
; Occupancy: 7
; WaveLimiterHint : 1
; COMPUTE_PGM_RSRC2:SCRATCH_EN: 0
; COMPUTE_PGM_RSRC2:USER_SGPR: 6
; COMPUTE_PGM_RSRC2:TRAP_HANDLER: 0
; COMPUTE_PGM_RSRC2:TGID_X_EN: 1
; COMPUTE_PGM_RSRC2:TGID_Y_EN: 1
; COMPUTE_PGM_RSRC2:TGID_Z_EN: 1
; COMPUTE_PGM_RSRC2:TIDIG_COMP_CNT: 0
; COMPUTE_PGM_RSRC3_GFX90A:ACCUM_OFFSET: 17
; COMPUTE_PGM_RSRC3_GFX90A:TG_SPLIT: 0
	.section	.text._ZN2at6native12_GLOBAL__N_114gatherKthValueIsiLi1EEEvNS_4cuda6detail10TensorInfoIKT_T0_EES8_S8_S8_S8_NS5_IS6_S8_EENS5_IlS8_EE,"axG",@progbits,_ZN2at6native12_GLOBAL__N_114gatherKthValueIsiLi1EEEvNS_4cuda6detail10TensorInfoIKT_T0_EES8_S8_S8_S8_NS5_IS6_S8_EENS5_IlS8_EE,comdat
	.globl	_ZN2at6native12_GLOBAL__N_114gatherKthValueIsiLi1EEEvNS_4cuda6detail10TensorInfoIKT_T0_EES8_S8_S8_S8_NS5_IS6_S8_EENS5_IlS8_EE ; -- Begin function _ZN2at6native12_GLOBAL__N_114gatherKthValueIsiLi1EEEvNS_4cuda6detail10TensorInfoIKT_T0_EES8_S8_S8_S8_NS5_IS6_S8_EENS5_IlS8_EE
	.p2align	8
	.type	_ZN2at6native12_GLOBAL__N_114gatherKthValueIsiLi1EEEvNS_4cuda6detail10TensorInfoIKT_T0_EES8_S8_S8_S8_NS5_IS6_S8_EENS5_IlS8_EE,@function
_ZN2at6native12_GLOBAL__N_114gatherKthValueIsiLi1EEEvNS_4cuda6detail10TensorInfoIKT_T0_EES8_S8_S8_S8_NS5_IS6_S8_EENS5_IlS8_EE: ; @_ZN2at6native12_GLOBAL__N_114gatherKthValueIsiLi1EEEvNS_4cuda6detail10TensorInfoIKT_T0_EES8_S8_S8_S8_NS5_IS6_S8_EENS5_IlS8_EE
; %bb.0:
	s_load_dwordx2 s[12:13], s[4:5], 0x298
	s_load_dwordx4 s[60:63], s[4:5], 0xd8
	s_add_u32 s10, s4, 0x298
	s_addc_u32 s11, s5, 0
	s_waitcnt lgkmcnt(0)
	s_mul_i32 s0, s13, s8
	s_add_i32 s0, s0, s7
	s_mul_i32 s0, s0, s12
	s_add_i32 s7, s0, s6
	s_cmp_ge_i32 s7, s62
	s_cbranch_scc1 .LBB32_247
; %bb.1:
	s_load_dwordx2 s[0:1], s[4:5], 0x1c0
                                        ; implicit-def: $vgpr48 : SGPR spill to VGPR lane
	s_mov_b32 s68, 0
	v_cmp_eq_u32_e64 s[14:15], 0, v0
	s_waitcnt lgkmcnt(0)
	v_writelane_b32 v48, s0, 0
	v_writelane_b32 v48, s1, 1
	s_load_dwordx2 s[0:1], s[4:5], 0xe8
	s_waitcnt lgkmcnt(0)
	v_writelane_b32 v48, s0, 2
	v_writelane_b32 v48, s1, 3
	s_load_dword s0, s[4:5], 0x6c
	s_load_dwordx2 s[2:3], s[4:5], 0x0
	s_mov_b64 s[8:9], exec
	v_writelane_b32 v48, s14, 4
	v_writelane_b32 v48, s15, 5
	s_and_b64 s[14:15], s[8:9], s[14:15]
	s_mov_b64 exec, s[14:15]
	s_cbranch_execz .LBB32_3
; %bb.2:
	v_mov_b32_e32 v2, 0
	v_mov_b32_e32 v3, s60
	;; [unrolled: 1-line block ×3, first 2 shown]
	ds_write_b96 v2, v[2:4] offset:4096
.LBB32_3:
	s_or_b64 exec, exec, s[8:9]
	s_load_dword s1, s[4:5], 0x22c
                                        ; kill: killed $sgpr4 killed $sgpr5
	s_waitcnt lgkmcnt(0)
	s_barrier
	s_mul_i32 s0, s0, s7
	v_writelane_b32 v48, s1, 6
	s_load_dword s1, s[4:5], 0x154
	v_mbcnt_lo_u32_b32 v1, -1, 0
	s_load_dword s4, s[10:11], 0xc
	v_mbcnt_hi_u32_b32 v13, -1, v1
	v_cmp_gt_u32_e32 vcc, 64, v0
	s_waitcnt lgkmcnt(0)
	v_writelane_b32 v48, s1, 7
	s_ashr_i32 s1, s0, 31
	s_lshl_b64 s[0:1], s[0:1], 1
	s_add_u32 s62, s2, s0
	s_addc_u32 s78, s3, s1
	s_and_b32 s33, s4, 0xffff
	v_cmp_gt_i32_e64 s[2:3], 4, v13
	s_add_i32 s0, s33, -1
	v_writelane_b32 v48, s7, 8
	s_lshl_b32 s79, s33, 2
	s_bfe_u32 s8, s4, 0xa0006
	s_and_b64 s[70:71], vcc, s[2:3]
	s_add_i32 s7, s0, s60
	s_cmpk_gt_i32 s60, 0x600
	v_writelane_b32 v48, s0, 9
	s_cselect_b64 s[0:1], -1, 0
	v_writelane_b32 v48, s0, 10
	s_cmp_gt_u32 s33, 63
	v_writelane_b32 v48, s1, 11
	s_cselect_b64 s[0:1], -1, 0
	v_writelane_b32 v48, s0, 12
	s_cmp_lt_u32 s6, s12
	v_writelane_b32 v48, s1, 13
	s_cselect_b32 s0, 12, 18
	s_add_u32 s0, s10, s0
	s_addc_u32 s1, s11, 0
	v_writelane_b32 v48, s0, 14
	v_writelane_b32 v48, s1, 15
	s_add_i32 s0, s8, -2
	s_lshr_b32 s1, s0, 1
	v_mov_b32_e32 v9, 0
	s_add_i32 s1, s1, 1
	s_cmpk_gt_u32 s33, 0x7f
	v_mul_lo_u32 v6, v0, s63
	v_mov_b32_e32 v7, v9
	s_cselect_b64 s[2:3], -1, 0
	v_lshlrev_b64 v[2:3], 1, v[6:7]
	v_writelane_b32 v48, s2, 16
	v_mov_b32_e32 v7, s78
	v_add_co_u32_e32 v10, vcc, s62, v2
	v_writelane_b32 v48, s3, 17
	v_addc_co_u32_e32 v11, vcc, v7, v3, vcc
	v_cmp_gt_u32_e64 s[10:11], s60, v0
	v_lshlrev_b64 v[2:3], v13, -1
	v_writelane_b32 v48, s10, 18
	v_not_b32_e32 v12, v2
	v_cvt_f32_u32_e32 v2, s79
	v_writelane_b32 v48, s11, 19
	v_cmp_gt_i32_e64 s[10:11], s60, v0
	s_and_b32 s6, s8, 0x3fe
	s_and_b32 s9, s1, 7
	v_writelane_b32 v48, s10, 20
	s_cmp_gt_u32 s0, 13
	v_writelane_b32 v48, s11, 21
	s_cselect_b64 s[10:11], -1, 0
	v_writelane_b32 v48, s10, 22
	v_rcp_iflag_f32_e32 v2, v2
	v_writelane_b32 v48, s11, 23
	s_and_b32 s0, s1, -8
	v_writelane_b32 v48, s0, 24
	s_cmp_lg_u32 s9, 0
	v_writelane_b32 v48, s9, 25
	s_cselect_b64 s[0:1], -1, 0
	v_writelane_b32 v48, s0, 26
	v_mul_f32_e32 v2, 0x4f7ffffe, v2
	v_writelane_b32 v48, s1, 27
	v_cvt_u32_f32_e32 v2, v2
	v_writelane_b32 v48, s8, 28
	s_cmp_lg_u32 s6, s8
	v_writelane_b32 v48, s6, 29
	s_cselect_b64 s[0:1], -1, 0
	v_writelane_b32 v48, s0, 30
	v_writelane_b32 v48, s1, 31
	s_sub_i32 s0, 0, s79
	v_readfirstlane_b32 s1, v2
	s_mul_i32 s0, s0, s1
	s_mul_hi_u32 s0, s1, s0
	s_add_i32 s8, s1, s0
	s_mul_hi_u32 s0, s60, s8
	s_mul_i32 s0, s0, s79
	s_sub_i32 s0, s60, s0
	s_sub_i32 s1, s0, s79
	s_cmp_ge_u32 s0, s79
	s_cselect_b32 s0, s1, s0
	s_sub_i32 s1, s0, s79
	v_cvt_f32_u32_e32 v5, s33
	s_cmp_ge_u32 s0, s79
	s_cselect_b32 s0, s1, s0
	s_sub_i32 s9, s60, s0
	v_add_u32_e32 v25, s9, v0
	v_rcp_iflag_f32_e32 v5, v5
	v_lshrrev_b32_e32 v1, 4, v0
	v_mul_lo_u32 v2, v25, s63
	v_and_b32_e32 v23, 60, v1
	v_not_b32_e32 v1, v3
	v_ashrrev_i32_e32 v3, 31, v2
	v_lshlrev_b64 v[2:3], 1, v[2:3]
	v_lshlrev_b32_e32 v20, 2, v0
	v_add_co_u32_e32 v14, vcc, s62, v2
	v_mul_f32_e32 v2, 0x4f7ffffe, v5
	v_cmp_gt_i32_e64 s[10:11], s9, v20
	v_cvt_u32_f32_e32 v2, v2
	v_writelane_b32 v48, s10, 32
	v_writelane_b32 v48, s11, 33
	v_cmp_gt_u32_e64 s[10:11], s60, v25
	v_writelane_b32 v48, s10, 34
	v_writelane_b32 v48, s11, 35
	s_sub_i32 s10, 0, s33
	v_readfirstlane_b32 s11, v2
	s_mul_i32 s10, s10, s11
	s_mul_hi_u32 s10, s11, s10
	s_abs_i32 s6, s7
	s_add_i32 s10, s11, s10
	v_writelane_b32 v48, s10, 36
	s_mul_hi_u32 s10, s6, s10
	s_mul_i32 s10, s10, s33
	s_sub_i32 s6, s6, s10
	s_ashr_i32 s1, s7, 31
	s_sub_i32 s10, s6, s33
	s_cmp_ge_u32 s6, s33
	s_cselect_b32 s6, s10, s6
	s_sub_i32 s10, s6, s33
	s_cmp_ge_u32 s6, s33
	s_cselect_b32 s6, s10, s6
	s_xor_b32 s6, s6, s1
	v_mul_lo_u32 v2, s63, v20
	s_sub_i32 s1, s1, s6
	v_add_u32_e32 v26, s63, v2
	v_or_b32_e32 v2, 2, v20
	s_add_i32 s7, s7, s1
	v_mul_lo_u32 v27, s63, v2
	v_or_b32_e32 v2, 3, v20
	s_add_i32 s1, s33, s60
	v_mul_lo_u32 v28, s63, v2
	v_add_u32_e32 v2, s1, v0
	v_lshlrev_b32_e32 v21, 1, v0
	v_lshlrev_b32_e32 v4, 2, v13
	v_mov_b32_e32 v8, s78
	v_cmp_gt_i32_e64 s[10:11], s7, v0
	s_mul_i32 s76, s63, s33
	v_subrev_u32_e32 v2, s0, v2
	v_cmp_eq_u32_e64 s[2:3], 0, v13
	v_cmp_gt_u32_e64 s[4:5], 2, v0
	v_add_u32_e32 v22, 0xc00, v21
	v_and_b32_e32 v24, 0x100, v4
	v_addc_co_u32_e32 v15, vcc, v8, v3, vcc
	v_cmp_gt_i32_e64 s[14:15], s60, v25
	v_writelane_b32 v48, s10, 37
	s_lshl_b32 s16, s76, 2
	v_lshlrev_b32_e32 v29, 2, v6
	v_mul_lo_u32 v30, s63, v2
	v_lshlrev_b32_e32 v31, 3, v0
	s_lshl_b32 s17, s33, 3
	s_lshl_b32 s77, s33, 1
	v_or_b32_e32 v32, 0xc00, v4
	s_mov_b32 s0, 14
	s_mov_b64 s[86:87], 0
	s_mov_b32 s6, 0x8000
	v_mov_b32_e32 v33, 0xc00
	v_mov_b32_e32 v34, 0x5040100
	;; [unrolled: 1-line block ×3, first 2 shown]
	s_mov_b32 s1, 0
	s_mov_b32 s73, 0
	;; [unrolled: 1-line block ×3, first 2 shown]
	v_writelane_b32 v48, s11, 38
                                        ; implicit-def: $sgpr88_sgpr89
                                        ; implicit-def: $sgpr92_sgpr93
                                        ; implicit-def: $sgpr90_sgpr91
                                        ; implicit-def: $sgpr94_sgpr95
                                        ; implicit-def: $sgpr64_sgpr65
                                        ; implicit-def: $sgpr66_sgpr67
	s_branch .LBB32_8
.LBB32_4:                               ;   in Loop: Header=BB32_8 Depth=1
	s_xor_b32 s1, s1, 1
	s_add_i32 s10, s0, -2
	s_cmp_eq_u32 s0, 0
	s_mov_b64 s[22:23], 0
	s_cselect_b64 s[30:31], -1, 0
	s_mov_b32 s0, s10
.LBB32_5:                               ;   in Loop: Header=BB32_8 Depth=1
	s_andn2_b64 s[10:11], s[26:27], exec
	s_and_b64 s[12:13], s[22:23], exec
	s_or_b64 s[26:27], s[10:11], s[12:13]
	s_andn2_b64 s[28:29], s[28:29], exec
	s_andn2_b64 s[24:25], s[24:25], exec
	s_orn2_b64 s[22:23], s[30:31], exec
	s_mov_b32 s61, s39
.LBB32_6:                               ;   in Loop: Header=BB32_8 Depth=1
	s_or_b64 exec, exec, s[18:19]
	s_andn2_b64 s[10:11], s[66:67], exec
	s_and_b64 s[12:13], s[26:27], exec
	s_or_b64 s[66:67], s[10:11], s[12:13]
	s_andn2_b64 s[10:11], s[64:65], exec
	s_and_b64 s[12:13], s[28:29], exec
	s_or_b64 s[64:65], s[10:11], s[12:13]
	;; [unrolled: 3-line block ×3, first 2 shown]
	s_orn2_b64 s[22:23], s[22:23], exec
.LBB32_7:                               ;   in Loop: Header=BB32_8 Depth=1
	s_or_b64 exec, exec, s[20:21]
	s_and_b64 s[10:11], exec, s[22:23]
	s_or_b64 s[86:87], s[10:11], s[86:87]
	s_andn2_b64 s[10:11], s[90:91], exec
	s_and_b64 s[12:13], s[66:67], exec
	s_or_b64 s[90:91], s[10:11], s[12:13]
	s_andn2_b64 s[10:11], s[92:93], exec
	s_and_b64 s[12:13], s[64:65], exec
	;; [unrolled: 3-line block ×3, first 2 shown]
	v_mov_b32_e32 v2, s73
	s_or_b64 s[88:89], s[10:11], s[12:13]
	s_andn2_b64 exec, exec, s[86:87]
	s_cbranch_execz .LBB32_243
.LBB32_8:                               ; =>This Loop Header: Depth=1
                                        ;     Child Loop BB32_13 Depth 2
                                        ;     Child Loop BB32_32 Depth 2
	;; [unrolled: 1-line block ×17, first 2 shown]
	ds_read_b64 v[2:3], v9 offset:4096
	s_waitcnt lgkmcnt(0)
	v_readfirstlane_b32 s69, v2
	s_cmp_gt_i32 s69, 0
	s_cbranch_scc1 .LBB32_39
; %bb.9:                                ;   in Loop: Header=BB32_8 Depth=1
	v_readlane_b32 s10, v48, 10
	v_readlane_b32 s11, v48, 11
	s_and_b64 vcc, exec, s[10:11]
	s_cbranch_vccz .LBB32_21
; %bb.10:                               ;   in Loop: Header=BB32_8 Depth=1
	s_movk_i32 s10, 0x601
	v_cmp_gt_i32_e32 vcc, s10, v3
	s_mov_b64 s[20:21], 0
	s_mov_b64 s[18:19], 0
	s_cbranch_vccz .LBB32_26
; %bb.11:                               ;   in Loop: Header=BB32_8 Depth=1
	v_readlane_b32 s10, v48, 14
	v_readlane_b32 s11, v48, 15
	s_nop 4
	global_load_ushort v2, v9, s[10:11]
	global_load_ushort v4, v[10:11], off
	s_mov_b64 s[22:23], 0
	s_waitcnt vmcnt(1)
	v_add_u32_e32 v5, v0, v2
	v_mul_lo_u32 v3, s63, v2
	v_mul_lo_u32 v8, s63, v5
	v_mov_b32_e32 v5, v0
	s_branch .LBB32_13
.LBB32_12:                              ;   in Loop: Header=BB32_13 Depth=2
	s_or_b64 exec, exec, s[18:19]
	v_cmp_le_i32_e32 vcc, s60, v5
	v_add_u32_e32 v8, v8, v3
	s_or_b64 s[22:23], vcc, s[22:23]
	v_mov_b32_e32 v4, v16
	s_andn2_b64 exec, exec, s[22:23]
	s_cbranch_execz .LBB32_22
.LBB32_13:                              ;   Parent Loop BB32_8 Depth=1
                                        ; =>  This Inner Loop Header: Depth=2
	v_add_u32_e32 v5, v5, v2
	v_cmp_gt_u32_e32 vcc, s60, v5
	s_waitcnt lgkmcnt(0)
	v_mov_b32_e32 v17, 0
	v_mov_b32_e32 v16, 0
	s_and_saveexec_b64 s[18:19], vcc
	s_cbranch_execz .LBB32_15
; %bb.14:                               ;   in Loop: Header=BB32_13 Depth=2
	v_lshlrev_b64 v[18:19], 1, v[8:9]
	v_add_co_u32_e32 v18, vcc, s62, v18
	v_addc_co_u32_e32 v19, vcc, v7, v19, vcc
	global_load_ushort v16, v[18:19], off
.LBB32_15:                              ;   in Loop: Header=BB32_13 Depth=2
	s_or_b64 exec, exec, s[18:19]
	s_waitcnt vmcnt(0)
	v_add_u32_sdwa v18, sext(v4), s6 dst_sel:DWORD dst_unused:UNUSED_PAD src0_sel:WORD_0 src1_sel:DWORD
	v_and_b32_e32 v18, s72, v18
	v_cmp_eq_u32_e32 vcc, s73, v18
	s_cmp_lg_u64 vcc, 0
	s_cselect_b64 s[10:11], -1, 0
	s_and_b64 s[10:11], s[2:3], s[10:11]
	s_and_saveexec_b64 s[24:25], s[10:11]
	s_cbranch_execz .LBB32_19
; %bb.16:                               ;   in Loop: Header=BB32_13 Depth=2
	s_mov_b64 s[28:29], exec
	v_mbcnt_lo_u32_b32 v17, s28, 0
	v_mbcnt_hi_u32_b32 v17, s29, v17
	s_bcnt1_i32_b64 s10, vcc
	v_cmp_eq_u32_e64 s[18:19], 0, v17
                                        ; implicit-def: $vgpr18
	s_and_saveexec_b64 s[26:27], s[18:19]
	s_cbranch_execz .LBB32_18
; %bb.17:                               ;   in Loop: Header=BB32_13 Depth=2
	s_bcnt1_i32_b64 s11, s[28:29]
	s_mul_i32 s11, s10, s11
	v_mov_b32_e32 v18, s11
	ds_add_rtn_u32 v18, v9, v18 offset:4104
.LBB32_18:                              ;   in Loop: Header=BB32_13 Depth=2
	s_or_b64 exec, exec, s[26:27]
	s_waitcnt lgkmcnt(0)
	v_readfirstlane_b32 s11, v18
	v_mov_b32_e32 v18, s11
	v_mad_u32_u24 v17, s10, v17, v18
.LBB32_19:                              ;   in Loop: Header=BB32_13 Depth=2
	s_or_b64 exec, exec, s[24:25]
	ds_bpermute_b32 v17, v24, v17
	s_and_saveexec_b64 s[18:19], vcc
	s_cbranch_execz .LBB32_12
; %bb.20:                               ;   in Loop: Header=BB32_13 Depth=2
	v_and_b32_e32 v19, vcc_lo, v12
	v_and_b32_e32 v18, vcc_hi, v1
	v_bcnt_u32_b32 v19, v19, 0
	v_bcnt_u32_b32 v18, v18, v19
	v_lshlrev_b32_e32 v18, 1, v18
	s_waitcnt lgkmcnt(0)
	v_lshl_add_u32 v17, v17, 1, v18
	ds_write_b16 v17, v4
	s_branch .LBB32_12
.LBB32_21:                              ;   in Loop: Header=BB32_8 Depth=1
	s_mov_b64 s[20:21], -1
	s_mov_b64 s[18:19], 0
	s_branch .LBB32_25
.LBB32_22:                              ;   in Loop: Header=BB32_8 Depth=1
	s_or_b64 exec, exec, s[22:23]
	s_waitcnt lgkmcnt(0)
	s_barrier
	s_mov_b64 s[18:19], exec
	v_readlane_b32 s10, v48, 4
	v_readlane_b32 s11, v48, 5
	s_and_b64 s[10:11], s[18:19], s[10:11]
	s_mov_b64 exec, s[10:11]
	s_cbranch_execz .LBB32_24
; %bb.23:                               ;   in Loop: Header=BB32_8 Depth=1
	ds_read_b32 v2, v9 offset:4104
	s_waitcnt lgkmcnt(0)
	ds_write_b32 v9, v2 offset:4096
.LBB32_24:                              ;   in Loop: Header=BB32_8 Depth=1
	s_or_b64 exec, exec, s[18:19]
	s_waitcnt lgkmcnt(0)
	s_barrier
	s_mov_b64 s[18:19], -1
.LBB32_25:                              ;   in Loop: Header=BB32_8 Depth=1
                                        ; implicit-def: $sgpr69
.LBB32_26:                              ;   in Loop: Header=BB32_8 Depth=1
	s_and_b64 vcc, exec, s[20:21]
	s_cbranch_vccz .LBB32_37
; %bb.27:                               ;   in Loop: Header=BB32_8 Depth=1
	v_mov_b32_e32 v2, 0
	s_mov_b64 s[18:19], exec
	v_readlane_b32 s10, v48, 18
	v_readlane_b32 s11, v48, 19
	s_and_b64 s[10:11], s[18:19], s[10:11]
	s_mov_b64 exec, s[10:11]
	s_cbranch_execz .LBB32_29
; %bb.28:                               ;   in Loop: Header=BB32_8 Depth=1
	global_load_ushort v2, v[10:11], off
.LBB32_29:                              ;   in Loop: Header=BB32_8 Depth=1
	s_or_b64 exec, exec, s[18:19]
	s_mov_b64 s[18:19], exec
	v_readlane_b32 s10, v48, 20
	v_readlane_b32 s11, v48, 21
	s_and_b64 s[10:11], s[18:19], s[10:11]
	s_mov_b64 exec, s[10:11]
	s_cbranch_execz .LBB32_34
; %bb.30:                               ;   in Loop: Header=BB32_8 Depth=1
	v_readlane_b32 s10, v48, 14
	v_readlane_b32 s11, v48, 15
	s_mov_b64 s[20:21], 0
	v_mov_b32_e32 v4, v21
	v_mov_b32_e32 v17, v0
	s_nop 1
	global_load_ushort v3, v9, s[10:11]
	s_waitcnt vmcnt(0)
	v_add_u32_e32 v8, v0, v3
	v_lshlrev_b32_e32 v5, 1, v3
	v_mul_lo_u32 v16, s63, v3
	v_mul_lo_u32 v8, s63, v8
	s_branch .LBB32_32
.LBB32_31:                              ;   in Loop: Header=BB32_32 Depth=2
	s_or_b64 exec, exec, s[22:23]
	v_cmp_le_i32_e32 vcc, s60, v17
	ds_write_b16 v4, v2
	v_add_u32_e32 v4, v4, v5
	v_add_u32_e32 v8, v8, v16
	s_or_b64 s[20:21], vcc, s[20:21]
	s_waitcnt vmcnt(0)
	v_mov_b32_e32 v2, v18
	s_andn2_b64 exec, exec, s[20:21]
	s_cbranch_execz .LBB32_34
.LBB32_32:                              ;   Parent Loop BB32_8 Depth=1
                                        ; =>  This Inner Loop Header: Depth=2
	v_add_u32_e32 v17, v17, v3
	v_cmp_gt_u32_e32 vcc, s60, v17
	v_mov_b32_e32 v18, 0
	s_and_saveexec_b64 s[22:23], vcc
	s_cbranch_execz .LBB32_31
; %bb.33:                               ;   in Loop: Header=BB32_32 Depth=2
	v_lshlrev_b64 v[18:19], 1, v[8:9]
	v_mov_b32_e32 v36, s78
	v_add_co_u32_e32 v18, vcc, s62, v18
	v_addc_co_u32_e32 v19, vcc, v36, v19, vcc
	global_load_ushort v18, v[18:19], off
	s_branch .LBB32_31
.LBB32_34:                              ;   in Loop: Header=BB32_8 Depth=1
	s_or_b64 exec, exec, s[18:19]
	s_waitcnt lgkmcnt(0)
	s_barrier
	s_mov_b64 s[18:19], exec
	v_readlane_b32 s10, v48, 4
	v_readlane_b32 s11, v48, 5
	s_and_b64 s[10:11], s[18:19], s[10:11]
	s_mov_b64 exec, s[10:11]
	s_cbranch_execz .LBB32_36
; %bb.35:                               ;   in Loop: Header=BB32_8 Depth=1
	s_waitcnt vmcnt(0)
	v_mov_b32_e32 v2, s60
	ds_write_b32 v9, v2 offset:4096
.LBB32_36:                              ;   in Loop: Header=BB32_8 Depth=1
	s_or_b64 exec, exec, s[18:19]
	s_mov_b64 s[18:19], -1
	s_waitcnt lgkmcnt(0)
	s_barrier
                                        ; implicit-def: $sgpr69
.LBB32_37:                              ;   in Loop: Header=BB32_8 Depth=1
	s_and_b64 vcc, exec, s[18:19]
	s_cbranch_vccz .LBB32_39
; %bb.38:                               ;   in Loop: Header=BB32_8 Depth=1
	s_waitcnt vmcnt(0)
	ds_read_b32 v2, v9 offset:4096
	s_waitcnt lgkmcnt(0)
	v_readfirstlane_b32 s69, v2
.LBB32_39:                              ;   in Loop: Header=BB32_8 Depth=1
	s_cmp_lt_i32 s69, 1
	s_cbranch_scc0 .LBB32_51
; %bb.40:                               ;   in Loop: Header=BB32_8 Depth=1
	s_waitcnt vmcnt(0)
	v_mov_b32_e32 v2, 0
	s_mov_b32 s84, 0
	v_mov_b32_e32 v3, 0
	v_mov_b32_e32 v4, v2
	;; [unrolled: 1-line block ×3, first 2 shown]
	s_mov_b64 s[80:81], exec
	v_readlane_b32 s10, v48, 32
	v_readlane_b32 s11, v48, 33
	s_and_b64 s[10:11], s[80:81], s[10:11]
	s_mov_b64 exec, s[10:11]
	s_cbranch_execz .LBB32_44
; %bb.41:                               ;   in Loop: Header=BB32_8 Depth=1
	s_and_b32 s85, s0, 0xfe
	s_mov_b64 s[82:83], 0
	s_mov_b32 s74, 0
	s_mov_b32 s75, 0
	;; [unrolled: 1-line block ×4, first 2 shown]
	v_mov_b32_e32 v8, v20
.LBB32_42:                              ;   Parent Loop BB32_8 Depth=1
                                        ; =>  This Inner Loop Header: Depth=2
	v_add_u32_e32 v2, s84, v29
	v_ashrrev_i32_e32 v3, 31, v2
	v_add_u32_e32 v4, s84, v26
	v_lshlrev_b64 v[2:3], 1, v[2:3]
	v_mov_b32_e32 v36, s78
	v_ashrrev_i32_e32 v5, 31, v4
	v_add_co_u32_e64 v2, s[18:19], s62, v2
	v_add_u32_e32 v16, s84, v27
	v_lshlrev_b64 v[4:5], 1, v[4:5]
	v_addc_co_u32_e64 v3, s[18:19], v36, v3, s[18:19]
	v_ashrrev_i32_e32 v17, 31, v16
	v_add_co_u32_e64 v4, s[18:19], s62, v4
	v_add_u32_e32 v18, s84, v28
	v_lshlrev_b64 v[16:17], 1, v[16:17]
	v_addc_co_u32_e64 v5, s[18:19], v36, v5, s[18:19]
	v_ashrrev_i32_e32 v19, 31, v18
	v_add_co_u32_e64 v16, s[18:19], s62, v16
	v_lshlrev_b64 v[18:19], 1, v[18:19]
	v_addc_co_u32_e64 v17, s[18:19], v36, v17, s[18:19]
	v_add_co_u32_e64 v18, s[18:19], s62, v18
	v_addc_co_u32_e64 v19, s[18:19], v36, v19, s[18:19]
	global_load_sshort v2, v[2:3], off
	s_nop 0
	global_load_sshort v3, v[4:5], off
	s_nop 0
	global_load_sshort v4, v[16:17], off
	global_load_sshort v5, v[18:19], off
	v_add_u32_e32 v8, s79, v8
	s_add_i32 s84, s84, s16
	v_cmp_le_i32_e32 vcc, s9, v8
	s_waitcnt vmcnt(3)
	v_add_u32_e32 v2, 0x8000, v2
	s_waitcnt vmcnt(2)
	v_add_u32_e32 v3, 0x8000, v3
	v_and_b32_e32 v16, s72, v2
	v_bfe_u32 v2, v2, s85, 2
	s_waitcnt vmcnt(1)
	v_add_u32_e32 v4, 0x8000, v4
	v_and_b32_e32 v17, s72, v3
	v_bfe_u32 v3, v3, s85, 2
	v_cmp_eq_u32_e64 s[18:19], s73, v16
	v_cmp_eq_u32_e64 s[26:27], 0, v2
	s_waitcnt vmcnt(0)
	v_add_u32_e32 v5, 0x8000, v5
	v_and_b32_e32 v18, s72, v4
	v_bfe_u32 v4, v4, s85, 2
	v_cmp_eq_u32_e64 s[20:21], s73, v17
	v_cmp_eq_u32_e64 s[28:29], 0, v3
	s_and_b64 s[12:13], s[18:19], s[26:27]
	v_and_b32_e32 v19, s72, v5
	v_bfe_u32 v5, v5, s85, 2
	v_cmp_eq_u32_e64 s[22:23], s73, v18
	v_cmp_eq_u32_e64 s[30:31], 0, v4
	;; [unrolled: 1-line block ×5, first 2 shown]
	v_cndmask_b32_e64 v2, 0, 1, s[12:13]
	s_and_b64 s[12:13], s[20:21], s[28:29]
	v_cmp_eq_u32_e64 s[24:25], s73, v19
	v_cmp_eq_u32_e64 s[34:35], 0, v5
	;; [unrolled: 1-line block ×5, first 2 shown]
	v_cndmask_b32_e64 v3, 0, 1, s[12:13]
	s_and_b64 s[12:13], s[22:23], s[30:31]
	v_cmp_eq_u32_e64 s[40:41], 1, v4
	v_cmp_eq_u32_e64 s[48:49], 2, v4
	;; [unrolled: 1-line block ×3, first 2 shown]
	v_cndmask_b32_e64 v4, 0, 1, s[12:13]
	s_and_b64 s[12:13], s[24:25], s[34:35]
	v_cmp_eq_u32_e64 s[42:43], 1, v5
	v_cmp_eq_u32_e64 s[50:51], 2, v5
	;; [unrolled: 1-line block ×3, first 2 shown]
	v_cndmask_b32_e64 v5, 0, 1, s[12:13]
	s_and_b64 s[12:13], s[18:19], s[36:37]
	v_cndmask_b32_e64 v16, 0, 1, s[12:13]
	s_and_b64 s[12:13], s[20:21], s[38:39]
	;; [unrolled: 2-line block ×12, first 2 shown]
	v_cmp_ne_u32_e64 s[18:19], 0, v2
	v_cmp_ne_u32_e64 s[20:21], 0, v3
	;; [unrolled: 1-line block ×7, first 2 shown]
	v_cndmask_b32_e64 v43, 0, 1, s[12:13]
	v_cmp_ne_u32_e64 s[38:39], 0, v37
	v_cmp_ne_u32_e64 s[46:47], 0, v41
	s_bcnt1_i32_b64 s12, s[18:19]
	s_bcnt1_i32_b64 s13, s[20:21]
	;; [unrolled: 1-line block ×7, first 2 shown]
	v_cmp_ne_u32_e64 s[22:23], 0, v4
	v_cmp_ne_u32_e64 s[30:31], 0, v18
	v_cmp_ne_u32_e64 s[40:41], 0, v38
	v_cmp_ne_u32_e64 s[48:49], 0, v42
	s_bcnt1_i32_b64 s25, s[38:39]
	s_bcnt1_i32_b64 s29, s[46:47]
	s_add_i32 s11, s11, s12
	s_add_i32 s10, s10, s20
	;; [unrolled: 1-line block ×4, first 2 shown]
	v_cmp_ne_u32_e64 s[34:35], 0, v19
	v_cmp_ne_u32_e64 s[42:43], 0, v39
	;; [unrolled: 1-line block ×3, first 2 shown]
	s_bcnt1_i32_b64 s18, s[22:23]
	s_bcnt1_i32_b64 s22, s[30:31]
	;; [unrolled: 1-line block ×4, first 2 shown]
	s_add_i32 s11, s11, s13
	s_add_i32 s10, s10, s21
	;; [unrolled: 1-line block ×4, first 2 shown]
	s_bcnt1_i32_b64 s23, s[34:35]
	s_bcnt1_i32_b64 s27, s[42:43]
	;; [unrolled: 1-line block ×3, first 2 shown]
	s_add_i32 s11, s11, s18
	s_add_i32 s10, s10, s22
	s_add_i32 s12, s12, s26
	s_add_i32 s13, s13, s30
	s_add_i32 s11, s11, s19
	s_add_i32 s10, s10, s23
	s_add_i32 s75, s12, s27
	s_add_i32 s74, s13, s31
	s_or_b64 s[82:83], vcc, s[82:83]
	v_mov_b32_e32 v2, s11
	v_mov_b32_e32 v3, s10
	;; [unrolled: 1-line block ×4, first 2 shown]
	s_andn2_b64 exec, exec, s[82:83]
	s_cbranch_execnz .LBB32_42
; %bb.43:                               ;   in Loop: Header=BB32_8 Depth=1
	s_or_b64 exec, exec, s[82:83]
.LBB32_44:                              ;   in Loop: Header=BB32_8 Depth=1
	s_or_b64 exec, exec, s[80:81]
	v_mov_b32_e32 v8, 0
	s_mov_b64 s[18:19], exec
	v_readlane_b32 s10, v48, 34
	v_readlane_b32 s11, v48, 35
	s_and_b64 s[10:11], s[18:19], s[10:11]
	s_mov_b64 exec, s[10:11]
	s_cbranch_execz .LBB32_46
; %bb.45:                               ;   in Loop: Header=BB32_8 Depth=1
	global_load_ushort v8, v[14:15], off
.LBB32_46:                              ;   in Loop: Header=BB32_8 Depth=1
	s_or_b64 exec, exec, s[18:19]
	s_mov_b64 s[20:21], 0
	s_mov_b64 s[80:81], 0
	s_and_saveexec_b64 s[22:23], s[14:15]
	s_cbranch_execz .LBB32_53
; %bb.47:                               ;   in Loop: Header=BB32_8 Depth=1
	s_and_b32 s10, s0, 0xfe
	s_mov_b64 s[24:25], 0
	v_mov_b32_e32 v16, v30
	v_mov_b32_e32 v18, v25
	s_branch .LBB32_49
.LBB32_48:                              ;   in Loop: Header=BB32_49 Depth=2
	s_or_b64 exec, exec, s[18:19]
	s_waitcnt vmcnt(0)
	v_add_u32_sdwa v8, sext(v8), s6 dst_sel:DWORD dst_unused:UNUSED_PAD src0_sel:WORD_0 src1_sel:DWORD
	v_and_b32_e32 v19, s72, v8
	v_bfe_u32 v8, v8, s10, 2
	v_cmp_eq_u32_e32 vcc, s73, v19
	v_cmp_eq_u32_e64 s[18:19], 0, v8
	s_and_b64 s[12:13], vcc, s[18:19]
	v_cndmask_b32_e64 v19, 0, 1, s[12:13]
	v_cmp_ne_u32_e64 s[18:19], 0, v19
	s_bcnt1_i32_b64 s11, s[18:19]
	v_cmp_eq_u32_e64 s[18:19], 1, v8
	s_and_b64 s[12:13], vcc, s[18:19]
	v_cndmask_b32_e64 v19, 0, 1, s[12:13]
	v_cmp_ne_u32_e64 s[18:19], 0, v19
	v_add_u32_e32 v2, s11, v2
	s_bcnt1_i32_b64 s11, s[18:19]
	v_cmp_eq_u32_e64 s[18:19], 2, v8
	s_and_b64 s[12:13], vcc, s[18:19]
	v_cndmask_b32_e64 v19, 0, 1, s[12:13]
	v_cmp_ne_u32_e64 s[18:19], 0, v19
	v_add_u32_e32 v3, s11, v3
	s_bcnt1_i32_b64 s11, s[18:19]
	v_cmp_eq_u32_e64 s[18:19], 3, v8
	s_and_b64 s[12:13], vcc, s[18:19]
	v_cndmask_b32_e64 v8, 0, 1, s[12:13]
	v_cmp_ne_u32_e32 vcc, 0, v8
	v_add_u32_e32 v4, s11, v4
	s_bcnt1_i32_b64 s11, vcc
	v_cmp_le_i32_e32 vcc, s60, v18
	v_add_u32_e32 v5, s11, v5
	v_add_u32_e32 v16, s76, v16
	s_or_b64 s[24:25], vcc, s[24:25]
	v_mov_b32_e32 v8, v17
	s_andn2_b64 exec, exec, s[24:25]
	s_cbranch_execz .LBB32_52
.LBB32_49:                              ;   Parent Loop BB32_8 Depth=1
                                        ; =>  This Inner Loop Header: Depth=2
	v_add_u32_e32 v18, s33, v18
	v_cmp_gt_u32_e32 vcc, s60, v18
	v_mov_b32_e32 v17, 0
	s_and_saveexec_b64 s[18:19], vcc
	s_cbranch_execz .LBB32_48
; %bb.50:                               ;   in Loop: Header=BB32_49 Depth=2
	v_ashrrev_i32_e32 v17, 31, v16
	v_lshlrev_b64 v[36:37], 1, v[16:17]
	v_mov_b32_e32 v17, s78
	v_add_co_u32_e32 v36, vcc, s62, v36
	v_addc_co_u32_e32 v37, vcc, v17, v37, vcc
	global_load_ushort v17, v[36:37], off
	s_branch .LBB32_48
.LBB32_51:                              ;   in Loop: Header=BB32_8 Depth=1
	s_mov_b64 s[80:81], 0
                                        ; implicit-def: $vgpr5
	s_cbranch_execnz .LBB32_54
	s_branch .LBB32_63
.LBB32_52:                              ;   in Loop: Header=BB32_8 Depth=1
	s_or_b64 exec, exec, s[24:25]
	s_mov_b64 s[80:81], exec
.LBB32_53:                              ;   in Loop: Header=BB32_8 Depth=1
	s_or_b64 exec, exec, s[22:23]
	s_and_b64 vcc, exec, s[20:21]
	s_cbranch_vccz .LBB32_63
.LBB32_54:                              ;   in Loop: Header=BB32_8 Depth=1
	s_mul_hi_u32 s10, s69, s8
	s_mul_i32 s10, s10, s79
	s_sub_i32 s10, s69, s10
	s_sub_i32 s11, s10, s79
	s_cmp_ge_u32 s10, s79
	s_cselect_b32 s10, s11, s10
	s_sub_i32 s11, s10, s79
	s_cmp_ge_u32 s10, s79
	s_cselect_b32 s10, s11, s10
	s_sub_i32 s10, s69, s10
	v_cmp_gt_u32_e32 vcc, s10, v20
	s_mov_b32 s74, 0
	s_waitcnt vmcnt(0)
	v_mov_b32_e32 v2, 0
	v_mov_b32_e32 v3, 0
	;; [unrolled: 1-line block ×4, first 2 shown]
	s_and_saveexec_b64 s[82:83], vcc
	s_cbranch_execz .LBB32_58
; %bb.55:                               ;   in Loop: Header=BB32_8 Depth=1
	s_and_b32 s11, s0, 0xfe
	s_mov_b64 s[84:85], 0
	v_mov_b32_e32 v8, v31
	s_mov_b32 s75, 0
	s_mov_b32 s12, 0
	;; [unrolled: 1-line block ×3, first 2 shown]
	v_mov_b32_e32 v16, v20
.LBB32_56:                              ;   Parent Loop BB32_8 Depth=1
                                        ; =>  This Inner Loop Header: Depth=2
	ds_read_b64 v[2:3], v8
	v_add_u32_e32 v16, s79, v16
	v_cmp_le_i32_e32 vcc, s10, v16
	v_add_u32_e32 v8, s17, v8
	s_waitcnt lgkmcnt(0)
	v_add_u32_sdwa v4, sext(v2), s6 dst_sel:DWORD dst_unused:UNUSED_PAD src0_sel:WORD_0 src1_sel:DWORD
	v_add_u32_sdwa v2, sext(v2), s6 dst_sel:DWORD dst_unused:UNUSED_PAD src0_sel:WORD_1 src1_sel:DWORD
	v_and_b32_e32 v17, s72, v4
	v_bfe_u32 v4, v4, s11, 2
	v_add_u32_sdwa v5, sext(v3), s6 dst_sel:DWORD dst_unused:UNUSED_PAD src0_sel:WORD_0 src1_sel:DWORD
	v_and_b32_e32 v18, s72, v2
	v_bfe_u32 v2, v2, s11, 2
	v_cmp_eq_u32_e64 s[18:19], s73, v17
	v_cmp_eq_u32_e64 s[26:27], 0, v4
	v_add_u32_sdwa v3, sext(v3), s6 dst_sel:DWORD dst_unused:UNUSED_PAD src0_sel:WORD_1 src1_sel:DWORD
	v_and_b32_e32 v19, s72, v5
	v_bfe_u32 v5, v5, s11, 2
	v_cmp_eq_u32_e64 s[20:21], s73, v18
	v_cmp_eq_u32_e64 s[28:29], 0, v2
	s_and_b64 s[26:27], s[18:19], s[26:27]
	v_and_b32_e32 v36, s72, v3
	v_bfe_u32 v3, v3, s11, 2
	v_cmp_eq_u32_e64 s[22:23], s73, v19
	v_cmp_eq_u32_e64 s[30:31], 0, v5
	;; [unrolled: 1-line block ×5, first 2 shown]
	v_cndmask_b32_e64 v2, 0, 1, s[26:27]
	s_and_b64 s[26:27], s[20:21], s[28:29]
	v_cmp_eq_u32_e64 s[24:25], s73, v36
	v_cmp_eq_u32_e64 s[34:35], 0, v3
	;; [unrolled: 1-line block ×5, first 2 shown]
	v_cndmask_b32_e64 v3, 0, 1, s[26:27]
	s_and_b64 s[26:27], s[22:23], s[30:31]
	v_cmp_eq_u32_e64 s[36:37], 1, v4
	v_cmp_eq_u32_e64 s[44:45], 2, v4
	;; [unrolled: 1-line block ×3, first 2 shown]
	v_cndmask_b32_e64 v4, 0, 1, s[26:27]
	s_and_b64 s[26:27], s[24:25], s[34:35]
	v_cmp_eq_u32_e64 s[40:41], 1, v5
	v_cmp_eq_u32_e64 s[48:49], 2, v5
	;; [unrolled: 1-line block ×3, first 2 shown]
	v_cndmask_b32_e64 v5, 0, 1, s[26:27]
	s_and_b64 s[26:27], s[18:19], s[36:37]
	v_cndmask_b32_e64 v17, 0, 1, s[26:27]
	s_and_b64 s[26:27], s[20:21], s[38:39]
	v_cndmask_b32_e64 v18, 0, 1, s[26:27]
	s_and_b64 s[26:27], s[22:23], s[40:41]
	v_cndmask_b32_e64 v19, 0, 1, s[26:27]
	s_and_b64 s[26:27], s[24:25], s[42:43]
	v_cndmask_b32_e64 v36, 0, 1, s[26:27]
	s_and_b64 s[26:27], s[18:19], s[44:45]
	s_and_b64 s[18:19], s[18:19], s[52:53]
	v_cndmask_b32_e64 v37, 0, 1, s[26:27]
	s_and_b64 s[26:27], s[20:21], s[46:47]
	v_cndmask_b32_e64 v41, 0, 1, s[18:19]
	;; [unrolled: 2-line block ×7, first 2 shown]
	v_cndmask_b32_e64 v44, 0, 1, s[18:19]
	v_cmp_ne_u32_e64 s[18:19], 0, v2
	v_cmp_ne_u32_e64 s[20:21], 0, v3
	;; [unrolled: 1-line block ×11, first 2 shown]
	s_bcnt1_i32_b64 s18, s[18:19]
	s_bcnt1_i32_b64 s19, s[20:21]
	;; [unrolled: 1-line block ×8, first 2 shown]
	v_cmp_ne_u32_e64 s[34:35], 0, v36
	v_cmp_ne_u32_e64 s[40:41], 0, v39
	;; [unrolled: 1-line block ×3, first 2 shown]
	s_bcnt1_i32_b64 s23, s[28:29]
	s_bcnt1_i32_b64 s27, s[38:39]
	;; [unrolled: 1-line block ×3, first 2 shown]
	s_add_i32 s13, s13, s18
	s_add_i32 s12, s12, s22
	;; [unrolled: 1-line block ×4, first 2 shown]
	v_cmp_ne_u32_e64 s[42:43], 0, v40
	v_cmp_ne_u32_e64 s[50:51], 0, v44
	s_bcnt1_i32_b64 s25, s[34:35]
	s_bcnt1_i32_b64 s28, s[40:41]
	;; [unrolled: 1-line block ×3, first 2 shown]
	s_add_i32 s13, s13, s19
	s_add_i32 s12, s12, s23
	;; [unrolled: 1-line block ×4, first 2 shown]
	s_bcnt1_i32_b64 s29, s[42:43]
	s_bcnt1_i32_b64 s35, s[50:51]
	s_add_i32 s13, s13, s20
	s_add_i32 s12, s12, s24
	;; [unrolled: 1-line block ×8, first 2 shown]
	s_or_b64 s[84:85], vcc, s[84:85]
	v_mov_b32_e32 v2, s13
	v_mov_b32_e32 v3, s12
	v_mov_b32_e32 v4, s75
	v_mov_b32_e32 v5, s74
	s_andn2_b64 exec, exec, s[84:85]
	s_cbranch_execnz .LBB32_56
; %bb.57:                               ;   in Loop: Header=BB32_8 Depth=1
	s_or_b64 exec, exec, s[84:85]
.LBB32_58:                              ;   in Loop: Header=BB32_8 Depth=1
	s_or_b64 exec, exec, s[82:83]
	v_add_u32_e32 v8, s10, v0
	v_cmp_gt_i32_e32 vcc, s69, v8
	s_and_saveexec_b64 s[28:29], vcc
	s_cbranch_execz .LBB32_62
; %bb.59:                               ;   in Loop: Header=BB32_8 Depth=1
	s_and_b32 s10, s0, 0xfe
	v_lshlrev_b32_e32 v16, 1, v8
	s_mov_b64 s[30:31], 0
.LBB32_60:                              ;   Parent Loop BB32_8 Depth=1
                                        ; =>  This Inner Loop Header: Depth=2
	ds_read_i16 v17, v16
	v_add_u32_e32 v8, s33, v8
	v_cmp_le_i32_e32 vcc, s69, v8
	v_add_u32_e32 v16, s77, v16
	s_waitcnt lgkmcnt(0)
	v_add_u32_e32 v17, 0x8000, v17
	v_and_b32_e32 v18, s72, v17
	v_bfe_u32 v17, v17, s10, 2
	v_cmp_eq_u32_e64 s[18:19], s73, v18
	v_cmp_eq_u32_e64 s[20:21], 0, v17
	;; [unrolled: 1-line block ×3, first 2 shown]
	s_and_b64 s[12:13], s[18:19], s[20:21]
	v_cmp_eq_u32_e64 s[24:25], 2, v17
	v_cmp_eq_u32_e64 s[26:27], 3, v17
	v_cndmask_b32_e64 v17, 0, 1, s[12:13]
	s_and_b64 s[12:13], s[18:19], s[22:23]
	v_cndmask_b32_e64 v18, 0, 1, s[12:13]
	s_and_b64 s[12:13], s[18:19], s[24:25]
	;; [unrolled: 2-line block ×3, first 2 shown]
	v_cndmask_b32_e64 v36, 0, 1, s[12:13]
	v_cmp_ne_u32_e64 s[18:19], 0, v17
	v_cmp_ne_u32_e64 s[20:21], 0, v18
	;; [unrolled: 1-line block ×4, first 2 shown]
	s_bcnt1_i32_b64 s11, s[18:19]
	s_bcnt1_i32_b64 s12, s[20:21]
	;; [unrolled: 1-line block ×4, first 2 shown]
	v_add_u32_e32 v2, s11, v2
	v_add_u32_e32 v3, s12, v3
	v_add_u32_e32 v4, s13, v4
	s_or_b64 s[30:31], vcc, s[30:31]
	v_add_u32_e32 v5, s18, v5
	s_andn2_b64 exec, exec, s[30:31]
	s_cbranch_execnz .LBB32_60
; %bb.61:                               ;   in Loop: Header=BB32_8 Depth=1
	s_or_b64 exec, exec, s[30:31]
	s_or_b64 s[80:81], s[80:81], exec
.LBB32_62:                              ;   in Loop: Header=BB32_8 Depth=1
	s_or_b64 exec, exec, s[28:29]
.LBB32_63:                              ;   in Loop: Header=BB32_8 Depth=1
	s_and_saveexec_b64 s[18:19], s[80:81]
	s_or_b64 exec, exec, s[18:19]
	s_lshl_b32 s10, s1, 6
	s_and_saveexec_b64 s[18:19], s[2:3]
	s_cbranch_execz .LBB32_65
; %bb.64:                               ;   in Loop: Header=BB32_8 Depth=1
	s_waitcnt vmcnt(0)
	v_or_b32_e32 v8, s10, v23
	v_lshlrev_b32_e32 v8, 2, v8
	ds_write_b128 v8, v[2:5] offset:3072
.LBB32_65:                              ;   in Loop: Header=BB32_8 Depth=1
	s_or_b64 exec, exec, s[18:19]
	s_waitcnt lgkmcnt(0)
	s_barrier
	s_and_saveexec_b64 s[18:19], s[70:71]
	s_cbranch_execz .LBB32_79
; %bb.66:                               ;   in Loop: Header=BB32_8 Depth=1
	v_readlane_b32 s12, v48, 12
	v_readlane_b32 s13, v48, 13
	v_add_u32_e32 v4, s10, v13
	s_andn2_b64 vcc, exec, s[12:13]
	s_waitcnt vmcnt(0)
	v_mov_b32_e32 v2, 0
	s_cbranch_vccnz .LBB32_78
; %bb.67:                               ;   in Loop: Header=BB32_8 Depth=1
	v_readlane_b32 s12, v48, 16
	v_readlane_b32 s13, v48, 17
	s_mov_b32 s11, 0
	s_and_b64 vcc, exec, s[12:13]
	v_mov_b32_e32 v2, 0
	s_cbranch_vccz .LBB32_71
; %bb.68:                               ;   in Loop: Header=BB32_8 Depth=1
	v_readlane_b32 s12, v48, 22
	v_readlane_b32 s13, v48, 23
	v_lshl_add_u32 v5, v4, 2, v33
	s_andn2_b64 vcc, exec, s[12:13]
	s_cbranch_vccnz .LBB32_72
; %bb.69:                               ;   in Loop: Header=BB32_8 Depth=1
	s_mov_b32 s21, 1
	s_mov_b32 s20, 0
	v_mov_b32_e32 v2, 0
	v_readlane_b32 s11, v48, 24
	v_mov_b32_e32 v3, 0
.LBB32_70:                              ;   Parent Loop BB32_8 Depth=1
                                        ; =>  This Inner Loop Header: Depth=2
	v_lshl_add_u32 v8, s20, 4, v5
	v_lshl_add_u32 v46, s21, 4, v5
	ds_read2_b32 v[16:17], v8 offset1:8
	ds_read2_b32 v[18:19], v46 offset1:8
	ds_read2_b32 v[36:37], v8 offset0:16 offset1:24
	ds_read2_b32 v[38:39], v46 offset0:16 offset1:24
	;; [unrolled: 1-line block ×6, first 2 shown]
	s_waitcnt lgkmcnt(7)
	v_add3_u32 v2, v16, v2, v17
	s_waitcnt lgkmcnt(6)
	v_add3_u32 v3, v18, v3, v19
	;; [unrolled: 2-line block ×3, first 2 shown]
	v_add3_u32 v2, v36, v2, v37
	s_add_i32 s21, s21, 16
	s_add_i32 s20, s20, 16
	s_add_i32 s11, s11, -8
	s_waitcnt lgkmcnt(3)
	v_add3_u32 v2, v40, v2, v41
	s_waitcnt lgkmcnt(2)
	v_add3_u32 v3, v42, v3, v43
	s_cmp_lg_u32 s11, 0
	s_waitcnt lgkmcnt(0)
	v_add3_u32 v3, v46, v3, v47
	v_add3_u32 v2, v44, v2, v45
	s_cbranch_scc1 .LBB32_70
	s_branch .LBB32_73
.LBB32_71:                              ;   in Loop: Header=BB32_8 Depth=1
	s_cbranch_execnz .LBB32_76
	s_branch .LBB32_78
.LBB32_72:                              ;   in Loop: Header=BB32_8 Depth=1
	s_mov_b32 s69, s68
	v_pk_mov_b32 v[2:3], s[68:69], s[68:69] op_sel:[0,1]
	s_mov_b32 s69, 1
	s_mov_b64 s[20:21], s[68:69]
.LBB32_73:                              ;   in Loop: Header=BB32_8 Depth=1
	v_readlane_b32 s12, v48, 26
	v_readlane_b32 s13, v48, 27
	s_andn2_b64 vcc, exec, s[12:13]
	v_readlane_b32 s11, v48, 25
	s_cbranch_vccnz .LBB32_75
.LBB32_74:                              ;   Parent Loop BB32_8 Depth=1
                                        ; =>  This Inner Loop Header: Depth=2
	v_lshl_add_u32 v8, s20, 4, v5
	v_lshl_add_u32 v16, s21, 4, v5
	ds_read_b32 v16, v16
	ds_read_b32 v8, v8
	s_add_i32 s21, s21, 2
	s_add_i32 s20, s20, 2
	s_add_i32 s11, s11, -1
	s_cmp_lg_u32 s11, 0
	s_waitcnt lgkmcnt(1)
	v_add_u32_e32 v3, v16, v3
	s_waitcnt lgkmcnt(0)
	v_add_u32_e32 v2, v8, v2
	s_cbranch_scc1 .LBB32_74
.LBB32_75:                              ;   in Loop: Header=BB32_8 Depth=1
	v_readlane_b32 s20, v48, 30
	v_add_u32_e32 v2, v2, v3
	v_readlane_b32 s11, v48, 29
	v_readlane_b32 s21, v48, 31
	s_and_b64 vcc, exec, s[20:21]
	s_cbranch_vccz .LBB32_78
.LBB32_76:                              ;   in Loop: Header=BB32_8 Depth=1
	s_lshl_b32 s12, s1, 8
	s_lshl_b32 s13, s11, 4
	s_add_i32 s12, s12, s13
	v_add_u32_e32 v3, s12, v32
	v_readlane_b32 s12, v48, 28
	s_sub_i32 s11, s12, s11
.LBB32_77:                              ;   Parent Loop BB32_8 Depth=1
                                        ; =>  This Inner Loop Header: Depth=2
	ds_read_b32 v5, v3
	s_add_i32 s11, s11, -1
	v_add_u32_e32 v3, 16, v3
	s_cmp_eq_u32 s11, 0
	s_waitcnt lgkmcnt(0)
	v_add_u32_e32 v2, v5, v2
	s_cbranch_scc0 .LBB32_77
.LBB32_78:                              ;   in Loop: Header=BB32_8 Depth=1
	v_lshlrev_b32_e32 v3, 2, v4
	ds_write_b32 v3, v2 offset:3072
.LBB32_79:                              ;   in Loop: Header=BB32_8 Depth=1
	s_or_b64 exec, exec, s[18:19]
	s_lshl_b32 s10, s10, 2
	s_waitcnt vmcnt(0)
	v_mov_b32_e32 v2, s10
	s_waitcnt lgkmcnt(0)
	s_barrier
	ds_read_b128 v[2:5], v2 offset:3072
	s_and_b32 s47, s0, 0xfe
	s_lshl_b32 s55, 3, s47
	s_not_b32 s48, s55
	s_mov_b64 s[22:23], -1
	s_waitcnt lgkmcnt(0)
	v_readfirstlane_b32 s34, v2
	s_cmp_eq_u32 s34, 1
	s_cselect_b64 s[10:11], -1, 0
	s_cmp_eq_u32 s61, 1
	s_cselect_b64 s[12:13], -1, 0
	s_and_b64 s[24:25], s[10:11], s[12:13]
	v_readfirstlane_b32 s38, v3
	v_readfirstlane_b32 s46, v4
	;; [unrolled: 1-line block ×3, first 2 shown]
	s_and_b64 vcc, exec, s[24:25]
	s_cbranch_vccz .LBB32_91
; %bb.80:                               ;   in Loop: Header=BB32_8 Depth=1
	ds_read_b32 v2, v9 offset:4096
	s_waitcnt lgkmcnt(0)
	s_barrier
	v_readfirstlane_b32 s10, v2
	s_and_saveexec_b64 s[18:19], s[4:5]
	s_cbranch_execz .LBB32_82
; %bb.81:                               ;   in Loop: Header=BB32_8 Depth=1
	ds_write_b16 v22, v9
.LBB32_82:                              ;   in Loop: Header=BB32_8 Depth=1
	s_or_b64 exec, exec, s[18:19]
	s_and_b32 s73, s73, s48
	s_or_b32 s72, s72, s55
	s_cmp_lt_i32 s10, 1
	s_waitcnt lgkmcnt(0)
	s_barrier
	s_cbranch_scc0 .LBB32_92
; %bb.83:                               ;   in Loop: Header=BB32_8 Depth=1
	s_mov_b64 s[18:19], 0
                                        ; implicit-def: $vgpr35
	s_mov_b64 s[20:21], exec
	v_readlane_b32 s12, v48, 37
	v_readlane_b32 s13, v48, 38
	s_and_b64 s[12:13], s[20:21], s[12:13]
	s_mov_b64 exec, s[12:13]
	s_cbranch_execz .LBB32_94
; %bb.84:                               ;   in Loop: Header=BB32_8 Depth=1
	s_mov_b64 s[26:27], 0
	v_mov_b32_e32 v2, v6
	v_mov_b32_e32 v4, v0
                                        ; implicit-def: $sgpr28_sgpr29
	s_branch .LBB32_86
.LBB32_85:                              ;   in Loop: Header=BB32_86 Depth=2
	s_or_b64 exec, exec, s[18:19]
	s_waitcnt lgkmcnt(0)
	s_barrier
	s_waitcnt vmcnt(0)
	ds_read_b32 v3, v9 offset:3072
	v_add_u32_e32 v4, s33, v4
	v_cmp_le_i32_e64 s[18:19], s7, v4
	v_add_u32_e32 v2, s76, v2
	s_waitcnt lgkmcnt(0)
	v_cmp_ne_u16_e32 vcc, 0, v3
	s_or_b64 s[12:13], s[18:19], vcc
	s_and_b64 s[12:13], exec, s[12:13]
	s_or_b64 s[26:27], s[12:13], s[26:27]
	s_andn2_b64 s[12:13], s[28:29], exec
	s_and_b64 s[18:19], vcc, exec
	s_or_b64 s[28:29], s[12:13], s[18:19]
	s_barrier
	s_andn2_b64 exec, exec, s[26:27]
	s_cbranch_execz .LBB32_93
.LBB32_86:                              ;   Parent Loop BB32_8 Depth=1
                                        ; =>  This Inner Loop Header: Depth=2
	v_cmp_gt_i32_e32 vcc, s60, v4
	v_mov_b32_e32 v3, 0
	s_and_saveexec_b64 s[30:31], vcc
	s_cbranch_execz .LBB32_88
; %bb.87:                               ;   in Loop: Header=BB32_86 Depth=2
	v_ashrrev_i32_e32 v3, 31, v2
	v_lshlrev_b64 v[16:17], 1, v[2:3]
	v_mov_b32_e32 v3, s78
	v_add_co_u32_e64 v16, s[18:19], s62, v16
	v_addc_co_u32_e64 v17, s[18:19], v3, v17, s[18:19]
	global_load_ushort v3, v[16:17], off
.LBB32_88:                              ;   in Loop: Header=BB32_86 Depth=2
	s_or_b64 exec, exec, s[30:31]
	s_and_saveexec_b64 s[18:19], vcc
	s_cbranch_execz .LBB32_85
; %bb.89:                               ;   in Loop: Header=BB32_86 Depth=2
	s_waitcnt vmcnt(0)
	v_add_u32_sdwa v5, sext(v3), s6 dst_sel:DWORD dst_unused:UNUSED_PAD src0_sel:WORD_0 src1_sel:DWORD
	v_and_b32_e32 v5, s72, v5
	v_cmp_eq_u32_e32 vcc, s73, v5
	s_and_b64 exec, exec, vcc
	s_cbranch_execz .LBB32_85
; %bb.90:                               ;   in Loop: Header=BB32_86 Depth=2
	v_perm_b32 v3, v3, 1, v34
	ds_write_b32 v9, v3 offset:3072
	s_branch .LBB32_85
.LBB32_91:                              ;   in Loop: Header=BB32_8 Depth=1
	s_mov_b64 s[18:19], -1
                                        ; implicit-def: $sgpr20_sgpr21
                                        ; implicit-def: $sgpr28_sgpr29
                                        ; implicit-def: $sgpr26_sgpr27
	s_branch .LBB32_105
.LBB32_92:                              ;   in Loop: Header=BB32_8 Depth=1
	s_mov_b64 s[20:21], -1
	s_mov_b64 s[18:19], 0
                                        ; implicit-def: $sgpr26_sgpr27
                                        ; implicit-def: $vgpr35
	s_mov_b64 s[28:29], s[20:21]
	s_cbranch_execnz .LBB32_95
	s_branch .LBB32_105
.LBB32_93:                              ;   in Loop: Header=BB32_8 Depth=1
	s_or_b64 exec, exec, s[26:27]
	v_lshrrev_b32_e32 v35, 16, v3
	s_and_b64 s[18:19], s[28:29], exec
.LBB32_94:                              ;   in Loop: Header=BB32_8 Depth=1
	s_or_b64 exec, exec, s[20:21]
	s_mov_b64 s[26:27], -1
	s_mov_b64 s[20:21], 0
	s_mov_b64 s[28:29], s[20:21]
	s_branch .LBB32_105
.LBB32_95:                              ;   in Loop: Header=BB32_8 Depth=1
	v_readlane_b32 s11, v48, 9
	s_add_i32 s11, s10, s11
	s_abs_i32 s13, s11
	v_readlane_b32 s18, v48, 36
	s_mul_hi_u32 s18, s13, s18
	s_mul_i32 s18, s18, s33
	s_sub_i32 s13, s13, s18
	s_ashr_i32 s12, s11, 31
	s_sub_i32 s18, s13, s33
	s_cmp_ge_u32 s13, s33
	s_cselect_b32 s13, s18, s13
	s_sub_i32 s18, s13, s33
	s_cmp_ge_u32 s13, s33
	s_cselect_b32 s13, s18, s13
	s_xor_b32 s13, s13, s12
	s_sub_i32 s12, s12, s13
	s_add_i32 s11, s11, s12
	v_cmp_gt_i32_e32 vcc, s11, v0
	s_mov_b64 s[18:19], 0
                                        ; implicit-def: $vgpr35
	s_and_saveexec_b64 s[20:21], vcc
	s_cbranch_execz .LBB32_104
; %bb.96:                               ;   in Loop: Header=BB32_8 Depth=1
	s_mov_b64 s[26:27], 0
	v_mov_b32_e32 v2, v21
	v_mov_b32_e32 v3, v0
                                        ; implicit-def: $sgpr28_sgpr29
	s_branch .LBB32_98
.LBB32_97:                              ;   in Loop: Header=BB32_98 Depth=2
	s_or_b64 exec, exec, s[18:19]
	s_waitcnt lgkmcnt(0)
	s_barrier
	ds_read_b32 v4, v9 offset:3072
	v_add_u32_e32 v3, s33, v3
	v_cmp_le_i32_e64 s[18:19], s11, v3
	v_add_u32_e32 v2, s77, v2
	s_waitcnt lgkmcnt(0)
	v_cmp_ne_u16_e32 vcc, 0, v4
	s_or_b64 s[12:13], s[18:19], vcc
	s_and_b64 s[12:13], exec, s[12:13]
	s_or_b64 s[26:27], s[12:13], s[26:27]
	s_andn2_b64 s[12:13], s[28:29], exec
	s_and_b64 s[18:19], vcc, exec
	s_or_b64 s[28:29], s[12:13], s[18:19]
	s_barrier
	s_andn2_b64 exec, exec, s[26:27]
	s_cbranch_execz .LBB32_103
.LBB32_98:                              ;   Parent Loop BB32_8 Depth=1
                                        ; =>  This Inner Loop Header: Depth=2
	v_cmp_gt_i32_e32 vcc, s10, v3
	v_mov_b32_e32 v4, 0
	s_and_saveexec_b64 s[18:19], vcc
	s_cbranch_execz .LBB32_100
; %bb.99:                               ;   in Loop: Header=BB32_98 Depth=2
	ds_read_u16 v4, v2
.LBB32_100:                             ;   in Loop: Header=BB32_98 Depth=2
	s_or_b64 exec, exec, s[18:19]
	s_and_saveexec_b64 s[18:19], vcc
	s_cbranch_execz .LBB32_97
; %bb.101:                              ;   in Loop: Header=BB32_98 Depth=2
	s_waitcnt lgkmcnt(0)
	v_add_u32_sdwa v5, sext(v4), s6 dst_sel:DWORD dst_unused:UNUSED_PAD src0_sel:WORD_0 src1_sel:DWORD
	v_and_b32_e32 v5, s72, v5
	v_cmp_eq_u32_e32 vcc, s73, v5
	s_and_b64 exec, exec, vcc
	s_cbranch_execz .LBB32_97
; %bb.102:                              ;   in Loop: Header=BB32_98 Depth=2
	v_perm_b32 v4, v4, 1, v34
	ds_write_b32 v9, v4 offset:3072
	s_branch .LBB32_97
.LBB32_103:                             ;   in Loop: Header=BB32_8 Depth=1
	s_or_b64 exec, exec, s[26:27]
	v_lshrrev_b32_e32 v35, 16, v4
	s_and_b64 s[18:19], s[28:29], exec
.LBB32_104:                             ;   in Loop: Header=BB32_8 Depth=1
	s_or_b64 exec, exec, s[20:21]
	s_mov_b64 s[28:29], -1
	s_mov_b64 s[20:21], 0
	s_mov_b64 s[26:27], 0
.LBB32_105:                             ;   in Loop: Header=BB32_8 Depth=1
	s_andn2_b64 s[10:11], s[66:67], exec
	s_and_b64 s[12:13], s[20:21], exec
	s_or_b64 s[66:67], s[10:11], s[12:13]
	s_andn2_b64 s[10:11], s[64:65], exec
	s_and_b64 s[12:13], s[28:29], exec
	s_or_b64 s[64:65], s[10:11], s[12:13]
	;; [unrolled: 3-line block ×3, first 2 shown]
	s_and_saveexec_b64 s[20:21], s[18:19]
	s_cbranch_execz .LBB32_7
; %bb.106:                              ;   in Loop: Header=BB32_8 Depth=1
	s_xor_b64 s[10:11], s[24:25], -1
	s_mov_b64 s[18:19], 0
	s_andn2_b64 vcc, exec, s[10:11]
	s_mov_b32 s39, 1
	s_cbranch_vccnz .LBB32_117
; %bb.107:                              ;   in Loop: Header=BB32_8 Depth=1
	s_cmp_gt_i32 s61, s34
	s_mov_b64 s[18:19], -1
                                        ; implicit-def: $sgpr57
                                        ; implicit-def: $sgpr10
                                        ; implicit-def: $sgpr11
	s_cbranch_scc1 .LBB32_113
; %bb.108:                              ;   in Loop: Header=BB32_8 Depth=1
	ds_read_b32 v2, v9 offset:4096
	s_waitcnt lgkmcnt(0)
	v_cmp_ne_u32_e32 vcc, 0, v2
	s_cbranch_vccnz .LBB32_112
; %bb.109:                              ;   in Loop: Header=BB32_8 Depth=1
	s_mov_b64 s[18:19], exec
	v_readlane_b32 s10, v48, 4
	v_readlane_b32 s11, v48, 5
	s_and_b64 s[10:11], s[18:19], s[10:11]
	s_mov_b64 exec, s[10:11]
	s_cbranch_execz .LBB32_111
; %bb.110:                              ;   in Loop: Header=BB32_8 Depth=1
	v_mov_b32_e32 v2, s34
	ds_write_b32 v9, v2 offset:4100
.LBB32_111:                             ;   in Loop: Header=BB32_8 Depth=1
	s_or_b64 exec, exec, s[18:19]
	s_waitcnt lgkmcnt(0)
	s_barrier
.LBB32_112:                             ;   in Loop: Header=BB32_8 Depth=1
	s_and_b32 s10, s73, s48
	s_or_b32 s11, s72, s55
	s_mov_b64 s[18:19], 0
	s_mov_b32 s57, 8
.LBB32_113:                             ;   in Loop: Header=BB32_8 Depth=1
	s_andn2_b64 vcc, exec, s[18:19]
	s_cbranch_vccnz .LBB32_115
; %bb.114:                              ;   in Loop: Header=BB32_8 Depth=1
	s_sub_i32 s61, s61, s34
	s_mov_b64 s[18:19], -1
	s_mov_b32 s57, 0
	s_mov_b32 s10, s73
	;; [unrolled: 1-line block ×3, first 2 shown]
.LBB32_115:                             ;   in Loop: Header=BB32_8 Depth=1
	s_mov_b32 s72, s11
	s_mov_b32 s73, s10
	;; [unrolled: 1-line block ×3, first 2 shown]
	s_mov_b64 s[22:23], -1
	s_and_b64 vcc, exec, s[18:19]
	s_cbranch_vccnz .LBB32_118
.LBB32_116:                             ;   in Loop: Header=BB32_8 Depth=1
	s_mov_b64 s[36:37], -1
                                        ; implicit-def: $sgpr24_sgpr25
                                        ; implicit-def: $sgpr28_sgpr29
                                        ; implicit-def: $sgpr26_sgpr27
	s_and_saveexec_b64 s[10:11], s[36:37]
	s_xor_b64 s[18:19], exec, s[10:11]
	s_cbranch_execz .LBB32_6
	s_branch .LBB32_241
.LBB32_117:                             ;   in Loop: Header=BB32_8 Depth=1
	s_mov_b32 s57, 1
	s_mov_b64 s[22:23], -1
	s_and_b64 vcc, exec, s[18:19]
	s_cbranch_vccz .LBB32_116
.LBB32_118:                             ;   in Loop: Header=BB32_8 Depth=1
	s_cmp_eq_u32 s38, 1
	s_cselect_b64 s[10:11], -1, 0
	s_cmp_eq_u32 s39, 1
	s_cselect_b64 s[12:13], -1, 0
	s_and_b64 s[34:35], s[10:11], s[12:13]
	s_mov_b64 s[18:19], -1
	s_and_b64 vcc, exec, s[34:35]
	s_cbranch_vccz .LBB32_130
; %bb.119:                              ;   in Loop: Header=BB32_8 Depth=1
	ds_read_b32 v2, v9 offset:4096
	s_waitcnt lgkmcnt(0)
	s_barrier
	v_readfirstlane_b32 s10, v2
	s_and_saveexec_b64 s[18:19], s[4:5]
	s_cbranch_execz .LBB32_121
; %bb.120:                              ;   in Loop: Header=BB32_8 Depth=1
	ds_write_b16 v22, v9
.LBB32_121:                             ;   in Loop: Header=BB32_8 Depth=1
	s_or_b64 exec, exec, s[18:19]
	s_lshl_b32 s11, 1, s47
	s_and_b32 s12, s73, s48
	s_or_b32 s73, s12, s11
	s_or_b32 s72, s72, s55
	s_cmp_gt_i32 s10, 0
	s_waitcnt lgkmcnt(0)
	s_barrier
	s_cbranch_scc1 .LBB32_131
; %bb.122:                              ;   in Loop: Header=BB32_8 Depth=1
	s_mov_b64 s[18:19], 0
                                        ; implicit-def: $vgpr35
	s_mov_b64 s[24:25], exec
	v_readlane_b32 s12, v48, 37
	v_readlane_b32 s13, v48, 38
	s_and_b64 s[12:13], s[24:25], s[12:13]
	s_mov_b64 exec, s[12:13]
	s_cbranch_execz .LBB32_133
; %bb.123:                              ;   in Loop: Header=BB32_8 Depth=1
	s_mov_b64 s[26:27], 0
	v_mov_b32_e32 v2, v6
	v_mov_b32_e32 v4, v0
                                        ; implicit-def: $sgpr28_sgpr29
	s_branch .LBB32_125
.LBB32_124:                             ;   in Loop: Header=BB32_125 Depth=2
	s_or_b64 exec, exec, s[18:19]
	s_waitcnt lgkmcnt(0)
	s_barrier
	s_waitcnt vmcnt(0)
	ds_read_b32 v3, v9 offset:3072
	v_add_u32_e32 v4, s33, v4
	v_cmp_le_i32_e64 s[18:19], s7, v4
	v_add_u32_e32 v2, s76, v2
	s_waitcnt lgkmcnt(0)
	v_cmp_ne_u16_e32 vcc, 0, v3
	s_or_b64 s[12:13], s[18:19], vcc
	s_and_b64 s[12:13], exec, s[12:13]
	s_or_b64 s[26:27], s[12:13], s[26:27]
	s_andn2_b64 s[12:13], s[28:29], exec
	s_and_b64 s[18:19], vcc, exec
	s_or_b64 s[28:29], s[12:13], s[18:19]
	s_barrier
	s_andn2_b64 exec, exec, s[26:27]
	s_cbranch_execz .LBB32_132
.LBB32_125:                             ;   Parent Loop BB32_8 Depth=1
                                        ; =>  This Inner Loop Header: Depth=2
	v_cmp_gt_i32_e32 vcc, s60, v4
	v_mov_b32_e32 v3, 0
	s_and_saveexec_b64 s[30:31], vcc
	s_cbranch_execz .LBB32_127
; %bb.126:                              ;   in Loop: Header=BB32_125 Depth=2
	v_ashrrev_i32_e32 v3, 31, v2
	v_lshlrev_b64 v[16:17], 1, v[2:3]
	v_mov_b32_e32 v3, s78
	v_add_co_u32_e64 v16, s[18:19], s62, v16
	v_addc_co_u32_e64 v17, s[18:19], v3, v17, s[18:19]
	global_load_ushort v3, v[16:17], off
.LBB32_127:                             ;   in Loop: Header=BB32_125 Depth=2
	s_or_b64 exec, exec, s[30:31]
	s_and_saveexec_b64 s[18:19], vcc
	s_cbranch_execz .LBB32_124
; %bb.128:                              ;   in Loop: Header=BB32_125 Depth=2
	s_waitcnt vmcnt(0)
	v_add_u32_sdwa v5, sext(v3), s6 dst_sel:DWORD dst_unused:UNUSED_PAD src0_sel:WORD_0 src1_sel:DWORD
	v_and_b32_e32 v5, s72, v5
	v_cmp_eq_u32_e32 vcc, s73, v5
	s_and_b64 exec, exec, vcc
	s_cbranch_execz .LBB32_124
; %bb.129:                              ;   in Loop: Header=BB32_125 Depth=2
	v_perm_b32 v3, v3, 1, v34
	ds_write_b32 v9, v3 offset:3072
	s_branch .LBB32_124
.LBB32_130:                             ;   in Loop: Header=BB32_8 Depth=1
                                        ; implicit-def: $sgpr26_sgpr27
                                        ; implicit-def: $sgpr28_sgpr29
                                        ; implicit-def: $sgpr24_sgpr25
	s_branch .LBB32_144
.LBB32_131:                             ;   in Loop: Header=BB32_8 Depth=1
	s_mov_b64 s[26:27], -1
	s_mov_b64 s[18:19], 0
                                        ; implicit-def: $sgpr24_sgpr25
                                        ; implicit-def: $vgpr35
	s_mov_b64 s[28:29], s[26:27]
	s_cbranch_execnz .LBB32_134
	s_branch .LBB32_144
.LBB32_132:                             ;   in Loop: Header=BB32_8 Depth=1
	s_or_b64 exec, exec, s[26:27]
	v_lshrrev_b32_e32 v35, 16, v3
	s_and_b64 s[18:19], s[28:29], exec
.LBB32_133:                             ;   in Loop: Header=BB32_8 Depth=1
	s_or_b64 exec, exec, s[24:25]
	s_mov_b64 s[24:25], -1
	s_mov_b64 s[26:27], 0
	s_mov_b64 s[28:29], s[26:27]
	s_branch .LBB32_144
.LBB32_134:                             ;   in Loop: Header=BB32_8 Depth=1
	v_readlane_b32 s11, v48, 9
	s_add_i32 s11, s10, s11
	s_abs_i32 s13, s11
	v_readlane_b32 s18, v48, 36
	s_mul_hi_u32 s18, s13, s18
	s_mul_i32 s18, s18, s33
	s_sub_i32 s13, s13, s18
	s_ashr_i32 s12, s11, 31
	s_sub_i32 s18, s13, s33
	s_cmp_ge_u32 s13, s33
	s_cselect_b32 s13, s18, s13
	s_sub_i32 s18, s13, s33
	s_cmp_ge_u32 s13, s33
	s_cselect_b32 s13, s18, s13
	s_xor_b32 s13, s13, s12
	s_sub_i32 s12, s12, s13
	s_add_i32 s11, s11, s12
	v_cmp_gt_i32_e32 vcc, s11, v0
	s_mov_b64 s[18:19], 0
                                        ; implicit-def: $vgpr35
	s_and_saveexec_b64 s[24:25], vcc
	s_cbranch_execz .LBB32_143
; %bb.135:                              ;   in Loop: Header=BB32_8 Depth=1
	s_mov_b64 s[26:27], 0
	v_mov_b32_e32 v2, v21
	v_mov_b32_e32 v3, v0
                                        ; implicit-def: $sgpr28_sgpr29
	s_branch .LBB32_137
.LBB32_136:                             ;   in Loop: Header=BB32_137 Depth=2
	s_or_b64 exec, exec, s[18:19]
	s_waitcnt lgkmcnt(0)
	s_barrier
	ds_read_b32 v4, v9 offset:3072
	v_add_u32_e32 v3, s33, v3
	v_cmp_le_i32_e64 s[18:19], s11, v3
	v_add_u32_e32 v2, s77, v2
	s_waitcnt lgkmcnt(0)
	v_cmp_ne_u16_e32 vcc, 0, v4
	s_or_b64 s[12:13], s[18:19], vcc
	s_and_b64 s[12:13], exec, s[12:13]
	s_or_b64 s[26:27], s[12:13], s[26:27]
	s_andn2_b64 s[12:13], s[28:29], exec
	s_and_b64 s[18:19], vcc, exec
	s_or_b64 s[28:29], s[12:13], s[18:19]
	s_barrier
	s_andn2_b64 exec, exec, s[26:27]
	s_cbranch_execz .LBB32_142
.LBB32_137:                             ;   Parent Loop BB32_8 Depth=1
                                        ; =>  This Inner Loop Header: Depth=2
	v_cmp_gt_i32_e32 vcc, s10, v3
	v_mov_b32_e32 v4, 0
	s_and_saveexec_b64 s[18:19], vcc
	s_cbranch_execz .LBB32_139
; %bb.138:                              ;   in Loop: Header=BB32_137 Depth=2
	ds_read_u16 v4, v2
.LBB32_139:                             ;   in Loop: Header=BB32_137 Depth=2
	s_or_b64 exec, exec, s[18:19]
	s_and_saveexec_b64 s[18:19], vcc
	s_cbranch_execz .LBB32_136
; %bb.140:                              ;   in Loop: Header=BB32_137 Depth=2
	s_waitcnt lgkmcnt(0)
	v_add_u32_sdwa v5, sext(v4), s6 dst_sel:DWORD dst_unused:UNUSED_PAD src0_sel:WORD_0 src1_sel:DWORD
	v_and_b32_e32 v5, s72, v5
	v_cmp_eq_u32_e32 vcc, s73, v5
	s_and_b64 exec, exec, vcc
	s_cbranch_execz .LBB32_136
; %bb.141:                              ;   in Loop: Header=BB32_137 Depth=2
	v_perm_b32 v4, v4, 1, v34
	ds_write_b32 v9, v4 offset:3072
	s_branch .LBB32_136
.LBB32_142:                             ;   in Loop: Header=BB32_8 Depth=1
	s_or_b64 exec, exec, s[26:27]
	v_lshrrev_b32_e32 v35, 16, v4
	s_and_b64 s[18:19], s[28:29], exec
.LBB32_143:                             ;   in Loop: Header=BB32_8 Depth=1
	s_or_b64 exec, exec, s[24:25]
	s_mov_b64 s[28:29], -1
	s_mov_b64 s[26:27], 0
	s_mov_b64 s[24:25], 0
.LBB32_144:                             ;   in Loop: Header=BB32_8 Depth=1
	s_mov_b64 s[36:37], 0
                                        ; implicit-def: $sgpr57
	s_and_saveexec_b64 s[30:31], s[18:19]
	s_cbranch_execz .LBB32_240
; %bb.145:                              ;   in Loop: Header=BB32_8 Depth=1
	s_xor_b64 s[10:11], s[34:35], -1
	s_mov_b64 s[18:19], 0
	s_andn2_b64 vcc, exec, s[10:11]
	s_mov_b32 s49, 1
	s_cbranch_vccnz .LBB32_156
; %bb.146:                              ;   in Loop: Header=BB32_8 Depth=1
	s_cmp_gt_i32 s39, s38
	s_mov_b64 s[18:19], -1
                                        ; implicit-def: $sgpr57
                                        ; implicit-def: $sgpr10
                                        ; implicit-def: $sgpr11
	s_cbranch_scc1 .LBB32_152
; %bb.147:                              ;   in Loop: Header=BB32_8 Depth=1
	ds_read_b32 v2, v9 offset:4096
	s_waitcnt lgkmcnt(0)
	v_cmp_ne_u32_e32 vcc, 0, v2
	s_cbranch_vccnz .LBB32_151
; %bb.148:                              ;   in Loop: Header=BB32_8 Depth=1
	s_mov_b64 s[18:19], exec
	v_readlane_b32 s10, v48, 4
	v_readlane_b32 s11, v48, 5
	s_and_b64 s[10:11], s[18:19], s[10:11]
	s_mov_b64 exec, s[10:11]
	s_cbranch_execz .LBB32_150
; %bb.149:                              ;   in Loop: Header=BB32_8 Depth=1
	v_mov_b32_e32 v2, s38
	ds_write_b32 v9, v2 offset:4100
.LBB32_150:                             ;   in Loop: Header=BB32_8 Depth=1
	s_or_b64 exec, exec, s[18:19]
	s_waitcnt lgkmcnt(0)
	s_barrier
.LBB32_151:                             ;   in Loop: Header=BB32_8 Depth=1
	s_lshl_b32 s10, 1, s47
	s_and_b32 s11, s73, s48
	s_or_b32 s10, s11, s10
	s_or_b32 s11, s72, s55
	s_mov_b64 s[18:19], 0
	s_mov_b32 s57, 8
.LBB32_152:                             ;   in Loop: Header=BB32_8 Depth=1
	s_andn2_b64 vcc, exec, s[18:19]
	s_cbranch_vccnz .LBB32_154
; %bb.153:                              ;   in Loop: Header=BB32_8 Depth=1
	s_sub_i32 s39, s39, s38
	s_mov_b64 s[18:19], -1
	s_mov_b32 s57, 0
	s_mov_b32 s10, s73
	;; [unrolled: 1-line block ×3, first 2 shown]
.LBB32_154:                             ;   in Loop: Header=BB32_8 Depth=1
	s_mov_b32 s72, s11
	s_mov_b32 s73, s10
	;; [unrolled: 1-line block ×3, first 2 shown]
	s_andn2_b64 vcc, exec, s[18:19]
	s_mov_b64 s[44:45], -1
	s_cbranch_vccz .LBB32_157
.LBB32_155:                             ;   in Loop: Header=BB32_8 Depth=1
                                        ; implicit-def: $sgpr36_sgpr37
                                        ; implicit-def: $sgpr38_sgpr39
                                        ; implicit-def: $sgpr34_sgpr35
	s_branch .LBB32_239
.LBB32_156:                             ;   in Loop: Header=BB32_8 Depth=1
	s_mov_b32 s57, 1
	s_andn2_b64 vcc, exec, s[18:19]
	s_mov_b64 s[44:45], -1
	s_cbranch_vccnz .LBB32_155
.LBB32_157:                             ;   in Loop: Header=BB32_8 Depth=1
	s_cmp_eq_u32 s46, 1
	s_cselect_b64 s[10:11], -1, 0
	s_cmp_eq_u32 s49, 1
	s_cselect_b64 s[12:13], -1, 0
	s_and_b64 s[42:43], s[10:11], s[12:13]
	s_mov_b64 s[18:19], -1
	s_and_b64 vcc, exec, s[42:43]
	s_cbranch_vccz .LBB32_169
; %bb.158:                              ;   in Loop: Header=BB32_8 Depth=1
	ds_read_b32 v2, v9 offset:4096
	s_waitcnt lgkmcnt(0)
	s_barrier
	v_readfirstlane_b32 s10, v2
	s_and_saveexec_b64 s[18:19], s[4:5]
	s_cbranch_execz .LBB32_160
; %bb.159:                              ;   in Loop: Header=BB32_8 Depth=1
	ds_write_b16 v22, v9
.LBB32_160:                             ;   in Loop: Header=BB32_8 Depth=1
	s_or_b64 exec, exec, s[18:19]
	s_lshl_b32 s11, 2, s47
	s_and_b32 s12, s73, s48
	s_or_b32 s73, s12, s11
	s_or_b32 s72, s72, s55
	s_cmp_gt_i32 s10, 0
	s_waitcnt lgkmcnt(0)
	s_barrier
	s_cbranch_scc1 .LBB32_170
; %bb.161:                              ;   in Loop: Header=BB32_8 Depth=1
	s_mov_b64 s[18:19], 0
                                        ; implicit-def: $vgpr35
	s_mov_b64 s[34:35], exec
	v_readlane_b32 s12, v48, 37
	v_readlane_b32 s13, v48, 38
	s_and_b64 s[12:13], s[34:35], s[12:13]
	s_mov_b64 exec, s[12:13]
	s_cbranch_execz .LBB32_172
; %bb.162:                              ;   in Loop: Header=BB32_8 Depth=1
	v_mov_b32_e32 v2, v6
	v_mov_b32_e32 v4, v0
                                        ; implicit-def: $sgpr38_sgpr39
	s_branch .LBB32_164
.LBB32_163:                             ;   in Loop: Header=BB32_164 Depth=2
	s_or_b64 exec, exec, s[18:19]
	s_waitcnt lgkmcnt(0)
	s_barrier
	s_waitcnt vmcnt(0)
	ds_read_b32 v3, v9 offset:3072
	v_add_u32_e32 v4, s33, v4
	v_cmp_le_i32_e64 s[18:19], s7, v4
	v_add_u32_e32 v2, s76, v2
	s_waitcnt lgkmcnt(0)
	v_cmp_ne_u16_e32 vcc, 0, v3
	s_or_b64 s[12:13], s[18:19], vcc
	s_and_b64 s[12:13], exec, s[12:13]
	s_or_b64 s[36:37], s[12:13], s[36:37]
	s_andn2_b64 s[12:13], s[38:39], exec
	s_and_b64 s[18:19], vcc, exec
	s_or_b64 s[38:39], s[12:13], s[18:19]
	s_barrier
	s_andn2_b64 exec, exec, s[36:37]
	s_cbranch_execz .LBB32_171
.LBB32_164:                             ;   Parent Loop BB32_8 Depth=1
                                        ; =>  This Inner Loop Header: Depth=2
	v_cmp_gt_i32_e32 vcc, s60, v4
	v_mov_b32_e32 v3, 0
	s_and_saveexec_b64 s[40:41], vcc
	s_cbranch_execz .LBB32_166
; %bb.165:                              ;   in Loop: Header=BB32_164 Depth=2
	v_ashrrev_i32_e32 v3, 31, v2
	v_lshlrev_b64 v[16:17], 1, v[2:3]
	v_mov_b32_e32 v3, s78
	v_add_co_u32_e64 v16, s[18:19], s62, v16
	v_addc_co_u32_e64 v17, s[18:19], v3, v17, s[18:19]
	global_load_ushort v3, v[16:17], off
.LBB32_166:                             ;   in Loop: Header=BB32_164 Depth=2
	s_or_b64 exec, exec, s[40:41]
	s_and_saveexec_b64 s[18:19], vcc
	s_cbranch_execz .LBB32_163
; %bb.167:                              ;   in Loop: Header=BB32_164 Depth=2
	s_waitcnt vmcnt(0)
	v_add_u32_sdwa v5, sext(v3), s6 dst_sel:DWORD dst_unused:UNUSED_PAD src0_sel:WORD_0 src1_sel:DWORD
	v_and_b32_e32 v5, s72, v5
	v_cmp_eq_u32_e32 vcc, s73, v5
	s_and_b64 exec, exec, vcc
	s_cbranch_execz .LBB32_163
; %bb.168:                              ;   in Loop: Header=BB32_164 Depth=2
	v_perm_b32 v3, v3, 1, v34
	ds_write_b32 v9, v3 offset:3072
	s_branch .LBB32_163
.LBB32_169:                             ;   in Loop: Header=BB32_8 Depth=1
                                        ; implicit-def: $sgpr34_sgpr35
                                        ; implicit-def: $sgpr38_sgpr39
                                        ; implicit-def: $sgpr36_sgpr37
	s_branch .LBB32_183
.LBB32_170:                             ;   in Loop: Header=BB32_8 Depth=1
	s_mov_b64 s[34:35], -1
	s_mov_b64 s[18:19], 0
                                        ; implicit-def: $sgpr36_sgpr37
                                        ; implicit-def: $vgpr35
	s_mov_b64 s[38:39], s[34:35]
	s_cbranch_execnz .LBB32_173
	s_branch .LBB32_183
.LBB32_171:                             ;   in Loop: Header=BB32_8 Depth=1
	s_or_b64 exec, exec, s[36:37]
	v_lshrrev_b32_e32 v35, 16, v3
	s_and_b64 s[18:19], s[38:39], exec
.LBB32_172:                             ;   in Loop: Header=BB32_8 Depth=1
	s_or_b64 exec, exec, s[34:35]
	s_mov_b64 s[36:37], -1
	s_mov_b64 s[34:35], 0
	s_mov_b64 s[38:39], s[34:35]
	s_branch .LBB32_183
.LBB32_173:                             ;   in Loop: Header=BB32_8 Depth=1
	v_readlane_b32 s11, v48, 9
	s_add_i32 s11, s10, s11
	s_abs_i32 s13, s11
	v_readlane_b32 s18, v48, 36
	s_mul_hi_u32 s18, s13, s18
	s_mul_i32 s18, s18, s33
	s_sub_i32 s13, s13, s18
	s_ashr_i32 s12, s11, 31
	s_sub_i32 s18, s13, s33
	s_cmp_ge_u32 s13, s33
	s_cselect_b32 s13, s18, s13
	s_sub_i32 s18, s13, s33
	s_cmp_ge_u32 s13, s33
	s_cselect_b32 s13, s18, s13
	s_xor_b32 s13, s13, s12
	s_sub_i32 s12, s12, s13
	s_add_i32 s11, s11, s12
	v_cmp_gt_i32_e32 vcc, s11, v0
	s_mov_b64 s[18:19], 0
                                        ; implicit-def: $vgpr35
	s_and_saveexec_b64 s[34:35], vcc
	s_cbranch_execz .LBB32_182
; %bb.174:                              ;   in Loop: Header=BB32_8 Depth=1
	s_mov_b64 s[36:37], 0
	v_mov_b32_e32 v2, v21
	v_mov_b32_e32 v3, v0
                                        ; implicit-def: $sgpr38_sgpr39
	s_branch .LBB32_176
.LBB32_175:                             ;   in Loop: Header=BB32_176 Depth=2
	s_or_b64 exec, exec, s[18:19]
	s_waitcnt lgkmcnt(0)
	s_barrier
	ds_read_b32 v4, v9 offset:3072
	v_add_u32_e32 v3, s33, v3
	v_cmp_le_i32_e64 s[18:19], s11, v3
	v_add_u32_e32 v2, s77, v2
	s_waitcnt lgkmcnt(0)
	v_cmp_ne_u16_e32 vcc, 0, v4
	s_or_b64 s[12:13], s[18:19], vcc
	s_and_b64 s[12:13], exec, s[12:13]
	s_or_b64 s[36:37], s[12:13], s[36:37]
	s_andn2_b64 s[12:13], s[38:39], exec
	s_and_b64 s[18:19], vcc, exec
	s_or_b64 s[38:39], s[12:13], s[18:19]
	s_barrier
	s_andn2_b64 exec, exec, s[36:37]
	s_cbranch_execz .LBB32_181
.LBB32_176:                             ;   Parent Loop BB32_8 Depth=1
                                        ; =>  This Inner Loop Header: Depth=2
	v_cmp_gt_i32_e32 vcc, s10, v3
	v_mov_b32_e32 v4, 0
	s_and_saveexec_b64 s[18:19], vcc
	s_cbranch_execz .LBB32_178
; %bb.177:                              ;   in Loop: Header=BB32_176 Depth=2
	ds_read_u16 v4, v2
.LBB32_178:                             ;   in Loop: Header=BB32_176 Depth=2
	s_or_b64 exec, exec, s[18:19]
	s_and_saveexec_b64 s[18:19], vcc
	s_cbranch_execz .LBB32_175
; %bb.179:                              ;   in Loop: Header=BB32_176 Depth=2
	s_waitcnt lgkmcnt(0)
	v_add_u32_sdwa v5, sext(v4), s6 dst_sel:DWORD dst_unused:UNUSED_PAD src0_sel:WORD_0 src1_sel:DWORD
	v_and_b32_e32 v5, s72, v5
	v_cmp_eq_u32_e32 vcc, s73, v5
	s_and_b64 exec, exec, vcc
	s_cbranch_execz .LBB32_175
; %bb.180:                              ;   in Loop: Header=BB32_176 Depth=2
	v_perm_b32 v4, v4, 1, v34
	ds_write_b32 v9, v4 offset:3072
	s_branch .LBB32_175
.LBB32_181:                             ;   in Loop: Header=BB32_8 Depth=1
	s_or_b64 exec, exec, s[36:37]
	v_lshrrev_b32_e32 v35, 16, v4
	s_and_b64 s[18:19], s[38:39], exec
.LBB32_182:                             ;   in Loop: Header=BB32_8 Depth=1
	s_or_b64 exec, exec, s[34:35]
	s_mov_b64 s[38:39], -1
	s_mov_b64 s[34:35], 0
	s_mov_b64 s[36:37], 0
.LBB32_183:                             ;   in Loop: Header=BB32_8 Depth=1
	s_mov_b64 s[44:45], 0
                                        ; implicit-def: $sgpr57
	s_and_saveexec_b64 s[40:41], s[18:19]
	s_cbranch_execz .LBB32_238
; %bb.184:                              ;   in Loop: Header=BB32_8 Depth=1
	s_xor_b64 s[10:11], s[42:43], -1
	s_mov_b64 s[18:19], 0
	s_andn2_b64 vcc, exec, s[10:11]
	s_mov_b32 s56, 1
	s_cbranch_vccnz .LBB32_195
; %bb.185:                              ;   in Loop: Header=BB32_8 Depth=1
	s_cmp_gt_i32 s49, s46
	s_mov_b64 s[18:19], -1
                                        ; implicit-def: $sgpr57
                                        ; implicit-def: $sgpr10
                                        ; implicit-def: $sgpr11
	s_cbranch_scc1 .LBB32_191
; %bb.186:                              ;   in Loop: Header=BB32_8 Depth=1
	ds_read_b32 v2, v9 offset:4096
	s_waitcnt lgkmcnt(0)
	v_cmp_ne_u32_e32 vcc, 0, v2
	s_cbranch_vccnz .LBB32_190
; %bb.187:                              ;   in Loop: Header=BB32_8 Depth=1
	s_mov_b64 s[18:19], exec
	v_readlane_b32 s10, v48, 4
	v_readlane_b32 s11, v48, 5
	s_and_b64 s[10:11], s[18:19], s[10:11]
	s_mov_b64 exec, s[10:11]
	s_cbranch_execz .LBB32_189
; %bb.188:                              ;   in Loop: Header=BB32_8 Depth=1
	v_mov_b32_e32 v2, s46
	ds_write_b32 v9, v2 offset:4100
.LBB32_189:                             ;   in Loop: Header=BB32_8 Depth=1
	s_or_b64 exec, exec, s[18:19]
	s_waitcnt lgkmcnt(0)
	s_barrier
.LBB32_190:                             ;   in Loop: Header=BB32_8 Depth=1
	s_lshl_b32 s10, 2, s47
	s_and_b32 s11, s73, s48
	s_or_b32 s10, s11, s10
	s_or_b32 s11, s72, s55
	s_mov_b64 s[18:19], 0
	s_mov_b32 s57, 8
.LBB32_191:                             ;   in Loop: Header=BB32_8 Depth=1
	s_andn2_b64 vcc, exec, s[18:19]
	s_cbranch_vccnz .LBB32_193
; %bb.192:                              ;   in Loop: Header=BB32_8 Depth=1
	s_sub_i32 s49, s49, s46
	s_mov_b64 s[18:19], -1
	s_mov_b32 s57, 0
	s_mov_b32 s10, s73
	;; [unrolled: 1-line block ×3, first 2 shown]
.LBB32_193:                             ;   in Loop: Header=BB32_8 Depth=1
	s_mov_b32 s72, s11
	s_mov_b32 s73, s10
	s_mov_b32 s56, s49
	s_andn2_b64 vcc, exec, s[18:19]
	s_mov_b64 s[52:53], -1
	s_cbranch_vccz .LBB32_196
.LBB32_194:                             ;   in Loop: Header=BB32_8 Depth=1
                                        ; implicit-def: $sgpr18_sgpr19
                                        ; implicit-def: $sgpr46_sgpr47
                                        ; implicit-def: $sgpr44_sgpr45
	s_branch .LBB32_237
.LBB32_195:                             ;   in Loop: Header=BB32_8 Depth=1
	s_mov_b32 s57, 1
	s_andn2_b64 vcc, exec, s[18:19]
	s_mov_b64 s[52:53], -1
	s_cbranch_vccnz .LBB32_194
.LBB32_196:                             ;   in Loop: Header=BB32_8 Depth=1
	s_cmp_eq_u32 s54, 1
	s_cselect_b64 s[10:11], -1, 0
	s_cmp_eq_u32 s56, 1
	s_cselect_b64 s[12:13], -1, 0
	s_and_b64 s[42:43], s[10:11], s[12:13]
	s_mov_b64 s[48:49], -1
	s_and_b64 vcc, exec, s[42:43]
	s_cbranch_vccz .LBB32_208
; %bb.197:                              ;   in Loop: Header=BB32_8 Depth=1
	ds_read_b32 v2, v9 offset:4096
	s_waitcnt lgkmcnt(0)
	s_barrier
	v_readfirstlane_b32 s10, v2
	s_and_saveexec_b64 s[18:19], s[4:5]
	s_cbranch_execz .LBB32_199
; %bb.198:                              ;   in Loop: Header=BB32_8 Depth=1
	ds_write_b16 v22, v9
.LBB32_199:                             ;   in Loop: Header=BB32_8 Depth=1
	s_or_b64 exec, exec, s[18:19]
	s_or_b32 s73, s73, s55
	s_or_b32 s72, s72, s55
	s_cmp_gt_i32 s10, 0
	s_waitcnt lgkmcnt(0)
	s_barrier
	s_cbranch_scc1 .LBB32_209
; %bb.200:                              ;   in Loop: Header=BB32_8 Depth=1
	s_mov_b64 s[48:49], 0
                                        ; implicit-def: $vgpr35
	s_mov_b64 s[44:45], exec
	v_readlane_b32 s12, v48, 37
	v_readlane_b32 s13, v48, 38
	s_and_b64 s[12:13], s[44:45], s[12:13]
	s_mov_b64 exec, s[12:13]
	s_cbranch_execz .LBB32_211
; %bb.201:                              ;   in Loop: Header=BB32_8 Depth=1
	s_mov_b64 s[46:47], 0
	v_mov_b32_e32 v2, v6
	v_mov_b32_e32 v4, v0
                                        ; implicit-def: $sgpr48_sgpr49
	s_branch .LBB32_203
.LBB32_202:                             ;   in Loop: Header=BB32_203 Depth=2
	s_or_b64 exec, exec, s[18:19]
	s_waitcnt lgkmcnt(0)
	s_barrier
	s_waitcnt vmcnt(0)
	ds_read_b32 v3, v9 offset:3072
	v_add_u32_e32 v4, s33, v4
	v_cmp_le_i32_e64 s[18:19], s7, v4
	v_add_u32_e32 v2, s76, v2
	s_waitcnt lgkmcnt(0)
	v_cmp_ne_u16_e32 vcc, 0, v3
	s_or_b64 s[12:13], s[18:19], vcc
	s_and_b64 s[12:13], exec, s[12:13]
	s_or_b64 s[46:47], s[12:13], s[46:47]
	s_andn2_b64 s[12:13], s[48:49], exec
	s_and_b64 s[18:19], vcc, exec
	s_or_b64 s[48:49], s[12:13], s[18:19]
	s_barrier
	s_andn2_b64 exec, exec, s[46:47]
	s_cbranch_execz .LBB32_210
.LBB32_203:                             ;   Parent Loop BB32_8 Depth=1
                                        ; =>  This Inner Loop Header: Depth=2
	v_cmp_gt_i32_e32 vcc, s60, v4
	v_mov_b32_e32 v3, 0
	s_and_saveexec_b64 s[50:51], vcc
	s_cbranch_execz .LBB32_205
; %bb.204:                              ;   in Loop: Header=BB32_203 Depth=2
	v_ashrrev_i32_e32 v3, 31, v2
	v_lshlrev_b64 v[16:17], 1, v[2:3]
	v_mov_b32_e32 v3, s78
	v_add_co_u32_e64 v16, s[18:19], s62, v16
	v_addc_co_u32_e64 v17, s[18:19], v3, v17, s[18:19]
	global_load_ushort v3, v[16:17], off
.LBB32_205:                             ;   in Loop: Header=BB32_203 Depth=2
	s_or_b64 exec, exec, s[50:51]
	s_and_saveexec_b64 s[18:19], vcc
	s_cbranch_execz .LBB32_202
; %bb.206:                              ;   in Loop: Header=BB32_203 Depth=2
	s_waitcnt vmcnt(0)
	v_add_u32_sdwa v5, sext(v3), s6 dst_sel:DWORD dst_unused:UNUSED_PAD src0_sel:WORD_0 src1_sel:DWORD
	v_and_b32_e32 v5, s72, v5
	v_cmp_eq_u32_e32 vcc, s73, v5
	s_and_b64 exec, exec, vcc
	s_cbranch_execz .LBB32_202
; %bb.207:                              ;   in Loop: Header=BB32_203 Depth=2
	v_perm_b32 v3, v3, 1, v34
	ds_write_b32 v9, v3 offset:3072
	s_branch .LBB32_202
.LBB32_208:                             ;   in Loop: Header=BB32_8 Depth=1
                                        ; implicit-def: $sgpr18_sgpr19
                                        ; implicit-def: $sgpr46_sgpr47
                                        ; implicit-def: $sgpr44_sgpr45
	s_branch .LBB32_222
.LBB32_209:                             ;   in Loop: Header=BB32_8 Depth=1
	s_mov_b64 s[18:19], -1
	s_mov_b64 s[48:49], 0
                                        ; implicit-def: $sgpr44_sgpr45
                                        ; implicit-def: $vgpr35
	s_mov_b64 s[46:47], s[18:19]
	s_cbranch_execnz .LBB32_212
	s_branch .LBB32_222
.LBB32_210:                             ;   in Loop: Header=BB32_8 Depth=1
	s_or_b64 exec, exec, s[46:47]
	v_lshrrev_b32_e32 v35, 16, v3
	s_and_b64 s[48:49], s[48:49], exec
.LBB32_211:                             ;   in Loop: Header=BB32_8 Depth=1
	s_or_b64 exec, exec, s[44:45]
	s_mov_b64 s[44:45], -1
	s_mov_b64 s[18:19], 0
	s_mov_b64 s[46:47], s[18:19]
	s_branch .LBB32_222
.LBB32_212:                             ;   in Loop: Header=BB32_8 Depth=1
	v_readlane_b32 s11, v48, 9
	s_add_i32 s11, s10, s11
	s_abs_i32 s13, s11
	v_readlane_b32 s18, v48, 36
	s_mul_hi_u32 s18, s13, s18
	s_mul_i32 s18, s18, s33
	s_sub_i32 s13, s13, s18
	s_ashr_i32 s12, s11, 31
	s_sub_i32 s18, s13, s33
	s_cmp_ge_u32 s13, s33
	s_cselect_b32 s13, s18, s13
	s_sub_i32 s18, s13, s33
	s_cmp_ge_u32 s13, s33
	s_cselect_b32 s13, s18, s13
	s_xor_b32 s13, s13, s12
	s_sub_i32 s12, s12, s13
	s_add_i32 s11, s11, s12
	v_cmp_gt_i32_e32 vcc, s11, v0
	s_mov_b64 s[48:49], 0
                                        ; implicit-def: $vgpr35
	s_and_saveexec_b64 s[44:45], vcc
	s_cbranch_execz .LBB32_221
; %bb.213:                              ;   in Loop: Header=BB32_8 Depth=1
	s_mov_b64 s[46:47], 0
	v_mov_b32_e32 v2, v21
	v_mov_b32_e32 v3, v0
                                        ; implicit-def: $sgpr48_sgpr49
	s_branch .LBB32_215
.LBB32_214:                             ;   in Loop: Header=BB32_215 Depth=2
	s_or_b64 exec, exec, s[18:19]
	s_waitcnt lgkmcnt(0)
	s_barrier
	ds_read_b32 v4, v9 offset:3072
	v_add_u32_e32 v3, s33, v3
	v_cmp_le_i32_e64 s[18:19], s11, v3
	v_add_u32_e32 v2, s77, v2
	s_waitcnt lgkmcnt(0)
	v_cmp_ne_u16_e32 vcc, 0, v4
	s_or_b64 s[12:13], s[18:19], vcc
	s_and_b64 s[12:13], exec, s[12:13]
	s_or_b64 s[46:47], s[12:13], s[46:47]
	s_andn2_b64 s[12:13], s[48:49], exec
	s_and_b64 s[18:19], vcc, exec
	s_or_b64 s[48:49], s[12:13], s[18:19]
	s_barrier
	s_andn2_b64 exec, exec, s[46:47]
	s_cbranch_execz .LBB32_220
.LBB32_215:                             ;   Parent Loop BB32_8 Depth=1
                                        ; =>  This Inner Loop Header: Depth=2
	v_cmp_gt_i32_e32 vcc, s10, v3
	v_mov_b32_e32 v4, 0
	s_and_saveexec_b64 s[18:19], vcc
	s_cbranch_execz .LBB32_217
; %bb.216:                              ;   in Loop: Header=BB32_215 Depth=2
	ds_read_u16 v4, v2
.LBB32_217:                             ;   in Loop: Header=BB32_215 Depth=2
	s_or_b64 exec, exec, s[18:19]
	s_and_saveexec_b64 s[18:19], vcc
	s_cbranch_execz .LBB32_214
; %bb.218:                              ;   in Loop: Header=BB32_215 Depth=2
	s_waitcnt lgkmcnt(0)
	v_add_u32_sdwa v5, sext(v4), s6 dst_sel:DWORD dst_unused:UNUSED_PAD src0_sel:WORD_0 src1_sel:DWORD
	v_and_b32_e32 v5, s72, v5
	v_cmp_eq_u32_e32 vcc, s73, v5
	s_and_b64 exec, exec, vcc
	s_cbranch_execz .LBB32_214
; %bb.219:                              ;   in Loop: Header=BB32_215 Depth=2
	v_perm_b32 v4, v4, 1, v34
	ds_write_b32 v9, v4 offset:3072
	s_branch .LBB32_214
.LBB32_220:                             ;   in Loop: Header=BB32_8 Depth=1
	s_or_b64 exec, exec, s[46:47]
	v_lshrrev_b32_e32 v35, 16, v4
	s_and_b64 s[48:49], s[48:49], exec
.LBB32_221:                             ;   in Loop: Header=BB32_8 Depth=1
	s_or_b64 exec, exec, s[44:45]
	s_mov_b64 s[46:47], -1
	s_mov_b64 s[18:19], 0
	s_mov_b64 s[44:45], 0
.LBB32_222:                             ;   in Loop: Header=BB32_8 Depth=1
	s_mov_b64 s[52:53], 0
                                        ; implicit-def: $sgpr57
	s_and_saveexec_b64 s[50:51], s[48:49]
	s_cbranch_execz .LBB32_236
; %bb.223:                              ;   in Loop: Header=BB32_8 Depth=1
	s_xor_b64 s[10:11], s[42:43], -1
	s_andn2_b64 vcc, exec, s[10:11]
	s_mov_b32 s57, 1
	s_cbranch_vccnz .LBB32_230
; %bb.224:                              ;   in Loop: Header=BB32_8 Depth=1
	s_cmp_gt_i32 s56, s54
	s_cbranch_scc1 .LBB32_231
; %bb.225:                              ;   in Loop: Header=BB32_8 Depth=1
	ds_read_b32 v2, v9 offset:4096
	s_waitcnt lgkmcnt(0)
	v_cmp_ne_u32_e32 vcc, 0, v2
	s_cbranch_vccnz .LBB32_229
; %bb.226:                              ;   in Loop: Header=BB32_8 Depth=1
	s_mov_b64 s[42:43], exec
	v_readlane_b32 s10, v48, 4
	v_readlane_b32 s11, v48, 5
	s_and_b64 s[10:11], s[42:43], s[10:11]
	s_mov_b64 exec, s[10:11]
	s_cbranch_execz .LBB32_228
; %bb.227:                              ;   in Loop: Header=BB32_8 Depth=1
	v_mov_b32_e32 v2, s54
	ds_write_b32 v9, v2 offset:4100
.LBB32_228:                             ;   in Loop: Header=BB32_8 Depth=1
	s_or_b64 exec, exec, s[42:43]
	s_waitcnt lgkmcnt(0)
	s_barrier
.LBB32_229:                             ;   in Loop: Header=BB32_8 Depth=1
	s_or_b32 s10, s73, s55
	s_or_b32 s11, s72, s55
	s_mov_b64 s[42:43], 0
	s_mov_b32 s57, 8
	s_branch .LBB32_232
.LBB32_230:                             ;   in Loop: Header=BB32_8 Depth=1
	s_mov_b32 s56, 1
	s_branch .LBB32_235
.LBB32_231:                             ;   in Loop: Header=BB32_8 Depth=1
	s_mov_b64 s[42:43], -1
                                        ; implicit-def: $sgpr57
                                        ; implicit-def: $sgpr10
                                        ; implicit-def: $sgpr11
.LBB32_232:                             ;   in Loop: Header=BB32_8 Depth=1
	s_andn2_b64 vcc, exec, s[42:43]
	s_cbranch_vccnz .LBB32_234
; %bb.233:                              ;   in Loop: Header=BB32_8 Depth=1
	s_sub_i32 s56, s56, s54
	s_mov_b32 s57, 8
	s_mov_b32 s10, s73
	;; [unrolled: 1-line block ×3, first 2 shown]
.LBB32_234:                             ;   in Loop: Header=BB32_8 Depth=1
	s_mov_b32 s73, s10
	s_mov_b32 s72, s11
.LBB32_235:                             ;   in Loop: Header=BB32_8 Depth=1
	s_mov_b64 s[52:53], exec
.LBB32_236:                             ;   in Loop: Header=BB32_8 Depth=1
	s_or_b64 exec, exec, s[50:51]
.LBB32_237:                             ;   in Loop: Header=BB32_8 Depth=1
	s_andn2_b64 s[10:11], s[34:35], exec
	s_and_b64 s[12:13], s[18:19], exec
	s_or_b64 s[34:35], s[10:11], s[12:13]
	s_andn2_b64 s[10:11], s[38:39], exec
	s_and_b64 s[12:13], s[46:47], exec
	s_or_b64 s[38:39], s[10:11], s[12:13]
	;; [unrolled: 3-line block ×3, first 2 shown]
	s_and_b64 s[44:45], s[52:53], exec
	s_mov_b32 s49, s56
.LBB32_238:                             ;   in Loop: Header=BB32_8 Depth=1
	s_or_b64 exec, exec, s[40:41]
.LBB32_239:                             ;   in Loop: Header=BB32_8 Depth=1
	s_andn2_b64 s[10:11], s[26:27], exec
	s_and_b64 s[12:13], s[34:35], exec
	s_or_b64 s[26:27], s[10:11], s[12:13]
	s_andn2_b64 s[10:11], s[28:29], exec
	s_and_b64 s[12:13], s[38:39], exec
	s_or_b64 s[28:29], s[10:11], s[12:13]
	;; [unrolled: 3-line block ×3, first 2 shown]
	s_and_b64 s[36:37], s[44:45], exec
	s_mov_b32 s39, s49
.LBB32_240:                             ;   in Loop: Header=BB32_8 Depth=1
	s_or_b64 exec, exec, s[30:31]
	s_and_saveexec_b64 s[10:11], s[36:37]
	s_xor_b64 s[18:19], exec, s[10:11]
	s_cbranch_execz .LBB32_6
.LBB32_241:                             ;   in Loop: Header=BB32_8 Depth=1
	s_and_b32 s10, s57, -9
	s_cmp_eq_u32 s10, 0
	s_cbranch_scc1 .LBB32_4
; %bb.242:                              ;   in Loop: Header=BB32_8 Depth=1
	s_mov_b64 s[22:23], -1
                                        ; implicit-def: $sgpr72
                                        ; implicit-def: $sgpr39
                                        ; implicit-def: $sgpr0
                                        ; implicit-def: $sgpr1
	s_mov_b64 s[30:31], -1
	s_branch .LBB32_5
.LBB32_243:
	s_or_b64 exec, exec, s[86:87]
	s_xor_b64 s[8:9], s[92:93], -1
	s_xor_b64 s[0:1], s[88:89], -1
	;; [unrolled: 1-line block ×3, first 2 shown]
	s_mov_b64 s[4:5], 0
	s_and_saveexec_b64 s[2:3], s[0:1]
	s_xor_b64 s[2:3], exec, s[2:3]
	s_cbranch_execnz .LBB32_248
; %bb.244:
	s_andn2_saveexec_b64 s[0:1], s[2:3]
	s_cbranch_execnz .LBB32_268
.LBB32_245:
	s_or_b64 exec, exec, s[0:1]
	s_and_saveexec_b64 s[0:1], s[4:5]
.LBB32_246:
	; divergent unreachable
.LBB32_247:
	s_endpgm
.LBB32_248:
	s_and_saveexec_b64 s[0:1], s[8:9]
	s_xor_b64 s[4:5], exec, s[0:1]
	s_cbranch_execz .LBB32_266
; %bb.249:
	s_and_saveexec_b64 s[0:1], s[6:7]
	s_xor_b64 s[6:7], exec, s[0:1]
; %bb.250:
	v_xor_b32_e32 v35, 0xffff8000, v2
; %bb.251:
	s_or_b64 exec, exec, s[6:7]
	s_mov_b64 s[6:7], exec
	v_readlane_b32 s0, v48, 4
	v_readlane_b32 s1, v48, 5
	s_and_b64 s[0:1], s[6:7], s[0:1]
	s_mov_b64 exec, s[0:1]
	s_cbranch_execz .LBB32_253
; %bb.252:
	v_mov_b32_e32 v1, 0
	v_mov_b32_e32 v2, s60
	ds_write_b32 v1, v2 offset:4108
.LBB32_253:
	s_or_b64 exec, exec, s[6:7]
	v_mov_b32_e32 v1, 0
	s_waitcnt lgkmcnt(0)
	s_barrier
	ds_read_b32 v1, v1 offset:4108
	s_waitcnt lgkmcnt(0)
	v_min_i32_e32 v1, s60, v1
	v_cmp_lt_i32_e32 vcc, v0, v1
	s_and_saveexec_b64 s[6:7], vcc
	s_cbranch_execz .LBB32_263
; %bb.254:
	s_mov_b64 s[8:9], 0
	v_mov_b32_e32 v3, s78
                                        ; implicit-def: $sgpr10_sgpr11
                                        ; implicit-def: $sgpr14_sgpr15
                                        ; implicit-def: $sgpr12_sgpr13
	s_branch .LBB32_256
.LBB32_255:                             ;   in Loop: Header=BB32_256 Depth=1
	s_or_b64 exec, exec, s[16:17]
	s_and_b64 s[0:1], exec, s[14:15]
	s_or_b64 s[8:9], s[0:1], s[8:9]
	s_andn2_b64 s[0:1], s[10:11], exec
	s_and_b64 s[10:11], s[12:13], exec
	s_or_b64 s[10:11], s[0:1], s[10:11]
	s_andn2_b64 exec, exec, s[8:9]
	s_cbranch_execz .LBB32_258
.LBB32_256:                             ; =>This Inner Loop Header: Depth=1
	v_ashrrev_i32_e32 v7, 31, v6
	v_lshlrev_b64 v[4:5], 1, v[6:7]
	v_add_co_u32_e32 v4, vcc, s62, v4
	v_addc_co_u32_e32 v5, vcc, v3, v5, vcc
	global_load_ushort v4, v[4:5], off
	v_mov_b32_e32 v2, v0
	s_or_b64 s[12:13], s[12:13], exec
	s_or_b64 s[14:15], s[14:15], exec
                                        ; implicit-def: $vgpr0
	s_waitcnt vmcnt(0)
	v_cmp_ne_u16_e32 vcc, v4, v35
	s_and_saveexec_b64 s[16:17], vcc
	s_cbranch_execz .LBB32_255
; %bb.257:                              ;   in Loop: Header=BB32_256 Depth=1
	v_add_u32_e32 v0, s33, v2
	v_cmp_ge_i32_e32 vcc, v0, v1
	s_andn2_b64 s[0:1], s[14:15], exec
	s_and_b64 s[14:15], vcc, exec
	v_add_u32_e32 v6, s76, v6
	s_andn2_b64 s[12:13], s[12:13], exec
	s_or_b64 s[14:15], s[0:1], s[14:15]
	s_branch .LBB32_255
.LBB32_258:
	s_or_b64 exec, exec, s[8:9]
	s_and_saveexec_b64 s[0:1], s[10:11]
	s_xor_b64 s[0:1], exec, s[0:1]
	s_cbranch_execz .LBB32_263
; %bb.259:
	s_mov_b64 s[8:9], exec
	s_brev_b32 s0, -2
.LBB32_260:                             ; =>This Inner Loop Header: Depth=1
	s_ff1_i32_b64 s1, s[8:9]
	v_readlane_b32 s12, v2, s1
	s_lshl_b64 s[10:11], 1, s1
	s_min_i32 s0, s0, s12
	s_andn2_b64 s[8:9], s[8:9], s[10:11]
	s_cmp_lg_u64 s[8:9], 0
	s_cbranch_scc1 .LBB32_260
; %bb.261:
	v_mbcnt_lo_u32_b32 v0, exec_lo, 0
	v_mbcnt_hi_u32_b32 v0, exec_hi, v0
	v_cmp_eq_u32_e32 vcc, 0, v0
	s_and_saveexec_b64 s[8:9], vcc
	s_xor_b64 s[8:9], exec, s[8:9]
	s_cbranch_execz .LBB32_263
; %bb.262:
	v_mov_b32_e32 v0, 0
	v_mov_b32_e32 v1, s0
	ds_min_i32 v0, v1 offset:4108
.LBB32_263:
	s_or_b64 exec, exec, s[6:7]
	s_waitcnt lgkmcnt(0)
	s_barrier
	s_mov_b64 s[6:7], exec
	v_readlane_b32 s0, v48, 4
	v_readlane_b32 s1, v48, 5
	s_and_b64 s[0:1], s[6:7], s[0:1]
	s_mov_b64 exec, s[0:1]
	s_cbranch_execz .LBB32_265
; %bb.264:
	v_readlane_b32 s1, v48, 8
	v_readlane_b32 s0, v48, 7
	s_mul_i32 s0, s0, s1
	v_readlane_b32 s8, v48, 6
	s_mul_i32 s8, s8, s1
	s_ashr_i32 s1, s0, 31
	v_mov_b32_e32 v2, 0
	s_lshl_b64 s[0:1], s[0:1], 1
	v_readlane_b32 s10, v48, 2
	ds_read_b32 v0, v2 offset:4108
	v_readlane_b32 s11, v48, 3
	s_add_u32 s0, s10, s0
	s_addc_u32 s1, s11, s1
	s_ashr_i32 s9, s8, 31
	s_lshl_b64 s[8:9], s[8:9], 3
	v_readlane_b32 s10, v48, 0
	v_readlane_b32 s11, v48, 1
	s_add_u32 s8, s10, s8
	s_addc_u32 s9, s11, s9
	s_waitcnt lgkmcnt(0)
	v_ashrrev_i32_e32 v1, 31, v0
	global_store_dwordx2 v2, v[0:1], s[8:9]
	global_store_short v2, v35, s[0:1]
.LBB32_265:
	s_or_b64 exec, exec, s[6:7]
.LBB32_266:
	s_or_saveexec_b64 s[0:1], s[4:5]
	s_mov_b64 s[4:5], 0
	s_xor_b64 exec, exec, s[0:1]
	s_cbranch_execnz .LBB32_269
.LBB32_267:
	s_or_b64 exec, exec, s[0:1]
	s_and_b64 s[4:5], s[4:5], exec
	s_andn2_saveexec_b64 s[0:1], s[2:3]
	s_cbranch_execz .LBB32_245
.LBB32_268:
	s_or_b64 s[4:5], s[4:5], exec
	s_trap 2
	s_or_b64 exec, exec, s[0:1]
	s_and_saveexec_b64 s[0:1], s[4:5]
	s_cbranch_execnz .LBB32_246
	s_branch .LBB32_247
.LBB32_269:
	s_mov_b64 s[4:5], exec
	s_trap 2
	s_branch .LBB32_267
	.section	.rodata,"a",@progbits
	.p2align	6, 0x0
	.amdhsa_kernel _ZN2at6native12_GLOBAL__N_114gatherKthValueIsiLi1EEEvNS_4cuda6detail10TensorInfoIKT_T0_EES8_S8_S8_S8_NS5_IS6_S8_EENS5_IlS8_EE
		.amdhsa_group_segment_fixed_size 4112
		.amdhsa_private_segment_fixed_size 0
		.amdhsa_kernarg_size 920
		.amdhsa_user_sgpr_count 6
		.amdhsa_user_sgpr_private_segment_buffer 1
		.amdhsa_user_sgpr_dispatch_ptr 0
		.amdhsa_user_sgpr_queue_ptr 0
		.amdhsa_user_sgpr_kernarg_segment_ptr 1
		.amdhsa_user_sgpr_dispatch_id 0
		.amdhsa_user_sgpr_flat_scratch_init 0
		.amdhsa_user_sgpr_kernarg_preload_length 0
		.amdhsa_user_sgpr_kernarg_preload_offset 0
		.amdhsa_user_sgpr_private_segment_size 0
		.amdhsa_uses_dynamic_stack 0
		.amdhsa_system_sgpr_private_segment_wavefront_offset 0
		.amdhsa_system_sgpr_workgroup_id_x 1
		.amdhsa_system_sgpr_workgroup_id_y 1
		.amdhsa_system_sgpr_workgroup_id_z 1
		.amdhsa_system_sgpr_workgroup_info 0
		.amdhsa_system_vgpr_workitem_id 0
		.amdhsa_next_free_vgpr 49
		.amdhsa_next_free_sgpr 96
		.amdhsa_accum_offset 52
		.amdhsa_reserve_vcc 1
		.amdhsa_reserve_flat_scratch 0
		.amdhsa_float_round_mode_32 0
		.amdhsa_float_round_mode_16_64 0
		.amdhsa_float_denorm_mode_32 3
		.amdhsa_float_denorm_mode_16_64 3
		.amdhsa_dx10_clamp 1
		.amdhsa_ieee_mode 1
		.amdhsa_fp16_overflow 0
		.amdhsa_tg_split 0
		.amdhsa_exception_fp_ieee_invalid_op 0
		.amdhsa_exception_fp_denorm_src 0
		.amdhsa_exception_fp_ieee_div_zero 0
		.amdhsa_exception_fp_ieee_overflow 0
		.amdhsa_exception_fp_ieee_underflow 0
		.amdhsa_exception_fp_ieee_inexact 0
		.amdhsa_exception_int_div_zero 0
	.end_amdhsa_kernel
	.section	.text._ZN2at6native12_GLOBAL__N_114gatherKthValueIsiLi1EEEvNS_4cuda6detail10TensorInfoIKT_T0_EES8_S8_S8_S8_NS5_IS6_S8_EENS5_IlS8_EE,"axG",@progbits,_ZN2at6native12_GLOBAL__N_114gatherKthValueIsiLi1EEEvNS_4cuda6detail10TensorInfoIKT_T0_EES8_S8_S8_S8_NS5_IS6_S8_EENS5_IlS8_EE,comdat
.Lfunc_end32:
	.size	_ZN2at6native12_GLOBAL__N_114gatherKthValueIsiLi1EEEvNS_4cuda6detail10TensorInfoIKT_T0_EES8_S8_S8_S8_NS5_IS6_S8_EENS5_IlS8_EE, .Lfunc_end32-_ZN2at6native12_GLOBAL__N_114gatherKthValueIsiLi1EEEvNS_4cuda6detail10TensorInfoIKT_T0_EES8_S8_S8_S8_NS5_IS6_S8_EENS5_IlS8_EE
                                        ; -- End function
	.section	.AMDGPU.csdata,"",@progbits
; Kernel info:
; codeLenInByte = 9876
; NumSgprs: 100
; NumVgprs: 49
; NumAgprs: 0
; TotalNumVgprs: 49
; ScratchSize: 0
; MemoryBound: 0
; FloatMode: 240
; IeeeMode: 1
; LDSByteSize: 4112 bytes/workgroup (compile time only)
; SGPRBlocks: 12
; VGPRBlocks: 6
; NumSGPRsForWavesPerEU: 100
; NumVGPRsForWavesPerEU: 49
; AccumOffset: 52
; Occupancy: 8
; WaveLimiterHint : 1
; COMPUTE_PGM_RSRC2:SCRATCH_EN: 0
; COMPUTE_PGM_RSRC2:USER_SGPR: 6
; COMPUTE_PGM_RSRC2:TRAP_HANDLER: 0
; COMPUTE_PGM_RSRC2:TGID_X_EN: 1
; COMPUTE_PGM_RSRC2:TGID_Y_EN: 1
; COMPUTE_PGM_RSRC2:TGID_Z_EN: 1
; COMPUTE_PGM_RSRC2:TIDIG_COMP_CNT: 0
; COMPUTE_PGM_RSRC3_GFX90A:ACCUM_OFFSET: 12
; COMPUTE_PGM_RSRC3_GFX90A:TG_SPLIT: 0
	.section	.text._ZN2at6native12_GLOBAL__N_114gatherKthValueIsiLi2EEEvNS_4cuda6detail10TensorInfoIKT_T0_EES8_S8_S8_S8_NS5_IS6_S8_EENS5_IlS8_EE,"axG",@progbits,_ZN2at6native12_GLOBAL__N_114gatherKthValueIsiLi2EEEvNS_4cuda6detail10TensorInfoIKT_T0_EES8_S8_S8_S8_NS5_IS6_S8_EENS5_IlS8_EE,comdat
	.globl	_ZN2at6native12_GLOBAL__N_114gatherKthValueIsiLi2EEEvNS_4cuda6detail10TensorInfoIKT_T0_EES8_S8_S8_S8_NS5_IS6_S8_EENS5_IlS8_EE ; -- Begin function _ZN2at6native12_GLOBAL__N_114gatherKthValueIsiLi2EEEvNS_4cuda6detail10TensorInfoIKT_T0_EES8_S8_S8_S8_NS5_IS6_S8_EENS5_IlS8_EE
	.p2align	8
	.type	_ZN2at6native12_GLOBAL__N_114gatherKthValueIsiLi2EEEvNS_4cuda6detail10TensorInfoIKT_T0_EES8_S8_S8_S8_NS5_IS6_S8_EENS5_IlS8_EE,@function
_ZN2at6native12_GLOBAL__N_114gatherKthValueIsiLi2EEEvNS_4cuda6detail10TensorInfoIKT_T0_EES8_S8_S8_S8_NS5_IS6_S8_EENS5_IlS8_EE: ; @_ZN2at6native12_GLOBAL__N_114gatherKthValueIsiLi2EEEvNS_4cuda6detail10TensorInfoIKT_T0_EES8_S8_S8_S8_NS5_IS6_S8_EENS5_IlS8_EE
; %bb.0:
	s_load_dwordx2 s[12:13], s[4:5], 0x298
	s_load_dwordx4 s[60:63], s[4:5], 0xd8
	s_add_u32 s10, s4, 0x298
	s_addc_u32 s11, s5, 0
	s_waitcnt lgkmcnt(0)
	s_mul_i32 s0, s13, s8
	s_add_i32 s0, s0, s7
	s_mul_i32 s0, s0, s12
	s_add_i32 s16, s0, s6
	s_cmp_ge_i32 s16, s62
	s_cbranch_scc1 .LBB33_247
; %bb.1:
	s_load_dword s0, s[4:5], 0xc
	s_load_dwordx2 s[2:3], s[4:5], 0xe8
                                        ; implicit-def: $vgpr48 : SGPR spill to VGPR lane
                                        ; kill: killed $sgpr4 killed $sgpr5
	s_abs_i32 s19, s16
	s_ashr_i32 s18, s16, 31
	s_mov_b32 s72, 0
	s_waitcnt lgkmcnt(0)
	s_abs_i32 s1, s0
	v_writelane_b32 v48, s2, 0
	v_writelane_b32 v48, s3, 1
	s_load_dwordx2 s[8:9], s[4:5], 0x6c
	s_load_dwordx2 s[2:3], s[4:5], 0x0
	s_load_dwordx2 s[14:15], s[4:5], 0x22c
	v_cvt_f32_u32_e32 v1, s1
	s_ashr_i32 s7, s0, 31
	s_load_dword s20, s[4:5], 0xf4
	s_waitcnt lgkmcnt(0)
	v_writelane_b32 v48, s14, 2
	v_writelane_b32 v48, s15, 3
	s_load_dword s17, s[4:5], 0x1cc
	s_load_dwordx2 s[14:15], s[4:5], 0x1c0
	v_rcp_iflag_f32_e32 v1, v1
	s_waitcnt lgkmcnt(0)
	v_writelane_b32 v48, s14, 4
	v_writelane_b32 v48, s15, 5
	s_load_dwordx2 s[14:15], s[4:5], 0x154
	v_mul_f32_e32 v1, 0x4f7ffffe, v1
	v_cvt_u32_f32_e32 v1, v1
	s_sub_i32 s4, 0, s1
	s_waitcnt lgkmcnt(0)
	v_writelane_b32 v48, s14, 6
	v_writelane_b32 v48, s15, 7
	s_abs_i32 s15, s20
	v_cvt_f32_u32_e32 v2, s15
	v_readfirstlane_b32 s5, v1
	s_abs_i32 s14, s17
	s_mul_i32 s4, s4, s5
	v_rcp_iflag_f32_e32 v1, v2
	v_cvt_f32_u32_e32 v2, s14
	s_mul_hi_u32 s4, s5, s4
	s_add_i32 s5, s5, s4
	v_mul_f32_e32 v1, 0x4f7ffffe, v1
	v_cvt_u32_f32_e32 v1, v1
	v_rcp_iflag_f32_e32 v2, v2
	s_mul_hi_u32 s13, s19, s5
	s_sub_i32 s4, 0, s15
	v_readfirstlane_b32 s5, v1
	v_mul_f32_e32 v1, 0x4f7ffffe, v2
	s_mul_i32 s4, s4, s5
	v_cvt_u32_f32_e32 v1, v1
	s_mul_hi_u32 s4, s5, s4
	s_add_i32 s5, s5, s4
	v_writelane_b32 v48, s15, 8
	s_mul_hi_u32 s4, s19, s5
	v_writelane_b32 v48, s4, 9
	s_sub_i32 s4, 0, s14
	v_readfirstlane_b32 s5, v1
	s_mul_i32 s4, s4, s5
	s_mul_hi_u32 s4, s5, s4
	s_add_i32 s5, s5, s4
	v_writelane_b32 v48, s14, 10
	s_mul_hi_u32 s4, s19, s5
	v_writelane_b32 v48, s4, 11
	v_cmp_eq_u32_e64 s[14:15], 0, v0
	s_mov_b64 s[4:5], exec
	v_writelane_b32 v48, s14, 12
	v_writelane_b32 v48, s15, 13
	s_and_b64 s[14:15], s[4:5], s[14:15]
	s_mov_b64 exec, s[14:15]
	s_cbranch_execz .LBB33_3
; %bb.2:
	v_mov_b32_e32 v2, 0
	v_mov_b32_e32 v3, s60
	;; [unrolled: 1-line block ×3, first 2 shown]
	ds_write_b96 v2, v[2:4] offset:4096
.LBB33_3:
	s_or_b64 exec, exec, s[4:5]
	v_writelane_b32 v48, s20, 14
	s_ashr_i32 s4, s20, 31
	v_writelane_b32 v48, s4, 15
	s_mul_i32 s5, s13, s1
	v_writelane_b32 v48, s17, 16
	s_ashr_i32 s4, s17, 31
	s_sub_i32 s5, s19, s5
	v_writelane_b32 v48, s4, 17
	s_xor_b32 s4, s18, s7
	s_add_i32 s7, s13, 1
	s_sub_i32 s14, s5, s1
	s_cmp_ge_u32 s5, s1
	s_cselect_b32 s7, s7, s13
	s_cselect_b32 s5, s14, s5
	s_add_i32 s13, s7, 1
	s_cmp_ge_u32 s5, s1
	s_cselect_b32 s1, s13, s7
	s_xor_b32 s1, s1, s4
	s_sub_i32 s1, s1, s4
	s_mul_i32 s0, s1, s0
	s_sub_i32 s0, s16, s0
	s_mul_i32 s0, s0, s9
	s_mul_i32 s1, s1, s8
	s_waitcnt lgkmcnt(0)
	s_barrier
	s_load_dword s4, s[10:11], 0xc
	s_add_i32 s0, s1, s0
	s_ashr_i32 s1, s0, 31
	s_lshl_b64 s[0:1], s[0:1], 1
	s_add_u32 s62, s2, s0
	v_mbcnt_lo_u32_b32 v1, -1, 0
	s_addc_u32 s82, s3, s1
	s_waitcnt lgkmcnt(0)
	s_and_b32 s33, s4, 0xffff
	v_mbcnt_hi_u32_b32 v13, -1, v1
	v_writelane_b32 v48, s18, 18
	v_cmp_gt_u32_e32 vcc, 64, v0
	v_cmp_gt_i32_e64 s[2:3], 4, v13
	s_add_i32 s0, s33, -1
	v_writelane_b32 v48, s19, 19
	s_lshl_b32 s83, s33, 2
	s_bfe_u32 s8, s4, 0xa0006
	s_and_b64 s[74:75], vcc, s[2:3]
	s_add_i32 s7, s0, s60
	v_writelane_b32 v48, s16, 20
	s_cmpk_gt_i32 s60, 0x600
	v_writelane_b32 v48, s0, 21
	s_cselect_b64 s[0:1], -1, 0
	v_writelane_b32 v48, s0, 22
	s_cmp_gt_u32 s33, 63
	v_writelane_b32 v48, s1, 23
	s_cselect_b64 s[0:1], -1, 0
	v_writelane_b32 v48, s0, 24
	s_cmp_lt_u32 s6, s12
	v_writelane_b32 v48, s1, 25
	s_cselect_b32 s0, 12, 18
	s_add_u32 s0, s10, s0
	s_addc_u32 s1, s11, 0
	v_writelane_b32 v48, s0, 26
	v_writelane_b32 v48, s1, 27
	s_add_i32 s0, s8, -2
	s_lshr_b32 s1, s0, 1
	v_mov_b32_e32 v9, 0
	s_add_i32 s1, s1, 1
	s_cmpk_gt_u32 s33, 0x7f
	v_mul_lo_u32 v6, v0, s63
	v_mov_b32_e32 v7, v9
	s_cselect_b64 s[2:3], -1, 0
	v_lshlrev_b64 v[2:3], 1, v[6:7]
	v_writelane_b32 v48, s2, 28
	v_mov_b32_e32 v7, s82
	v_add_co_u32_e32 v10, vcc, s62, v2
	v_writelane_b32 v48, s3, 29
	v_addc_co_u32_e32 v11, vcc, v7, v3, vcc
	v_cmp_gt_u32_e64 s[10:11], s60, v0
	v_lshlrev_b64 v[2:3], v13, -1
	v_writelane_b32 v48, s10, 30
	v_not_b32_e32 v12, v2
	v_cvt_f32_u32_e32 v2, s83
	v_writelane_b32 v48, s11, 31
	v_cmp_gt_i32_e64 s[10:11], s60, v0
	s_and_b32 s6, s8, 0x3fe
	s_and_b32 s9, s1, 7
	v_writelane_b32 v48, s10, 32
	s_cmp_gt_u32 s0, 13
	v_writelane_b32 v48, s11, 33
	s_cselect_b64 s[10:11], -1, 0
	v_writelane_b32 v48, s10, 34
	v_rcp_iflag_f32_e32 v2, v2
	v_writelane_b32 v48, s11, 35
	s_and_b32 s0, s1, -8
	v_writelane_b32 v48, s0, 36
	s_cmp_lg_u32 s9, 0
	v_writelane_b32 v48, s9, 37
	s_cselect_b64 s[0:1], -1, 0
	v_writelane_b32 v48, s0, 38
	v_mul_f32_e32 v2, 0x4f7ffffe, v2
	v_writelane_b32 v48, s1, 39
	v_cvt_u32_f32_e32 v2, v2
	v_writelane_b32 v48, s8, 40
	s_cmp_lg_u32 s6, s8
	v_writelane_b32 v48, s6, 41
	s_cselect_b64 s[0:1], -1, 0
	v_writelane_b32 v48, s0, 42
	v_writelane_b32 v48, s1, 43
	s_sub_i32 s0, 0, s83
	v_readfirstlane_b32 s1, v2
	s_mul_i32 s0, s0, s1
	s_mul_hi_u32 s0, s1, s0
	s_add_i32 s8, s1, s0
	s_mul_hi_u32 s0, s60, s8
	s_mul_i32 s0, s0, s83
	s_sub_i32 s0, s60, s0
	s_sub_i32 s1, s0, s83
	s_cmp_ge_u32 s0, s83
	s_cselect_b32 s0, s1, s0
	s_sub_i32 s1, s0, s83
	v_cvt_f32_u32_e32 v5, s33
	s_cmp_ge_u32 s0, s83
	s_cselect_b32 s0, s1, s0
	s_sub_i32 s9, s60, s0
	v_add_u32_e32 v25, s9, v0
	v_rcp_iflag_f32_e32 v5, v5
	v_lshrrev_b32_e32 v1, 4, v0
	v_mul_lo_u32 v2, v25, s63
	v_and_b32_e32 v23, 60, v1
	v_not_b32_e32 v1, v3
	v_ashrrev_i32_e32 v3, 31, v2
	v_lshlrev_b64 v[2:3], 1, v[2:3]
	v_lshlrev_b32_e32 v20, 2, v0
	v_add_co_u32_e32 v14, vcc, s62, v2
	v_mul_f32_e32 v2, 0x4f7ffffe, v5
	v_cmp_gt_i32_e64 s[10:11], s9, v20
	v_cvt_u32_f32_e32 v2, v2
	v_writelane_b32 v48, s10, 44
	v_writelane_b32 v48, s11, 45
	v_cmp_gt_u32_e64 s[10:11], s60, v25
	v_writelane_b32 v48, s10, 46
	v_writelane_b32 v48, s11, 47
	s_sub_i32 s10, 0, s33
	v_readfirstlane_b32 s11, v2
	s_mul_i32 s10, s10, s11
	s_mul_hi_u32 s10, s11, s10
	s_abs_i32 s6, s7
	s_add_i32 s10, s11, s10
	v_writelane_b32 v48, s10, 48
	s_mul_hi_u32 s10, s6, s10
	s_mul_i32 s10, s10, s33
	s_sub_i32 s6, s6, s10
	s_ashr_i32 s1, s7, 31
	s_sub_i32 s10, s6, s33
	s_cmp_ge_u32 s6, s33
	s_cselect_b32 s6, s10, s6
	s_sub_i32 s10, s6, s33
	s_cmp_ge_u32 s6, s33
	s_cselect_b32 s6, s10, s6
	s_xor_b32 s6, s6, s1
	v_mul_lo_u32 v2, s63, v20
	s_sub_i32 s1, s1, s6
	v_add_u32_e32 v26, s63, v2
	v_or_b32_e32 v2, 2, v20
	s_add_i32 s7, s7, s1
	v_mul_lo_u32 v27, s63, v2
	v_or_b32_e32 v2, 3, v20
	s_add_i32 s1, s33, s60
	v_mul_lo_u32 v28, s63, v2
	v_add_u32_e32 v2, s1, v0
	v_lshlrev_b32_e32 v21, 1, v0
	v_lshlrev_b32_e32 v4, 2, v13
	v_mov_b32_e32 v8, s82
	v_cmp_gt_i32_e64 s[10:11], s7, v0
	s_mul_i32 s80, s63, s33
	v_subrev_u32_e32 v2, s0, v2
	v_cmp_eq_u32_e64 s[2:3], 0, v13
	v_cmp_gt_u32_e64 s[4:5], 2, v0
	v_add_u32_e32 v22, 0xc00, v21
	v_and_b32_e32 v24, 0x100, v4
	v_addc_co_u32_e32 v15, vcc, v8, v3, vcc
	v_cmp_gt_i32_e64 s[14:15], s60, v25
	v_writelane_b32 v48, s10, 49
	s_lshl_b32 s16, s80, 2
	v_lshlrev_b32_e32 v29, 2, v6
	v_mul_lo_u32 v30, s63, v2
	v_lshlrev_b32_e32 v31, 3, v0
	s_lshl_b32 s17, s33, 3
	s_lshl_b32 s81, s33, 1
	v_or_b32_e32 v32, 0xc00, v4
	s_mov_b32 s0, 14
	s_mov_b64 s[90:91], 0
	s_mov_b32 s6, 0x8000
	v_mov_b32_e32 v33, 0xc00
	v_mov_b32_e32 v34, 0x5040100
	;; [unrolled: 1-line block ×3, first 2 shown]
	s_mov_b32 s1, 0
	s_mov_b32 s77, 0
	;; [unrolled: 1-line block ×3, first 2 shown]
	v_writelane_b32 v48, s11, 50
                                        ; implicit-def: $sgpr92_sgpr93
                                        ; implicit-def: $sgpr64_sgpr65
                                        ; implicit-def: $sgpr94_sgpr95
                                        ; implicit-def: $sgpr66_sgpr67
                                        ; implicit-def: $sgpr68_sgpr69
                                        ; implicit-def: $sgpr70_sgpr71
	s_branch .LBB33_8
.LBB33_4:                               ;   in Loop: Header=BB33_8 Depth=1
	s_xor_b32 s1, s1, 1
	s_add_i32 s10, s0, -2
	s_cmp_eq_u32 s0, 0
	s_mov_b64 s[22:23], 0
	s_cselect_b64 s[30:31], -1, 0
	s_mov_b32 s0, s10
.LBB33_5:                               ;   in Loop: Header=BB33_8 Depth=1
	s_andn2_b64 s[10:11], s[26:27], exec
	s_and_b64 s[12:13], s[22:23], exec
	s_or_b64 s[26:27], s[10:11], s[12:13]
	s_andn2_b64 s[28:29], s[28:29], exec
	s_andn2_b64 s[24:25], s[24:25], exec
	s_orn2_b64 s[22:23], s[30:31], exec
	s_mov_b32 s61, s39
.LBB33_6:                               ;   in Loop: Header=BB33_8 Depth=1
	s_or_b64 exec, exec, s[18:19]
	s_andn2_b64 s[10:11], s[70:71], exec
	s_and_b64 s[12:13], s[26:27], exec
	s_or_b64 s[70:71], s[10:11], s[12:13]
	s_andn2_b64 s[10:11], s[68:69], exec
	s_and_b64 s[12:13], s[28:29], exec
	s_or_b64 s[68:69], s[10:11], s[12:13]
	;; [unrolled: 3-line block ×3, first 2 shown]
	s_orn2_b64 s[22:23], s[22:23], exec
.LBB33_7:                               ;   in Loop: Header=BB33_8 Depth=1
	s_or_b64 exec, exec, s[20:21]
	s_and_b64 s[10:11], exec, s[22:23]
	s_or_b64 s[90:91], s[10:11], s[90:91]
	s_andn2_b64 s[10:11], s[94:95], exec
	s_and_b64 s[12:13], s[70:71], exec
	s_or_b64 s[94:95], s[10:11], s[12:13]
	s_andn2_b64 s[10:11], s[64:65], exec
	s_and_b64 s[12:13], s[68:69], exec
	;; [unrolled: 3-line block ×3, first 2 shown]
	v_mov_b32_e32 v2, s77
	s_or_b64 s[92:93], s[10:11], s[12:13]
	s_andn2_b64 exec, exec, s[90:91]
	s_cbranch_execz .LBB33_243
.LBB33_8:                               ; =>This Loop Header: Depth=1
                                        ;     Child Loop BB33_13 Depth 2
                                        ;     Child Loop BB33_32 Depth 2
	;; [unrolled: 1-line block ×17, first 2 shown]
	ds_read_b64 v[2:3], v9 offset:4096
	s_waitcnt lgkmcnt(0)
	v_readfirstlane_b32 s73, v2
	s_cmp_gt_i32 s73, 0
	s_cbranch_scc1 .LBB33_39
; %bb.9:                                ;   in Loop: Header=BB33_8 Depth=1
	v_readlane_b32 s10, v48, 22
	v_readlane_b32 s11, v48, 23
	s_and_b64 vcc, exec, s[10:11]
	s_cbranch_vccz .LBB33_21
; %bb.10:                               ;   in Loop: Header=BB33_8 Depth=1
	s_movk_i32 s10, 0x601
	v_cmp_gt_i32_e32 vcc, s10, v3
	s_mov_b64 s[20:21], 0
	s_mov_b64 s[18:19], 0
	s_cbranch_vccz .LBB33_26
; %bb.11:                               ;   in Loop: Header=BB33_8 Depth=1
	v_readlane_b32 s10, v48, 26
	v_readlane_b32 s11, v48, 27
	s_nop 4
	global_load_ushort v2, v9, s[10:11]
	global_load_ushort v4, v[10:11], off
	s_mov_b64 s[22:23], 0
	s_waitcnt vmcnt(1)
	v_add_u32_e32 v5, v0, v2
	v_mul_lo_u32 v3, s63, v2
	v_mul_lo_u32 v8, s63, v5
	v_mov_b32_e32 v5, v0
	s_branch .LBB33_13
.LBB33_12:                              ;   in Loop: Header=BB33_13 Depth=2
	s_or_b64 exec, exec, s[18:19]
	v_cmp_le_i32_e32 vcc, s60, v5
	v_add_u32_e32 v8, v8, v3
	s_or_b64 s[22:23], vcc, s[22:23]
	v_mov_b32_e32 v4, v16
	s_andn2_b64 exec, exec, s[22:23]
	s_cbranch_execz .LBB33_22
.LBB33_13:                              ;   Parent Loop BB33_8 Depth=1
                                        ; =>  This Inner Loop Header: Depth=2
	v_add_u32_e32 v5, v5, v2
	v_cmp_gt_u32_e32 vcc, s60, v5
	s_waitcnt lgkmcnt(0)
	v_mov_b32_e32 v17, 0
	v_mov_b32_e32 v16, 0
	s_and_saveexec_b64 s[18:19], vcc
	s_cbranch_execz .LBB33_15
; %bb.14:                               ;   in Loop: Header=BB33_13 Depth=2
	v_lshlrev_b64 v[18:19], 1, v[8:9]
	v_add_co_u32_e32 v18, vcc, s62, v18
	v_addc_co_u32_e32 v19, vcc, v7, v19, vcc
	global_load_ushort v16, v[18:19], off
.LBB33_15:                              ;   in Loop: Header=BB33_13 Depth=2
	s_or_b64 exec, exec, s[18:19]
	s_waitcnt vmcnt(0)
	v_add_u32_sdwa v18, sext(v4), s6 dst_sel:DWORD dst_unused:UNUSED_PAD src0_sel:WORD_0 src1_sel:DWORD
	v_and_b32_e32 v18, s76, v18
	v_cmp_eq_u32_e32 vcc, s77, v18
	s_cmp_lg_u64 vcc, 0
	s_cselect_b64 s[10:11], -1, 0
	s_and_b64 s[10:11], s[2:3], s[10:11]
	s_and_saveexec_b64 s[24:25], s[10:11]
	s_cbranch_execz .LBB33_19
; %bb.16:                               ;   in Loop: Header=BB33_13 Depth=2
	s_mov_b64 s[28:29], exec
	v_mbcnt_lo_u32_b32 v17, s28, 0
	v_mbcnt_hi_u32_b32 v17, s29, v17
	s_bcnt1_i32_b64 s10, vcc
	v_cmp_eq_u32_e64 s[18:19], 0, v17
                                        ; implicit-def: $vgpr18
	s_and_saveexec_b64 s[26:27], s[18:19]
	s_cbranch_execz .LBB33_18
; %bb.17:                               ;   in Loop: Header=BB33_13 Depth=2
	s_bcnt1_i32_b64 s11, s[28:29]
	s_mul_i32 s11, s10, s11
	v_mov_b32_e32 v18, s11
	ds_add_rtn_u32 v18, v9, v18 offset:4104
.LBB33_18:                              ;   in Loop: Header=BB33_13 Depth=2
	s_or_b64 exec, exec, s[26:27]
	s_waitcnt lgkmcnt(0)
	v_readfirstlane_b32 s11, v18
	v_mov_b32_e32 v18, s11
	v_mad_u32_u24 v17, s10, v17, v18
.LBB33_19:                              ;   in Loop: Header=BB33_13 Depth=2
	s_or_b64 exec, exec, s[24:25]
	ds_bpermute_b32 v17, v24, v17
	s_and_saveexec_b64 s[18:19], vcc
	s_cbranch_execz .LBB33_12
; %bb.20:                               ;   in Loop: Header=BB33_13 Depth=2
	v_and_b32_e32 v19, vcc_lo, v12
	v_and_b32_e32 v18, vcc_hi, v1
	v_bcnt_u32_b32 v19, v19, 0
	v_bcnt_u32_b32 v18, v18, v19
	v_lshlrev_b32_e32 v18, 1, v18
	s_waitcnt lgkmcnt(0)
	v_lshl_add_u32 v17, v17, 1, v18
	ds_write_b16 v17, v4
	s_branch .LBB33_12
.LBB33_21:                              ;   in Loop: Header=BB33_8 Depth=1
	s_mov_b64 s[20:21], -1
	s_mov_b64 s[18:19], 0
	s_branch .LBB33_25
.LBB33_22:                              ;   in Loop: Header=BB33_8 Depth=1
	s_or_b64 exec, exec, s[22:23]
	s_waitcnt lgkmcnt(0)
	s_barrier
	s_mov_b64 s[18:19], exec
	v_readlane_b32 s10, v48, 12
	v_readlane_b32 s11, v48, 13
	s_and_b64 s[10:11], s[18:19], s[10:11]
	s_mov_b64 exec, s[10:11]
	s_cbranch_execz .LBB33_24
; %bb.23:                               ;   in Loop: Header=BB33_8 Depth=1
	ds_read_b32 v2, v9 offset:4104
	s_waitcnt lgkmcnt(0)
	ds_write_b32 v9, v2 offset:4096
.LBB33_24:                              ;   in Loop: Header=BB33_8 Depth=1
	s_or_b64 exec, exec, s[18:19]
	s_waitcnt lgkmcnt(0)
	s_barrier
	s_mov_b64 s[18:19], -1
.LBB33_25:                              ;   in Loop: Header=BB33_8 Depth=1
                                        ; implicit-def: $sgpr73
.LBB33_26:                              ;   in Loop: Header=BB33_8 Depth=1
	s_and_b64 vcc, exec, s[20:21]
	s_cbranch_vccz .LBB33_37
; %bb.27:                               ;   in Loop: Header=BB33_8 Depth=1
	v_mov_b32_e32 v2, 0
	s_mov_b64 s[18:19], exec
	v_readlane_b32 s10, v48, 30
	v_readlane_b32 s11, v48, 31
	s_and_b64 s[10:11], s[18:19], s[10:11]
	s_mov_b64 exec, s[10:11]
	s_cbranch_execz .LBB33_29
; %bb.28:                               ;   in Loop: Header=BB33_8 Depth=1
	global_load_ushort v2, v[10:11], off
.LBB33_29:                              ;   in Loop: Header=BB33_8 Depth=1
	s_or_b64 exec, exec, s[18:19]
	s_mov_b64 s[18:19], exec
	v_readlane_b32 s10, v48, 32
	v_readlane_b32 s11, v48, 33
	s_and_b64 s[10:11], s[18:19], s[10:11]
	s_mov_b64 exec, s[10:11]
	s_cbranch_execz .LBB33_34
; %bb.30:                               ;   in Loop: Header=BB33_8 Depth=1
	v_readlane_b32 s10, v48, 26
	v_readlane_b32 s11, v48, 27
	s_mov_b64 s[20:21], 0
	v_mov_b32_e32 v4, v21
	v_mov_b32_e32 v17, v0
	s_nop 1
	global_load_ushort v3, v9, s[10:11]
	s_waitcnt vmcnt(0)
	v_add_u32_e32 v8, v0, v3
	v_lshlrev_b32_e32 v5, 1, v3
	v_mul_lo_u32 v16, s63, v3
	v_mul_lo_u32 v8, s63, v8
	s_branch .LBB33_32
.LBB33_31:                              ;   in Loop: Header=BB33_32 Depth=2
	s_or_b64 exec, exec, s[22:23]
	v_cmp_le_i32_e32 vcc, s60, v17
	ds_write_b16 v4, v2
	v_add_u32_e32 v4, v4, v5
	v_add_u32_e32 v8, v8, v16
	s_or_b64 s[20:21], vcc, s[20:21]
	s_waitcnt vmcnt(0)
	v_mov_b32_e32 v2, v18
	s_andn2_b64 exec, exec, s[20:21]
	s_cbranch_execz .LBB33_34
.LBB33_32:                              ;   Parent Loop BB33_8 Depth=1
                                        ; =>  This Inner Loop Header: Depth=2
	v_add_u32_e32 v17, v17, v3
	v_cmp_gt_u32_e32 vcc, s60, v17
	v_mov_b32_e32 v18, 0
	s_and_saveexec_b64 s[22:23], vcc
	s_cbranch_execz .LBB33_31
; %bb.33:                               ;   in Loop: Header=BB33_32 Depth=2
	v_lshlrev_b64 v[18:19], 1, v[8:9]
	v_mov_b32_e32 v36, s82
	v_add_co_u32_e32 v18, vcc, s62, v18
	v_addc_co_u32_e32 v19, vcc, v36, v19, vcc
	global_load_ushort v18, v[18:19], off
	s_branch .LBB33_31
.LBB33_34:                              ;   in Loop: Header=BB33_8 Depth=1
	s_or_b64 exec, exec, s[18:19]
	s_waitcnt lgkmcnt(0)
	s_barrier
	s_mov_b64 s[18:19], exec
	v_readlane_b32 s10, v48, 12
	v_readlane_b32 s11, v48, 13
	s_and_b64 s[10:11], s[18:19], s[10:11]
	s_mov_b64 exec, s[10:11]
	s_cbranch_execz .LBB33_36
; %bb.35:                               ;   in Loop: Header=BB33_8 Depth=1
	s_waitcnt vmcnt(0)
	v_mov_b32_e32 v2, s60
	ds_write_b32 v9, v2 offset:4096
.LBB33_36:                              ;   in Loop: Header=BB33_8 Depth=1
	s_or_b64 exec, exec, s[18:19]
	s_mov_b64 s[18:19], -1
	s_waitcnt lgkmcnt(0)
	s_barrier
                                        ; implicit-def: $sgpr73
.LBB33_37:                              ;   in Loop: Header=BB33_8 Depth=1
	s_and_b64 vcc, exec, s[18:19]
	s_cbranch_vccz .LBB33_39
; %bb.38:                               ;   in Loop: Header=BB33_8 Depth=1
	s_waitcnt vmcnt(0)
	ds_read_b32 v2, v9 offset:4096
	s_waitcnt lgkmcnt(0)
	v_readfirstlane_b32 s73, v2
.LBB33_39:                              ;   in Loop: Header=BB33_8 Depth=1
	s_cmp_lt_i32 s73, 1
	s_cbranch_scc0 .LBB33_51
; %bb.40:                               ;   in Loop: Header=BB33_8 Depth=1
	s_waitcnt vmcnt(0)
	v_mov_b32_e32 v2, 0
	s_mov_b32 s88, 0
	v_mov_b32_e32 v3, 0
	v_mov_b32_e32 v4, v2
	;; [unrolled: 1-line block ×3, first 2 shown]
	s_mov_b64 s[84:85], exec
	v_readlane_b32 s10, v48, 44
	v_readlane_b32 s11, v48, 45
	s_and_b64 s[10:11], s[84:85], s[10:11]
	s_mov_b64 exec, s[10:11]
	s_cbranch_execz .LBB33_44
; %bb.41:                               ;   in Loop: Header=BB33_8 Depth=1
	s_and_b32 s89, s0, 0xfe
	s_mov_b64 s[86:87], 0
	s_mov_b32 s78, 0
	s_mov_b32 s79, 0
	;; [unrolled: 1-line block ×4, first 2 shown]
	v_mov_b32_e32 v8, v20
.LBB33_42:                              ;   Parent Loop BB33_8 Depth=1
                                        ; =>  This Inner Loop Header: Depth=2
	v_add_u32_e32 v2, s88, v29
	v_ashrrev_i32_e32 v3, 31, v2
	v_add_u32_e32 v4, s88, v26
	v_lshlrev_b64 v[2:3], 1, v[2:3]
	v_mov_b32_e32 v36, s82
	v_ashrrev_i32_e32 v5, 31, v4
	v_add_co_u32_e64 v2, s[18:19], s62, v2
	v_add_u32_e32 v16, s88, v27
	v_lshlrev_b64 v[4:5], 1, v[4:5]
	v_addc_co_u32_e64 v3, s[18:19], v36, v3, s[18:19]
	v_ashrrev_i32_e32 v17, 31, v16
	v_add_co_u32_e64 v4, s[18:19], s62, v4
	v_add_u32_e32 v18, s88, v28
	v_lshlrev_b64 v[16:17], 1, v[16:17]
	v_addc_co_u32_e64 v5, s[18:19], v36, v5, s[18:19]
	v_ashrrev_i32_e32 v19, 31, v18
	v_add_co_u32_e64 v16, s[18:19], s62, v16
	v_lshlrev_b64 v[18:19], 1, v[18:19]
	v_addc_co_u32_e64 v17, s[18:19], v36, v17, s[18:19]
	v_add_co_u32_e64 v18, s[18:19], s62, v18
	v_addc_co_u32_e64 v19, s[18:19], v36, v19, s[18:19]
	global_load_sshort v2, v[2:3], off
	s_nop 0
	global_load_sshort v3, v[4:5], off
	s_nop 0
	global_load_sshort v4, v[16:17], off
	global_load_sshort v5, v[18:19], off
	v_add_u32_e32 v8, s83, v8
	s_add_i32 s88, s88, s16
	v_cmp_le_i32_e32 vcc, s9, v8
	s_waitcnt vmcnt(3)
	v_add_u32_e32 v2, 0x8000, v2
	s_waitcnt vmcnt(2)
	v_add_u32_e32 v3, 0x8000, v3
	v_and_b32_e32 v16, s76, v2
	v_bfe_u32 v2, v2, s89, 2
	s_waitcnt vmcnt(1)
	v_add_u32_e32 v4, 0x8000, v4
	v_and_b32_e32 v17, s76, v3
	v_bfe_u32 v3, v3, s89, 2
	v_cmp_eq_u32_e64 s[18:19], s77, v16
	v_cmp_eq_u32_e64 s[26:27], 0, v2
	s_waitcnt vmcnt(0)
	v_add_u32_e32 v5, 0x8000, v5
	v_and_b32_e32 v18, s76, v4
	v_bfe_u32 v4, v4, s89, 2
	v_cmp_eq_u32_e64 s[20:21], s77, v17
	v_cmp_eq_u32_e64 s[28:29], 0, v3
	s_and_b64 s[12:13], s[18:19], s[26:27]
	v_and_b32_e32 v19, s76, v5
	v_bfe_u32 v5, v5, s89, 2
	v_cmp_eq_u32_e64 s[22:23], s77, v18
	v_cmp_eq_u32_e64 s[30:31], 0, v4
	;; [unrolled: 1-line block ×5, first 2 shown]
	v_cndmask_b32_e64 v2, 0, 1, s[12:13]
	s_and_b64 s[12:13], s[20:21], s[28:29]
	v_cmp_eq_u32_e64 s[24:25], s77, v19
	v_cmp_eq_u32_e64 s[34:35], 0, v5
	;; [unrolled: 1-line block ×5, first 2 shown]
	v_cndmask_b32_e64 v3, 0, 1, s[12:13]
	s_and_b64 s[12:13], s[22:23], s[30:31]
	v_cmp_eq_u32_e64 s[40:41], 1, v4
	v_cmp_eq_u32_e64 s[48:49], 2, v4
	;; [unrolled: 1-line block ×3, first 2 shown]
	v_cndmask_b32_e64 v4, 0, 1, s[12:13]
	s_and_b64 s[12:13], s[24:25], s[34:35]
	v_cmp_eq_u32_e64 s[42:43], 1, v5
	v_cmp_eq_u32_e64 s[50:51], 2, v5
	;; [unrolled: 1-line block ×3, first 2 shown]
	v_cndmask_b32_e64 v5, 0, 1, s[12:13]
	s_and_b64 s[12:13], s[18:19], s[36:37]
	v_cndmask_b32_e64 v16, 0, 1, s[12:13]
	s_and_b64 s[12:13], s[20:21], s[38:39]
	;; [unrolled: 2-line block ×12, first 2 shown]
	v_cmp_ne_u32_e64 s[18:19], 0, v2
	v_cmp_ne_u32_e64 s[20:21], 0, v3
	;; [unrolled: 1-line block ×7, first 2 shown]
	v_cndmask_b32_e64 v43, 0, 1, s[12:13]
	v_cmp_ne_u32_e64 s[38:39], 0, v37
	v_cmp_ne_u32_e64 s[46:47], 0, v41
	s_bcnt1_i32_b64 s12, s[18:19]
	s_bcnt1_i32_b64 s13, s[20:21]
	;; [unrolled: 1-line block ×7, first 2 shown]
	v_cmp_ne_u32_e64 s[22:23], 0, v4
	v_cmp_ne_u32_e64 s[30:31], 0, v18
	;; [unrolled: 1-line block ×4, first 2 shown]
	s_bcnt1_i32_b64 s25, s[38:39]
	s_bcnt1_i32_b64 s29, s[46:47]
	s_add_i32 s11, s11, s12
	s_add_i32 s10, s10, s20
	;; [unrolled: 1-line block ×4, first 2 shown]
	v_cmp_ne_u32_e64 s[34:35], 0, v19
	v_cmp_ne_u32_e64 s[42:43], 0, v39
	;; [unrolled: 1-line block ×3, first 2 shown]
	s_bcnt1_i32_b64 s18, s[22:23]
	s_bcnt1_i32_b64 s22, s[30:31]
	;; [unrolled: 1-line block ×4, first 2 shown]
	s_add_i32 s11, s11, s13
	s_add_i32 s10, s10, s21
	;; [unrolled: 1-line block ×4, first 2 shown]
	s_bcnt1_i32_b64 s23, s[34:35]
	s_bcnt1_i32_b64 s27, s[42:43]
	s_bcnt1_i32_b64 s31, s[50:51]
	s_add_i32 s11, s11, s18
	s_add_i32 s10, s10, s22
	s_add_i32 s12, s12, s26
	s_add_i32 s13, s13, s30
	s_add_i32 s11, s11, s19
	s_add_i32 s10, s10, s23
	s_add_i32 s79, s12, s27
	s_add_i32 s78, s13, s31
	s_or_b64 s[86:87], vcc, s[86:87]
	v_mov_b32_e32 v2, s11
	v_mov_b32_e32 v3, s10
	;; [unrolled: 1-line block ×4, first 2 shown]
	s_andn2_b64 exec, exec, s[86:87]
	s_cbranch_execnz .LBB33_42
; %bb.43:                               ;   in Loop: Header=BB33_8 Depth=1
	s_or_b64 exec, exec, s[86:87]
.LBB33_44:                              ;   in Loop: Header=BB33_8 Depth=1
	s_or_b64 exec, exec, s[84:85]
	v_mov_b32_e32 v8, 0
	s_mov_b64 s[18:19], exec
	v_readlane_b32 s10, v48, 46
	v_readlane_b32 s11, v48, 47
	s_and_b64 s[10:11], s[18:19], s[10:11]
	s_mov_b64 exec, s[10:11]
	s_cbranch_execz .LBB33_46
; %bb.45:                               ;   in Loop: Header=BB33_8 Depth=1
	global_load_ushort v8, v[14:15], off
.LBB33_46:                              ;   in Loop: Header=BB33_8 Depth=1
	s_or_b64 exec, exec, s[18:19]
	s_mov_b64 s[20:21], 0
	s_mov_b64 s[84:85], 0
	s_and_saveexec_b64 s[22:23], s[14:15]
	s_cbranch_execz .LBB33_53
; %bb.47:                               ;   in Loop: Header=BB33_8 Depth=1
	s_and_b32 s10, s0, 0xfe
	s_mov_b64 s[24:25], 0
	v_mov_b32_e32 v16, v30
	v_mov_b32_e32 v18, v25
	s_branch .LBB33_49
.LBB33_48:                              ;   in Loop: Header=BB33_49 Depth=2
	s_or_b64 exec, exec, s[18:19]
	s_waitcnt vmcnt(0)
	v_add_u32_sdwa v8, sext(v8), s6 dst_sel:DWORD dst_unused:UNUSED_PAD src0_sel:WORD_0 src1_sel:DWORD
	v_and_b32_e32 v19, s76, v8
	v_bfe_u32 v8, v8, s10, 2
	v_cmp_eq_u32_e32 vcc, s77, v19
	v_cmp_eq_u32_e64 s[18:19], 0, v8
	s_and_b64 s[12:13], vcc, s[18:19]
	v_cndmask_b32_e64 v19, 0, 1, s[12:13]
	v_cmp_ne_u32_e64 s[18:19], 0, v19
	s_bcnt1_i32_b64 s11, s[18:19]
	v_cmp_eq_u32_e64 s[18:19], 1, v8
	s_and_b64 s[12:13], vcc, s[18:19]
	v_cndmask_b32_e64 v19, 0, 1, s[12:13]
	v_cmp_ne_u32_e64 s[18:19], 0, v19
	v_add_u32_e32 v2, s11, v2
	s_bcnt1_i32_b64 s11, s[18:19]
	v_cmp_eq_u32_e64 s[18:19], 2, v8
	s_and_b64 s[12:13], vcc, s[18:19]
	v_cndmask_b32_e64 v19, 0, 1, s[12:13]
	v_cmp_ne_u32_e64 s[18:19], 0, v19
	v_add_u32_e32 v3, s11, v3
	s_bcnt1_i32_b64 s11, s[18:19]
	v_cmp_eq_u32_e64 s[18:19], 3, v8
	s_and_b64 s[12:13], vcc, s[18:19]
	v_cndmask_b32_e64 v8, 0, 1, s[12:13]
	v_cmp_ne_u32_e32 vcc, 0, v8
	v_add_u32_e32 v4, s11, v4
	s_bcnt1_i32_b64 s11, vcc
	v_cmp_le_i32_e32 vcc, s60, v18
	v_add_u32_e32 v5, s11, v5
	v_add_u32_e32 v16, s80, v16
	s_or_b64 s[24:25], vcc, s[24:25]
	v_mov_b32_e32 v8, v17
	s_andn2_b64 exec, exec, s[24:25]
	s_cbranch_execz .LBB33_52
.LBB33_49:                              ;   Parent Loop BB33_8 Depth=1
                                        ; =>  This Inner Loop Header: Depth=2
	v_add_u32_e32 v18, s33, v18
	v_cmp_gt_u32_e32 vcc, s60, v18
	v_mov_b32_e32 v17, 0
	s_and_saveexec_b64 s[18:19], vcc
	s_cbranch_execz .LBB33_48
; %bb.50:                               ;   in Loop: Header=BB33_49 Depth=2
	v_ashrrev_i32_e32 v17, 31, v16
	v_lshlrev_b64 v[36:37], 1, v[16:17]
	v_mov_b32_e32 v17, s82
	v_add_co_u32_e32 v36, vcc, s62, v36
	v_addc_co_u32_e32 v37, vcc, v17, v37, vcc
	global_load_ushort v17, v[36:37], off
	s_branch .LBB33_48
.LBB33_51:                              ;   in Loop: Header=BB33_8 Depth=1
	s_mov_b64 s[84:85], 0
                                        ; implicit-def: $vgpr5
	s_cbranch_execnz .LBB33_54
	s_branch .LBB33_63
.LBB33_52:                              ;   in Loop: Header=BB33_8 Depth=1
	s_or_b64 exec, exec, s[24:25]
	s_mov_b64 s[84:85], exec
.LBB33_53:                              ;   in Loop: Header=BB33_8 Depth=1
	s_or_b64 exec, exec, s[22:23]
	s_and_b64 vcc, exec, s[20:21]
	s_cbranch_vccz .LBB33_63
.LBB33_54:                              ;   in Loop: Header=BB33_8 Depth=1
	s_mul_hi_u32 s10, s73, s8
	s_mul_i32 s10, s10, s83
	s_sub_i32 s10, s73, s10
	s_sub_i32 s11, s10, s83
	s_cmp_ge_u32 s10, s83
	s_cselect_b32 s10, s11, s10
	s_sub_i32 s11, s10, s83
	s_cmp_ge_u32 s10, s83
	s_cselect_b32 s10, s11, s10
	s_sub_i32 s10, s73, s10
	v_cmp_gt_u32_e32 vcc, s10, v20
	s_mov_b32 s78, 0
	s_waitcnt vmcnt(0)
	v_mov_b32_e32 v2, 0
	v_mov_b32_e32 v3, 0
	;; [unrolled: 1-line block ×4, first 2 shown]
	s_and_saveexec_b64 s[86:87], vcc
	s_cbranch_execz .LBB33_58
; %bb.55:                               ;   in Loop: Header=BB33_8 Depth=1
	s_and_b32 s11, s0, 0xfe
	s_mov_b64 s[88:89], 0
	v_mov_b32_e32 v8, v31
	s_mov_b32 s79, 0
	s_mov_b32 s12, 0
	;; [unrolled: 1-line block ×3, first 2 shown]
	v_mov_b32_e32 v16, v20
.LBB33_56:                              ;   Parent Loop BB33_8 Depth=1
                                        ; =>  This Inner Loop Header: Depth=2
	ds_read_b64 v[2:3], v8
	v_add_u32_e32 v16, s83, v16
	v_cmp_le_i32_e32 vcc, s10, v16
	v_add_u32_e32 v8, s17, v8
	s_waitcnt lgkmcnt(0)
	v_add_u32_sdwa v4, sext(v2), s6 dst_sel:DWORD dst_unused:UNUSED_PAD src0_sel:WORD_0 src1_sel:DWORD
	v_add_u32_sdwa v2, sext(v2), s6 dst_sel:DWORD dst_unused:UNUSED_PAD src0_sel:WORD_1 src1_sel:DWORD
	v_and_b32_e32 v17, s76, v4
	v_bfe_u32 v4, v4, s11, 2
	v_add_u32_sdwa v5, sext(v3), s6 dst_sel:DWORD dst_unused:UNUSED_PAD src0_sel:WORD_0 src1_sel:DWORD
	v_and_b32_e32 v18, s76, v2
	v_bfe_u32 v2, v2, s11, 2
	v_cmp_eq_u32_e64 s[18:19], s77, v17
	v_cmp_eq_u32_e64 s[26:27], 0, v4
	v_add_u32_sdwa v3, sext(v3), s6 dst_sel:DWORD dst_unused:UNUSED_PAD src0_sel:WORD_1 src1_sel:DWORD
	v_and_b32_e32 v19, s76, v5
	v_bfe_u32 v5, v5, s11, 2
	v_cmp_eq_u32_e64 s[20:21], s77, v18
	v_cmp_eq_u32_e64 s[28:29], 0, v2
	s_and_b64 s[26:27], s[18:19], s[26:27]
	v_and_b32_e32 v36, s76, v3
	v_bfe_u32 v3, v3, s11, 2
	v_cmp_eq_u32_e64 s[22:23], s77, v19
	v_cmp_eq_u32_e64 s[30:31], 0, v5
	;; [unrolled: 1-line block ×5, first 2 shown]
	v_cndmask_b32_e64 v2, 0, 1, s[26:27]
	s_and_b64 s[26:27], s[20:21], s[28:29]
	v_cmp_eq_u32_e64 s[24:25], s77, v36
	v_cmp_eq_u32_e64 s[34:35], 0, v3
	;; [unrolled: 1-line block ×5, first 2 shown]
	v_cndmask_b32_e64 v3, 0, 1, s[26:27]
	s_and_b64 s[26:27], s[22:23], s[30:31]
	v_cmp_eq_u32_e64 s[36:37], 1, v4
	v_cmp_eq_u32_e64 s[44:45], 2, v4
	;; [unrolled: 1-line block ×3, first 2 shown]
	v_cndmask_b32_e64 v4, 0, 1, s[26:27]
	s_and_b64 s[26:27], s[24:25], s[34:35]
	v_cmp_eq_u32_e64 s[40:41], 1, v5
	v_cmp_eq_u32_e64 s[48:49], 2, v5
	;; [unrolled: 1-line block ×3, first 2 shown]
	v_cndmask_b32_e64 v5, 0, 1, s[26:27]
	s_and_b64 s[26:27], s[18:19], s[36:37]
	v_cndmask_b32_e64 v17, 0, 1, s[26:27]
	s_and_b64 s[26:27], s[20:21], s[38:39]
	;; [unrolled: 2-line block ×5, first 2 shown]
	s_and_b64 s[18:19], s[18:19], s[52:53]
	v_cndmask_b32_e64 v37, 0, 1, s[26:27]
	s_and_b64 s[26:27], s[20:21], s[46:47]
	v_cndmask_b32_e64 v41, 0, 1, s[18:19]
	;; [unrolled: 2-line block ×7, first 2 shown]
	v_cndmask_b32_e64 v44, 0, 1, s[18:19]
	v_cmp_ne_u32_e64 s[18:19], 0, v2
	v_cmp_ne_u32_e64 s[20:21], 0, v3
	;; [unrolled: 1-line block ×11, first 2 shown]
	s_bcnt1_i32_b64 s18, s[18:19]
	s_bcnt1_i32_b64 s19, s[20:21]
	;; [unrolled: 1-line block ×8, first 2 shown]
	v_cmp_ne_u32_e64 s[34:35], 0, v36
	v_cmp_ne_u32_e64 s[40:41], 0, v39
	;; [unrolled: 1-line block ×3, first 2 shown]
	s_bcnt1_i32_b64 s23, s[28:29]
	s_bcnt1_i32_b64 s27, s[38:39]
	;; [unrolled: 1-line block ×3, first 2 shown]
	s_add_i32 s13, s13, s18
	s_add_i32 s12, s12, s22
	;; [unrolled: 1-line block ×4, first 2 shown]
	v_cmp_ne_u32_e64 s[42:43], 0, v40
	v_cmp_ne_u32_e64 s[50:51], 0, v44
	s_bcnt1_i32_b64 s25, s[34:35]
	s_bcnt1_i32_b64 s28, s[40:41]
	;; [unrolled: 1-line block ×3, first 2 shown]
	s_add_i32 s13, s13, s19
	s_add_i32 s12, s12, s23
	;; [unrolled: 1-line block ×4, first 2 shown]
	s_bcnt1_i32_b64 s29, s[42:43]
	s_bcnt1_i32_b64 s35, s[50:51]
	s_add_i32 s13, s13, s20
	s_add_i32 s12, s12, s24
	s_add_i32 s18, s18, s28
	s_add_i32 s19, s19, s34
	s_add_i32 s13, s13, s21
	s_add_i32 s12, s12, s25
	s_add_i32 s79, s18, s29
	s_add_i32 s78, s19, s35
	s_or_b64 s[88:89], vcc, s[88:89]
	v_mov_b32_e32 v2, s13
	v_mov_b32_e32 v3, s12
	;; [unrolled: 1-line block ×4, first 2 shown]
	s_andn2_b64 exec, exec, s[88:89]
	s_cbranch_execnz .LBB33_56
; %bb.57:                               ;   in Loop: Header=BB33_8 Depth=1
	s_or_b64 exec, exec, s[88:89]
.LBB33_58:                              ;   in Loop: Header=BB33_8 Depth=1
	s_or_b64 exec, exec, s[86:87]
	v_add_u32_e32 v8, s10, v0
	v_cmp_gt_i32_e32 vcc, s73, v8
	s_and_saveexec_b64 s[28:29], vcc
	s_cbranch_execz .LBB33_62
; %bb.59:                               ;   in Loop: Header=BB33_8 Depth=1
	s_and_b32 s10, s0, 0xfe
	v_lshlrev_b32_e32 v16, 1, v8
	s_mov_b64 s[30:31], 0
.LBB33_60:                              ;   Parent Loop BB33_8 Depth=1
                                        ; =>  This Inner Loop Header: Depth=2
	ds_read_i16 v17, v16
	v_add_u32_e32 v8, s33, v8
	v_cmp_le_i32_e32 vcc, s73, v8
	v_add_u32_e32 v16, s81, v16
	s_waitcnt lgkmcnt(0)
	v_add_u32_e32 v17, 0x8000, v17
	v_and_b32_e32 v18, s76, v17
	v_bfe_u32 v17, v17, s10, 2
	v_cmp_eq_u32_e64 s[18:19], s77, v18
	v_cmp_eq_u32_e64 s[20:21], 0, v17
	;; [unrolled: 1-line block ×3, first 2 shown]
	s_and_b64 s[12:13], s[18:19], s[20:21]
	v_cmp_eq_u32_e64 s[24:25], 2, v17
	v_cmp_eq_u32_e64 s[26:27], 3, v17
	v_cndmask_b32_e64 v17, 0, 1, s[12:13]
	s_and_b64 s[12:13], s[18:19], s[22:23]
	v_cndmask_b32_e64 v18, 0, 1, s[12:13]
	s_and_b64 s[12:13], s[18:19], s[24:25]
	;; [unrolled: 2-line block ×3, first 2 shown]
	v_cndmask_b32_e64 v36, 0, 1, s[12:13]
	v_cmp_ne_u32_e64 s[18:19], 0, v17
	v_cmp_ne_u32_e64 s[20:21], 0, v18
	;; [unrolled: 1-line block ×4, first 2 shown]
	s_bcnt1_i32_b64 s11, s[18:19]
	s_bcnt1_i32_b64 s12, s[20:21]
	s_bcnt1_i32_b64 s13, s[22:23]
	s_bcnt1_i32_b64 s18, s[24:25]
	v_add_u32_e32 v2, s11, v2
	v_add_u32_e32 v3, s12, v3
	;; [unrolled: 1-line block ×3, first 2 shown]
	s_or_b64 s[30:31], vcc, s[30:31]
	v_add_u32_e32 v5, s18, v5
	s_andn2_b64 exec, exec, s[30:31]
	s_cbranch_execnz .LBB33_60
; %bb.61:                               ;   in Loop: Header=BB33_8 Depth=1
	s_or_b64 exec, exec, s[30:31]
	s_or_b64 s[84:85], s[84:85], exec
.LBB33_62:                              ;   in Loop: Header=BB33_8 Depth=1
	s_or_b64 exec, exec, s[28:29]
.LBB33_63:                              ;   in Loop: Header=BB33_8 Depth=1
	s_and_saveexec_b64 s[18:19], s[84:85]
	s_or_b64 exec, exec, s[18:19]
	s_lshl_b32 s10, s1, 6
	s_and_saveexec_b64 s[18:19], s[2:3]
	s_cbranch_execz .LBB33_65
; %bb.64:                               ;   in Loop: Header=BB33_8 Depth=1
	s_waitcnt vmcnt(0)
	v_or_b32_e32 v8, s10, v23
	v_lshlrev_b32_e32 v8, 2, v8
	ds_write_b128 v8, v[2:5] offset:3072
.LBB33_65:                              ;   in Loop: Header=BB33_8 Depth=1
	s_or_b64 exec, exec, s[18:19]
	s_waitcnt lgkmcnt(0)
	s_barrier
	s_and_saveexec_b64 s[18:19], s[74:75]
	s_cbranch_execz .LBB33_79
; %bb.66:                               ;   in Loop: Header=BB33_8 Depth=1
	v_readlane_b32 s12, v48, 24
	v_readlane_b32 s13, v48, 25
	v_add_u32_e32 v4, s10, v13
	s_andn2_b64 vcc, exec, s[12:13]
	s_waitcnt vmcnt(0)
	v_mov_b32_e32 v2, 0
	s_cbranch_vccnz .LBB33_78
; %bb.67:                               ;   in Loop: Header=BB33_8 Depth=1
	v_readlane_b32 s12, v48, 28
	v_readlane_b32 s13, v48, 29
	s_mov_b32 s11, 0
	s_and_b64 vcc, exec, s[12:13]
	v_mov_b32_e32 v2, 0
	s_cbranch_vccz .LBB33_71
; %bb.68:                               ;   in Loop: Header=BB33_8 Depth=1
	v_readlane_b32 s12, v48, 34
	v_readlane_b32 s13, v48, 35
	v_lshl_add_u32 v5, v4, 2, v33
	s_andn2_b64 vcc, exec, s[12:13]
	s_cbranch_vccnz .LBB33_72
; %bb.69:                               ;   in Loop: Header=BB33_8 Depth=1
	s_mov_b32 s21, 1
	s_mov_b32 s20, 0
	v_mov_b32_e32 v2, 0
	v_readlane_b32 s11, v48, 36
	v_mov_b32_e32 v3, 0
.LBB33_70:                              ;   Parent Loop BB33_8 Depth=1
                                        ; =>  This Inner Loop Header: Depth=2
	v_lshl_add_u32 v8, s20, 4, v5
	v_lshl_add_u32 v46, s21, 4, v5
	ds_read2_b32 v[16:17], v8 offset1:8
	ds_read2_b32 v[18:19], v46 offset1:8
	ds_read2_b32 v[36:37], v8 offset0:16 offset1:24
	ds_read2_b32 v[38:39], v46 offset0:16 offset1:24
	;; [unrolled: 1-line block ×6, first 2 shown]
	s_waitcnt lgkmcnt(7)
	v_add3_u32 v2, v16, v2, v17
	s_waitcnt lgkmcnt(6)
	v_add3_u32 v3, v18, v3, v19
	;; [unrolled: 2-line block ×3, first 2 shown]
	v_add3_u32 v2, v36, v2, v37
	s_add_i32 s21, s21, 16
	s_add_i32 s20, s20, 16
	s_add_i32 s11, s11, -8
	s_waitcnt lgkmcnt(3)
	v_add3_u32 v2, v40, v2, v41
	s_waitcnt lgkmcnt(2)
	v_add3_u32 v3, v42, v3, v43
	s_cmp_lg_u32 s11, 0
	s_waitcnt lgkmcnt(0)
	v_add3_u32 v3, v46, v3, v47
	v_add3_u32 v2, v44, v2, v45
	s_cbranch_scc1 .LBB33_70
	s_branch .LBB33_73
.LBB33_71:                              ;   in Loop: Header=BB33_8 Depth=1
	s_cbranch_execnz .LBB33_76
	s_branch .LBB33_78
.LBB33_72:                              ;   in Loop: Header=BB33_8 Depth=1
	s_mov_b32 s73, s72
	v_pk_mov_b32 v[2:3], s[72:73], s[72:73] op_sel:[0,1]
	s_mov_b32 s73, 1
	s_mov_b64 s[20:21], s[72:73]
.LBB33_73:                              ;   in Loop: Header=BB33_8 Depth=1
	v_readlane_b32 s12, v48, 38
	v_readlane_b32 s13, v48, 39
	s_andn2_b64 vcc, exec, s[12:13]
	v_readlane_b32 s11, v48, 37
	s_cbranch_vccnz .LBB33_75
.LBB33_74:                              ;   Parent Loop BB33_8 Depth=1
                                        ; =>  This Inner Loop Header: Depth=2
	v_lshl_add_u32 v8, s20, 4, v5
	v_lshl_add_u32 v16, s21, 4, v5
	ds_read_b32 v16, v16
	ds_read_b32 v8, v8
	s_add_i32 s21, s21, 2
	s_add_i32 s20, s20, 2
	s_add_i32 s11, s11, -1
	s_cmp_lg_u32 s11, 0
	s_waitcnt lgkmcnt(1)
	v_add_u32_e32 v3, v16, v3
	s_waitcnt lgkmcnt(0)
	v_add_u32_e32 v2, v8, v2
	s_cbranch_scc1 .LBB33_74
.LBB33_75:                              ;   in Loop: Header=BB33_8 Depth=1
	v_readlane_b32 s20, v48, 42
	v_add_u32_e32 v2, v2, v3
	v_readlane_b32 s11, v48, 41
	v_readlane_b32 s21, v48, 43
	s_and_b64 vcc, exec, s[20:21]
	s_cbranch_vccz .LBB33_78
.LBB33_76:                              ;   in Loop: Header=BB33_8 Depth=1
	s_lshl_b32 s12, s1, 8
	s_lshl_b32 s13, s11, 4
	s_add_i32 s12, s12, s13
	v_add_u32_e32 v3, s12, v32
	v_readlane_b32 s12, v48, 40
	s_sub_i32 s11, s12, s11
.LBB33_77:                              ;   Parent Loop BB33_8 Depth=1
                                        ; =>  This Inner Loop Header: Depth=2
	ds_read_b32 v5, v3
	s_add_i32 s11, s11, -1
	v_add_u32_e32 v3, 16, v3
	s_cmp_eq_u32 s11, 0
	s_waitcnt lgkmcnt(0)
	v_add_u32_e32 v2, v5, v2
	s_cbranch_scc0 .LBB33_77
.LBB33_78:                              ;   in Loop: Header=BB33_8 Depth=1
	v_lshlrev_b32_e32 v3, 2, v4
	ds_write_b32 v3, v2 offset:3072
.LBB33_79:                              ;   in Loop: Header=BB33_8 Depth=1
	s_or_b64 exec, exec, s[18:19]
	s_lshl_b32 s10, s10, 2
	s_waitcnt vmcnt(0)
	v_mov_b32_e32 v2, s10
	s_waitcnt lgkmcnt(0)
	s_barrier
	ds_read_b128 v[2:5], v2 offset:3072
	s_and_b32 s47, s0, 0xfe
	s_lshl_b32 s55, 3, s47
	s_not_b32 s48, s55
	s_mov_b64 s[22:23], -1
	s_waitcnt lgkmcnt(0)
	v_readfirstlane_b32 s34, v2
	s_cmp_eq_u32 s34, 1
	s_cselect_b64 s[10:11], -1, 0
	s_cmp_eq_u32 s61, 1
	s_cselect_b64 s[12:13], -1, 0
	s_and_b64 s[24:25], s[10:11], s[12:13]
	v_readfirstlane_b32 s38, v3
	v_readfirstlane_b32 s46, v4
	;; [unrolled: 1-line block ×3, first 2 shown]
	s_and_b64 vcc, exec, s[24:25]
	s_cbranch_vccz .LBB33_91
; %bb.80:                               ;   in Loop: Header=BB33_8 Depth=1
	ds_read_b32 v2, v9 offset:4096
	s_waitcnt lgkmcnt(0)
	s_barrier
	v_readfirstlane_b32 s10, v2
	s_and_saveexec_b64 s[18:19], s[4:5]
	s_cbranch_execz .LBB33_82
; %bb.81:                               ;   in Loop: Header=BB33_8 Depth=1
	ds_write_b16 v22, v9
.LBB33_82:                              ;   in Loop: Header=BB33_8 Depth=1
	s_or_b64 exec, exec, s[18:19]
	s_and_b32 s77, s77, s48
	s_or_b32 s76, s76, s55
	s_cmp_lt_i32 s10, 1
	s_waitcnt lgkmcnt(0)
	s_barrier
	s_cbranch_scc0 .LBB33_92
; %bb.83:                               ;   in Loop: Header=BB33_8 Depth=1
	s_mov_b64 s[18:19], 0
                                        ; implicit-def: $vgpr35
	s_mov_b64 s[20:21], exec
	v_readlane_b32 s12, v48, 49
	v_readlane_b32 s13, v48, 50
	s_and_b64 s[12:13], s[20:21], s[12:13]
	s_mov_b64 exec, s[12:13]
	s_cbranch_execz .LBB33_94
; %bb.84:                               ;   in Loop: Header=BB33_8 Depth=1
	s_mov_b64 s[26:27], 0
	v_mov_b32_e32 v2, v6
	v_mov_b32_e32 v4, v0
                                        ; implicit-def: $sgpr28_sgpr29
	s_branch .LBB33_86
.LBB33_85:                              ;   in Loop: Header=BB33_86 Depth=2
	s_or_b64 exec, exec, s[18:19]
	s_waitcnt lgkmcnt(0)
	s_barrier
	s_waitcnt vmcnt(0)
	ds_read_b32 v3, v9 offset:3072
	v_add_u32_e32 v4, s33, v4
	v_cmp_le_i32_e64 s[18:19], s7, v4
	v_add_u32_e32 v2, s80, v2
	s_waitcnt lgkmcnt(0)
	v_cmp_ne_u16_e32 vcc, 0, v3
	s_or_b64 s[12:13], s[18:19], vcc
	s_and_b64 s[12:13], exec, s[12:13]
	s_or_b64 s[26:27], s[12:13], s[26:27]
	s_andn2_b64 s[12:13], s[28:29], exec
	s_and_b64 s[18:19], vcc, exec
	s_or_b64 s[28:29], s[12:13], s[18:19]
	s_barrier
	s_andn2_b64 exec, exec, s[26:27]
	s_cbranch_execz .LBB33_93
.LBB33_86:                              ;   Parent Loop BB33_8 Depth=1
                                        ; =>  This Inner Loop Header: Depth=2
	v_cmp_gt_i32_e32 vcc, s60, v4
	v_mov_b32_e32 v3, 0
	s_and_saveexec_b64 s[30:31], vcc
	s_cbranch_execz .LBB33_88
; %bb.87:                               ;   in Loop: Header=BB33_86 Depth=2
	v_ashrrev_i32_e32 v3, 31, v2
	v_lshlrev_b64 v[16:17], 1, v[2:3]
	v_mov_b32_e32 v3, s82
	v_add_co_u32_e64 v16, s[18:19], s62, v16
	v_addc_co_u32_e64 v17, s[18:19], v3, v17, s[18:19]
	global_load_ushort v3, v[16:17], off
.LBB33_88:                              ;   in Loop: Header=BB33_86 Depth=2
	s_or_b64 exec, exec, s[30:31]
	s_and_saveexec_b64 s[18:19], vcc
	s_cbranch_execz .LBB33_85
; %bb.89:                               ;   in Loop: Header=BB33_86 Depth=2
	s_waitcnt vmcnt(0)
	v_add_u32_sdwa v5, sext(v3), s6 dst_sel:DWORD dst_unused:UNUSED_PAD src0_sel:WORD_0 src1_sel:DWORD
	v_and_b32_e32 v5, s76, v5
	v_cmp_eq_u32_e32 vcc, s77, v5
	s_and_b64 exec, exec, vcc
	s_cbranch_execz .LBB33_85
; %bb.90:                               ;   in Loop: Header=BB33_86 Depth=2
	v_perm_b32 v3, v3, 1, v34
	ds_write_b32 v9, v3 offset:3072
	s_branch .LBB33_85
.LBB33_91:                              ;   in Loop: Header=BB33_8 Depth=1
	s_mov_b64 s[18:19], -1
                                        ; implicit-def: $sgpr20_sgpr21
                                        ; implicit-def: $sgpr28_sgpr29
                                        ; implicit-def: $sgpr26_sgpr27
	s_branch .LBB33_105
.LBB33_92:                              ;   in Loop: Header=BB33_8 Depth=1
	s_mov_b64 s[20:21], -1
	s_mov_b64 s[18:19], 0
                                        ; implicit-def: $sgpr26_sgpr27
                                        ; implicit-def: $vgpr35
	s_mov_b64 s[28:29], s[20:21]
	s_cbranch_execnz .LBB33_95
	s_branch .LBB33_105
.LBB33_93:                              ;   in Loop: Header=BB33_8 Depth=1
	s_or_b64 exec, exec, s[26:27]
	v_lshrrev_b32_e32 v35, 16, v3
	s_and_b64 s[18:19], s[28:29], exec
.LBB33_94:                              ;   in Loop: Header=BB33_8 Depth=1
	s_or_b64 exec, exec, s[20:21]
	s_mov_b64 s[26:27], -1
	s_mov_b64 s[20:21], 0
	s_mov_b64 s[28:29], s[20:21]
	s_branch .LBB33_105
.LBB33_95:                              ;   in Loop: Header=BB33_8 Depth=1
	v_readlane_b32 s11, v48, 21
	s_add_i32 s11, s10, s11
	s_abs_i32 s13, s11
	v_readlane_b32 s18, v48, 48
	s_mul_hi_u32 s18, s13, s18
	s_mul_i32 s18, s18, s33
	s_sub_i32 s13, s13, s18
	s_ashr_i32 s12, s11, 31
	s_sub_i32 s18, s13, s33
	s_cmp_ge_u32 s13, s33
	s_cselect_b32 s13, s18, s13
	s_sub_i32 s18, s13, s33
	s_cmp_ge_u32 s13, s33
	s_cselect_b32 s13, s18, s13
	s_xor_b32 s13, s13, s12
	s_sub_i32 s12, s12, s13
	s_add_i32 s11, s11, s12
	v_cmp_gt_i32_e32 vcc, s11, v0
	s_mov_b64 s[18:19], 0
                                        ; implicit-def: $vgpr35
	s_and_saveexec_b64 s[20:21], vcc
	s_cbranch_execz .LBB33_104
; %bb.96:                               ;   in Loop: Header=BB33_8 Depth=1
	s_mov_b64 s[26:27], 0
	v_mov_b32_e32 v2, v21
	v_mov_b32_e32 v3, v0
                                        ; implicit-def: $sgpr28_sgpr29
	s_branch .LBB33_98
.LBB33_97:                              ;   in Loop: Header=BB33_98 Depth=2
	s_or_b64 exec, exec, s[18:19]
	s_waitcnt lgkmcnt(0)
	s_barrier
	ds_read_b32 v4, v9 offset:3072
	v_add_u32_e32 v3, s33, v3
	v_cmp_le_i32_e64 s[18:19], s11, v3
	v_add_u32_e32 v2, s81, v2
	s_waitcnt lgkmcnt(0)
	v_cmp_ne_u16_e32 vcc, 0, v4
	s_or_b64 s[12:13], s[18:19], vcc
	s_and_b64 s[12:13], exec, s[12:13]
	s_or_b64 s[26:27], s[12:13], s[26:27]
	s_andn2_b64 s[12:13], s[28:29], exec
	s_and_b64 s[18:19], vcc, exec
	s_or_b64 s[28:29], s[12:13], s[18:19]
	s_barrier
	s_andn2_b64 exec, exec, s[26:27]
	s_cbranch_execz .LBB33_103
.LBB33_98:                              ;   Parent Loop BB33_8 Depth=1
                                        ; =>  This Inner Loop Header: Depth=2
	v_cmp_gt_i32_e32 vcc, s10, v3
	v_mov_b32_e32 v4, 0
	s_and_saveexec_b64 s[18:19], vcc
	s_cbranch_execz .LBB33_100
; %bb.99:                               ;   in Loop: Header=BB33_98 Depth=2
	ds_read_u16 v4, v2
.LBB33_100:                             ;   in Loop: Header=BB33_98 Depth=2
	s_or_b64 exec, exec, s[18:19]
	s_and_saveexec_b64 s[18:19], vcc
	s_cbranch_execz .LBB33_97
; %bb.101:                              ;   in Loop: Header=BB33_98 Depth=2
	s_waitcnt lgkmcnt(0)
	v_add_u32_sdwa v5, sext(v4), s6 dst_sel:DWORD dst_unused:UNUSED_PAD src0_sel:WORD_0 src1_sel:DWORD
	v_and_b32_e32 v5, s76, v5
	v_cmp_eq_u32_e32 vcc, s77, v5
	s_and_b64 exec, exec, vcc
	s_cbranch_execz .LBB33_97
; %bb.102:                              ;   in Loop: Header=BB33_98 Depth=2
	v_perm_b32 v4, v4, 1, v34
	ds_write_b32 v9, v4 offset:3072
	s_branch .LBB33_97
.LBB33_103:                             ;   in Loop: Header=BB33_8 Depth=1
	s_or_b64 exec, exec, s[26:27]
	v_lshrrev_b32_e32 v35, 16, v4
	s_and_b64 s[18:19], s[28:29], exec
.LBB33_104:                             ;   in Loop: Header=BB33_8 Depth=1
	s_or_b64 exec, exec, s[20:21]
	s_mov_b64 s[28:29], -1
	s_mov_b64 s[20:21], 0
	s_mov_b64 s[26:27], 0
.LBB33_105:                             ;   in Loop: Header=BB33_8 Depth=1
	s_andn2_b64 s[10:11], s[70:71], exec
	s_and_b64 s[12:13], s[20:21], exec
	s_or_b64 s[70:71], s[10:11], s[12:13]
	s_andn2_b64 s[10:11], s[68:69], exec
	s_and_b64 s[12:13], s[28:29], exec
	s_or_b64 s[68:69], s[10:11], s[12:13]
	;; [unrolled: 3-line block ×3, first 2 shown]
	s_and_saveexec_b64 s[20:21], s[18:19]
	s_cbranch_execz .LBB33_7
; %bb.106:                              ;   in Loop: Header=BB33_8 Depth=1
	s_xor_b64 s[10:11], s[24:25], -1
	s_mov_b64 s[18:19], 0
	s_andn2_b64 vcc, exec, s[10:11]
	s_mov_b32 s39, 1
	s_cbranch_vccnz .LBB33_117
; %bb.107:                              ;   in Loop: Header=BB33_8 Depth=1
	s_cmp_gt_i32 s61, s34
	s_mov_b64 s[18:19], -1
                                        ; implicit-def: $sgpr57
                                        ; implicit-def: $sgpr10
                                        ; implicit-def: $sgpr11
	s_cbranch_scc1 .LBB33_113
; %bb.108:                              ;   in Loop: Header=BB33_8 Depth=1
	ds_read_b32 v2, v9 offset:4096
	s_waitcnt lgkmcnt(0)
	v_cmp_ne_u32_e32 vcc, 0, v2
	s_cbranch_vccnz .LBB33_112
; %bb.109:                              ;   in Loop: Header=BB33_8 Depth=1
	s_mov_b64 s[18:19], exec
	v_readlane_b32 s10, v48, 12
	v_readlane_b32 s11, v48, 13
	s_and_b64 s[10:11], s[18:19], s[10:11]
	s_mov_b64 exec, s[10:11]
	s_cbranch_execz .LBB33_111
; %bb.110:                              ;   in Loop: Header=BB33_8 Depth=1
	v_mov_b32_e32 v2, s34
	ds_write_b32 v9, v2 offset:4100
.LBB33_111:                             ;   in Loop: Header=BB33_8 Depth=1
	s_or_b64 exec, exec, s[18:19]
	s_waitcnt lgkmcnt(0)
	s_barrier
.LBB33_112:                             ;   in Loop: Header=BB33_8 Depth=1
	s_and_b32 s10, s77, s48
	s_or_b32 s11, s76, s55
	s_mov_b64 s[18:19], 0
	s_mov_b32 s57, 8
.LBB33_113:                             ;   in Loop: Header=BB33_8 Depth=1
	s_andn2_b64 vcc, exec, s[18:19]
	s_cbranch_vccnz .LBB33_115
; %bb.114:                              ;   in Loop: Header=BB33_8 Depth=1
	s_sub_i32 s61, s61, s34
	s_mov_b64 s[18:19], -1
	s_mov_b32 s57, 0
	s_mov_b32 s10, s77
	;; [unrolled: 1-line block ×3, first 2 shown]
.LBB33_115:                             ;   in Loop: Header=BB33_8 Depth=1
	s_mov_b32 s76, s11
	s_mov_b32 s77, s10
	s_mov_b32 s39, s61
	s_mov_b64 s[22:23], -1
	s_and_b64 vcc, exec, s[18:19]
	s_cbranch_vccnz .LBB33_118
.LBB33_116:                             ;   in Loop: Header=BB33_8 Depth=1
	s_mov_b64 s[36:37], -1
                                        ; implicit-def: $sgpr24_sgpr25
                                        ; implicit-def: $sgpr28_sgpr29
                                        ; implicit-def: $sgpr26_sgpr27
	s_and_saveexec_b64 s[10:11], s[36:37]
	s_xor_b64 s[18:19], exec, s[10:11]
	s_cbranch_execz .LBB33_6
	s_branch .LBB33_241
.LBB33_117:                             ;   in Loop: Header=BB33_8 Depth=1
	s_mov_b32 s57, 1
	s_mov_b64 s[22:23], -1
	s_and_b64 vcc, exec, s[18:19]
	s_cbranch_vccz .LBB33_116
.LBB33_118:                             ;   in Loop: Header=BB33_8 Depth=1
	s_cmp_eq_u32 s38, 1
	s_cselect_b64 s[10:11], -1, 0
	s_cmp_eq_u32 s39, 1
	s_cselect_b64 s[12:13], -1, 0
	s_and_b64 s[34:35], s[10:11], s[12:13]
	s_mov_b64 s[18:19], -1
	s_and_b64 vcc, exec, s[34:35]
	s_cbranch_vccz .LBB33_130
; %bb.119:                              ;   in Loop: Header=BB33_8 Depth=1
	ds_read_b32 v2, v9 offset:4096
	s_waitcnt lgkmcnt(0)
	s_barrier
	v_readfirstlane_b32 s10, v2
	s_and_saveexec_b64 s[18:19], s[4:5]
	s_cbranch_execz .LBB33_121
; %bb.120:                              ;   in Loop: Header=BB33_8 Depth=1
	ds_write_b16 v22, v9
.LBB33_121:                             ;   in Loop: Header=BB33_8 Depth=1
	s_or_b64 exec, exec, s[18:19]
	s_lshl_b32 s11, 1, s47
	s_and_b32 s12, s77, s48
	s_or_b32 s77, s12, s11
	s_or_b32 s76, s76, s55
	s_cmp_gt_i32 s10, 0
	s_waitcnt lgkmcnt(0)
	s_barrier
	s_cbranch_scc1 .LBB33_131
; %bb.122:                              ;   in Loop: Header=BB33_8 Depth=1
	s_mov_b64 s[18:19], 0
                                        ; implicit-def: $vgpr35
	s_mov_b64 s[24:25], exec
	v_readlane_b32 s12, v48, 49
	v_readlane_b32 s13, v48, 50
	s_and_b64 s[12:13], s[24:25], s[12:13]
	s_mov_b64 exec, s[12:13]
	s_cbranch_execz .LBB33_133
; %bb.123:                              ;   in Loop: Header=BB33_8 Depth=1
	s_mov_b64 s[26:27], 0
	v_mov_b32_e32 v2, v6
	v_mov_b32_e32 v4, v0
                                        ; implicit-def: $sgpr28_sgpr29
	s_branch .LBB33_125
.LBB33_124:                             ;   in Loop: Header=BB33_125 Depth=2
	s_or_b64 exec, exec, s[18:19]
	s_waitcnt lgkmcnt(0)
	s_barrier
	s_waitcnt vmcnt(0)
	ds_read_b32 v3, v9 offset:3072
	v_add_u32_e32 v4, s33, v4
	v_cmp_le_i32_e64 s[18:19], s7, v4
	v_add_u32_e32 v2, s80, v2
	s_waitcnt lgkmcnt(0)
	v_cmp_ne_u16_e32 vcc, 0, v3
	s_or_b64 s[12:13], s[18:19], vcc
	s_and_b64 s[12:13], exec, s[12:13]
	s_or_b64 s[26:27], s[12:13], s[26:27]
	s_andn2_b64 s[12:13], s[28:29], exec
	s_and_b64 s[18:19], vcc, exec
	s_or_b64 s[28:29], s[12:13], s[18:19]
	s_barrier
	s_andn2_b64 exec, exec, s[26:27]
	s_cbranch_execz .LBB33_132
.LBB33_125:                             ;   Parent Loop BB33_8 Depth=1
                                        ; =>  This Inner Loop Header: Depth=2
	v_cmp_gt_i32_e32 vcc, s60, v4
	v_mov_b32_e32 v3, 0
	s_and_saveexec_b64 s[30:31], vcc
	s_cbranch_execz .LBB33_127
; %bb.126:                              ;   in Loop: Header=BB33_125 Depth=2
	v_ashrrev_i32_e32 v3, 31, v2
	v_lshlrev_b64 v[16:17], 1, v[2:3]
	v_mov_b32_e32 v3, s82
	v_add_co_u32_e64 v16, s[18:19], s62, v16
	v_addc_co_u32_e64 v17, s[18:19], v3, v17, s[18:19]
	global_load_ushort v3, v[16:17], off
.LBB33_127:                             ;   in Loop: Header=BB33_125 Depth=2
	s_or_b64 exec, exec, s[30:31]
	s_and_saveexec_b64 s[18:19], vcc
	s_cbranch_execz .LBB33_124
; %bb.128:                              ;   in Loop: Header=BB33_125 Depth=2
	s_waitcnt vmcnt(0)
	v_add_u32_sdwa v5, sext(v3), s6 dst_sel:DWORD dst_unused:UNUSED_PAD src0_sel:WORD_0 src1_sel:DWORD
	v_and_b32_e32 v5, s76, v5
	v_cmp_eq_u32_e32 vcc, s77, v5
	s_and_b64 exec, exec, vcc
	s_cbranch_execz .LBB33_124
; %bb.129:                              ;   in Loop: Header=BB33_125 Depth=2
	v_perm_b32 v3, v3, 1, v34
	ds_write_b32 v9, v3 offset:3072
	s_branch .LBB33_124
.LBB33_130:                             ;   in Loop: Header=BB33_8 Depth=1
                                        ; implicit-def: $sgpr26_sgpr27
                                        ; implicit-def: $sgpr28_sgpr29
                                        ; implicit-def: $sgpr24_sgpr25
	s_branch .LBB33_144
.LBB33_131:                             ;   in Loop: Header=BB33_8 Depth=1
	s_mov_b64 s[26:27], -1
	s_mov_b64 s[18:19], 0
                                        ; implicit-def: $sgpr24_sgpr25
                                        ; implicit-def: $vgpr35
	s_mov_b64 s[28:29], s[26:27]
	s_cbranch_execnz .LBB33_134
	s_branch .LBB33_144
.LBB33_132:                             ;   in Loop: Header=BB33_8 Depth=1
	s_or_b64 exec, exec, s[26:27]
	v_lshrrev_b32_e32 v35, 16, v3
	s_and_b64 s[18:19], s[28:29], exec
.LBB33_133:                             ;   in Loop: Header=BB33_8 Depth=1
	s_or_b64 exec, exec, s[24:25]
	s_mov_b64 s[24:25], -1
	s_mov_b64 s[26:27], 0
	s_mov_b64 s[28:29], s[26:27]
	s_branch .LBB33_144
.LBB33_134:                             ;   in Loop: Header=BB33_8 Depth=1
	v_readlane_b32 s11, v48, 21
	s_add_i32 s11, s10, s11
	s_abs_i32 s13, s11
	v_readlane_b32 s18, v48, 48
	s_mul_hi_u32 s18, s13, s18
	s_mul_i32 s18, s18, s33
	s_sub_i32 s13, s13, s18
	s_ashr_i32 s12, s11, 31
	s_sub_i32 s18, s13, s33
	s_cmp_ge_u32 s13, s33
	s_cselect_b32 s13, s18, s13
	s_sub_i32 s18, s13, s33
	s_cmp_ge_u32 s13, s33
	s_cselect_b32 s13, s18, s13
	s_xor_b32 s13, s13, s12
	s_sub_i32 s12, s12, s13
	s_add_i32 s11, s11, s12
	v_cmp_gt_i32_e32 vcc, s11, v0
	s_mov_b64 s[18:19], 0
                                        ; implicit-def: $vgpr35
	s_and_saveexec_b64 s[24:25], vcc
	s_cbranch_execz .LBB33_143
; %bb.135:                              ;   in Loop: Header=BB33_8 Depth=1
	s_mov_b64 s[26:27], 0
	v_mov_b32_e32 v2, v21
	v_mov_b32_e32 v3, v0
                                        ; implicit-def: $sgpr28_sgpr29
	s_branch .LBB33_137
.LBB33_136:                             ;   in Loop: Header=BB33_137 Depth=2
	s_or_b64 exec, exec, s[18:19]
	s_waitcnt lgkmcnt(0)
	s_barrier
	ds_read_b32 v4, v9 offset:3072
	v_add_u32_e32 v3, s33, v3
	v_cmp_le_i32_e64 s[18:19], s11, v3
	v_add_u32_e32 v2, s81, v2
	s_waitcnt lgkmcnt(0)
	v_cmp_ne_u16_e32 vcc, 0, v4
	s_or_b64 s[12:13], s[18:19], vcc
	s_and_b64 s[12:13], exec, s[12:13]
	s_or_b64 s[26:27], s[12:13], s[26:27]
	s_andn2_b64 s[12:13], s[28:29], exec
	s_and_b64 s[18:19], vcc, exec
	s_or_b64 s[28:29], s[12:13], s[18:19]
	s_barrier
	s_andn2_b64 exec, exec, s[26:27]
	s_cbranch_execz .LBB33_142
.LBB33_137:                             ;   Parent Loop BB33_8 Depth=1
                                        ; =>  This Inner Loop Header: Depth=2
	v_cmp_gt_i32_e32 vcc, s10, v3
	v_mov_b32_e32 v4, 0
	s_and_saveexec_b64 s[18:19], vcc
	s_cbranch_execz .LBB33_139
; %bb.138:                              ;   in Loop: Header=BB33_137 Depth=2
	ds_read_u16 v4, v2
.LBB33_139:                             ;   in Loop: Header=BB33_137 Depth=2
	s_or_b64 exec, exec, s[18:19]
	s_and_saveexec_b64 s[18:19], vcc
	s_cbranch_execz .LBB33_136
; %bb.140:                              ;   in Loop: Header=BB33_137 Depth=2
	s_waitcnt lgkmcnt(0)
	v_add_u32_sdwa v5, sext(v4), s6 dst_sel:DWORD dst_unused:UNUSED_PAD src0_sel:WORD_0 src1_sel:DWORD
	v_and_b32_e32 v5, s76, v5
	v_cmp_eq_u32_e32 vcc, s77, v5
	s_and_b64 exec, exec, vcc
	s_cbranch_execz .LBB33_136
; %bb.141:                              ;   in Loop: Header=BB33_137 Depth=2
	v_perm_b32 v4, v4, 1, v34
	ds_write_b32 v9, v4 offset:3072
	s_branch .LBB33_136
.LBB33_142:                             ;   in Loop: Header=BB33_8 Depth=1
	s_or_b64 exec, exec, s[26:27]
	v_lshrrev_b32_e32 v35, 16, v4
	s_and_b64 s[18:19], s[28:29], exec
.LBB33_143:                             ;   in Loop: Header=BB33_8 Depth=1
	s_or_b64 exec, exec, s[24:25]
	s_mov_b64 s[28:29], -1
	s_mov_b64 s[26:27], 0
	s_mov_b64 s[24:25], 0
.LBB33_144:                             ;   in Loop: Header=BB33_8 Depth=1
	s_mov_b64 s[36:37], 0
                                        ; implicit-def: $sgpr57
	s_and_saveexec_b64 s[30:31], s[18:19]
	s_cbranch_execz .LBB33_240
; %bb.145:                              ;   in Loop: Header=BB33_8 Depth=1
	s_xor_b64 s[10:11], s[34:35], -1
	s_mov_b64 s[18:19], 0
	s_andn2_b64 vcc, exec, s[10:11]
	s_mov_b32 s49, 1
	s_cbranch_vccnz .LBB33_156
; %bb.146:                              ;   in Loop: Header=BB33_8 Depth=1
	s_cmp_gt_i32 s39, s38
	s_mov_b64 s[18:19], -1
                                        ; implicit-def: $sgpr57
                                        ; implicit-def: $sgpr10
                                        ; implicit-def: $sgpr11
	s_cbranch_scc1 .LBB33_152
; %bb.147:                              ;   in Loop: Header=BB33_8 Depth=1
	ds_read_b32 v2, v9 offset:4096
	s_waitcnt lgkmcnt(0)
	v_cmp_ne_u32_e32 vcc, 0, v2
	s_cbranch_vccnz .LBB33_151
; %bb.148:                              ;   in Loop: Header=BB33_8 Depth=1
	s_mov_b64 s[18:19], exec
	v_readlane_b32 s10, v48, 12
	v_readlane_b32 s11, v48, 13
	s_and_b64 s[10:11], s[18:19], s[10:11]
	s_mov_b64 exec, s[10:11]
	s_cbranch_execz .LBB33_150
; %bb.149:                              ;   in Loop: Header=BB33_8 Depth=1
	v_mov_b32_e32 v2, s38
	ds_write_b32 v9, v2 offset:4100
.LBB33_150:                             ;   in Loop: Header=BB33_8 Depth=1
	s_or_b64 exec, exec, s[18:19]
	s_waitcnt lgkmcnt(0)
	s_barrier
.LBB33_151:                             ;   in Loop: Header=BB33_8 Depth=1
	s_lshl_b32 s10, 1, s47
	s_and_b32 s11, s77, s48
	s_or_b32 s10, s11, s10
	s_or_b32 s11, s76, s55
	s_mov_b64 s[18:19], 0
	s_mov_b32 s57, 8
.LBB33_152:                             ;   in Loop: Header=BB33_8 Depth=1
	s_andn2_b64 vcc, exec, s[18:19]
	s_cbranch_vccnz .LBB33_154
; %bb.153:                              ;   in Loop: Header=BB33_8 Depth=1
	s_sub_i32 s39, s39, s38
	s_mov_b64 s[18:19], -1
	s_mov_b32 s57, 0
	s_mov_b32 s10, s77
	;; [unrolled: 1-line block ×3, first 2 shown]
.LBB33_154:                             ;   in Loop: Header=BB33_8 Depth=1
	s_mov_b32 s76, s11
	s_mov_b32 s77, s10
	;; [unrolled: 1-line block ×3, first 2 shown]
	s_andn2_b64 vcc, exec, s[18:19]
	s_mov_b64 s[44:45], -1
	s_cbranch_vccz .LBB33_157
.LBB33_155:                             ;   in Loop: Header=BB33_8 Depth=1
                                        ; implicit-def: $sgpr36_sgpr37
                                        ; implicit-def: $sgpr38_sgpr39
                                        ; implicit-def: $sgpr34_sgpr35
	s_branch .LBB33_239
.LBB33_156:                             ;   in Loop: Header=BB33_8 Depth=1
	s_mov_b32 s57, 1
	s_andn2_b64 vcc, exec, s[18:19]
	s_mov_b64 s[44:45], -1
	s_cbranch_vccnz .LBB33_155
.LBB33_157:                             ;   in Loop: Header=BB33_8 Depth=1
	s_cmp_eq_u32 s46, 1
	s_cselect_b64 s[10:11], -1, 0
	s_cmp_eq_u32 s49, 1
	s_cselect_b64 s[12:13], -1, 0
	s_and_b64 s[42:43], s[10:11], s[12:13]
	s_mov_b64 s[18:19], -1
	s_and_b64 vcc, exec, s[42:43]
	s_cbranch_vccz .LBB33_169
; %bb.158:                              ;   in Loop: Header=BB33_8 Depth=1
	ds_read_b32 v2, v9 offset:4096
	s_waitcnt lgkmcnt(0)
	s_barrier
	v_readfirstlane_b32 s10, v2
	s_and_saveexec_b64 s[18:19], s[4:5]
	s_cbranch_execz .LBB33_160
; %bb.159:                              ;   in Loop: Header=BB33_8 Depth=1
	ds_write_b16 v22, v9
.LBB33_160:                             ;   in Loop: Header=BB33_8 Depth=1
	s_or_b64 exec, exec, s[18:19]
	s_lshl_b32 s11, 2, s47
	s_and_b32 s12, s77, s48
	s_or_b32 s77, s12, s11
	s_or_b32 s76, s76, s55
	s_cmp_gt_i32 s10, 0
	s_waitcnt lgkmcnt(0)
	s_barrier
	s_cbranch_scc1 .LBB33_170
; %bb.161:                              ;   in Loop: Header=BB33_8 Depth=1
	s_mov_b64 s[18:19], 0
                                        ; implicit-def: $vgpr35
	s_mov_b64 s[34:35], exec
	v_readlane_b32 s12, v48, 49
	v_readlane_b32 s13, v48, 50
	s_and_b64 s[12:13], s[34:35], s[12:13]
	s_mov_b64 exec, s[12:13]
	s_cbranch_execz .LBB33_172
; %bb.162:                              ;   in Loop: Header=BB33_8 Depth=1
	v_mov_b32_e32 v2, v6
	v_mov_b32_e32 v4, v0
                                        ; implicit-def: $sgpr38_sgpr39
	s_branch .LBB33_164
.LBB33_163:                             ;   in Loop: Header=BB33_164 Depth=2
	s_or_b64 exec, exec, s[18:19]
	s_waitcnt lgkmcnt(0)
	s_barrier
	s_waitcnt vmcnt(0)
	ds_read_b32 v3, v9 offset:3072
	v_add_u32_e32 v4, s33, v4
	v_cmp_le_i32_e64 s[18:19], s7, v4
	v_add_u32_e32 v2, s80, v2
	s_waitcnt lgkmcnt(0)
	v_cmp_ne_u16_e32 vcc, 0, v3
	s_or_b64 s[12:13], s[18:19], vcc
	s_and_b64 s[12:13], exec, s[12:13]
	s_or_b64 s[36:37], s[12:13], s[36:37]
	s_andn2_b64 s[12:13], s[38:39], exec
	s_and_b64 s[18:19], vcc, exec
	s_or_b64 s[38:39], s[12:13], s[18:19]
	s_barrier
	s_andn2_b64 exec, exec, s[36:37]
	s_cbranch_execz .LBB33_171
.LBB33_164:                             ;   Parent Loop BB33_8 Depth=1
                                        ; =>  This Inner Loop Header: Depth=2
	v_cmp_gt_i32_e32 vcc, s60, v4
	v_mov_b32_e32 v3, 0
	s_and_saveexec_b64 s[40:41], vcc
	s_cbranch_execz .LBB33_166
; %bb.165:                              ;   in Loop: Header=BB33_164 Depth=2
	v_ashrrev_i32_e32 v3, 31, v2
	v_lshlrev_b64 v[16:17], 1, v[2:3]
	v_mov_b32_e32 v3, s82
	v_add_co_u32_e64 v16, s[18:19], s62, v16
	v_addc_co_u32_e64 v17, s[18:19], v3, v17, s[18:19]
	global_load_ushort v3, v[16:17], off
.LBB33_166:                             ;   in Loop: Header=BB33_164 Depth=2
	s_or_b64 exec, exec, s[40:41]
	s_and_saveexec_b64 s[18:19], vcc
	s_cbranch_execz .LBB33_163
; %bb.167:                              ;   in Loop: Header=BB33_164 Depth=2
	s_waitcnt vmcnt(0)
	v_add_u32_sdwa v5, sext(v3), s6 dst_sel:DWORD dst_unused:UNUSED_PAD src0_sel:WORD_0 src1_sel:DWORD
	v_and_b32_e32 v5, s76, v5
	v_cmp_eq_u32_e32 vcc, s77, v5
	s_and_b64 exec, exec, vcc
	s_cbranch_execz .LBB33_163
; %bb.168:                              ;   in Loop: Header=BB33_164 Depth=2
	v_perm_b32 v3, v3, 1, v34
	ds_write_b32 v9, v3 offset:3072
	s_branch .LBB33_163
.LBB33_169:                             ;   in Loop: Header=BB33_8 Depth=1
                                        ; implicit-def: $sgpr34_sgpr35
                                        ; implicit-def: $sgpr38_sgpr39
                                        ; implicit-def: $sgpr36_sgpr37
	s_branch .LBB33_183
.LBB33_170:                             ;   in Loop: Header=BB33_8 Depth=1
	s_mov_b64 s[34:35], -1
	s_mov_b64 s[18:19], 0
                                        ; implicit-def: $sgpr36_sgpr37
                                        ; implicit-def: $vgpr35
	s_mov_b64 s[38:39], s[34:35]
	s_cbranch_execnz .LBB33_173
	s_branch .LBB33_183
.LBB33_171:                             ;   in Loop: Header=BB33_8 Depth=1
	s_or_b64 exec, exec, s[36:37]
	v_lshrrev_b32_e32 v35, 16, v3
	s_and_b64 s[18:19], s[38:39], exec
.LBB33_172:                             ;   in Loop: Header=BB33_8 Depth=1
	s_or_b64 exec, exec, s[34:35]
	s_mov_b64 s[36:37], -1
	s_mov_b64 s[34:35], 0
	s_mov_b64 s[38:39], s[34:35]
	s_branch .LBB33_183
.LBB33_173:                             ;   in Loop: Header=BB33_8 Depth=1
	v_readlane_b32 s11, v48, 21
	s_add_i32 s11, s10, s11
	s_abs_i32 s13, s11
	v_readlane_b32 s18, v48, 48
	s_mul_hi_u32 s18, s13, s18
	s_mul_i32 s18, s18, s33
	s_sub_i32 s13, s13, s18
	s_ashr_i32 s12, s11, 31
	s_sub_i32 s18, s13, s33
	s_cmp_ge_u32 s13, s33
	s_cselect_b32 s13, s18, s13
	s_sub_i32 s18, s13, s33
	s_cmp_ge_u32 s13, s33
	s_cselect_b32 s13, s18, s13
	s_xor_b32 s13, s13, s12
	s_sub_i32 s12, s12, s13
	s_add_i32 s11, s11, s12
	v_cmp_gt_i32_e32 vcc, s11, v0
	s_mov_b64 s[18:19], 0
                                        ; implicit-def: $vgpr35
	s_and_saveexec_b64 s[34:35], vcc
	s_cbranch_execz .LBB33_182
; %bb.174:                              ;   in Loop: Header=BB33_8 Depth=1
	s_mov_b64 s[36:37], 0
	v_mov_b32_e32 v2, v21
	v_mov_b32_e32 v3, v0
                                        ; implicit-def: $sgpr38_sgpr39
	s_branch .LBB33_176
.LBB33_175:                             ;   in Loop: Header=BB33_176 Depth=2
	s_or_b64 exec, exec, s[18:19]
	s_waitcnt lgkmcnt(0)
	s_barrier
	ds_read_b32 v4, v9 offset:3072
	v_add_u32_e32 v3, s33, v3
	v_cmp_le_i32_e64 s[18:19], s11, v3
	v_add_u32_e32 v2, s81, v2
	s_waitcnt lgkmcnt(0)
	v_cmp_ne_u16_e32 vcc, 0, v4
	s_or_b64 s[12:13], s[18:19], vcc
	s_and_b64 s[12:13], exec, s[12:13]
	s_or_b64 s[36:37], s[12:13], s[36:37]
	s_andn2_b64 s[12:13], s[38:39], exec
	s_and_b64 s[18:19], vcc, exec
	s_or_b64 s[38:39], s[12:13], s[18:19]
	s_barrier
	s_andn2_b64 exec, exec, s[36:37]
	s_cbranch_execz .LBB33_181
.LBB33_176:                             ;   Parent Loop BB33_8 Depth=1
                                        ; =>  This Inner Loop Header: Depth=2
	v_cmp_gt_i32_e32 vcc, s10, v3
	v_mov_b32_e32 v4, 0
	s_and_saveexec_b64 s[18:19], vcc
	s_cbranch_execz .LBB33_178
; %bb.177:                              ;   in Loop: Header=BB33_176 Depth=2
	ds_read_u16 v4, v2
.LBB33_178:                             ;   in Loop: Header=BB33_176 Depth=2
	s_or_b64 exec, exec, s[18:19]
	s_and_saveexec_b64 s[18:19], vcc
	s_cbranch_execz .LBB33_175
; %bb.179:                              ;   in Loop: Header=BB33_176 Depth=2
	s_waitcnt lgkmcnt(0)
	v_add_u32_sdwa v5, sext(v4), s6 dst_sel:DWORD dst_unused:UNUSED_PAD src0_sel:WORD_0 src1_sel:DWORD
	v_and_b32_e32 v5, s76, v5
	v_cmp_eq_u32_e32 vcc, s77, v5
	s_and_b64 exec, exec, vcc
	s_cbranch_execz .LBB33_175
; %bb.180:                              ;   in Loop: Header=BB33_176 Depth=2
	v_perm_b32 v4, v4, 1, v34
	ds_write_b32 v9, v4 offset:3072
	s_branch .LBB33_175
.LBB33_181:                             ;   in Loop: Header=BB33_8 Depth=1
	s_or_b64 exec, exec, s[36:37]
	v_lshrrev_b32_e32 v35, 16, v4
	s_and_b64 s[18:19], s[38:39], exec
.LBB33_182:                             ;   in Loop: Header=BB33_8 Depth=1
	s_or_b64 exec, exec, s[34:35]
	s_mov_b64 s[38:39], -1
	s_mov_b64 s[34:35], 0
	s_mov_b64 s[36:37], 0
.LBB33_183:                             ;   in Loop: Header=BB33_8 Depth=1
	s_mov_b64 s[44:45], 0
                                        ; implicit-def: $sgpr57
	s_and_saveexec_b64 s[40:41], s[18:19]
	s_cbranch_execz .LBB33_238
; %bb.184:                              ;   in Loop: Header=BB33_8 Depth=1
	s_xor_b64 s[10:11], s[42:43], -1
	s_mov_b64 s[18:19], 0
	s_andn2_b64 vcc, exec, s[10:11]
	s_mov_b32 s56, 1
	s_cbranch_vccnz .LBB33_195
; %bb.185:                              ;   in Loop: Header=BB33_8 Depth=1
	s_cmp_gt_i32 s49, s46
	s_mov_b64 s[18:19], -1
                                        ; implicit-def: $sgpr57
                                        ; implicit-def: $sgpr10
                                        ; implicit-def: $sgpr11
	s_cbranch_scc1 .LBB33_191
; %bb.186:                              ;   in Loop: Header=BB33_8 Depth=1
	ds_read_b32 v2, v9 offset:4096
	s_waitcnt lgkmcnt(0)
	v_cmp_ne_u32_e32 vcc, 0, v2
	s_cbranch_vccnz .LBB33_190
; %bb.187:                              ;   in Loop: Header=BB33_8 Depth=1
	s_mov_b64 s[18:19], exec
	v_readlane_b32 s10, v48, 12
	v_readlane_b32 s11, v48, 13
	s_and_b64 s[10:11], s[18:19], s[10:11]
	s_mov_b64 exec, s[10:11]
	s_cbranch_execz .LBB33_189
; %bb.188:                              ;   in Loop: Header=BB33_8 Depth=1
	v_mov_b32_e32 v2, s46
	ds_write_b32 v9, v2 offset:4100
.LBB33_189:                             ;   in Loop: Header=BB33_8 Depth=1
	s_or_b64 exec, exec, s[18:19]
	s_waitcnt lgkmcnt(0)
	s_barrier
.LBB33_190:                             ;   in Loop: Header=BB33_8 Depth=1
	s_lshl_b32 s10, 2, s47
	s_and_b32 s11, s77, s48
	s_or_b32 s10, s11, s10
	s_or_b32 s11, s76, s55
	s_mov_b64 s[18:19], 0
	s_mov_b32 s57, 8
.LBB33_191:                             ;   in Loop: Header=BB33_8 Depth=1
	s_andn2_b64 vcc, exec, s[18:19]
	s_cbranch_vccnz .LBB33_193
; %bb.192:                              ;   in Loop: Header=BB33_8 Depth=1
	s_sub_i32 s49, s49, s46
	s_mov_b64 s[18:19], -1
	s_mov_b32 s57, 0
	s_mov_b32 s10, s77
	;; [unrolled: 1-line block ×3, first 2 shown]
.LBB33_193:                             ;   in Loop: Header=BB33_8 Depth=1
	s_mov_b32 s76, s11
	s_mov_b32 s77, s10
	;; [unrolled: 1-line block ×3, first 2 shown]
	s_andn2_b64 vcc, exec, s[18:19]
	s_mov_b64 s[52:53], -1
	s_cbranch_vccz .LBB33_196
.LBB33_194:                             ;   in Loop: Header=BB33_8 Depth=1
                                        ; implicit-def: $sgpr18_sgpr19
                                        ; implicit-def: $sgpr46_sgpr47
                                        ; implicit-def: $sgpr44_sgpr45
	s_branch .LBB33_237
.LBB33_195:                             ;   in Loop: Header=BB33_8 Depth=1
	s_mov_b32 s57, 1
	s_andn2_b64 vcc, exec, s[18:19]
	s_mov_b64 s[52:53], -1
	s_cbranch_vccnz .LBB33_194
.LBB33_196:                             ;   in Loop: Header=BB33_8 Depth=1
	s_cmp_eq_u32 s54, 1
	s_cselect_b64 s[10:11], -1, 0
	s_cmp_eq_u32 s56, 1
	s_cselect_b64 s[12:13], -1, 0
	s_and_b64 s[42:43], s[10:11], s[12:13]
	s_mov_b64 s[48:49], -1
	s_and_b64 vcc, exec, s[42:43]
	s_cbranch_vccz .LBB33_208
; %bb.197:                              ;   in Loop: Header=BB33_8 Depth=1
	ds_read_b32 v2, v9 offset:4096
	s_waitcnt lgkmcnt(0)
	s_barrier
	v_readfirstlane_b32 s10, v2
	s_and_saveexec_b64 s[18:19], s[4:5]
	s_cbranch_execz .LBB33_199
; %bb.198:                              ;   in Loop: Header=BB33_8 Depth=1
	ds_write_b16 v22, v9
.LBB33_199:                             ;   in Loop: Header=BB33_8 Depth=1
	s_or_b64 exec, exec, s[18:19]
	s_or_b32 s77, s77, s55
	s_or_b32 s76, s76, s55
	s_cmp_gt_i32 s10, 0
	s_waitcnt lgkmcnt(0)
	s_barrier
	s_cbranch_scc1 .LBB33_209
; %bb.200:                              ;   in Loop: Header=BB33_8 Depth=1
	s_mov_b64 s[48:49], 0
                                        ; implicit-def: $vgpr35
	s_mov_b64 s[44:45], exec
	v_readlane_b32 s12, v48, 49
	v_readlane_b32 s13, v48, 50
	s_and_b64 s[12:13], s[44:45], s[12:13]
	s_mov_b64 exec, s[12:13]
	s_cbranch_execz .LBB33_211
; %bb.201:                              ;   in Loop: Header=BB33_8 Depth=1
	s_mov_b64 s[46:47], 0
	v_mov_b32_e32 v2, v6
	v_mov_b32_e32 v4, v0
                                        ; implicit-def: $sgpr48_sgpr49
	s_branch .LBB33_203
.LBB33_202:                             ;   in Loop: Header=BB33_203 Depth=2
	s_or_b64 exec, exec, s[18:19]
	s_waitcnt lgkmcnt(0)
	s_barrier
	s_waitcnt vmcnt(0)
	ds_read_b32 v3, v9 offset:3072
	v_add_u32_e32 v4, s33, v4
	v_cmp_le_i32_e64 s[18:19], s7, v4
	v_add_u32_e32 v2, s80, v2
	s_waitcnt lgkmcnt(0)
	v_cmp_ne_u16_e32 vcc, 0, v3
	s_or_b64 s[12:13], s[18:19], vcc
	s_and_b64 s[12:13], exec, s[12:13]
	s_or_b64 s[46:47], s[12:13], s[46:47]
	s_andn2_b64 s[12:13], s[48:49], exec
	s_and_b64 s[18:19], vcc, exec
	s_or_b64 s[48:49], s[12:13], s[18:19]
	s_barrier
	s_andn2_b64 exec, exec, s[46:47]
	s_cbranch_execz .LBB33_210
.LBB33_203:                             ;   Parent Loop BB33_8 Depth=1
                                        ; =>  This Inner Loop Header: Depth=2
	v_cmp_gt_i32_e32 vcc, s60, v4
	v_mov_b32_e32 v3, 0
	s_and_saveexec_b64 s[50:51], vcc
	s_cbranch_execz .LBB33_205
; %bb.204:                              ;   in Loop: Header=BB33_203 Depth=2
	v_ashrrev_i32_e32 v3, 31, v2
	v_lshlrev_b64 v[16:17], 1, v[2:3]
	v_mov_b32_e32 v3, s82
	v_add_co_u32_e64 v16, s[18:19], s62, v16
	v_addc_co_u32_e64 v17, s[18:19], v3, v17, s[18:19]
	global_load_ushort v3, v[16:17], off
.LBB33_205:                             ;   in Loop: Header=BB33_203 Depth=2
	s_or_b64 exec, exec, s[50:51]
	s_and_saveexec_b64 s[18:19], vcc
	s_cbranch_execz .LBB33_202
; %bb.206:                              ;   in Loop: Header=BB33_203 Depth=2
	s_waitcnt vmcnt(0)
	v_add_u32_sdwa v5, sext(v3), s6 dst_sel:DWORD dst_unused:UNUSED_PAD src0_sel:WORD_0 src1_sel:DWORD
	v_and_b32_e32 v5, s76, v5
	v_cmp_eq_u32_e32 vcc, s77, v5
	s_and_b64 exec, exec, vcc
	s_cbranch_execz .LBB33_202
; %bb.207:                              ;   in Loop: Header=BB33_203 Depth=2
	v_perm_b32 v3, v3, 1, v34
	ds_write_b32 v9, v3 offset:3072
	s_branch .LBB33_202
.LBB33_208:                             ;   in Loop: Header=BB33_8 Depth=1
                                        ; implicit-def: $sgpr18_sgpr19
                                        ; implicit-def: $sgpr46_sgpr47
                                        ; implicit-def: $sgpr44_sgpr45
	s_branch .LBB33_222
.LBB33_209:                             ;   in Loop: Header=BB33_8 Depth=1
	s_mov_b64 s[18:19], -1
	s_mov_b64 s[48:49], 0
                                        ; implicit-def: $sgpr44_sgpr45
                                        ; implicit-def: $vgpr35
	s_mov_b64 s[46:47], s[18:19]
	s_cbranch_execnz .LBB33_212
	s_branch .LBB33_222
.LBB33_210:                             ;   in Loop: Header=BB33_8 Depth=1
	s_or_b64 exec, exec, s[46:47]
	v_lshrrev_b32_e32 v35, 16, v3
	s_and_b64 s[48:49], s[48:49], exec
.LBB33_211:                             ;   in Loop: Header=BB33_8 Depth=1
	s_or_b64 exec, exec, s[44:45]
	s_mov_b64 s[44:45], -1
	s_mov_b64 s[18:19], 0
	s_mov_b64 s[46:47], s[18:19]
	s_branch .LBB33_222
.LBB33_212:                             ;   in Loop: Header=BB33_8 Depth=1
	v_readlane_b32 s11, v48, 21
	s_add_i32 s11, s10, s11
	s_abs_i32 s13, s11
	v_readlane_b32 s18, v48, 48
	s_mul_hi_u32 s18, s13, s18
	s_mul_i32 s18, s18, s33
	s_sub_i32 s13, s13, s18
	s_ashr_i32 s12, s11, 31
	s_sub_i32 s18, s13, s33
	s_cmp_ge_u32 s13, s33
	s_cselect_b32 s13, s18, s13
	s_sub_i32 s18, s13, s33
	s_cmp_ge_u32 s13, s33
	s_cselect_b32 s13, s18, s13
	s_xor_b32 s13, s13, s12
	s_sub_i32 s12, s12, s13
	s_add_i32 s11, s11, s12
	v_cmp_gt_i32_e32 vcc, s11, v0
	s_mov_b64 s[48:49], 0
                                        ; implicit-def: $vgpr35
	s_and_saveexec_b64 s[44:45], vcc
	s_cbranch_execz .LBB33_221
; %bb.213:                              ;   in Loop: Header=BB33_8 Depth=1
	s_mov_b64 s[46:47], 0
	v_mov_b32_e32 v2, v21
	v_mov_b32_e32 v3, v0
                                        ; implicit-def: $sgpr48_sgpr49
	s_branch .LBB33_215
.LBB33_214:                             ;   in Loop: Header=BB33_215 Depth=2
	s_or_b64 exec, exec, s[18:19]
	s_waitcnt lgkmcnt(0)
	s_barrier
	ds_read_b32 v4, v9 offset:3072
	v_add_u32_e32 v3, s33, v3
	v_cmp_le_i32_e64 s[18:19], s11, v3
	v_add_u32_e32 v2, s81, v2
	s_waitcnt lgkmcnt(0)
	v_cmp_ne_u16_e32 vcc, 0, v4
	s_or_b64 s[12:13], s[18:19], vcc
	s_and_b64 s[12:13], exec, s[12:13]
	s_or_b64 s[46:47], s[12:13], s[46:47]
	s_andn2_b64 s[12:13], s[48:49], exec
	s_and_b64 s[18:19], vcc, exec
	s_or_b64 s[48:49], s[12:13], s[18:19]
	s_barrier
	s_andn2_b64 exec, exec, s[46:47]
	s_cbranch_execz .LBB33_220
.LBB33_215:                             ;   Parent Loop BB33_8 Depth=1
                                        ; =>  This Inner Loop Header: Depth=2
	v_cmp_gt_i32_e32 vcc, s10, v3
	v_mov_b32_e32 v4, 0
	s_and_saveexec_b64 s[18:19], vcc
	s_cbranch_execz .LBB33_217
; %bb.216:                              ;   in Loop: Header=BB33_215 Depth=2
	ds_read_u16 v4, v2
.LBB33_217:                             ;   in Loop: Header=BB33_215 Depth=2
	s_or_b64 exec, exec, s[18:19]
	s_and_saveexec_b64 s[18:19], vcc
	s_cbranch_execz .LBB33_214
; %bb.218:                              ;   in Loop: Header=BB33_215 Depth=2
	s_waitcnt lgkmcnt(0)
	v_add_u32_sdwa v5, sext(v4), s6 dst_sel:DWORD dst_unused:UNUSED_PAD src0_sel:WORD_0 src1_sel:DWORD
	v_and_b32_e32 v5, s76, v5
	v_cmp_eq_u32_e32 vcc, s77, v5
	s_and_b64 exec, exec, vcc
	s_cbranch_execz .LBB33_214
; %bb.219:                              ;   in Loop: Header=BB33_215 Depth=2
	v_perm_b32 v4, v4, 1, v34
	ds_write_b32 v9, v4 offset:3072
	s_branch .LBB33_214
.LBB33_220:                             ;   in Loop: Header=BB33_8 Depth=1
	s_or_b64 exec, exec, s[46:47]
	v_lshrrev_b32_e32 v35, 16, v4
	s_and_b64 s[48:49], s[48:49], exec
.LBB33_221:                             ;   in Loop: Header=BB33_8 Depth=1
	s_or_b64 exec, exec, s[44:45]
	s_mov_b64 s[46:47], -1
	s_mov_b64 s[18:19], 0
	s_mov_b64 s[44:45], 0
.LBB33_222:                             ;   in Loop: Header=BB33_8 Depth=1
	s_mov_b64 s[52:53], 0
                                        ; implicit-def: $sgpr57
	s_and_saveexec_b64 s[50:51], s[48:49]
	s_cbranch_execz .LBB33_236
; %bb.223:                              ;   in Loop: Header=BB33_8 Depth=1
	s_xor_b64 s[10:11], s[42:43], -1
	s_andn2_b64 vcc, exec, s[10:11]
	s_mov_b32 s57, 1
	s_cbranch_vccnz .LBB33_230
; %bb.224:                              ;   in Loop: Header=BB33_8 Depth=1
	s_cmp_gt_i32 s56, s54
	s_cbranch_scc1 .LBB33_231
; %bb.225:                              ;   in Loop: Header=BB33_8 Depth=1
	ds_read_b32 v2, v9 offset:4096
	s_waitcnt lgkmcnt(0)
	v_cmp_ne_u32_e32 vcc, 0, v2
	s_cbranch_vccnz .LBB33_229
; %bb.226:                              ;   in Loop: Header=BB33_8 Depth=1
	s_mov_b64 s[42:43], exec
	v_readlane_b32 s10, v48, 12
	v_readlane_b32 s11, v48, 13
	s_and_b64 s[10:11], s[42:43], s[10:11]
	s_mov_b64 exec, s[10:11]
	s_cbranch_execz .LBB33_228
; %bb.227:                              ;   in Loop: Header=BB33_8 Depth=1
	v_mov_b32_e32 v2, s54
	ds_write_b32 v9, v2 offset:4100
.LBB33_228:                             ;   in Loop: Header=BB33_8 Depth=1
	s_or_b64 exec, exec, s[42:43]
	s_waitcnt lgkmcnt(0)
	s_barrier
.LBB33_229:                             ;   in Loop: Header=BB33_8 Depth=1
	s_or_b32 s10, s77, s55
	s_or_b32 s11, s76, s55
	s_mov_b64 s[42:43], 0
	s_mov_b32 s57, 8
	s_branch .LBB33_232
.LBB33_230:                             ;   in Loop: Header=BB33_8 Depth=1
	s_mov_b32 s56, 1
	s_branch .LBB33_235
.LBB33_231:                             ;   in Loop: Header=BB33_8 Depth=1
	s_mov_b64 s[42:43], -1
                                        ; implicit-def: $sgpr57
                                        ; implicit-def: $sgpr10
                                        ; implicit-def: $sgpr11
.LBB33_232:                             ;   in Loop: Header=BB33_8 Depth=1
	s_andn2_b64 vcc, exec, s[42:43]
	s_cbranch_vccnz .LBB33_234
; %bb.233:                              ;   in Loop: Header=BB33_8 Depth=1
	s_sub_i32 s56, s56, s54
	s_mov_b32 s57, 8
	s_mov_b32 s10, s77
	;; [unrolled: 1-line block ×3, first 2 shown]
.LBB33_234:                             ;   in Loop: Header=BB33_8 Depth=1
	s_mov_b32 s77, s10
	s_mov_b32 s76, s11
.LBB33_235:                             ;   in Loop: Header=BB33_8 Depth=1
	s_mov_b64 s[52:53], exec
.LBB33_236:                             ;   in Loop: Header=BB33_8 Depth=1
	s_or_b64 exec, exec, s[50:51]
.LBB33_237:                             ;   in Loop: Header=BB33_8 Depth=1
	s_andn2_b64 s[10:11], s[34:35], exec
	s_and_b64 s[12:13], s[18:19], exec
	s_or_b64 s[34:35], s[10:11], s[12:13]
	s_andn2_b64 s[10:11], s[38:39], exec
	s_and_b64 s[12:13], s[46:47], exec
	s_or_b64 s[38:39], s[10:11], s[12:13]
	;; [unrolled: 3-line block ×3, first 2 shown]
	s_and_b64 s[44:45], s[52:53], exec
	s_mov_b32 s49, s56
.LBB33_238:                             ;   in Loop: Header=BB33_8 Depth=1
	s_or_b64 exec, exec, s[40:41]
.LBB33_239:                             ;   in Loop: Header=BB33_8 Depth=1
	s_andn2_b64 s[10:11], s[26:27], exec
	s_and_b64 s[12:13], s[34:35], exec
	s_or_b64 s[26:27], s[10:11], s[12:13]
	s_andn2_b64 s[10:11], s[28:29], exec
	s_and_b64 s[12:13], s[38:39], exec
	s_or_b64 s[28:29], s[10:11], s[12:13]
	;; [unrolled: 3-line block ×3, first 2 shown]
	s_and_b64 s[36:37], s[44:45], exec
	s_mov_b32 s39, s49
.LBB33_240:                             ;   in Loop: Header=BB33_8 Depth=1
	s_or_b64 exec, exec, s[30:31]
	s_and_saveexec_b64 s[10:11], s[36:37]
	s_xor_b64 s[18:19], exec, s[10:11]
	s_cbranch_execz .LBB33_6
.LBB33_241:                             ;   in Loop: Header=BB33_8 Depth=1
	s_and_b32 s10, s57, -9
	s_cmp_eq_u32 s10, 0
	s_cbranch_scc1 .LBB33_4
; %bb.242:                              ;   in Loop: Header=BB33_8 Depth=1
	s_mov_b64 s[22:23], -1
                                        ; implicit-def: $sgpr76
                                        ; implicit-def: $sgpr39
                                        ; implicit-def: $sgpr0
                                        ; implicit-def: $sgpr1
	s_mov_b64 s[30:31], -1
	s_branch .LBB33_5
.LBB33_243:
	s_or_b64 exec, exec, s[90:91]
	s_xor_b64 s[8:9], s[64:65], -1
	s_xor_b64 s[0:1], s[92:93], -1
	;; [unrolled: 1-line block ×3, first 2 shown]
	s_mov_b64 s[4:5], 0
	s_and_saveexec_b64 s[2:3], s[0:1]
	s_xor_b64 s[2:3], exec, s[2:3]
	s_cbranch_execnz .LBB33_248
; %bb.244:
	s_andn2_saveexec_b64 s[0:1], s[2:3]
	s_cbranch_execnz .LBB33_268
.LBB33_245:
	s_or_b64 exec, exec, s[0:1]
	s_and_saveexec_b64 s[0:1], s[4:5]
.LBB33_246:
	; divergent unreachable
.LBB33_247:
	s_endpgm
.LBB33_248:
	s_and_saveexec_b64 s[0:1], s[8:9]
	s_xor_b64 s[4:5], exec, s[0:1]
	s_cbranch_execz .LBB33_266
; %bb.249:
	s_and_saveexec_b64 s[0:1], s[6:7]
	s_xor_b64 s[6:7], exec, s[0:1]
; %bb.250:
	v_xor_b32_e32 v35, 0xffff8000, v2
; %bb.251:
	s_or_b64 exec, exec, s[6:7]
	s_mov_b64 s[6:7], exec
	v_readlane_b32 s0, v48, 12
	v_readlane_b32 s1, v48, 13
	s_and_b64 s[0:1], s[6:7], s[0:1]
	v_readlane_b32 s18, v48, 20
	v_readlane_b32 s19, v48, 16
	;; [unrolled: 1-line block ×5, first 2 shown]
	s_mov_b64 exec, s[0:1]
	s_cbranch_execz .LBB33_253
; %bb.252:
	v_mov_b32_e32 v1, 0
	v_mov_b32_e32 v2, s60
	ds_write_b32 v1, v2 offset:4108
.LBB33_253:
	s_or_b64 exec, exec, s[6:7]
	v_mov_b32_e32 v1, 0
	s_waitcnt lgkmcnt(0)
	s_barrier
	ds_read_b32 v1, v1 offset:4108
	s_waitcnt lgkmcnt(0)
	v_min_i32_e32 v1, s60, v1
	v_cmp_lt_i32_e32 vcc, v0, v1
	s_and_saveexec_b64 s[6:7], vcc
	s_cbranch_execz .LBB33_263
; %bb.254:
	s_mov_b64 s[8:9], 0
	v_mov_b32_e32 v3, s82
                                        ; implicit-def: $sgpr10_sgpr11
                                        ; implicit-def: $sgpr14_sgpr15
                                        ; implicit-def: $sgpr12_sgpr13
	s_branch .LBB33_256
.LBB33_255:                             ;   in Loop: Header=BB33_256 Depth=1
	s_or_b64 exec, exec, s[16:17]
	s_and_b64 s[0:1], exec, s[14:15]
	s_or_b64 s[8:9], s[0:1], s[8:9]
	s_andn2_b64 s[0:1], s[10:11], exec
	s_and_b64 s[10:11], s[12:13], exec
	s_or_b64 s[10:11], s[0:1], s[10:11]
	s_andn2_b64 exec, exec, s[8:9]
	s_cbranch_execz .LBB33_258
.LBB33_256:                             ; =>This Inner Loop Header: Depth=1
	v_ashrrev_i32_e32 v7, 31, v6
	v_lshlrev_b64 v[4:5], 1, v[6:7]
	v_add_co_u32_e32 v4, vcc, s62, v4
	v_addc_co_u32_e32 v5, vcc, v3, v5, vcc
	global_load_ushort v4, v[4:5], off
	v_mov_b32_e32 v2, v0
	s_or_b64 s[12:13], s[12:13], exec
	s_or_b64 s[14:15], s[14:15], exec
                                        ; implicit-def: $vgpr0
	s_waitcnt vmcnt(0)
	v_cmp_ne_u16_e32 vcc, v4, v35
	s_and_saveexec_b64 s[16:17], vcc
	s_cbranch_execz .LBB33_255
; %bb.257:                              ;   in Loop: Header=BB33_256 Depth=1
	v_add_u32_e32 v0, s33, v2
	v_cmp_ge_i32_e32 vcc, v0, v1
	s_andn2_b64 s[0:1], s[14:15], exec
	s_and_b64 s[14:15], vcc, exec
	v_add_u32_e32 v6, s80, v6
	s_andn2_b64 s[12:13], s[12:13], exec
	s_or_b64 s[14:15], s[0:1], s[14:15]
	s_branch .LBB33_255
.LBB33_258:
	s_or_b64 exec, exec, s[8:9]
	s_and_saveexec_b64 s[0:1], s[10:11]
	s_xor_b64 s[0:1], exec, s[0:1]
	s_cbranch_execz .LBB33_263
; %bb.259:
	s_mov_b64 s[8:9], exec
	s_brev_b32 s0, -2
.LBB33_260:                             ; =>This Inner Loop Header: Depth=1
	s_ff1_i32_b64 s1, s[8:9]
	v_readlane_b32 s12, v2, s1
	s_lshl_b64 s[10:11], 1, s1
	s_min_i32 s0, s0, s12
	s_andn2_b64 s[8:9], s[8:9], s[10:11]
	s_cmp_lg_u64 s[8:9], 0
	s_cbranch_scc1 .LBB33_260
; %bb.261:
	v_mbcnt_lo_u32_b32 v0, exec_lo, 0
	v_mbcnt_hi_u32_b32 v0, exec_hi, v0
	v_cmp_eq_u32_e32 vcc, 0, v0
	s_and_saveexec_b64 s[8:9], vcc
	s_xor_b64 s[8:9], exec, s[8:9]
	s_cbranch_execz .LBB33_263
; %bb.262:
	v_mov_b32_e32 v0, 0
	v_mov_b32_e32 v1, s0
	ds_min_i32 v0, v1 offset:4108
.LBB33_263:
	s_or_b64 exec, exec, s[6:7]
	s_waitcnt lgkmcnt(0)
	s_barrier
	s_mov_b64 s[6:7], exec
	v_readlane_b32 s0, v48, 12
	v_readlane_b32 s1, v48, 13
	s_and_b64 s[0:1], s[6:7], s[0:1]
	s_mov_b64 exec, s[0:1]
	s_cbranch_execz .LBB33_265
; %bb.264:
	v_readlane_b32 s10, v48, 8
	v_readlane_b32 s11, v48, 9
	s_mul_i32 s1, s11, s10
	v_readlane_b32 s0, v48, 15
	s_sub_i32 s1, s21, s1
	s_xor_b32 s0, s20, s0
	s_add_i32 s8, s11, 1
	s_sub_i32 s9, s1, s10
	s_cmp_ge_u32 s1, s10
	s_cselect_b32 s8, s8, s11
	s_cselect_b32 s1, s9, s1
	s_add_i32 s9, s8, 1
	s_cmp_ge_u32 s1, s10
	s_cselect_b32 s1, s9, s8
	s_xor_b32 s1, s1, s0
	s_sub_i32 s0, s1, s0
	s_mul_i32 s1, s0, s22
	v_readlane_b32 s8, v48, 6
	s_sub_i32 s1, s18, s1
	v_readlane_b32 s9, v48, 7
	v_readlane_b32 s11, v48, 10
	;; [unrolled: 1-line block ×3, first 2 shown]
	s_mul_i32 s1, s1, s9
	s_mul_i32 s0, s0, s8
	;; [unrolled: 1-line block ×3, first 2 shown]
	s_add_i32 s0, s0, s1
	v_readlane_b32 s1, v48, 17
	s_sub_i32 s8, s21, s8
	s_xor_b32 s1, s20, s1
	s_add_i32 s9, s12, 1
	s_sub_i32 s10, s8, s11
	s_cmp_ge_u32 s8, s11
	s_cselect_b32 s9, s9, s12
	s_cselect_b32 s8, s10, s8
	s_add_i32 s10, s9, 1
	s_cmp_ge_u32 s8, s11
	s_cselect_b32 s8, s10, s9
	s_xor_b32 s8, s8, s1
	s_sub_i32 s1, s8, s1
	s_mul_i32 s8, s1, s19
	v_readlane_b32 s10, v48, 2
	s_sub_i32 s8, s18, s8
	v_readlane_b32 s11, v48, 3
	s_mul_i32 s8, s8, s11
	s_mul_i32 s1, s1, s10
	s_add_i32 s8, s1, s8
	s_ashr_i32 s1, s0, 31
	v_mov_b32_e32 v2, 0
	s_lshl_b64 s[0:1], s[0:1], 1
	v_readlane_b32 s10, v48, 0
	ds_read_b32 v0, v2 offset:4108
	v_readlane_b32 s11, v48, 1
	s_add_u32 s0, s10, s0
	s_addc_u32 s1, s11, s1
	s_ashr_i32 s9, s8, 31
	s_lshl_b64 s[8:9], s[8:9], 3
	v_readlane_b32 s10, v48, 4
	v_readlane_b32 s11, v48, 5
	s_add_u32 s8, s10, s8
	s_addc_u32 s9, s11, s9
	s_waitcnt lgkmcnt(0)
	v_ashrrev_i32_e32 v1, 31, v0
	global_store_dwordx2 v2, v[0:1], s[8:9]
	global_store_short v2, v35, s[0:1]
.LBB33_265:
	s_or_b64 exec, exec, s[6:7]
.LBB33_266:
	s_or_saveexec_b64 s[0:1], s[4:5]
	s_mov_b64 s[4:5], 0
	s_xor_b64 exec, exec, s[0:1]
	s_cbranch_execnz .LBB33_269
.LBB33_267:
	s_or_b64 exec, exec, s[0:1]
	s_and_b64 s[4:5], s[4:5], exec
	s_andn2_saveexec_b64 s[0:1], s[2:3]
	s_cbranch_execz .LBB33_245
.LBB33_268:
	s_or_b64 s[4:5], s[4:5], exec
	s_trap 2
	s_or_b64 exec, exec, s[0:1]
	s_and_saveexec_b64 s[0:1], s[4:5]
	s_cbranch_execnz .LBB33_246
	s_branch .LBB33_247
.LBB33_269:
	s_mov_b64 s[4:5], exec
	s_trap 2
	s_branch .LBB33_267
	.section	.rodata,"a",@progbits
	.p2align	6, 0x0
	.amdhsa_kernel _ZN2at6native12_GLOBAL__N_114gatherKthValueIsiLi2EEEvNS_4cuda6detail10TensorInfoIKT_T0_EES8_S8_S8_S8_NS5_IS6_S8_EENS5_IlS8_EE
		.amdhsa_group_segment_fixed_size 4112
		.amdhsa_private_segment_fixed_size 0
		.amdhsa_kernarg_size 920
		.amdhsa_user_sgpr_count 6
		.amdhsa_user_sgpr_private_segment_buffer 1
		.amdhsa_user_sgpr_dispatch_ptr 0
		.amdhsa_user_sgpr_queue_ptr 0
		.amdhsa_user_sgpr_kernarg_segment_ptr 1
		.amdhsa_user_sgpr_dispatch_id 0
		.amdhsa_user_sgpr_flat_scratch_init 0
		.amdhsa_user_sgpr_kernarg_preload_length 0
		.amdhsa_user_sgpr_kernarg_preload_offset 0
		.amdhsa_user_sgpr_private_segment_size 0
		.amdhsa_uses_dynamic_stack 0
		.amdhsa_system_sgpr_private_segment_wavefront_offset 0
		.amdhsa_system_sgpr_workgroup_id_x 1
		.amdhsa_system_sgpr_workgroup_id_y 1
		.amdhsa_system_sgpr_workgroup_id_z 1
		.amdhsa_system_sgpr_workgroup_info 0
		.amdhsa_system_vgpr_workitem_id 0
		.amdhsa_next_free_vgpr 49
		.amdhsa_next_free_sgpr 96
		.amdhsa_accum_offset 52
		.amdhsa_reserve_vcc 1
		.amdhsa_reserve_flat_scratch 0
		.amdhsa_float_round_mode_32 0
		.amdhsa_float_round_mode_16_64 0
		.amdhsa_float_denorm_mode_32 3
		.amdhsa_float_denorm_mode_16_64 3
		.amdhsa_dx10_clamp 1
		.amdhsa_ieee_mode 1
		.amdhsa_fp16_overflow 0
		.amdhsa_tg_split 0
		.amdhsa_exception_fp_ieee_invalid_op 0
		.amdhsa_exception_fp_denorm_src 0
		.amdhsa_exception_fp_ieee_div_zero 0
		.amdhsa_exception_fp_ieee_overflow 0
		.amdhsa_exception_fp_ieee_underflow 0
		.amdhsa_exception_fp_ieee_inexact 0
		.amdhsa_exception_int_div_zero 0
	.end_amdhsa_kernel
	.section	.text._ZN2at6native12_GLOBAL__N_114gatherKthValueIsiLi2EEEvNS_4cuda6detail10TensorInfoIKT_T0_EES8_S8_S8_S8_NS5_IS6_S8_EENS5_IlS8_EE,"axG",@progbits,_ZN2at6native12_GLOBAL__N_114gatherKthValueIsiLi2EEEvNS_4cuda6detail10TensorInfoIKT_T0_EES8_S8_S8_S8_NS5_IS6_S8_EENS5_IlS8_EE,comdat
.Lfunc_end33:
	.size	_ZN2at6native12_GLOBAL__N_114gatherKthValueIsiLi2EEEvNS_4cuda6detail10TensorInfoIKT_T0_EES8_S8_S8_S8_NS5_IS6_S8_EENS5_IlS8_EE, .Lfunc_end33-_ZN2at6native12_GLOBAL__N_114gatherKthValueIsiLi2EEEvNS_4cuda6detail10TensorInfoIKT_T0_EES8_S8_S8_S8_NS5_IS6_S8_EENS5_IlS8_EE
                                        ; -- End function
	.section	.AMDGPU.csdata,"",@progbits
; Kernel info:
; codeLenInByte = 10468
; NumSgprs: 100
; NumVgprs: 49
; NumAgprs: 0
; TotalNumVgprs: 49
; ScratchSize: 0
; MemoryBound: 0
; FloatMode: 240
; IeeeMode: 1
; LDSByteSize: 4112 bytes/workgroup (compile time only)
; SGPRBlocks: 12
; VGPRBlocks: 6
; NumSGPRsForWavesPerEU: 100
; NumVGPRsForWavesPerEU: 49
; AccumOffset: 52
; Occupancy: 8
; WaveLimiterHint : 1
; COMPUTE_PGM_RSRC2:SCRATCH_EN: 0
; COMPUTE_PGM_RSRC2:USER_SGPR: 6
; COMPUTE_PGM_RSRC2:TRAP_HANDLER: 0
; COMPUTE_PGM_RSRC2:TGID_X_EN: 1
; COMPUTE_PGM_RSRC2:TGID_Y_EN: 1
; COMPUTE_PGM_RSRC2:TGID_Z_EN: 1
; COMPUTE_PGM_RSRC2:TIDIG_COMP_CNT: 0
; COMPUTE_PGM_RSRC3_GFX90A:ACCUM_OFFSET: 12
; COMPUTE_PGM_RSRC3_GFX90A:TG_SPLIT: 0
	.section	.text._ZN2at6native12_GLOBAL__N_114gatherKthValueIsiLi3EEEvNS_4cuda6detail10TensorInfoIKT_T0_EES8_S8_S8_S8_NS5_IS6_S8_EENS5_IlS8_EE,"axG",@progbits,_ZN2at6native12_GLOBAL__N_114gatherKthValueIsiLi3EEEvNS_4cuda6detail10TensorInfoIKT_T0_EES8_S8_S8_S8_NS5_IS6_S8_EENS5_IlS8_EE,comdat
	.globl	_ZN2at6native12_GLOBAL__N_114gatherKthValueIsiLi3EEEvNS_4cuda6detail10TensorInfoIKT_T0_EES8_S8_S8_S8_NS5_IS6_S8_EENS5_IlS8_EE ; -- Begin function _ZN2at6native12_GLOBAL__N_114gatherKthValueIsiLi3EEEvNS_4cuda6detail10TensorInfoIKT_T0_EES8_S8_S8_S8_NS5_IS6_S8_EENS5_IlS8_EE
	.p2align	8
	.type	_ZN2at6native12_GLOBAL__N_114gatherKthValueIsiLi3EEEvNS_4cuda6detail10TensorInfoIKT_T0_EES8_S8_S8_S8_NS5_IS6_S8_EENS5_IlS8_EE,@function
_ZN2at6native12_GLOBAL__N_114gatherKthValueIsiLi3EEEvNS_4cuda6detail10TensorInfoIKT_T0_EES8_S8_S8_S8_NS5_IS6_S8_EENS5_IlS8_EE: ; @_ZN2at6native12_GLOBAL__N_114gatherKthValueIsiLi3EEEvNS_4cuda6detail10TensorInfoIKT_T0_EES8_S8_S8_S8_NS5_IS6_S8_EENS5_IlS8_EE
; %bb.0:
	s_load_dwordx2 s[14:15], s[4:5], 0x298
	s_load_dwordx4 s[68:71], s[4:5], 0xd8
	s_add_u32 s12, s4, 0x298
	s_addc_u32 s13, s5, 0
	s_waitcnt lgkmcnt(0)
	s_mul_i32 s0, s15, s8
	s_add_i32 s0, s0, s7
	s_mul_i32 s0, s0, s14
	s_add_i32 s23, s0, s6
	s_cmp_ge_i32 s23, s70
	s_cbranch_scc1 .LBB34_247
; %bb.1:
	s_load_dwordx2 s[2:3], s[4:5], 0xc
	s_load_dwordx2 s[24:25], s[4:5], 0xf4
	s_ashr_i32 s8, s23, 31
	s_abs_i32 s9, s23
	s_load_dwordx4 s[28:31], s[4:5], 0x154
	s_waitcnt lgkmcnt(0)
	s_ashr_i32 s0, s3, 31
	s_add_i32 s1, s3, s0
	s_xor_b32 s1, s1, s0
	v_cvt_f32_u32_e32 v1, s1
	s_xor_b32 s7, s8, s0
	s_sub_i32 s0, 0, s1
                                        ; implicit-def: $vgpr48 : SGPR spill to VGPR lane
                                        ; kill: killed $sgpr4 killed $sgpr5
	s_mov_b32 s80, 0
	v_rcp_iflag_f32_e32 v1, v1
	v_writelane_b32 v48, s28, 0
	v_writelane_b32 v48, s29, 1
	;; [unrolled: 1-line block ×3, first 2 shown]
	v_mul_f32_e32 v1, 0x4f7ffffe, v1
	v_cvt_u32_f32_e32 v1, v1
	v_writelane_b32 v48, s31, 3
	v_readfirstlane_b32 s10, v1
	s_mul_i32 s0, s0, s10
	s_mul_hi_u32 s0, s10, s0
	s_add_i32 s10, s10, s0
	s_mul_hi_u32 s0, s9, s10
	s_mul_i32 s10, s0, s1
	s_sub_i32 s10, s9, s10
	s_add_i32 s11, s0, 1
	s_sub_i32 s15, s10, s1
	s_cmp_ge_u32 s10, s1
	s_cselect_b32 s0, s11, s0
	s_cselect_b32 s10, s15, s10
	s_add_i32 s11, s0, 1
	s_cmp_ge_u32 s10, s1
	s_cselect_b32 s10, s11, s0
	s_abs_i32 s0, s2
	s_ashr_i32 s11, s25, 31
	v_cvt_f32_u32_e32 v1, s0
	s_add_i32 s15, s25, s11
	s_xor_b32 s19, s8, s11
	s_xor_b32 s11, s15, s11
	v_cvt_f32_u32_e32 v2, s11
	v_rcp_iflag_f32_e32 v1, v1
	s_xor_b32 s10, s10, s7
	s_sub_i32 s16, 0, s0
	v_rcp_iflag_f32_e32 v2, v2
	v_mul_f32_e32 v1, 0x4f7ffffe, v1
	v_cvt_u32_f32_e32 v1, v1
	s_sub_i32 s7, s10, s7
	v_mul_f32_e32 v2, 0x4f7ffffe, v2
	v_cvt_u32_f32_e32 v2, v2
	v_readfirstlane_b32 s10, v1
	s_mul_i32 s16, s16, s10
	s_mul_hi_u32 s16, s10, s16
	s_add_i32 s20, s10, s16
	s_sub_i32 s10, 0, s11
	v_readfirstlane_b32 s16, v2
	s_mul_i32 s10, s10, s16
	s_mul_hi_u32 s10, s16, s10
	s_add_i32 s16, s16, s10
	s_mul_hi_u32 s10, s9, s16
	s_mul_i32 s16, s10, s11
	s_sub_i32 s16, s9, s16
	s_ashr_i32 s1, s2, 31
	s_ashr_i32 s15, s7, 31
	s_abs_i32 s18, s7
	s_add_i32 s17, s10, 1
	s_sub_i32 s21, s16, s11
	s_cmp_ge_u32 s16, s11
	s_cselect_b32 s10, s17, s10
	s_cselect_b32 s16, s21, s16
	s_add_i32 s17, s10, 1
	s_cmp_ge_u32 s16, s11
	s_cselect_b32 s10, s17, s10
	s_load_dwordx2 s[16:17], s[4:5], 0x0
	s_load_dwordx4 s[28:31], s[4:5], 0x22c
	s_abs_i32 s21, s24
	v_cvt_f32_u32_e32 v1, s21
	s_xor_b32 s10, s10, s19
	s_waitcnt lgkmcnt(0)
	v_writelane_b32 v48, s28, 4
	v_writelane_b32 v48, s29, 5
	;; [unrolled: 1-line block ×4, first 2 shown]
	s_load_dwordx2 s[28:29], s[4:5], 0x1cc
	s_load_dwordx2 s[26:27], s[4:5], 0x1c0
	v_rcp_iflag_f32_e32 v1, v1
	s_waitcnt lgkmcnt(0)
	v_writelane_b32 v48, s26, 8
	v_writelane_b32 v48, s27, 9
	s_sub_i32 s26, s10, s19
	s_ashr_i32 s10, s29, 31
	s_add_i32 s11, s29, s10
	s_xor_b32 s11, s11, s10
	v_cvt_f32_u32_e32 v2, s11
	v_mul_f32_e32 v1, 0x4f7ffffe, v1
	v_cvt_u32_f32_e32 v1, v1
	v_writelane_b32 v48, s21, 10
	v_rcp_iflag_f32_e32 v2, v2
	s_sub_i32 s19, 0, s21
	v_readfirstlane_b32 s21, v1
	s_mul_i32 s19, s19, s21
	v_mul_f32_e32 v1, 0x4f7ffffe, v2
	v_cvt_u32_f32_e32 v1, v1
	s_mul_hi_u32 s19, s21, s19
	s_add_i32 s21, s21, s19
	s_xor_b32 s19, s8, s10
	s_sub_i32 s8, 0, s11
	v_readfirstlane_b32 s10, v1
	s_mul_i32 s8, s8, s10
	s_mul_hi_u32 s8, s10, s8
	s_add_i32 s10, s10, s8
	s_mul_hi_u32 s8, s9, s10
	s_mul_i32 s10, s8, s11
	s_sub_i32 s9, s9, s10
	s_abs_i32 s27, s26
	s_add_i32 s10, s8, 1
	s_sub_i32 s22, s9, s11
	s_cmp_ge_u32 s9, s11
	s_cselect_b32 s8, s10, s8
	s_cselect_b32 s9, s22, s9
	s_add_i32 s10, s8, 1
	s_cmp_ge_u32 s9, s11
	s_cselect_b32 s22, s10, s8
	s_abs_i32 s30, s28
	v_cvt_f32_u32_e32 v1, s30
	s_load_dwordx2 s[8:9], s[4:5], 0xe8
	v_rcp_iflag_f32_e32 v1, v1
	s_waitcnt lgkmcnt(0)
	v_writelane_b32 v48, s8, 11
	v_writelane_b32 v48, s9, 12
	v_mul_f32_e32 v1, 0x4f7ffffe, v1
	v_cvt_u32_f32_e32 v1, v1
	s_load_dwordx4 s[8:11], s[4:5], 0x6c
	v_writelane_b32 v48, s27, 13
	s_mul_hi_u32 s4, s27, s21
	v_writelane_b32 v48, s4, 14
	s_xor_b32 s4, s22, s19
	s_sub_i32 s19, s4, s19
	s_sub_i32 s4, 0, s30
	v_readfirstlane_b32 s5, v1
	s_mul_i32 s4, s4, s5
	s_mul_hi_u32 s4, s5, s4
	s_waitcnt lgkmcnt(0)
	s_mul_hi_u32 s11, s18, s20
	s_abs_i32 s20, s19
	v_writelane_b32 v48, s30, 15
	s_add_i32 s5, s5, s4
	v_writelane_b32 v48, s20, 16
	s_mul_hi_u32 s4, s20, s5
	v_writelane_b32 v48, s4, 17
	v_cmp_eq_u32_e64 s[20:21], 0, v0
	s_mov_b64 s[4:5], exec
	v_writelane_b32 v48, s20, 18
	v_writelane_b32 v48, s21, 19
	s_and_b64 s[20:21], s[4:5], s[20:21]
	s_mov_b64 exec, s[20:21]
	s_cbranch_execz .LBB34_3
; %bb.2:
	v_mov_b32_e32 v2, 0
	v_mov_b32_e32 v3, s68
	;; [unrolled: 1-line block ×3, first 2 shown]
	ds_write_b96 v2, v[2:4] offset:4096
.LBB34_3:
	s_or_b64 exec, exec, s[4:5]
	v_writelane_b32 v48, s26, 20
	s_ashr_i32 s4, s26, 31
	v_writelane_b32 v48, s4, 21
	v_writelane_b32 v48, s24, 22
	;; [unrolled: 1-line block ×3, first 2 shown]
	s_ashr_i32 s4, s24, 31
	v_writelane_b32 v48, s4, 24
	v_writelane_b32 v48, s19, 25
	s_ashr_i32 s4, s19, 31
	v_writelane_b32 v48, s4, 26
	v_writelane_b32 v48, s28, 27
	;; [unrolled: 1-line block ×3, first 2 shown]
	s_ashr_i32 s4, s28, 31
	v_writelane_b32 v48, s4, 29
	s_mul_i32 s3, s7, s3
	s_mul_i32 s4, s11, s0
	s_sub_i32 s3, s23, s3
	s_sub_i32 s4, s18, s4
	s_mul_i32 s3, s3, s10
	s_xor_b32 s1, s15, s1
	s_add_i32 s5, s11, 1
	s_sub_i32 s10, s4, s0
	s_cmp_ge_u32 s4, s0
	s_cselect_b32 s5, s5, s11
	s_cselect_b32 s4, s10, s4
	s_add_i32 s10, s5, 1
	s_cmp_ge_u32 s4, s0
	s_cselect_b32 s0, s10, s5
	s_xor_b32 s0, s0, s1
	s_sub_i32 s0, s0, s1
	s_mul_i32 s1, s0, s2
	s_sub_i32 s1, s7, s1
	s_mul_i32 s1, s1, s9
	s_add_i32 s1, s1, s3
	s_mul_i32 s0, s0, s8
	s_waitcnt lgkmcnt(0)
	s_barrier
	s_load_dword s2, s[12:13], 0xc
	s_add_i32 s0, s1, s0
	s_ashr_i32 s1, s0, 31
	s_lshl_b64 s[0:1], s[0:1], 1
	s_add_u32 s70, s16, s0
	v_mbcnt_lo_u32_b32 v1, -1, 0
	s_addc_u32 s90, s17, s1
	s_waitcnt lgkmcnt(0)
	s_and_b32 s33, s2, 0xffff
	v_mbcnt_hi_u32_b32 v13, -1, v1
	s_bfe_u32 s8, s2, 0xa0006
	v_cmp_gt_u32_e32 vcc, 64, v0
	v_cmp_gt_i32_e64 s[2:3], 4, v13
	s_add_i32 s0, s33, -1
	s_lshl_b32 s91, s33, 2
	s_and_b64 s[82:83], vcc, s[2:3]
	s_add_i32 s7, s0, s68
	v_writelane_b32 v48, s23, 30
	s_cmpk_gt_i32 s68, 0x600
	v_writelane_b32 v48, s0, 31
	s_cselect_b64 s[0:1], -1, 0
	v_writelane_b32 v48, s0, 32
	s_cmp_gt_u32 s33, 63
	v_writelane_b32 v48, s1, 33
	s_cselect_b64 s[0:1], -1, 0
	v_writelane_b32 v48, s0, 34
	s_cmp_lt_u32 s6, s14
	v_writelane_b32 v48, s1, 35
	s_cselect_b32 s0, 12, 18
	s_add_u32 s0, s12, s0
	s_addc_u32 s1, s13, 0
	v_writelane_b32 v48, s0, 36
	v_writelane_b32 v48, s1, 37
	s_add_i32 s0, s8, -2
	s_lshr_b32 s1, s0, 1
	v_mov_b32_e32 v9, 0
	s_add_i32 s1, s1, 1
	s_cmpk_gt_u32 s33, 0x7f
	v_mul_lo_u32 v6, v0, s71
	v_mov_b32_e32 v7, v9
	s_cselect_b64 s[2:3], -1, 0
	v_lshlrev_b64 v[2:3], 1, v[6:7]
	v_writelane_b32 v48, s2, 38
	v_mov_b32_e32 v7, s90
	v_add_co_u32_e32 v10, vcc, s70, v2
	v_writelane_b32 v48, s3, 39
	v_addc_co_u32_e32 v11, vcc, v7, v3, vcc
	v_cmp_gt_u32_e64 s[10:11], s68, v0
	v_lshlrev_b64 v[2:3], v13, -1
	v_writelane_b32 v48, s10, 40
	v_not_b32_e32 v12, v2
	v_cvt_f32_u32_e32 v2, s91
	v_writelane_b32 v48, s11, 41
	v_cmp_gt_i32_e64 s[10:11], s68, v0
	s_and_b32 s6, s8, 0x3fe
	s_and_b32 s9, s1, 7
	v_writelane_b32 v48, s10, 42
	s_cmp_gt_u32 s0, 13
	v_writelane_b32 v48, s11, 43
	s_cselect_b64 s[10:11], -1, 0
	v_writelane_b32 v48, s10, 44
	v_rcp_iflag_f32_e32 v2, v2
	v_writelane_b32 v48, s11, 45
	s_and_b32 s0, s1, -8
	v_writelane_b32 v48, s0, 46
	s_cmp_lg_u32 s9, 0
	v_writelane_b32 v48, s9, 47
	s_cselect_b64 s[0:1], -1, 0
	v_writelane_b32 v48, s0, 48
	v_mul_f32_e32 v2, 0x4f7ffffe, v2
	v_writelane_b32 v48, s1, 49
	v_cvt_u32_f32_e32 v2, v2
	v_writelane_b32 v48, s8, 50
	s_cmp_lg_u32 s6, s8
	v_writelane_b32 v48, s6, 51
	s_cselect_b64 s[0:1], -1, 0
	v_writelane_b32 v48, s0, 52
	v_writelane_b32 v48, s1, 53
	s_sub_i32 s0, 0, s91
	v_readfirstlane_b32 s1, v2
	s_mul_i32 s0, s0, s1
	s_mul_hi_u32 s0, s1, s0
	s_add_i32 s8, s1, s0
	s_mul_hi_u32 s0, s68, s8
	s_mul_i32 s0, s0, s91
	s_sub_i32 s0, s68, s0
	s_sub_i32 s1, s0, s91
	s_cmp_ge_u32 s0, s91
	s_cselect_b32 s0, s1, s0
	s_sub_i32 s1, s0, s91
	v_cvt_f32_u32_e32 v5, s33
	s_cmp_ge_u32 s0, s91
	s_cselect_b32 s0, s1, s0
	s_sub_i32 s9, s68, s0
	v_add_u32_e32 v25, s9, v0
	v_rcp_iflag_f32_e32 v5, v5
	v_lshrrev_b32_e32 v1, 4, v0
	v_mul_lo_u32 v2, v25, s71
	v_and_b32_e32 v23, 60, v1
	v_not_b32_e32 v1, v3
	v_ashrrev_i32_e32 v3, 31, v2
	v_lshlrev_b64 v[2:3], 1, v[2:3]
	v_lshlrev_b32_e32 v20, 2, v0
	v_add_co_u32_e32 v14, vcc, s70, v2
	v_mul_f32_e32 v2, 0x4f7ffffe, v5
	v_cmp_gt_i32_e64 s[10:11], s9, v20
	v_cvt_u32_f32_e32 v2, v2
	v_writelane_b32 v48, s10, 54
	v_writelane_b32 v48, s11, 55
	v_cmp_gt_u32_e64 s[10:11], s68, v25
	v_writelane_b32 v48, s10, 56
	v_writelane_b32 v48, s11, 57
	s_sub_i32 s10, 0, s33
	v_readfirstlane_b32 s11, v2
	s_mul_i32 s10, s10, s11
	s_mul_hi_u32 s10, s11, s10
	s_abs_i32 s6, s7
	s_add_i32 s10, s11, s10
	v_writelane_b32 v48, s10, 58
	s_mul_hi_u32 s10, s6, s10
	s_mul_i32 s10, s10, s33
	s_sub_i32 s6, s6, s10
	s_ashr_i32 s1, s7, 31
	s_sub_i32 s10, s6, s33
	s_cmp_ge_u32 s6, s33
	s_cselect_b32 s6, s10, s6
	s_sub_i32 s10, s6, s33
	s_cmp_ge_u32 s6, s33
	s_cselect_b32 s6, s10, s6
	s_xor_b32 s6, s6, s1
	v_mul_lo_u32 v2, s71, v20
	s_sub_i32 s1, s1, s6
	v_add_u32_e32 v26, s71, v2
	v_or_b32_e32 v2, 2, v20
	s_add_i32 s7, s7, s1
	v_mul_lo_u32 v27, s71, v2
	v_or_b32_e32 v2, 3, v20
	s_add_i32 s1, s33, s68
	v_mul_lo_u32 v28, s71, v2
	v_add_u32_e32 v2, s1, v0
	v_lshlrev_b32_e32 v21, 1, v0
	v_lshlrev_b32_e32 v4, 2, v13
	v_mov_b32_e32 v8, s90
	v_cmp_gt_i32_e64 s[10:11], s7, v0
	s_mul_i32 s88, s71, s33
	v_subrev_u32_e32 v2, s0, v2
	v_cmp_eq_u32_e64 s[2:3], 0, v13
	v_cmp_gt_u32_e64 s[4:5], 2, v0
	v_add_u32_e32 v22, 0xc00, v21
	v_and_b32_e32 v24, 0x100, v4
	v_addc_co_u32_e32 v15, vcc, v8, v3, vcc
	v_cmp_gt_i32_e64 s[14:15], s68, v25
	v_writelane_b32 v48, s10, 59
	s_lshl_b32 s16, s88, 2
	v_lshlrev_b32_e32 v29, 2, v6
	v_mul_lo_u32 v30, s71, v2
	v_lshlrev_b32_e32 v31, 3, v0
	s_lshl_b32 s17, s33, 3
	s_lshl_b32 s89, s33, 1
	v_or_b32_e32 v32, 0xc00, v4
	s_mov_b32 s0, 14
	s_mov_b32 s6, 0x8000
	v_mov_b32_e32 v33, 0xc00
	v_mov_b32_e32 v34, 0x5040100
	;; [unrolled: 1-line block ×3, first 2 shown]
	s_mov_b32 s1, 0
	s_mov_b32 s85, 0
	;; [unrolled: 1-line block ×3, first 2 shown]
	s_mov_b64 s[78:79], 0
	v_writelane_b32 v48, s11, 60
                                        ; implicit-def: $sgpr60_sgpr61
                                        ; implicit-def: $sgpr64_sgpr65
                                        ; implicit-def: $sgpr62_sgpr63
                                        ; implicit-def: $sgpr66_sgpr67
                                        ; implicit-def: $sgpr72_sgpr73
                                        ; implicit-def: $sgpr76_sgpr77
	s_branch .LBB34_8
.LBB34_4:                               ;   in Loop: Header=BB34_8 Depth=1
	s_xor_b32 s1, s1, 1
	s_add_i32 s10, s0, -2
	s_cmp_eq_u32 s0, 0
	s_mov_b64 s[22:23], 0
	s_cselect_b64 s[30:31], -1, 0
	s_mov_b32 s0, s10
.LBB34_5:                               ;   in Loop: Header=BB34_8 Depth=1
	s_andn2_b64 s[10:11], s[26:27], exec
	s_and_b64 s[12:13], s[22:23], exec
	s_or_b64 s[26:27], s[10:11], s[12:13]
	s_andn2_b64 s[28:29], s[28:29], exec
	s_andn2_b64 s[24:25], s[24:25], exec
	s_orn2_b64 s[22:23], s[30:31], exec
	s_mov_b32 s69, s39
.LBB34_6:                               ;   in Loop: Header=BB34_8 Depth=1
	s_or_b64 exec, exec, s[18:19]
	s_andn2_b64 s[10:11], s[76:77], exec
	s_and_b64 s[12:13], s[26:27], exec
	s_or_b64 s[76:77], s[10:11], s[12:13]
	s_andn2_b64 s[10:11], s[72:73], exec
	s_and_b64 s[12:13], s[28:29], exec
	s_or_b64 s[72:73], s[10:11], s[12:13]
	;; [unrolled: 3-line block ×3, first 2 shown]
	s_orn2_b64 s[22:23], s[22:23], exec
.LBB34_7:                               ;   in Loop: Header=BB34_8 Depth=1
	s_or_b64 exec, exec, s[20:21]
	s_and_b64 s[10:11], exec, s[22:23]
	s_or_b64 s[78:79], s[10:11], s[78:79]
	s_andn2_b64 s[10:11], s[62:63], exec
	s_and_b64 s[12:13], s[76:77], exec
	s_or_b64 s[62:63], s[10:11], s[12:13]
	s_andn2_b64 s[10:11], s[64:65], exec
	s_and_b64 s[12:13], s[72:73], exec
	;; [unrolled: 3-line block ×3, first 2 shown]
	v_mov_b32_e32 v2, s85
	s_or_b64 s[60:61], s[10:11], s[12:13]
	s_andn2_b64 exec, exec, s[78:79]
	s_cbranch_execz .LBB34_243
.LBB34_8:                               ; =>This Loop Header: Depth=1
                                        ;     Child Loop BB34_13 Depth 2
                                        ;     Child Loop BB34_32 Depth 2
	;; [unrolled: 1-line block ×17, first 2 shown]
	ds_read_b64 v[2:3], v9 offset:4096
	s_waitcnt lgkmcnt(0)
	v_readfirstlane_b32 s81, v2
	s_cmp_gt_i32 s81, 0
	s_cbranch_scc1 .LBB34_39
; %bb.9:                                ;   in Loop: Header=BB34_8 Depth=1
	v_readlane_b32 s10, v48, 32
	v_readlane_b32 s11, v48, 33
	s_and_b64 vcc, exec, s[10:11]
	s_cbranch_vccz .LBB34_21
; %bb.10:                               ;   in Loop: Header=BB34_8 Depth=1
	s_movk_i32 s10, 0x601
	v_cmp_gt_i32_e32 vcc, s10, v3
	s_mov_b64 s[20:21], 0
	s_mov_b64 s[18:19], 0
	s_cbranch_vccz .LBB34_26
; %bb.11:                               ;   in Loop: Header=BB34_8 Depth=1
	v_readlane_b32 s10, v48, 36
	v_readlane_b32 s11, v48, 37
	s_nop 4
	global_load_ushort v2, v9, s[10:11]
	global_load_ushort v4, v[10:11], off
	s_mov_b64 s[22:23], 0
	s_waitcnt vmcnt(1)
	v_add_u32_e32 v5, v0, v2
	v_mul_lo_u32 v3, s71, v2
	v_mul_lo_u32 v8, s71, v5
	v_mov_b32_e32 v5, v0
	s_branch .LBB34_13
.LBB34_12:                              ;   in Loop: Header=BB34_13 Depth=2
	s_or_b64 exec, exec, s[18:19]
	v_cmp_le_i32_e32 vcc, s68, v5
	v_add_u32_e32 v8, v8, v3
	s_or_b64 s[22:23], vcc, s[22:23]
	v_mov_b32_e32 v4, v16
	s_andn2_b64 exec, exec, s[22:23]
	s_cbranch_execz .LBB34_22
.LBB34_13:                              ;   Parent Loop BB34_8 Depth=1
                                        ; =>  This Inner Loop Header: Depth=2
	v_add_u32_e32 v5, v5, v2
	v_cmp_gt_u32_e32 vcc, s68, v5
	s_waitcnt lgkmcnt(0)
	v_mov_b32_e32 v17, 0
	v_mov_b32_e32 v16, 0
	s_and_saveexec_b64 s[18:19], vcc
	s_cbranch_execz .LBB34_15
; %bb.14:                               ;   in Loop: Header=BB34_13 Depth=2
	v_lshlrev_b64 v[18:19], 1, v[8:9]
	v_add_co_u32_e32 v18, vcc, s70, v18
	v_addc_co_u32_e32 v19, vcc, v7, v19, vcc
	global_load_ushort v16, v[18:19], off
.LBB34_15:                              ;   in Loop: Header=BB34_13 Depth=2
	s_or_b64 exec, exec, s[18:19]
	s_waitcnt vmcnt(0)
	v_add_u32_sdwa v18, sext(v4), s6 dst_sel:DWORD dst_unused:UNUSED_PAD src0_sel:WORD_0 src1_sel:DWORD
	v_and_b32_e32 v18, s84, v18
	v_cmp_eq_u32_e32 vcc, s85, v18
	s_cmp_lg_u64 vcc, 0
	s_cselect_b64 s[10:11], -1, 0
	s_and_b64 s[10:11], s[2:3], s[10:11]
	s_and_saveexec_b64 s[24:25], s[10:11]
	s_cbranch_execz .LBB34_19
; %bb.16:                               ;   in Loop: Header=BB34_13 Depth=2
	s_mov_b64 s[28:29], exec
	v_mbcnt_lo_u32_b32 v17, s28, 0
	v_mbcnt_hi_u32_b32 v17, s29, v17
	s_bcnt1_i32_b64 s10, vcc
	v_cmp_eq_u32_e64 s[18:19], 0, v17
                                        ; implicit-def: $vgpr18
	s_and_saveexec_b64 s[26:27], s[18:19]
	s_cbranch_execz .LBB34_18
; %bb.17:                               ;   in Loop: Header=BB34_13 Depth=2
	s_bcnt1_i32_b64 s11, s[28:29]
	s_mul_i32 s11, s10, s11
	v_mov_b32_e32 v18, s11
	ds_add_rtn_u32 v18, v9, v18 offset:4104
.LBB34_18:                              ;   in Loop: Header=BB34_13 Depth=2
	s_or_b64 exec, exec, s[26:27]
	s_waitcnt lgkmcnt(0)
	v_readfirstlane_b32 s11, v18
	v_mov_b32_e32 v18, s11
	v_mad_u32_u24 v17, s10, v17, v18
.LBB34_19:                              ;   in Loop: Header=BB34_13 Depth=2
	s_or_b64 exec, exec, s[24:25]
	ds_bpermute_b32 v17, v24, v17
	s_and_saveexec_b64 s[18:19], vcc
	s_cbranch_execz .LBB34_12
; %bb.20:                               ;   in Loop: Header=BB34_13 Depth=2
	v_and_b32_e32 v19, vcc_lo, v12
	v_and_b32_e32 v18, vcc_hi, v1
	v_bcnt_u32_b32 v19, v19, 0
	v_bcnt_u32_b32 v18, v18, v19
	v_lshlrev_b32_e32 v18, 1, v18
	s_waitcnt lgkmcnt(0)
	v_lshl_add_u32 v17, v17, 1, v18
	ds_write_b16 v17, v4
	s_branch .LBB34_12
.LBB34_21:                              ;   in Loop: Header=BB34_8 Depth=1
	s_mov_b64 s[20:21], -1
	s_mov_b64 s[18:19], 0
	s_branch .LBB34_25
.LBB34_22:                              ;   in Loop: Header=BB34_8 Depth=1
	s_or_b64 exec, exec, s[22:23]
	s_waitcnt lgkmcnt(0)
	s_barrier
	s_mov_b64 s[18:19], exec
	v_readlane_b32 s10, v48, 18
	v_readlane_b32 s11, v48, 19
	s_and_b64 s[10:11], s[18:19], s[10:11]
	s_mov_b64 exec, s[10:11]
	s_cbranch_execz .LBB34_24
; %bb.23:                               ;   in Loop: Header=BB34_8 Depth=1
	ds_read_b32 v2, v9 offset:4104
	s_waitcnt lgkmcnt(0)
	ds_write_b32 v9, v2 offset:4096
.LBB34_24:                              ;   in Loop: Header=BB34_8 Depth=1
	s_or_b64 exec, exec, s[18:19]
	s_waitcnt lgkmcnt(0)
	s_barrier
	s_mov_b64 s[18:19], -1
.LBB34_25:                              ;   in Loop: Header=BB34_8 Depth=1
                                        ; implicit-def: $sgpr81
.LBB34_26:                              ;   in Loop: Header=BB34_8 Depth=1
	s_and_b64 vcc, exec, s[20:21]
	s_cbranch_vccz .LBB34_37
; %bb.27:                               ;   in Loop: Header=BB34_8 Depth=1
	v_mov_b32_e32 v2, 0
	s_mov_b64 s[18:19], exec
	v_readlane_b32 s10, v48, 40
	v_readlane_b32 s11, v48, 41
	s_and_b64 s[10:11], s[18:19], s[10:11]
	s_mov_b64 exec, s[10:11]
	s_cbranch_execz .LBB34_29
; %bb.28:                               ;   in Loop: Header=BB34_8 Depth=1
	global_load_ushort v2, v[10:11], off
.LBB34_29:                              ;   in Loop: Header=BB34_8 Depth=1
	s_or_b64 exec, exec, s[18:19]
	s_mov_b64 s[18:19], exec
	v_readlane_b32 s10, v48, 42
	v_readlane_b32 s11, v48, 43
	s_and_b64 s[10:11], s[18:19], s[10:11]
	s_mov_b64 exec, s[10:11]
	s_cbranch_execz .LBB34_34
; %bb.30:                               ;   in Loop: Header=BB34_8 Depth=1
	v_readlane_b32 s10, v48, 36
	v_readlane_b32 s11, v48, 37
	s_mov_b64 s[20:21], 0
	v_mov_b32_e32 v4, v21
	v_mov_b32_e32 v17, v0
	s_nop 1
	global_load_ushort v3, v9, s[10:11]
	s_waitcnt vmcnt(0)
	v_add_u32_e32 v8, v0, v3
	v_lshlrev_b32_e32 v5, 1, v3
	v_mul_lo_u32 v16, s71, v3
	v_mul_lo_u32 v8, s71, v8
	s_branch .LBB34_32
.LBB34_31:                              ;   in Loop: Header=BB34_32 Depth=2
	s_or_b64 exec, exec, s[22:23]
	v_cmp_le_i32_e32 vcc, s68, v17
	ds_write_b16 v4, v2
	v_add_u32_e32 v4, v4, v5
	v_add_u32_e32 v8, v8, v16
	s_or_b64 s[20:21], vcc, s[20:21]
	s_waitcnt vmcnt(0)
	v_mov_b32_e32 v2, v18
	s_andn2_b64 exec, exec, s[20:21]
	s_cbranch_execz .LBB34_34
.LBB34_32:                              ;   Parent Loop BB34_8 Depth=1
                                        ; =>  This Inner Loop Header: Depth=2
	v_add_u32_e32 v17, v17, v3
	v_cmp_gt_u32_e32 vcc, s68, v17
	v_mov_b32_e32 v18, 0
	s_and_saveexec_b64 s[22:23], vcc
	s_cbranch_execz .LBB34_31
; %bb.33:                               ;   in Loop: Header=BB34_32 Depth=2
	v_lshlrev_b64 v[18:19], 1, v[8:9]
	v_mov_b32_e32 v36, s90
	v_add_co_u32_e32 v18, vcc, s70, v18
	v_addc_co_u32_e32 v19, vcc, v36, v19, vcc
	global_load_ushort v18, v[18:19], off
	s_branch .LBB34_31
.LBB34_34:                              ;   in Loop: Header=BB34_8 Depth=1
	s_or_b64 exec, exec, s[18:19]
	s_waitcnt lgkmcnt(0)
	s_barrier
	s_mov_b64 s[18:19], exec
	v_readlane_b32 s10, v48, 18
	v_readlane_b32 s11, v48, 19
	s_and_b64 s[10:11], s[18:19], s[10:11]
	s_mov_b64 exec, s[10:11]
	s_cbranch_execz .LBB34_36
; %bb.35:                               ;   in Loop: Header=BB34_8 Depth=1
	s_waitcnt vmcnt(0)
	v_mov_b32_e32 v2, s68
	ds_write_b32 v9, v2 offset:4096
.LBB34_36:                              ;   in Loop: Header=BB34_8 Depth=1
	s_or_b64 exec, exec, s[18:19]
	s_mov_b64 s[18:19], -1
	s_waitcnt lgkmcnt(0)
	s_barrier
                                        ; implicit-def: $sgpr81
.LBB34_37:                              ;   in Loop: Header=BB34_8 Depth=1
	s_and_b64 vcc, exec, s[18:19]
	s_cbranch_vccz .LBB34_39
; %bb.38:                               ;   in Loop: Header=BB34_8 Depth=1
	s_waitcnt vmcnt(0)
	ds_read_b32 v2, v9 offset:4096
	s_waitcnt lgkmcnt(0)
	v_readfirstlane_b32 s81, v2
.LBB34_39:                              ;   in Loop: Header=BB34_8 Depth=1
	s_cmp_lt_i32 s81, 1
	s_cbranch_scc0 .LBB34_51
; %bb.40:                               ;   in Loop: Header=BB34_8 Depth=1
	s_waitcnt vmcnt(0)
	v_mov_b32_e32 v2, 0
	s_mov_b32 s74, 0
	v_mov_b32_e32 v3, 0
	v_mov_b32_e32 v4, v2
	;; [unrolled: 1-line block ×3, first 2 shown]
	s_mov_b64 s[92:93], exec
	v_readlane_b32 s10, v48, 54
	v_readlane_b32 s11, v48, 55
	s_and_b64 s[10:11], s[92:93], s[10:11]
	s_mov_b64 exec, s[10:11]
	s_cbranch_execz .LBB34_44
; %bb.41:                               ;   in Loop: Header=BB34_8 Depth=1
	s_and_b32 s75, s0, 0xfe
	s_mov_b64 s[94:95], 0
	s_mov_b32 s86, 0
	s_mov_b32 s87, 0
	;; [unrolled: 1-line block ×4, first 2 shown]
	v_mov_b32_e32 v8, v20
.LBB34_42:                              ;   Parent Loop BB34_8 Depth=1
                                        ; =>  This Inner Loop Header: Depth=2
	v_add_u32_e32 v2, s74, v29
	v_ashrrev_i32_e32 v3, 31, v2
	v_add_u32_e32 v4, s74, v26
	v_lshlrev_b64 v[2:3], 1, v[2:3]
	v_mov_b32_e32 v36, s90
	v_ashrrev_i32_e32 v5, 31, v4
	v_add_co_u32_e64 v2, s[18:19], s70, v2
	v_add_u32_e32 v16, s74, v27
	v_lshlrev_b64 v[4:5], 1, v[4:5]
	v_addc_co_u32_e64 v3, s[18:19], v36, v3, s[18:19]
	v_ashrrev_i32_e32 v17, 31, v16
	v_add_co_u32_e64 v4, s[18:19], s70, v4
	v_add_u32_e32 v18, s74, v28
	v_lshlrev_b64 v[16:17], 1, v[16:17]
	v_addc_co_u32_e64 v5, s[18:19], v36, v5, s[18:19]
	v_ashrrev_i32_e32 v19, 31, v18
	v_add_co_u32_e64 v16, s[18:19], s70, v16
	v_lshlrev_b64 v[18:19], 1, v[18:19]
	v_addc_co_u32_e64 v17, s[18:19], v36, v17, s[18:19]
	v_add_co_u32_e64 v18, s[18:19], s70, v18
	v_addc_co_u32_e64 v19, s[18:19], v36, v19, s[18:19]
	global_load_sshort v2, v[2:3], off
	s_nop 0
	global_load_sshort v3, v[4:5], off
	s_nop 0
	global_load_sshort v4, v[16:17], off
	global_load_sshort v5, v[18:19], off
	v_add_u32_e32 v8, s91, v8
	s_add_i32 s74, s74, s16
	v_cmp_le_i32_e32 vcc, s9, v8
	s_waitcnt vmcnt(3)
	v_add_u32_e32 v2, 0x8000, v2
	s_waitcnt vmcnt(2)
	v_add_u32_e32 v3, 0x8000, v3
	v_and_b32_e32 v16, s84, v2
	v_bfe_u32 v2, v2, s75, 2
	s_waitcnt vmcnt(1)
	v_add_u32_e32 v4, 0x8000, v4
	v_and_b32_e32 v17, s84, v3
	v_bfe_u32 v3, v3, s75, 2
	v_cmp_eq_u32_e64 s[18:19], s85, v16
	v_cmp_eq_u32_e64 s[26:27], 0, v2
	s_waitcnt vmcnt(0)
	v_add_u32_e32 v5, 0x8000, v5
	v_and_b32_e32 v18, s84, v4
	v_bfe_u32 v4, v4, s75, 2
	v_cmp_eq_u32_e64 s[20:21], s85, v17
	v_cmp_eq_u32_e64 s[28:29], 0, v3
	s_and_b64 s[12:13], s[18:19], s[26:27]
	v_and_b32_e32 v19, s84, v5
	v_bfe_u32 v5, v5, s75, 2
	v_cmp_eq_u32_e64 s[22:23], s85, v18
	v_cmp_eq_u32_e64 s[30:31], 0, v4
	;; [unrolled: 1-line block ×5, first 2 shown]
	v_cndmask_b32_e64 v2, 0, 1, s[12:13]
	s_and_b64 s[12:13], s[20:21], s[28:29]
	v_cmp_eq_u32_e64 s[24:25], s85, v19
	v_cmp_eq_u32_e64 s[34:35], 0, v5
	;; [unrolled: 1-line block ×5, first 2 shown]
	v_cndmask_b32_e64 v3, 0, 1, s[12:13]
	s_and_b64 s[12:13], s[22:23], s[30:31]
	v_cmp_eq_u32_e64 s[40:41], 1, v4
	v_cmp_eq_u32_e64 s[48:49], 2, v4
	;; [unrolled: 1-line block ×3, first 2 shown]
	v_cndmask_b32_e64 v4, 0, 1, s[12:13]
	s_and_b64 s[12:13], s[24:25], s[34:35]
	v_cmp_eq_u32_e64 s[42:43], 1, v5
	v_cmp_eq_u32_e64 s[50:51], 2, v5
	;; [unrolled: 1-line block ×3, first 2 shown]
	v_cndmask_b32_e64 v5, 0, 1, s[12:13]
	s_and_b64 s[12:13], s[18:19], s[36:37]
	v_cndmask_b32_e64 v16, 0, 1, s[12:13]
	s_and_b64 s[12:13], s[20:21], s[38:39]
	;; [unrolled: 2-line block ×12, first 2 shown]
	v_cmp_ne_u32_e64 s[18:19], 0, v2
	v_cmp_ne_u32_e64 s[20:21], 0, v3
	;; [unrolled: 1-line block ×7, first 2 shown]
	v_cndmask_b32_e64 v43, 0, 1, s[12:13]
	v_cmp_ne_u32_e64 s[38:39], 0, v37
	v_cmp_ne_u32_e64 s[46:47], 0, v41
	s_bcnt1_i32_b64 s12, s[18:19]
	s_bcnt1_i32_b64 s13, s[20:21]
	;; [unrolled: 1-line block ×7, first 2 shown]
	v_cmp_ne_u32_e64 s[22:23], 0, v4
	v_cmp_ne_u32_e64 s[30:31], 0, v18
	v_cmp_ne_u32_e64 s[40:41], 0, v38
	v_cmp_ne_u32_e64 s[48:49], 0, v42
	s_bcnt1_i32_b64 s25, s[38:39]
	s_bcnt1_i32_b64 s29, s[46:47]
	s_add_i32 s11, s11, s12
	s_add_i32 s10, s10, s20
	;; [unrolled: 1-line block ×4, first 2 shown]
	v_cmp_ne_u32_e64 s[34:35], 0, v19
	v_cmp_ne_u32_e64 s[42:43], 0, v39
	;; [unrolled: 1-line block ×3, first 2 shown]
	s_bcnt1_i32_b64 s18, s[22:23]
	s_bcnt1_i32_b64 s22, s[30:31]
	;; [unrolled: 1-line block ×4, first 2 shown]
	s_add_i32 s11, s11, s13
	s_add_i32 s10, s10, s21
	;; [unrolled: 1-line block ×4, first 2 shown]
	s_bcnt1_i32_b64 s23, s[34:35]
	s_bcnt1_i32_b64 s27, s[42:43]
	;; [unrolled: 1-line block ×3, first 2 shown]
	s_add_i32 s11, s11, s18
	s_add_i32 s10, s10, s22
	;; [unrolled: 1-line block ×8, first 2 shown]
	s_or_b64 s[94:95], vcc, s[94:95]
	v_mov_b32_e32 v2, s11
	v_mov_b32_e32 v3, s10
	;; [unrolled: 1-line block ×4, first 2 shown]
	s_andn2_b64 exec, exec, s[94:95]
	s_cbranch_execnz .LBB34_42
; %bb.43:                               ;   in Loop: Header=BB34_8 Depth=1
	s_or_b64 exec, exec, s[94:95]
.LBB34_44:                              ;   in Loop: Header=BB34_8 Depth=1
	s_or_b64 exec, exec, s[92:93]
	v_mov_b32_e32 v8, 0
	s_mov_b64 s[18:19], exec
	v_readlane_b32 s10, v48, 56
	v_readlane_b32 s11, v48, 57
	s_and_b64 s[10:11], s[18:19], s[10:11]
	s_mov_b64 exec, s[10:11]
	s_cbranch_execz .LBB34_46
; %bb.45:                               ;   in Loop: Header=BB34_8 Depth=1
	global_load_ushort v8, v[14:15], off
.LBB34_46:                              ;   in Loop: Header=BB34_8 Depth=1
	s_or_b64 exec, exec, s[18:19]
	s_mov_b64 s[20:21], 0
	s_mov_b64 s[92:93], 0
	s_and_saveexec_b64 s[22:23], s[14:15]
	s_cbranch_execz .LBB34_53
; %bb.47:                               ;   in Loop: Header=BB34_8 Depth=1
	s_and_b32 s10, s0, 0xfe
	s_mov_b64 s[24:25], 0
	v_mov_b32_e32 v16, v30
	v_mov_b32_e32 v18, v25
	s_branch .LBB34_49
.LBB34_48:                              ;   in Loop: Header=BB34_49 Depth=2
	s_or_b64 exec, exec, s[18:19]
	s_waitcnt vmcnt(0)
	v_add_u32_sdwa v8, sext(v8), s6 dst_sel:DWORD dst_unused:UNUSED_PAD src0_sel:WORD_0 src1_sel:DWORD
	v_and_b32_e32 v19, s84, v8
	v_bfe_u32 v8, v8, s10, 2
	v_cmp_eq_u32_e32 vcc, s85, v19
	v_cmp_eq_u32_e64 s[18:19], 0, v8
	s_and_b64 s[12:13], vcc, s[18:19]
	v_cndmask_b32_e64 v19, 0, 1, s[12:13]
	v_cmp_ne_u32_e64 s[18:19], 0, v19
	s_bcnt1_i32_b64 s11, s[18:19]
	v_cmp_eq_u32_e64 s[18:19], 1, v8
	s_and_b64 s[12:13], vcc, s[18:19]
	v_cndmask_b32_e64 v19, 0, 1, s[12:13]
	v_cmp_ne_u32_e64 s[18:19], 0, v19
	v_add_u32_e32 v2, s11, v2
	s_bcnt1_i32_b64 s11, s[18:19]
	v_cmp_eq_u32_e64 s[18:19], 2, v8
	s_and_b64 s[12:13], vcc, s[18:19]
	v_cndmask_b32_e64 v19, 0, 1, s[12:13]
	v_cmp_ne_u32_e64 s[18:19], 0, v19
	v_add_u32_e32 v3, s11, v3
	s_bcnt1_i32_b64 s11, s[18:19]
	v_cmp_eq_u32_e64 s[18:19], 3, v8
	s_and_b64 s[12:13], vcc, s[18:19]
	v_cndmask_b32_e64 v8, 0, 1, s[12:13]
	v_cmp_ne_u32_e32 vcc, 0, v8
	v_add_u32_e32 v4, s11, v4
	s_bcnt1_i32_b64 s11, vcc
	v_cmp_le_i32_e32 vcc, s68, v18
	v_add_u32_e32 v5, s11, v5
	v_add_u32_e32 v16, s88, v16
	s_or_b64 s[24:25], vcc, s[24:25]
	v_mov_b32_e32 v8, v17
	s_andn2_b64 exec, exec, s[24:25]
	s_cbranch_execz .LBB34_52
.LBB34_49:                              ;   Parent Loop BB34_8 Depth=1
                                        ; =>  This Inner Loop Header: Depth=2
	v_add_u32_e32 v18, s33, v18
	v_cmp_gt_u32_e32 vcc, s68, v18
	v_mov_b32_e32 v17, 0
	s_and_saveexec_b64 s[18:19], vcc
	s_cbranch_execz .LBB34_48
; %bb.50:                               ;   in Loop: Header=BB34_49 Depth=2
	v_ashrrev_i32_e32 v17, 31, v16
	v_lshlrev_b64 v[36:37], 1, v[16:17]
	v_mov_b32_e32 v17, s90
	v_add_co_u32_e32 v36, vcc, s70, v36
	v_addc_co_u32_e32 v37, vcc, v17, v37, vcc
	global_load_ushort v17, v[36:37], off
	s_branch .LBB34_48
.LBB34_51:                              ;   in Loop: Header=BB34_8 Depth=1
	s_mov_b64 s[92:93], 0
                                        ; implicit-def: $vgpr5
	s_cbranch_execnz .LBB34_54
	s_branch .LBB34_63
.LBB34_52:                              ;   in Loop: Header=BB34_8 Depth=1
	s_or_b64 exec, exec, s[24:25]
	s_mov_b64 s[92:93], exec
.LBB34_53:                              ;   in Loop: Header=BB34_8 Depth=1
	s_or_b64 exec, exec, s[22:23]
	s_and_b64 vcc, exec, s[20:21]
	s_cbranch_vccz .LBB34_63
.LBB34_54:                              ;   in Loop: Header=BB34_8 Depth=1
	s_mul_hi_u32 s10, s81, s8
	s_mul_i32 s10, s10, s91
	s_sub_i32 s10, s81, s10
	s_sub_i32 s11, s10, s91
	s_cmp_ge_u32 s10, s91
	s_cselect_b32 s10, s11, s10
	s_sub_i32 s11, s10, s91
	s_cmp_ge_u32 s10, s91
	s_cselect_b32 s10, s11, s10
	s_sub_i32 s10, s81, s10
	v_cmp_gt_u32_e32 vcc, s10, v20
	s_mov_b32 s86, 0
	s_waitcnt vmcnt(0)
	v_mov_b32_e32 v2, 0
	v_mov_b32_e32 v3, 0
	;; [unrolled: 1-line block ×4, first 2 shown]
	s_and_saveexec_b64 s[94:95], vcc
	s_cbranch_execz .LBB34_58
; %bb.55:                               ;   in Loop: Header=BB34_8 Depth=1
	s_and_b32 s11, s0, 0xfe
	s_mov_b64 s[74:75], 0
	v_mov_b32_e32 v8, v31
	s_mov_b32 s87, 0
	s_mov_b32 s12, 0
	;; [unrolled: 1-line block ×3, first 2 shown]
	v_mov_b32_e32 v16, v20
.LBB34_56:                              ;   Parent Loop BB34_8 Depth=1
                                        ; =>  This Inner Loop Header: Depth=2
	ds_read_b64 v[2:3], v8
	v_add_u32_e32 v16, s91, v16
	v_cmp_le_i32_e32 vcc, s10, v16
	v_add_u32_e32 v8, s17, v8
	s_waitcnt lgkmcnt(0)
	v_add_u32_sdwa v4, sext(v2), s6 dst_sel:DWORD dst_unused:UNUSED_PAD src0_sel:WORD_0 src1_sel:DWORD
	v_add_u32_sdwa v2, sext(v2), s6 dst_sel:DWORD dst_unused:UNUSED_PAD src0_sel:WORD_1 src1_sel:DWORD
	v_and_b32_e32 v17, s84, v4
	v_bfe_u32 v4, v4, s11, 2
	v_add_u32_sdwa v5, sext(v3), s6 dst_sel:DWORD dst_unused:UNUSED_PAD src0_sel:WORD_0 src1_sel:DWORD
	v_and_b32_e32 v18, s84, v2
	v_bfe_u32 v2, v2, s11, 2
	v_cmp_eq_u32_e64 s[18:19], s85, v17
	v_cmp_eq_u32_e64 s[26:27], 0, v4
	v_add_u32_sdwa v3, sext(v3), s6 dst_sel:DWORD dst_unused:UNUSED_PAD src0_sel:WORD_1 src1_sel:DWORD
	v_and_b32_e32 v19, s84, v5
	v_bfe_u32 v5, v5, s11, 2
	v_cmp_eq_u32_e64 s[20:21], s85, v18
	v_cmp_eq_u32_e64 s[28:29], 0, v2
	s_and_b64 s[26:27], s[18:19], s[26:27]
	v_and_b32_e32 v36, s84, v3
	v_bfe_u32 v3, v3, s11, 2
	v_cmp_eq_u32_e64 s[22:23], s85, v19
	v_cmp_eq_u32_e64 s[30:31], 0, v5
	;; [unrolled: 1-line block ×5, first 2 shown]
	v_cndmask_b32_e64 v2, 0, 1, s[26:27]
	s_and_b64 s[26:27], s[20:21], s[28:29]
	v_cmp_eq_u32_e64 s[24:25], s85, v36
	v_cmp_eq_u32_e64 s[34:35], 0, v3
	;; [unrolled: 1-line block ×5, first 2 shown]
	v_cndmask_b32_e64 v3, 0, 1, s[26:27]
	s_and_b64 s[26:27], s[22:23], s[30:31]
	v_cmp_eq_u32_e64 s[36:37], 1, v4
	v_cmp_eq_u32_e64 s[44:45], 2, v4
	;; [unrolled: 1-line block ×3, first 2 shown]
	v_cndmask_b32_e64 v4, 0, 1, s[26:27]
	s_and_b64 s[26:27], s[24:25], s[34:35]
	v_cmp_eq_u32_e64 s[40:41], 1, v5
	v_cmp_eq_u32_e64 s[48:49], 2, v5
	;; [unrolled: 1-line block ×3, first 2 shown]
	v_cndmask_b32_e64 v5, 0, 1, s[26:27]
	s_and_b64 s[26:27], s[18:19], s[36:37]
	v_cndmask_b32_e64 v17, 0, 1, s[26:27]
	s_and_b64 s[26:27], s[20:21], s[38:39]
	;; [unrolled: 2-line block ×5, first 2 shown]
	s_and_b64 s[18:19], s[18:19], s[52:53]
	v_cndmask_b32_e64 v37, 0, 1, s[26:27]
	s_and_b64 s[26:27], s[20:21], s[46:47]
	v_cndmask_b32_e64 v41, 0, 1, s[18:19]
	;; [unrolled: 2-line block ×7, first 2 shown]
	v_cndmask_b32_e64 v44, 0, 1, s[18:19]
	v_cmp_ne_u32_e64 s[18:19], 0, v2
	v_cmp_ne_u32_e64 s[20:21], 0, v3
	;; [unrolled: 1-line block ×11, first 2 shown]
	s_bcnt1_i32_b64 s18, s[18:19]
	s_bcnt1_i32_b64 s19, s[20:21]
	;; [unrolled: 1-line block ×8, first 2 shown]
	v_cmp_ne_u32_e64 s[34:35], 0, v36
	v_cmp_ne_u32_e64 s[40:41], 0, v39
	;; [unrolled: 1-line block ×3, first 2 shown]
	s_bcnt1_i32_b64 s23, s[28:29]
	s_bcnt1_i32_b64 s27, s[38:39]
	;; [unrolled: 1-line block ×3, first 2 shown]
	s_add_i32 s13, s13, s18
	s_add_i32 s12, s12, s22
	;; [unrolled: 1-line block ×4, first 2 shown]
	v_cmp_ne_u32_e64 s[42:43], 0, v40
	v_cmp_ne_u32_e64 s[50:51], 0, v44
	s_bcnt1_i32_b64 s25, s[34:35]
	s_bcnt1_i32_b64 s28, s[40:41]
	;; [unrolled: 1-line block ×3, first 2 shown]
	s_add_i32 s13, s13, s19
	s_add_i32 s12, s12, s23
	;; [unrolled: 1-line block ×4, first 2 shown]
	s_bcnt1_i32_b64 s29, s[42:43]
	s_bcnt1_i32_b64 s35, s[50:51]
	s_add_i32 s13, s13, s20
	s_add_i32 s12, s12, s24
	;; [unrolled: 1-line block ×8, first 2 shown]
	s_or_b64 s[74:75], vcc, s[74:75]
	v_mov_b32_e32 v2, s13
	v_mov_b32_e32 v3, s12
	;; [unrolled: 1-line block ×4, first 2 shown]
	s_andn2_b64 exec, exec, s[74:75]
	s_cbranch_execnz .LBB34_56
; %bb.57:                               ;   in Loop: Header=BB34_8 Depth=1
	s_or_b64 exec, exec, s[74:75]
.LBB34_58:                              ;   in Loop: Header=BB34_8 Depth=1
	s_or_b64 exec, exec, s[94:95]
	v_add_u32_e32 v8, s10, v0
	v_cmp_gt_i32_e32 vcc, s81, v8
	s_and_saveexec_b64 s[28:29], vcc
	s_cbranch_execz .LBB34_62
; %bb.59:                               ;   in Loop: Header=BB34_8 Depth=1
	s_and_b32 s10, s0, 0xfe
	v_lshlrev_b32_e32 v16, 1, v8
	s_mov_b64 s[30:31], 0
.LBB34_60:                              ;   Parent Loop BB34_8 Depth=1
                                        ; =>  This Inner Loop Header: Depth=2
	ds_read_i16 v17, v16
	v_add_u32_e32 v8, s33, v8
	v_cmp_le_i32_e32 vcc, s81, v8
	v_add_u32_e32 v16, s89, v16
	s_waitcnt lgkmcnt(0)
	v_add_u32_e32 v17, 0x8000, v17
	v_and_b32_e32 v18, s84, v17
	v_bfe_u32 v17, v17, s10, 2
	v_cmp_eq_u32_e64 s[18:19], s85, v18
	v_cmp_eq_u32_e64 s[20:21], 0, v17
	;; [unrolled: 1-line block ×3, first 2 shown]
	s_and_b64 s[12:13], s[18:19], s[20:21]
	v_cmp_eq_u32_e64 s[24:25], 2, v17
	v_cmp_eq_u32_e64 s[26:27], 3, v17
	v_cndmask_b32_e64 v17, 0, 1, s[12:13]
	s_and_b64 s[12:13], s[18:19], s[22:23]
	v_cndmask_b32_e64 v18, 0, 1, s[12:13]
	s_and_b64 s[12:13], s[18:19], s[24:25]
	;; [unrolled: 2-line block ×3, first 2 shown]
	v_cndmask_b32_e64 v36, 0, 1, s[12:13]
	v_cmp_ne_u32_e64 s[18:19], 0, v17
	v_cmp_ne_u32_e64 s[20:21], 0, v18
	;; [unrolled: 1-line block ×4, first 2 shown]
	s_bcnt1_i32_b64 s11, s[18:19]
	s_bcnt1_i32_b64 s12, s[20:21]
	;; [unrolled: 1-line block ×4, first 2 shown]
	v_add_u32_e32 v2, s11, v2
	v_add_u32_e32 v3, s12, v3
	;; [unrolled: 1-line block ×3, first 2 shown]
	s_or_b64 s[30:31], vcc, s[30:31]
	v_add_u32_e32 v5, s18, v5
	s_andn2_b64 exec, exec, s[30:31]
	s_cbranch_execnz .LBB34_60
; %bb.61:                               ;   in Loop: Header=BB34_8 Depth=1
	s_or_b64 exec, exec, s[30:31]
	s_or_b64 s[92:93], s[92:93], exec
.LBB34_62:                              ;   in Loop: Header=BB34_8 Depth=1
	s_or_b64 exec, exec, s[28:29]
.LBB34_63:                              ;   in Loop: Header=BB34_8 Depth=1
	s_and_saveexec_b64 s[18:19], s[92:93]
	s_or_b64 exec, exec, s[18:19]
	s_lshl_b32 s10, s1, 6
	s_and_saveexec_b64 s[18:19], s[2:3]
	s_cbranch_execz .LBB34_65
; %bb.64:                               ;   in Loop: Header=BB34_8 Depth=1
	s_waitcnt vmcnt(0)
	v_or_b32_e32 v8, s10, v23
	v_lshlrev_b32_e32 v8, 2, v8
	ds_write_b128 v8, v[2:5] offset:3072
.LBB34_65:                              ;   in Loop: Header=BB34_8 Depth=1
	s_or_b64 exec, exec, s[18:19]
	s_waitcnt lgkmcnt(0)
	s_barrier
	s_and_saveexec_b64 s[18:19], s[82:83]
	s_cbranch_execz .LBB34_79
; %bb.66:                               ;   in Loop: Header=BB34_8 Depth=1
	v_readlane_b32 s12, v48, 34
	v_readlane_b32 s13, v48, 35
	v_add_u32_e32 v4, s10, v13
	s_andn2_b64 vcc, exec, s[12:13]
	s_waitcnt vmcnt(0)
	v_mov_b32_e32 v2, 0
	s_cbranch_vccnz .LBB34_78
; %bb.67:                               ;   in Loop: Header=BB34_8 Depth=1
	v_readlane_b32 s12, v48, 38
	v_readlane_b32 s13, v48, 39
	s_mov_b32 s11, 0
	s_and_b64 vcc, exec, s[12:13]
	v_mov_b32_e32 v2, 0
	s_cbranch_vccz .LBB34_71
; %bb.68:                               ;   in Loop: Header=BB34_8 Depth=1
	v_readlane_b32 s12, v48, 44
	v_readlane_b32 s13, v48, 45
	v_lshl_add_u32 v5, v4, 2, v33
	s_andn2_b64 vcc, exec, s[12:13]
	s_cbranch_vccnz .LBB34_72
; %bb.69:                               ;   in Loop: Header=BB34_8 Depth=1
	s_mov_b32 s21, 1
	s_mov_b32 s20, 0
	v_mov_b32_e32 v2, 0
	v_readlane_b32 s11, v48, 46
	v_mov_b32_e32 v3, 0
.LBB34_70:                              ;   Parent Loop BB34_8 Depth=1
                                        ; =>  This Inner Loop Header: Depth=2
	v_lshl_add_u32 v8, s20, 4, v5
	v_lshl_add_u32 v46, s21, 4, v5
	ds_read2_b32 v[16:17], v8 offset1:8
	ds_read2_b32 v[18:19], v46 offset1:8
	ds_read2_b32 v[36:37], v8 offset0:16 offset1:24
	ds_read2_b32 v[38:39], v46 offset0:16 offset1:24
	;; [unrolled: 1-line block ×6, first 2 shown]
	s_waitcnt lgkmcnt(7)
	v_add3_u32 v2, v16, v2, v17
	s_waitcnt lgkmcnt(6)
	v_add3_u32 v3, v18, v3, v19
	;; [unrolled: 2-line block ×3, first 2 shown]
	v_add3_u32 v2, v36, v2, v37
	s_add_i32 s21, s21, 16
	s_add_i32 s20, s20, 16
	s_add_i32 s11, s11, -8
	s_waitcnt lgkmcnt(3)
	v_add3_u32 v2, v40, v2, v41
	s_waitcnt lgkmcnt(2)
	v_add3_u32 v3, v42, v3, v43
	s_cmp_lg_u32 s11, 0
	s_waitcnt lgkmcnt(0)
	v_add3_u32 v3, v46, v3, v47
	v_add3_u32 v2, v44, v2, v45
	s_cbranch_scc1 .LBB34_70
	s_branch .LBB34_73
.LBB34_71:                              ;   in Loop: Header=BB34_8 Depth=1
	s_cbranch_execnz .LBB34_76
	s_branch .LBB34_78
.LBB34_72:                              ;   in Loop: Header=BB34_8 Depth=1
	s_mov_b32 s81, s80
	v_pk_mov_b32 v[2:3], s[80:81], s[80:81] op_sel:[0,1]
	s_mov_b32 s81, 1
	s_mov_b64 s[20:21], s[80:81]
.LBB34_73:                              ;   in Loop: Header=BB34_8 Depth=1
	v_readlane_b32 s12, v48, 48
	v_readlane_b32 s13, v48, 49
	s_andn2_b64 vcc, exec, s[12:13]
	v_readlane_b32 s11, v48, 47
	s_cbranch_vccnz .LBB34_75
.LBB34_74:                              ;   Parent Loop BB34_8 Depth=1
                                        ; =>  This Inner Loop Header: Depth=2
	v_lshl_add_u32 v8, s20, 4, v5
	v_lshl_add_u32 v16, s21, 4, v5
	ds_read_b32 v16, v16
	ds_read_b32 v8, v8
	s_add_i32 s21, s21, 2
	s_add_i32 s20, s20, 2
	s_add_i32 s11, s11, -1
	s_cmp_lg_u32 s11, 0
	s_waitcnt lgkmcnt(1)
	v_add_u32_e32 v3, v16, v3
	s_waitcnt lgkmcnt(0)
	v_add_u32_e32 v2, v8, v2
	s_cbranch_scc1 .LBB34_74
.LBB34_75:                              ;   in Loop: Header=BB34_8 Depth=1
	v_readlane_b32 s20, v48, 52
	v_add_u32_e32 v2, v2, v3
	v_readlane_b32 s11, v48, 51
	v_readlane_b32 s21, v48, 53
	s_and_b64 vcc, exec, s[20:21]
	s_cbranch_vccz .LBB34_78
.LBB34_76:                              ;   in Loop: Header=BB34_8 Depth=1
	s_lshl_b32 s12, s1, 8
	s_lshl_b32 s13, s11, 4
	s_add_i32 s12, s12, s13
	v_add_u32_e32 v3, s12, v32
	v_readlane_b32 s12, v48, 50
	s_sub_i32 s11, s12, s11
.LBB34_77:                              ;   Parent Loop BB34_8 Depth=1
                                        ; =>  This Inner Loop Header: Depth=2
	ds_read_b32 v5, v3
	s_add_i32 s11, s11, -1
	v_add_u32_e32 v3, 16, v3
	s_cmp_eq_u32 s11, 0
	s_waitcnt lgkmcnt(0)
	v_add_u32_e32 v2, v5, v2
	s_cbranch_scc0 .LBB34_77
.LBB34_78:                              ;   in Loop: Header=BB34_8 Depth=1
	v_lshlrev_b32_e32 v3, 2, v4
	ds_write_b32 v3, v2 offset:3072
.LBB34_79:                              ;   in Loop: Header=BB34_8 Depth=1
	s_or_b64 exec, exec, s[18:19]
	s_lshl_b32 s10, s10, 2
	s_waitcnt vmcnt(0)
	v_mov_b32_e32 v2, s10
	s_waitcnt lgkmcnt(0)
	s_barrier
	ds_read_b128 v[2:5], v2 offset:3072
	s_and_b32 s47, s0, 0xfe
	s_lshl_b32 s55, 3, s47
	s_not_b32 s48, s55
	s_mov_b64 s[22:23], -1
	s_waitcnt lgkmcnt(0)
	v_readfirstlane_b32 s34, v2
	s_cmp_eq_u32 s34, 1
	s_cselect_b64 s[10:11], -1, 0
	s_cmp_eq_u32 s69, 1
	s_cselect_b64 s[12:13], -1, 0
	s_and_b64 s[24:25], s[10:11], s[12:13]
	v_readfirstlane_b32 s38, v3
	v_readfirstlane_b32 s46, v4
	;; [unrolled: 1-line block ×3, first 2 shown]
	s_and_b64 vcc, exec, s[24:25]
	s_cbranch_vccz .LBB34_91
; %bb.80:                               ;   in Loop: Header=BB34_8 Depth=1
	ds_read_b32 v2, v9 offset:4096
	s_waitcnt lgkmcnt(0)
	s_barrier
	v_readfirstlane_b32 s10, v2
	s_and_saveexec_b64 s[18:19], s[4:5]
	s_cbranch_execz .LBB34_82
; %bb.81:                               ;   in Loop: Header=BB34_8 Depth=1
	ds_write_b16 v22, v9
.LBB34_82:                              ;   in Loop: Header=BB34_8 Depth=1
	s_or_b64 exec, exec, s[18:19]
	s_and_b32 s85, s85, s48
	s_or_b32 s84, s84, s55
	s_cmp_lt_i32 s10, 1
	s_waitcnt lgkmcnt(0)
	s_barrier
	s_cbranch_scc0 .LBB34_92
; %bb.83:                               ;   in Loop: Header=BB34_8 Depth=1
	s_mov_b64 s[18:19], 0
                                        ; implicit-def: $vgpr35
	s_mov_b64 s[20:21], exec
	v_readlane_b32 s12, v48, 59
	v_readlane_b32 s13, v48, 60
	s_and_b64 s[12:13], s[20:21], s[12:13]
	s_mov_b64 exec, s[12:13]
	s_cbranch_execz .LBB34_94
; %bb.84:                               ;   in Loop: Header=BB34_8 Depth=1
	s_mov_b64 s[26:27], 0
	v_mov_b32_e32 v2, v6
	v_mov_b32_e32 v4, v0
                                        ; implicit-def: $sgpr28_sgpr29
	s_branch .LBB34_86
.LBB34_85:                              ;   in Loop: Header=BB34_86 Depth=2
	s_or_b64 exec, exec, s[18:19]
	s_waitcnt lgkmcnt(0)
	s_barrier
	s_waitcnt vmcnt(0)
	ds_read_b32 v3, v9 offset:3072
	v_add_u32_e32 v4, s33, v4
	v_cmp_le_i32_e64 s[18:19], s7, v4
	v_add_u32_e32 v2, s88, v2
	s_waitcnt lgkmcnt(0)
	v_cmp_ne_u16_e32 vcc, 0, v3
	s_or_b64 s[12:13], s[18:19], vcc
	s_and_b64 s[12:13], exec, s[12:13]
	s_or_b64 s[26:27], s[12:13], s[26:27]
	s_andn2_b64 s[12:13], s[28:29], exec
	s_and_b64 s[18:19], vcc, exec
	s_or_b64 s[28:29], s[12:13], s[18:19]
	s_barrier
	s_andn2_b64 exec, exec, s[26:27]
	s_cbranch_execz .LBB34_93
.LBB34_86:                              ;   Parent Loop BB34_8 Depth=1
                                        ; =>  This Inner Loop Header: Depth=2
	v_cmp_gt_i32_e32 vcc, s68, v4
	v_mov_b32_e32 v3, 0
	s_and_saveexec_b64 s[30:31], vcc
	s_cbranch_execz .LBB34_88
; %bb.87:                               ;   in Loop: Header=BB34_86 Depth=2
	v_ashrrev_i32_e32 v3, 31, v2
	v_lshlrev_b64 v[16:17], 1, v[2:3]
	v_mov_b32_e32 v3, s90
	v_add_co_u32_e64 v16, s[18:19], s70, v16
	v_addc_co_u32_e64 v17, s[18:19], v3, v17, s[18:19]
	global_load_ushort v3, v[16:17], off
.LBB34_88:                              ;   in Loop: Header=BB34_86 Depth=2
	s_or_b64 exec, exec, s[30:31]
	s_and_saveexec_b64 s[18:19], vcc
	s_cbranch_execz .LBB34_85
; %bb.89:                               ;   in Loop: Header=BB34_86 Depth=2
	s_waitcnt vmcnt(0)
	v_add_u32_sdwa v5, sext(v3), s6 dst_sel:DWORD dst_unused:UNUSED_PAD src0_sel:WORD_0 src1_sel:DWORD
	v_and_b32_e32 v5, s84, v5
	v_cmp_eq_u32_e32 vcc, s85, v5
	s_and_b64 exec, exec, vcc
	s_cbranch_execz .LBB34_85
; %bb.90:                               ;   in Loop: Header=BB34_86 Depth=2
	v_perm_b32 v3, v3, 1, v34
	ds_write_b32 v9, v3 offset:3072
	s_branch .LBB34_85
.LBB34_91:                              ;   in Loop: Header=BB34_8 Depth=1
	s_mov_b64 s[18:19], -1
                                        ; implicit-def: $sgpr20_sgpr21
                                        ; implicit-def: $sgpr28_sgpr29
                                        ; implicit-def: $sgpr26_sgpr27
	s_branch .LBB34_105
.LBB34_92:                              ;   in Loop: Header=BB34_8 Depth=1
	s_mov_b64 s[20:21], -1
	s_mov_b64 s[18:19], 0
                                        ; implicit-def: $sgpr26_sgpr27
                                        ; implicit-def: $vgpr35
	s_mov_b64 s[28:29], s[20:21]
	s_cbranch_execnz .LBB34_95
	s_branch .LBB34_105
.LBB34_93:                              ;   in Loop: Header=BB34_8 Depth=1
	s_or_b64 exec, exec, s[26:27]
	v_lshrrev_b32_e32 v35, 16, v3
	s_and_b64 s[18:19], s[28:29], exec
.LBB34_94:                              ;   in Loop: Header=BB34_8 Depth=1
	s_or_b64 exec, exec, s[20:21]
	s_mov_b64 s[26:27], -1
	s_mov_b64 s[20:21], 0
	s_mov_b64 s[28:29], s[20:21]
	s_branch .LBB34_105
.LBB34_95:                              ;   in Loop: Header=BB34_8 Depth=1
	v_readlane_b32 s11, v48, 31
	s_add_i32 s11, s10, s11
	s_abs_i32 s13, s11
	v_readlane_b32 s18, v48, 58
	s_mul_hi_u32 s18, s13, s18
	s_mul_i32 s18, s18, s33
	s_sub_i32 s13, s13, s18
	s_ashr_i32 s12, s11, 31
	s_sub_i32 s18, s13, s33
	s_cmp_ge_u32 s13, s33
	s_cselect_b32 s13, s18, s13
	s_sub_i32 s18, s13, s33
	s_cmp_ge_u32 s13, s33
	s_cselect_b32 s13, s18, s13
	s_xor_b32 s13, s13, s12
	s_sub_i32 s12, s12, s13
	s_add_i32 s11, s11, s12
	v_cmp_gt_i32_e32 vcc, s11, v0
	s_mov_b64 s[18:19], 0
                                        ; implicit-def: $vgpr35
	s_and_saveexec_b64 s[20:21], vcc
	s_cbranch_execz .LBB34_104
; %bb.96:                               ;   in Loop: Header=BB34_8 Depth=1
	s_mov_b64 s[26:27], 0
	v_mov_b32_e32 v2, v21
	v_mov_b32_e32 v3, v0
                                        ; implicit-def: $sgpr28_sgpr29
	s_branch .LBB34_98
.LBB34_97:                              ;   in Loop: Header=BB34_98 Depth=2
	s_or_b64 exec, exec, s[18:19]
	s_waitcnt lgkmcnt(0)
	s_barrier
	ds_read_b32 v4, v9 offset:3072
	v_add_u32_e32 v3, s33, v3
	v_cmp_le_i32_e64 s[18:19], s11, v3
	v_add_u32_e32 v2, s89, v2
	s_waitcnt lgkmcnt(0)
	v_cmp_ne_u16_e32 vcc, 0, v4
	s_or_b64 s[12:13], s[18:19], vcc
	s_and_b64 s[12:13], exec, s[12:13]
	s_or_b64 s[26:27], s[12:13], s[26:27]
	s_andn2_b64 s[12:13], s[28:29], exec
	s_and_b64 s[18:19], vcc, exec
	s_or_b64 s[28:29], s[12:13], s[18:19]
	s_barrier
	s_andn2_b64 exec, exec, s[26:27]
	s_cbranch_execz .LBB34_103
.LBB34_98:                              ;   Parent Loop BB34_8 Depth=1
                                        ; =>  This Inner Loop Header: Depth=2
	v_cmp_gt_i32_e32 vcc, s10, v3
	v_mov_b32_e32 v4, 0
	s_and_saveexec_b64 s[18:19], vcc
	s_cbranch_execz .LBB34_100
; %bb.99:                               ;   in Loop: Header=BB34_98 Depth=2
	ds_read_u16 v4, v2
.LBB34_100:                             ;   in Loop: Header=BB34_98 Depth=2
	s_or_b64 exec, exec, s[18:19]
	s_and_saveexec_b64 s[18:19], vcc
	s_cbranch_execz .LBB34_97
; %bb.101:                              ;   in Loop: Header=BB34_98 Depth=2
	s_waitcnt lgkmcnt(0)
	v_add_u32_sdwa v5, sext(v4), s6 dst_sel:DWORD dst_unused:UNUSED_PAD src0_sel:WORD_0 src1_sel:DWORD
	v_and_b32_e32 v5, s84, v5
	v_cmp_eq_u32_e32 vcc, s85, v5
	s_and_b64 exec, exec, vcc
	s_cbranch_execz .LBB34_97
; %bb.102:                              ;   in Loop: Header=BB34_98 Depth=2
	v_perm_b32 v4, v4, 1, v34
	ds_write_b32 v9, v4 offset:3072
	s_branch .LBB34_97
.LBB34_103:                             ;   in Loop: Header=BB34_8 Depth=1
	s_or_b64 exec, exec, s[26:27]
	v_lshrrev_b32_e32 v35, 16, v4
	s_and_b64 s[18:19], s[28:29], exec
.LBB34_104:                             ;   in Loop: Header=BB34_8 Depth=1
	s_or_b64 exec, exec, s[20:21]
	s_mov_b64 s[28:29], -1
	s_mov_b64 s[20:21], 0
	s_mov_b64 s[26:27], 0
.LBB34_105:                             ;   in Loop: Header=BB34_8 Depth=1
	s_andn2_b64 s[10:11], s[76:77], exec
	s_and_b64 s[12:13], s[20:21], exec
	s_or_b64 s[76:77], s[10:11], s[12:13]
	s_andn2_b64 s[10:11], s[72:73], exec
	s_and_b64 s[12:13], s[28:29], exec
	s_or_b64 s[72:73], s[10:11], s[12:13]
	;; [unrolled: 3-line block ×3, first 2 shown]
	s_and_saveexec_b64 s[20:21], s[18:19]
	s_cbranch_execz .LBB34_7
; %bb.106:                              ;   in Loop: Header=BB34_8 Depth=1
	s_xor_b64 s[10:11], s[24:25], -1
	s_mov_b64 s[18:19], 0
	s_andn2_b64 vcc, exec, s[10:11]
	s_mov_b32 s39, 1
	s_cbranch_vccnz .LBB34_117
; %bb.107:                              ;   in Loop: Header=BB34_8 Depth=1
	s_cmp_gt_i32 s69, s34
	s_mov_b64 s[18:19], -1
                                        ; implicit-def: $sgpr57
                                        ; implicit-def: $sgpr10
                                        ; implicit-def: $sgpr11
	s_cbranch_scc1 .LBB34_113
; %bb.108:                              ;   in Loop: Header=BB34_8 Depth=1
	ds_read_b32 v2, v9 offset:4096
	s_waitcnt lgkmcnt(0)
	v_cmp_ne_u32_e32 vcc, 0, v2
	s_cbranch_vccnz .LBB34_112
; %bb.109:                              ;   in Loop: Header=BB34_8 Depth=1
	s_mov_b64 s[18:19], exec
	v_readlane_b32 s10, v48, 18
	v_readlane_b32 s11, v48, 19
	s_and_b64 s[10:11], s[18:19], s[10:11]
	s_mov_b64 exec, s[10:11]
	s_cbranch_execz .LBB34_111
; %bb.110:                              ;   in Loop: Header=BB34_8 Depth=1
	v_mov_b32_e32 v2, s34
	ds_write_b32 v9, v2 offset:4100
.LBB34_111:                             ;   in Loop: Header=BB34_8 Depth=1
	s_or_b64 exec, exec, s[18:19]
	s_waitcnt lgkmcnt(0)
	s_barrier
.LBB34_112:                             ;   in Loop: Header=BB34_8 Depth=1
	s_and_b32 s10, s85, s48
	s_or_b32 s11, s84, s55
	s_mov_b64 s[18:19], 0
	s_mov_b32 s57, 8
.LBB34_113:                             ;   in Loop: Header=BB34_8 Depth=1
	s_andn2_b64 vcc, exec, s[18:19]
	s_cbranch_vccnz .LBB34_115
; %bb.114:                              ;   in Loop: Header=BB34_8 Depth=1
	s_sub_i32 s69, s69, s34
	s_mov_b64 s[18:19], -1
	s_mov_b32 s57, 0
	s_mov_b32 s10, s85
	;; [unrolled: 1-line block ×3, first 2 shown]
.LBB34_115:                             ;   in Loop: Header=BB34_8 Depth=1
	s_mov_b32 s84, s11
	s_mov_b32 s85, s10
	;; [unrolled: 1-line block ×3, first 2 shown]
	s_mov_b64 s[22:23], -1
	s_and_b64 vcc, exec, s[18:19]
	s_cbranch_vccnz .LBB34_118
.LBB34_116:                             ;   in Loop: Header=BB34_8 Depth=1
	s_mov_b64 s[36:37], -1
                                        ; implicit-def: $sgpr24_sgpr25
                                        ; implicit-def: $sgpr28_sgpr29
                                        ; implicit-def: $sgpr26_sgpr27
	s_and_saveexec_b64 s[10:11], s[36:37]
	s_xor_b64 s[18:19], exec, s[10:11]
	s_cbranch_execz .LBB34_6
	s_branch .LBB34_241
.LBB34_117:                             ;   in Loop: Header=BB34_8 Depth=1
	s_mov_b32 s57, 1
	s_mov_b64 s[22:23], -1
	s_and_b64 vcc, exec, s[18:19]
	s_cbranch_vccz .LBB34_116
.LBB34_118:                             ;   in Loop: Header=BB34_8 Depth=1
	s_cmp_eq_u32 s38, 1
	s_cselect_b64 s[10:11], -1, 0
	s_cmp_eq_u32 s39, 1
	s_cselect_b64 s[12:13], -1, 0
	s_and_b64 s[34:35], s[10:11], s[12:13]
	s_mov_b64 s[18:19], -1
	s_and_b64 vcc, exec, s[34:35]
	s_cbranch_vccz .LBB34_130
; %bb.119:                              ;   in Loop: Header=BB34_8 Depth=1
	ds_read_b32 v2, v9 offset:4096
	s_waitcnt lgkmcnt(0)
	s_barrier
	v_readfirstlane_b32 s10, v2
	s_and_saveexec_b64 s[18:19], s[4:5]
	s_cbranch_execz .LBB34_121
; %bb.120:                              ;   in Loop: Header=BB34_8 Depth=1
	ds_write_b16 v22, v9
.LBB34_121:                             ;   in Loop: Header=BB34_8 Depth=1
	s_or_b64 exec, exec, s[18:19]
	s_lshl_b32 s11, 1, s47
	s_and_b32 s12, s85, s48
	s_or_b32 s85, s12, s11
	s_or_b32 s84, s84, s55
	s_cmp_gt_i32 s10, 0
	s_waitcnt lgkmcnt(0)
	s_barrier
	s_cbranch_scc1 .LBB34_131
; %bb.122:                              ;   in Loop: Header=BB34_8 Depth=1
	s_mov_b64 s[18:19], 0
                                        ; implicit-def: $vgpr35
	s_mov_b64 s[24:25], exec
	v_readlane_b32 s12, v48, 59
	v_readlane_b32 s13, v48, 60
	s_and_b64 s[12:13], s[24:25], s[12:13]
	s_mov_b64 exec, s[12:13]
	s_cbranch_execz .LBB34_133
; %bb.123:                              ;   in Loop: Header=BB34_8 Depth=1
	s_mov_b64 s[26:27], 0
	v_mov_b32_e32 v2, v6
	v_mov_b32_e32 v4, v0
                                        ; implicit-def: $sgpr28_sgpr29
	s_branch .LBB34_125
.LBB34_124:                             ;   in Loop: Header=BB34_125 Depth=2
	s_or_b64 exec, exec, s[18:19]
	s_waitcnt lgkmcnt(0)
	s_barrier
	s_waitcnt vmcnt(0)
	ds_read_b32 v3, v9 offset:3072
	v_add_u32_e32 v4, s33, v4
	v_cmp_le_i32_e64 s[18:19], s7, v4
	v_add_u32_e32 v2, s88, v2
	s_waitcnt lgkmcnt(0)
	v_cmp_ne_u16_e32 vcc, 0, v3
	s_or_b64 s[12:13], s[18:19], vcc
	s_and_b64 s[12:13], exec, s[12:13]
	s_or_b64 s[26:27], s[12:13], s[26:27]
	s_andn2_b64 s[12:13], s[28:29], exec
	s_and_b64 s[18:19], vcc, exec
	s_or_b64 s[28:29], s[12:13], s[18:19]
	s_barrier
	s_andn2_b64 exec, exec, s[26:27]
	s_cbranch_execz .LBB34_132
.LBB34_125:                             ;   Parent Loop BB34_8 Depth=1
                                        ; =>  This Inner Loop Header: Depth=2
	v_cmp_gt_i32_e32 vcc, s68, v4
	v_mov_b32_e32 v3, 0
	s_and_saveexec_b64 s[30:31], vcc
	s_cbranch_execz .LBB34_127
; %bb.126:                              ;   in Loop: Header=BB34_125 Depth=2
	v_ashrrev_i32_e32 v3, 31, v2
	v_lshlrev_b64 v[16:17], 1, v[2:3]
	v_mov_b32_e32 v3, s90
	v_add_co_u32_e64 v16, s[18:19], s70, v16
	v_addc_co_u32_e64 v17, s[18:19], v3, v17, s[18:19]
	global_load_ushort v3, v[16:17], off
.LBB34_127:                             ;   in Loop: Header=BB34_125 Depth=2
	s_or_b64 exec, exec, s[30:31]
	s_and_saveexec_b64 s[18:19], vcc
	s_cbranch_execz .LBB34_124
; %bb.128:                              ;   in Loop: Header=BB34_125 Depth=2
	s_waitcnt vmcnt(0)
	v_add_u32_sdwa v5, sext(v3), s6 dst_sel:DWORD dst_unused:UNUSED_PAD src0_sel:WORD_0 src1_sel:DWORD
	v_and_b32_e32 v5, s84, v5
	v_cmp_eq_u32_e32 vcc, s85, v5
	s_and_b64 exec, exec, vcc
	s_cbranch_execz .LBB34_124
; %bb.129:                              ;   in Loop: Header=BB34_125 Depth=2
	v_perm_b32 v3, v3, 1, v34
	ds_write_b32 v9, v3 offset:3072
	s_branch .LBB34_124
.LBB34_130:                             ;   in Loop: Header=BB34_8 Depth=1
                                        ; implicit-def: $sgpr26_sgpr27
                                        ; implicit-def: $sgpr28_sgpr29
                                        ; implicit-def: $sgpr24_sgpr25
	s_branch .LBB34_144
.LBB34_131:                             ;   in Loop: Header=BB34_8 Depth=1
	s_mov_b64 s[26:27], -1
	s_mov_b64 s[18:19], 0
                                        ; implicit-def: $sgpr24_sgpr25
                                        ; implicit-def: $vgpr35
	s_mov_b64 s[28:29], s[26:27]
	s_cbranch_execnz .LBB34_134
	s_branch .LBB34_144
.LBB34_132:                             ;   in Loop: Header=BB34_8 Depth=1
	s_or_b64 exec, exec, s[26:27]
	v_lshrrev_b32_e32 v35, 16, v3
	s_and_b64 s[18:19], s[28:29], exec
.LBB34_133:                             ;   in Loop: Header=BB34_8 Depth=1
	s_or_b64 exec, exec, s[24:25]
	s_mov_b64 s[24:25], -1
	s_mov_b64 s[26:27], 0
	s_mov_b64 s[28:29], s[26:27]
	s_branch .LBB34_144
.LBB34_134:                             ;   in Loop: Header=BB34_8 Depth=1
	v_readlane_b32 s11, v48, 31
	s_add_i32 s11, s10, s11
	s_abs_i32 s13, s11
	v_readlane_b32 s18, v48, 58
	s_mul_hi_u32 s18, s13, s18
	s_mul_i32 s18, s18, s33
	s_sub_i32 s13, s13, s18
	s_ashr_i32 s12, s11, 31
	s_sub_i32 s18, s13, s33
	s_cmp_ge_u32 s13, s33
	s_cselect_b32 s13, s18, s13
	s_sub_i32 s18, s13, s33
	s_cmp_ge_u32 s13, s33
	s_cselect_b32 s13, s18, s13
	s_xor_b32 s13, s13, s12
	s_sub_i32 s12, s12, s13
	s_add_i32 s11, s11, s12
	v_cmp_gt_i32_e32 vcc, s11, v0
	s_mov_b64 s[18:19], 0
                                        ; implicit-def: $vgpr35
	s_and_saveexec_b64 s[24:25], vcc
	s_cbranch_execz .LBB34_143
; %bb.135:                              ;   in Loop: Header=BB34_8 Depth=1
	s_mov_b64 s[26:27], 0
	v_mov_b32_e32 v2, v21
	v_mov_b32_e32 v3, v0
                                        ; implicit-def: $sgpr28_sgpr29
	s_branch .LBB34_137
.LBB34_136:                             ;   in Loop: Header=BB34_137 Depth=2
	s_or_b64 exec, exec, s[18:19]
	s_waitcnt lgkmcnt(0)
	s_barrier
	ds_read_b32 v4, v9 offset:3072
	v_add_u32_e32 v3, s33, v3
	v_cmp_le_i32_e64 s[18:19], s11, v3
	v_add_u32_e32 v2, s89, v2
	s_waitcnt lgkmcnt(0)
	v_cmp_ne_u16_e32 vcc, 0, v4
	s_or_b64 s[12:13], s[18:19], vcc
	s_and_b64 s[12:13], exec, s[12:13]
	s_or_b64 s[26:27], s[12:13], s[26:27]
	s_andn2_b64 s[12:13], s[28:29], exec
	s_and_b64 s[18:19], vcc, exec
	s_or_b64 s[28:29], s[12:13], s[18:19]
	s_barrier
	s_andn2_b64 exec, exec, s[26:27]
	s_cbranch_execz .LBB34_142
.LBB34_137:                             ;   Parent Loop BB34_8 Depth=1
                                        ; =>  This Inner Loop Header: Depth=2
	v_cmp_gt_i32_e32 vcc, s10, v3
	v_mov_b32_e32 v4, 0
	s_and_saveexec_b64 s[18:19], vcc
	s_cbranch_execz .LBB34_139
; %bb.138:                              ;   in Loop: Header=BB34_137 Depth=2
	ds_read_u16 v4, v2
.LBB34_139:                             ;   in Loop: Header=BB34_137 Depth=2
	s_or_b64 exec, exec, s[18:19]
	s_and_saveexec_b64 s[18:19], vcc
	s_cbranch_execz .LBB34_136
; %bb.140:                              ;   in Loop: Header=BB34_137 Depth=2
	s_waitcnt lgkmcnt(0)
	v_add_u32_sdwa v5, sext(v4), s6 dst_sel:DWORD dst_unused:UNUSED_PAD src0_sel:WORD_0 src1_sel:DWORD
	v_and_b32_e32 v5, s84, v5
	v_cmp_eq_u32_e32 vcc, s85, v5
	s_and_b64 exec, exec, vcc
	s_cbranch_execz .LBB34_136
; %bb.141:                              ;   in Loop: Header=BB34_137 Depth=2
	v_perm_b32 v4, v4, 1, v34
	ds_write_b32 v9, v4 offset:3072
	s_branch .LBB34_136
.LBB34_142:                             ;   in Loop: Header=BB34_8 Depth=1
	s_or_b64 exec, exec, s[26:27]
	v_lshrrev_b32_e32 v35, 16, v4
	s_and_b64 s[18:19], s[28:29], exec
.LBB34_143:                             ;   in Loop: Header=BB34_8 Depth=1
	s_or_b64 exec, exec, s[24:25]
	s_mov_b64 s[28:29], -1
	s_mov_b64 s[26:27], 0
	s_mov_b64 s[24:25], 0
.LBB34_144:                             ;   in Loop: Header=BB34_8 Depth=1
	s_mov_b64 s[36:37], 0
                                        ; implicit-def: $sgpr57
	s_and_saveexec_b64 s[30:31], s[18:19]
	s_cbranch_execz .LBB34_240
; %bb.145:                              ;   in Loop: Header=BB34_8 Depth=1
	s_xor_b64 s[10:11], s[34:35], -1
	s_mov_b64 s[18:19], 0
	s_andn2_b64 vcc, exec, s[10:11]
	s_mov_b32 s49, 1
	s_cbranch_vccnz .LBB34_156
; %bb.146:                              ;   in Loop: Header=BB34_8 Depth=1
	s_cmp_gt_i32 s39, s38
	s_mov_b64 s[18:19], -1
                                        ; implicit-def: $sgpr57
                                        ; implicit-def: $sgpr10
                                        ; implicit-def: $sgpr11
	s_cbranch_scc1 .LBB34_152
; %bb.147:                              ;   in Loop: Header=BB34_8 Depth=1
	ds_read_b32 v2, v9 offset:4096
	s_waitcnt lgkmcnt(0)
	v_cmp_ne_u32_e32 vcc, 0, v2
	s_cbranch_vccnz .LBB34_151
; %bb.148:                              ;   in Loop: Header=BB34_8 Depth=1
	s_mov_b64 s[18:19], exec
	v_readlane_b32 s10, v48, 18
	v_readlane_b32 s11, v48, 19
	s_and_b64 s[10:11], s[18:19], s[10:11]
	s_mov_b64 exec, s[10:11]
	s_cbranch_execz .LBB34_150
; %bb.149:                              ;   in Loop: Header=BB34_8 Depth=1
	v_mov_b32_e32 v2, s38
	ds_write_b32 v9, v2 offset:4100
.LBB34_150:                             ;   in Loop: Header=BB34_8 Depth=1
	s_or_b64 exec, exec, s[18:19]
	s_waitcnt lgkmcnt(0)
	s_barrier
.LBB34_151:                             ;   in Loop: Header=BB34_8 Depth=1
	s_lshl_b32 s10, 1, s47
	s_and_b32 s11, s85, s48
	s_or_b32 s10, s11, s10
	s_or_b32 s11, s84, s55
	s_mov_b64 s[18:19], 0
	s_mov_b32 s57, 8
.LBB34_152:                             ;   in Loop: Header=BB34_8 Depth=1
	s_andn2_b64 vcc, exec, s[18:19]
	s_cbranch_vccnz .LBB34_154
; %bb.153:                              ;   in Loop: Header=BB34_8 Depth=1
	s_sub_i32 s39, s39, s38
	s_mov_b64 s[18:19], -1
	s_mov_b32 s57, 0
	s_mov_b32 s10, s85
	;; [unrolled: 1-line block ×3, first 2 shown]
.LBB34_154:                             ;   in Loop: Header=BB34_8 Depth=1
	s_mov_b32 s84, s11
	s_mov_b32 s85, s10
	;; [unrolled: 1-line block ×3, first 2 shown]
	s_andn2_b64 vcc, exec, s[18:19]
	s_mov_b64 s[44:45], -1
	s_cbranch_vccz .LBB34_157
.LBB34_155:                             ;   in Loop: Header=BB34_8 Depth=1
                                        ; implicit-def: $sgpr36_sgpr37
                                        ; implicit-def: $sgpr38_sgpr39
                                        ; implicit-def: $sgpr34_sgpr35
	s_branch .LBB34_239
.LBB34_156:                             ;   in Loop: Header=BB34_8 Depth=1
	s_mov_b32 s57, 1
	s_andn2_b64 vcc, exec, s[18:19]
	s_mov_b64 s[44:45], -1
	s_cbranch_vccnz .LBB34_155
.LBB34_157:                             ;   in Loop: Header=BB34_8 Depth=1
	s_cmp_eq_u32 s46, 1
	s_cselect_b64 s[10:11], -1, 0
	s_cmp_eq_u32 s49, 1
	s_cselect_b64 s[12:13], -1, 0
	s_and_b64 s[42:43], s[10:11], s[12:13]
	s_mov_b64 s[18:19], -1
	s_and_b64 vcc, exec, s[42:43]
	s_cbranch_vccz .LBB34_169
; %bb.158:                              ;   in Loop: Header=BB34_8 Depth=1
	ds_read_b32 v2, v9 offset:4096
	s_waitcnt lgkmcnt(0)
	s_barrier
	v_readfirstlane_b32 s10, v2
	s_and_saveexec_b64 s[18:19], s[4:5]
	s_cbranch_execz .LBB34_160
; %bb.159:                              ;   in Loop: Header=BB34_8 Depth=1
	ds_write_b16 v22, v9
.LBB34_160:                             ;   in Loop: Header=BB34_8 Depth=1
	s_or_b64 exec, exec, s[18:19]
	s_lshl_b32 s11, 2, s47
	s_and_b32 s12, s85, s48
	s_or_b32 s85, s12, s11
	s_or_b32 s84, s84, s55
	s_cmp_gt_i32 s10, 0
	s_waitcnt lgkmcnt(0)
	s_barrier
	s_cbranch_scc1 .LBB34_170
; %bb.161:                              ;   in Loop: Header=BB34_8 Depth=1
	s_mov_b64 s[18:19], 0
                                        ; implicit-def: $vgpr35
	s_mov_b64 s[34:35], exec
	v_readlane_b32 s12, v48, 59
	v_readlane_b32 s13, v48, 60
	s_and_b64 s[12:13], s[34:35], s[12:13]
	s_mov_b64 exec, s[12:13]
	s_cbranch_execz .LBB34_172
; %bb.162:                              ;   in Loop: Header=BB34_8 Depth=1
	v_mov_b32_e32 v2, v6
	v_mov_b32_e32 v4, v0
                                        ; implicit-def: $sgpr38_sgpr39
	s_branch .LBB34_164
.LBB34_163:                             ;   in Loop: Header=BB34_164 Depth=2
	s_or_b64 exec, exec, s[18:19]
	s_waitcnt lgkmcnt(0)
	s_barrier
	s_waitcnt vmcnt(0)
	ds_read_b32 v3, v9 offset:3072
	v_add_u32_e32 v4, s33, v4
	v_cmp_le_i32_e64 s[18:19], s7, v4
	v_add_u32_e32 v2, s88, v2
	s_waitcnt lgkmcnt(0)
	v_cmp_ne_u16_e32 vcc, 0, v3
	s_or_b64 s[12:13], s[18:19], vcc
	s_and_b64 s[12:13], exec, s[12:13]
	s_or_b64 s[36:37], s[12:13], s[36:37]
	s_andn2_b64 s[12:13], s[38:39], exec
	s_and_b64 s[18:19], vcc, exec
	s_or_b64 s[38:39], s[12:13], s[18:19]
	s_barrier
	s_andn2_b64 exec, exec, s[36:37]
	s_cbranch_execz .LBB34_171
.LBB34_164:                             ;   Parent Loop BB34_8 Depth=1
                                        ; =>  This Inner Loop Header: Depth=2
	v_cmp_gt_i32_e32 vcc, s68, v4
	v_mov_b32_e32 v3, 0
	s_and_saveexec_b64 s[40:41], vcc
	s_cbranch_execz .LBB34_166
; %bb.165:                              ;   in Loop: Header=BB34_164 Depth=2
	v_ashrrev_i32_e32 v3, 31, v2
	v_lshlrev_b64 v[16:17], 1, v[2:3]
	v_mov_b32_e32 v3, s90
	v_add_co_u32_e64 v16, s[18:19], s70, v16
	v_addc_co_u32_e64 v17, s[18:19], v3, v17, s[18:19]
	global_load_ushort v3, v[16:17], off
.LBB34_166:                             ;   in Loop: Header=BB34_164 Depth=2
	s_or_b64 exec, exec, s[40:41]
	s_and_saveexec_b64 s[18:19], vcc
	s_cbranch_execz .LBB34_163
; %bb.167:                              ;   in Loop: Header=BB34_164 Depth=2
	s_waitcnt vmcnt(0)
	v_add_u32_sdwa v5, sext(v3), s6 dst_sel:DWORD dst_unused:UNUSED_PAD src0_sel:WORD_0 src1_sel:DWORD
	v_and_b32_e32 v5, s84, v5
	v_cmp_eq_u32_e32 vcc, s85, v5
	s_and_b64 exec, exec, vcc
	s_cbranch_execz .LBB34_163
; %bb.168:                              ;   in Loop: Header=BB34_164 Depth=2
	v_perm_b32 v3, v3, 1, v34
	ds_write_b32 v9, v3 offset:3072
	s_branch .LBB34_163
.LBB34_169:                             ;   in Loop: Header=BB34_8 Depth=1
                                        ; implicit-def: $sgpr34_sgpr35
                                        ; implicit-def: $sgpr38_sgpr39
                                        ; implicit-def: $sgpr36_sgpr37
	s_branch .LBB34_183
.LBB34_170:                             ;   in Loop: Header=BB34_8 Depth=1
	s_mov_b64 s[34:35], -1
	s_mov_b64 s[18:19], 0
                                        ; implicit-def: $sgpr36_sgpr37
                                        ; implicit-def: $vgpr35
	s_mov_b64 s[38:39], s[34:35]
	s_cbranch_execnz .LBB34_173
	s_branch .LBB34_183
.LBB34_171:                             ;   in Loop: Header=BB34_8 Depth=1
	s_or_b64 exec, exec, s[36:37]
	v_lshrrev_b32_e32 v35, 16, v3
	s_and_b64 s[18:19], s[38:39], exec
.LBB34_172:                             ;   in Loop: Header=BB34_8 Depth=1
	s_or_b64 exec, exec, s[34:35]
	s_mov_b64 s[36:37], -1
	s_mov_b64 s[34:35], 0
	s_mov_b64 s[38:39], s[34:35]
	s_branch .LBB34_183
.LBB34_173:                             ;   in Loop: Header=BB34_8 Depth=1
	v_readlane_b32 s11, v48, 31
	s_add_i32 s11, s10, s11
	s_abs_i32 s13, s11
	v_readlane_b32 s18, v48, 58
	s_mul_hi_u32 s18, s13, s18
	s_mul_i32 s18, s18, s33
	s_sub_i32 s13, s13, s18
	s_ashr_i32 s12, s11, 31
	s_sub_i32 s18, s13, s33
	s_cmp_ge_u32 s13, s33
	s_cselect_b32 s13, s18, s13
	s_sub_i32 s18, s13, s33
	s_cmp_ge_u32 s13, s33
	s_cselect_b32 s13, s18, s13
	s_xor_b32 s13, s13, s12
	s_sub_i32 s12, s12, s13
	s_add_i32 s11, s11, s12
	v_cmp_gt_i32_e32 vcc, s11, v0
	s_mov_b64 s[18:19], 0
                                        ; implicit-def: $vgpr35
	s_and_saveexec_b64 s[34:35], vcc
	s_cbranch_execz .LBB34_182
; %bb.174:                              ;   in Loop: Header=BB34_8 Depth=1
	s_mov_b64 s[36:37], 0
	v_mov_b32_e32 v2, v21
	v_mov_b32_e32 v3, v0
                                        ; implicit-def: $sgpr38_sgpr39
	s_branch .LBB34_176
.LBB34_175:                             ;   in Loop: Header=BB34_176 Depth=2
	s_or_b64 exec, exec, s[18:19]
	s_waitcnt lgkmcnt(0)
	s_barrier
	ds_read_b32 v4, v9 offset:3072
	v_add_u32_e32 v3, s33, v3
	v_cmp_le_i32_e64 s[18:19], s11, v3
	v_add_u32_e32 v2, s89, v2
	s_waitcnt lgkmcnt(0)
	v_cmp_ne_u16_e32 vcc, 0, v4
	s_or_b64 s[12:13], s[18:19], vcc
	s_and_b64 s[12:13], exec, s[12:13]
	s_or_b64 s[36:37], s[12:13], s[36:37]
	s_andn2_b64 s[12:13], s[38:39], exec
	s_and_b64 s[18:19], vcc, exec
	s_or_b64 s[38:39], s[12:13], s[18:19]
	s_barrier
	s_andn2_b64 exec, exec, s[36:37]
	s_cbranch_execz .LBB34_181
.LBB34_176:                             ;   Parent Loop BB34_8 Depth=1
                                        ; =>  This Inner Loop Header: Depth=2
	v_cmp_gt_i32_e32 vcc, s10, v3
	v_mov_b32_e32 v4, 0
	s_and_saveexec_b64 s[18:19], vcc
	s_cbranch_execz .LBB34_178
; %bb.177:                              ;   in Loop: Header=BB34_176 Depth=2
	ds_read_u16 v4, v2
.LBB34_178:                             ;   in Loop: Header=BB34_176 Depth=2
	s_or_b64 exec, exec, s[18:19]
	s_and_saveexec_b64 s[18:19], vcc
	s_cbranch_execz .LBB34_175
; %bb.179:                              ;   in Loop: Header=BB34_176 Depth=2
	s_waitcnt lgkmcnt(0)
	v_add_u32_sdwa v5, sext(v4), s6 dst_sel:DWORD dst_unused:UNUSED_PAD src0_sel:WORD_0 src1_sel:DWORD
	v_and_b32_e32 v5, s84, v5
	v_cmp_eq_u32_e32 vcc, s85, v5
	s_and_b64 exec, exec, vcc
	s_cbranch_execz .LBB34_175
; %bb.180:                              ;   in Loop: Header=BB34_176 Depth=2
	v_perm_b32 v4, v4, 1, v34
	ds_write_b32 v9, v4 offset:3072
	s_branch .LBB34_175
.LBB34_181:                             ;   in Loop: Header=BB34_8 Depth=1
	s_or_b64 exec, exec, s[36:37]
	v_lshrrev_b32_e32 v35, 16, v4
	s_and_b64 s[18:19], s[38:39], exec
.LBB34_182:                             ;   in Loop: Header=BB34_8 Depth=1
	s_or_b64 exec, exec, s[34:35]
	s_mov_b64 s[38:39], -1
	s_mov_b64 s[34:35], 0
	s_mov_b64 s[36:37], 0
.LBB34_183:                             ;   in Loop: Header=BB34_8 Depth=1
	s_mov_b64 s[44:45], 0
                                        ; implicit-def: $sgpr57
	s_and_saveexec_b64 s[40:41], s[18:19]
	s_cbranch_execz .LBB34_238
; %bb.184:                              ;   in Loop: Header=BB34_8 Depth=1
	s_xor_b64 s[10:11], s[42:43], -1
	s_mov_b64 s[18:19], 0
	s_andn2_b64 vcc, exec, s[10:11]
	s_mov_b32 s56, 1
	s_cbranch_vccnz .LBB34_195
; %bb.185:                              ;   in Loop: Header=BB34_8 Depth=1
	s_cmp_gt_i32 s49, s46
	s_mov_b64 s[18:19], -1
                                        ; implicit-def: $sgpr57
                                        ; implicit-def: $sgpr10
                                        ; implicit-def: $sgpr11
	s_cbranch_scc1 .LBB34_191
; %bb.186:                              ;   in Loop: Header=BB34_8 Depth=1
	ds_read_b32 v2, v9 offset:4096
	s_waitcnt lgkmcnt(0)
	v_cmp_ne_u32_e32 vcc, 0, v2
	s_cbranch_vccnz .LBB34_190
; %bb.187:                              ;   in Loop: Header=BB34_8 Depth=1
	s_mov_b64 s[18:19], exec
	v_readlane_b32 s10, v48, 18
	v_readlane_b32 s11, v48, 19
	s_and_b64 s[10:11], s[18:19], s[10:11]
	s_mov_b64 exec, s[10:11]
	s_cbranch_execz .LBB34_189
; %bb.188:                              ;   in Loop: Header=BB34_8 Depth=1
	v_mov_b32_e32 v2, s46
	ds_write_b32 v9, v2 offset:4100
.LBB34_189:                             ;   in Loop: Header=BB34_8 Depth=1
	s_or_b64 exec, exec, s[18:19]
	s_waitcnt lgkmcnt(0)
	s_barrier
.LBB34_190:                             ;   in Loop: Header=BB34_8 Depth=1
	s_lshl_b32 s10, 2, s47
	s_and_b32 s11, s85, s48
	s_or_b32 s10, s11, s10
	s_or_b32 s11, s84, s55
	s_mov_b64 s[18:19], 0
	s_mov_b32 s57, 8
.LBB34_191:                             ;   in Loop: Header=BB34_8 Depth=1
	s_andn2_b64 vcc, exec, s[18:19]
	s_cbranch_vccnz .LBB34_193
; %bb.192:                              ;   in Loop: Header=BB34_8 Depth=1
	s_sub_i32 s49, s49, s46
	s_mov_b64 s[18:19], -1
	s_mov_b32 s57, 0
	s_mov_b32 s10, s85
	;; [unrolled: 1-line block ×3, first 2 shown]
.LBB34_193:                             ;   in Loop: Header=BB34_8 Depth=1
	s_mov_b32 s84, s11
	s_mov_b32 s85, s10
	;; [unrolled: 1-line block ×3, first 2 shown]
	s_andn2_b64 vcc, exec, s[18:19]
	s_mov_b64 s[52:53], -1
	s_cbranch_vccz .LBB34_196
.LBB34_194:                             ;   in Loop: Header=BB34_8 Depth=1
                                        ; implicit-def: $sgpr18_sgpr19
                                        ; implicit-def: $sgpr46_sgpr47
                                        ; implicit-def: $sgpr44_sgpr45
	s_branch .LBB34_237
.LBB34_195:                             ;   in Loop: Header=BB34_8 Depth=1
	s_mov_b32 s57, 1
	s_andn2_b64 vcc, exec, s[18:19]
	s_mov_b64 s[52:53], -1
	s_cbranch_vccnz .LBB34_194
.LBB34_196:                             ;   in Loop: Header=BB34_8 Depth=1
	s_cmp_eq_u32 s54, 1
	s_cselect_b64 s[10:11], -1, 0
	s_cmp_eq_u32 s56, 1
	s_cselect_b64 s[12:13], -1, 0
	s_and_b64 s[42:43], s[10:11], s[12:13]
	s_mov_b64 s[48:49], -1
	s_and_b64 vcc, exec, s[42:43]
	s_cbranch_vccz .LBB34_208
; %bb.197:                              ;   in Loop: Header=BB34_8 Depth=1
	ds_read_b32 v2, v9 offset:4096
	s_waitcnt lgkmcnt(0)
	s_barrier
	v_readfirstlane_b32 s10, v2
	s_and_saveexec_b64 s[18:19], s[4:5]
	s_cbranch_execz .LBB34_199
; %bb.198:                              ;   in Loop: Header=BB34_8 Depth=1
	ds_write_b16 v22, v9
.LBB34_199:                             ;   in Loop: Header=BB34_8 Depth=1
	s_or_b64 exec, exec, s[18:19]
	s_or_b32 s85, s85, s55
	s_or_b32 s84, s84, s55
	s_cmp_gt_i32 s10, 0
	s_waitcnt lgkmcnt(0)
	s_barrier
	s_cbranch_scc1 .LBB34_209
; %bb.200:                              ;   in Loop: Header=BB34_8 Depth=1
	s_mov_b64 s[48:49], 0
                                        ; implicit-def: $vgpr35
	s_mov_b64 s[44:45], exec
	v_readlane_b32 s12, v48, 59
	v_readlane_b32 s13, v48, 60
	s_and_b64 s[12:13], s[44:45], s[12:13]
	s_mov_b64 exec, s[12:13]
	s_cbranch_execz .LBB34_211
; %bb.201:                              ;   in Loop: Header=BB34_8 Depth=1
	s_mov_b64 s[46:47], 0
	v_mov_b32_e32 v2, v6
	v_mov_b32_e32 v4, v0
                                        ; implicit-def: $sgpr48_sgpr49
	s_branch .LBB34_203
.LBB34_202:                             ;   in Loop: Header=BB34_203 Depth=2
	s_or_b64 exec, exec, s[18:19]
	s_waitcnt lgkmcnt(0)
	s_barrier
	s_waitcnt vmcnt(0)
	ds_read_b32 v3, v9 offset:3072
	v_add_u32_e32 v4, s33, v4
	v_cmp_le_i32_e64 s[18:19], s7, v4
	v_add_u32_e32 v2, s88, v2
	s_waitcnt lgkmcnt(0)
	v_cmp_ne_u16_e32 vcc, 0, v3
	s_or_b64 s[12:13], s[18:19], vcc
	s_and_b64 s[12:13], exec, s[12:13]
	s_or_b64 s[46:47], s[12:13], s[46:47]
	s_andn2_b64 s[12:13], s[48:49], exec
	s_and_b64 s[18:19], vcc, exec
	s_or_b64 s[48:49], s[12:13], s[18:19]
	s_barrier
	s_andn2_b64 exec, exec, s[46:47]
	s_cbranch_execz .LBB34_210
.LBB34_203:                             ;   Parent Loop BB34_8 Depth=1
                                        ; =>  This Inner Loop Header: Depth=2
	v_cmp_gt_i32_e32 vcc, s68, v4
	v_mov_b32_e32 v3, 0
	s_and_saveexec_b64 s[50:51], vcc
	s_cbranch_execz .LBB34_205
; %bb.204:                              ;   in Loop: Header=BB34_203 Depth=2
	v_ashrrev_i32_e32 v3, 31, v2
	v_lshlrev_b64 v[16:17], 1, v[2:3]
	v_mov_b32_e32 v3, s90
	v_add_co_u32_e64 v16, s[18:19], s70, v16
	v_addc_co_u32_e64 v17, s[18:19], v3, v17, s[18:19]
	global_load_ushort v3, v[16:17], off
.LBB34_205:                             ;   in Loop: Header=BB34_203 Depth=2
	s_or_b64 exec, exec, s[50:51]
	s_and_saveexec_b64 s[18:19], vcc
	s_cbranch_execz .LBB34_202
; %bb.206:                              ;   in Loop: Header=BB34_203 Depth=2
	s_waitcnt vmcnt(0)
	v_add_u32_sdwa v5, sext(v3), s6 dst_sel:DWORD dst_unused:UNUSED_PAD src0_sel:WORD_0 src1_sel:DWORD
	v_and_b32_e32 v5, s84, v5
	v_cmp_eq_u32_e32 vcc, s85, v5
	s_and_b64 exec, exec, vcc
	s_cbranch_execz .LBB34_202
; %bb.207:                              ;   in Loop: Header=BB34_203 Depth=2
	v_perm_b32 v3, v3, 1, v34
	ds_write_b32 v9, v3 offset:3072
	s_branch .LBB34_202
.LBB34_208:                             ;   in Loop: Header=BB34_8 Depth=1
                                        ; implicit-def: $sgpr18_sgpr19
                                        ; implicit-def: $sgpr46_sgpr47
                                        ; implicit-def: $sgpr44_sgpr45
	s_branch .LBB34_222
.LBB34_209:                             ;   in Loop: Header=BB34_8 Depth=1
	s_mov_b64 s[18:19], -1
	s_mov_b64 s[48:49], 0
                                        ; implicit-def: $sgpr44_sgpr45
                                        ; implicit-def: $vgpr35
	s_mov_b64 s[46:47], s[18:19]
	s_cbranch_execnz .LBB34_212
	s_branch .LBB34_222
.LBB34_210:                             ;   in Loop: Header=BB34_8 Depth=1
	s_or_b64 exec, exec, s[46:47]
	v_lshrrev_b32_e32 v35, 16, v3
	s_and_b64 s[48:49], s[48:49], exec
.LBB34_211:                             ;   in Loop: Header=BB34_8 Depth=1
	s_or_b64 exec, exec, s[44:45]
	s_mov_b64 s[44:45], -1
	s_mov_b64 s[18:19], 0
	s_mov_b64 s[46:47], s[18:19]
	s_branch .LBB34_222
.LBB34_212:                             ;   in Loop: Header=BB34_8 Depth=1
	v_readlane_b32 s11, v48, 31
	s_add_i32 s11, s10, s11
	s_abs_i32 s13, s11
	v_readlane_b32 s18, v48, 58
	s_mul_hi_u32 s18, s13, s18
	s_mul_i32 s18, s18, s33
	s_sub_i32 s13, s13, s18
	s_ashr_i32 s12, s11, 31
	s_sub_i32 s18, s13, s33
	s_cmp_ge_u32 s13, s33
	s_cselect_b32 s13, s18, s13
	s_sub_i32 s18, s13, s33
	s_cmp_ge_u32 s13, s33
	s_cselect_b32 s13, s18, s13
	s_xor_b32 s13, s13, s12
	s_sub_i32 s12, s12, s13
	s_add_i32 s11, s11, s12
	v_cmp_gt_i32_e32 vcc, s11, v0
	s_mov_b64 s[48:49], 0
                                        ; implicit-def: $vgpr35
	s_and_saveexec_b64 s[44:45], vcc
	s_cbranch_execz .LBB34_221
; %bb.213:                              ;   in Loop: Header=BB34_8 Depth=1
	s_mov_b64 s[46:47], 0
	v_mov_b32_e32 v2, v21
	v_mov_b32_e32 v3, v0
                                        ; implicit-def: $sgpr48_sgpr49
	s_branch .LBB34_215
.LBB34_214:                             ;   in Loop: Header=BB34_215 Depth=2
	s_or_b64 exec, exec, s[18:19]
	s_waitcnt lgkmcnt(0)
	s_barrier
	ds_read_b32 v4, v9 offset:3072
	v_add_u32_e32 v3, s33, v3
	v_cmp_le_i32_e64 s[18:19], s11, v3
	v_add_u32_e32 v2, s89, v2
	s_waitcnt lgkmcnt(0)
	v_cmp_ne_u16_e32 vcc, 0, v4
	s_or_b64 s[12:13], s[18:19], vcc
	s_and_b64 s[12:13], exec, s[12:13]
	s_or_b64 s[46:47], s[12:13], s[46:47]
	s_andn2_b64 s[12:13], s[48:49], exec
	s_and_b64 s[18:19], vcc, exec
	s_or_b64 s[48:49], s[12:13], s[18:19]
	s_barrier
	s_andn2_b64 exec, exec, s[46:47]
	s_cbranch_execz .LBB34_220
.LBB34_215:                             ;   Parent Loop BB34_8 Depth=1
                                        ; =>  This Inner Loop Header: Depth=2
	v_cmp_gt_i32_e32 vcc, s10, v3
	v_mov_b32_e32 v4, 0
	s_and_saveexec_b64 s[18:19], vcc
	s_cbranch_execz .LBB34_217
; %bb.216:                              ;   in Loop: Header=BB34_215 Depth=2
	ds_read_u16 v4, v2
.LBB34_217:                             ;   in Loop: Header=BB34_215 Depth=2
	s_or_b64 exec, exec, s[18:19]
	s_and_saveexec_b64 s[18:19], vcc
	s_cbranch_execz .LBB34_214
; %bb.218:                              ;   in Loop: Header=BB34_215 Depth=2
	s_waitcnt lgkmcnt(0)
	v_add_u32_sdwa v5, sext(v4), s6 dst_sel:DWORD dst_unused:UNUSED_PAD src0_sel:WORD_0 src1_sel:DWORD
	v_and_b32_e32 v5, s84, v5
	v_cmp_eq_u32_e32 vcc, s85, v5
	s_and_b64 exec, exec, vcc
	s_cbranch_execz .LBB34_214
; %bb.219:                              ;   in Loop: Header=BB34_215 Depth=2
	v_perm_b32 v4, v4, 1, v34
	ds_write_b32 v9, v4 offset:3072
	s_branch .LBB34_214
.LBB34_220:                             ;   in Loop: Header=BB34_8 Depth=1
	s_or_b64 exec, exec, s[46:47]
	v_lshrrev_b32_e32 v35, 16, v4
	s_and_b64 s[48:49], s[48:49], exec
.LBB34_221:                             ;   in Loop: Header=BB34_8 Depth=1
	s_or_b64 exec, exec, s[44:45]
	s_mov_b64 s[46:47], -1
	s_mov_b64 s[18:19], 0
	s_mov_b64 s[44:45], 0
.LBB34_222:                             ;   in Loop: Header=BB34_8 Depth=1
	s_mov_b64 s[52:53], 0
                                        ; implicit-def: $sgpr57
	s_and_saveexec_b64 s[50:51], s[48:49]
	s_cbranch_execz .LBB34_236
; %bb.223:                              ;   in Loop: Header=BB34_8 Depth=1
	s_xor_b64 s[10:11], s[42:43], -1
	s_andn2_b64 vcc, exec, s[10:11]
	s_mov_b32 s57, 1
	s_cbranch_vccnz .LBB34_230
; %bb.224:                              ;   in Loop: Header=BB34_8 Depth=1
	s_cmp_gt_i32 s56, s54
	s_cbranch_scc1 .LBB34_231
; %bb.225:                              ;   in Loop: Header=BB34_8 Depth=1
	ds_read_b32 v2, v9 offset:4096
	s_waitcnt lgkmcnt(0)
	v_cmp_ne_u32_e32 vcc, 0, v2
	s_cbranch_vccnz .LBB34_229
; %bb.226:                              ;   in Loop: Header=BB34_8 Depth=1
	s_mov_b64 s[42:43], exec
	v_readlane_b32 s10, v48, 18
	v_readlane_b32 s11, v48, 19
	s_and_b64 s[10:11], s[42:43], s[10:11]
	s_mov_b64 exec, s[10:11]
	s_cbranch_execz .LBB34_228
; %bb.227:                              ;   in Loop: Header=BB34_8 Depth=1
	v_mov_b32_e32 v2, s54
	ds_write_b32 v9, v2 offset:4100
.LBB34_228:                             ;   in Loop: Header=BB34_8 Depth=1
	s_or_b64 exec, exec, s[42:43]
	s_waitcnt lgkmcnt(0)
	s_barrier
.LBB34_229:                             ;   in Loop: Header=BB34_8 Depth=1
	s_or_b32 s10, s85, s55
	s_or_b32 s11, s84, s55
	s_mov_b64 s[42:43], 0
	s_mov_b32 s57, 8
	s_branch .LBB34_232
.LBB34_230:                             ;   in Loop: Header=BB34_8 Depth=1
	s_mov_b32 s56, 1
	s_branch .LBB34_235
.LBB34_231:                             ;   in Loop: Header=BB34_8 Depth=1
	s_mov_b64 s[42:43], -1
                                        ; implicit-def: $sgpr57
                                        ; implicit-def: $sgpr10
                                        ; implicit-def: $sgpr11
.LBB34_232:                             ;   in Loop: Header=BB34_8 Depth=1
	s_andn2_b64 vcc, exec, s[42:43]
	s_cbranch_vccnz .LBB34_234
; %bb.233:                              ;   in Loop: Header=BB34_8 Depth=1
	s_sub_i32 s56, s56, s54
	s_mov_b32 s57, 8
	s_mov_b32 s10, s85
	;; [unrolled: 1-line block ×3, first 2 shown]
.LBB34_234:                             ;   in Loop: Header=BB34_8 Depth=1
	s_mov_b32 s85, s10
	s_mov_b32 s84, s11
.LBB34_235:                             ;   in Loop: Header=BB34_8 Depth=1
	s_mov_b64 s[52:53], exec
.LBB34_236:                             ;   in Loop: Header=BB34_8 Depth=1
	s_or_b64 exec, exec, s[50:51]
.LBB34_237:                             ;   in Loop: Header=BB34_8 Depth=1
	s_andn2_b64 s[10:11], s[34:35], exec
	s_and_b64 s[12:13], s[18:19], exec
	s_or_b64 s[34:35], s[10:11], s[12:13]
	s_andn2_b64 s[10:11], s[38:39], exec
	s_and_b64 s[12:13], s[46:47], exec
	s_or_b64 s[38:39], s[10:11], s[12:13]
	;; [unrolled: 3-line block ×3, first 2 shown]
	s_and_b64 s[44:45], s[52:53], exec
	s_mov_b32 s49, s56
.LBB34_238:                             ;   in Loop: Header=BB34_8 Depth=1
	s_or_b64 exec, exec, s[40:41]
.LBB34_239:                             ;   in Loop: Header=BB34_8 Depth=1
	s_andn2_b64 s[10:11], s[26:27], exec
	s_and_b64 s[12:13], s[34:35], exec
	s_or_b64 s[26:27], s[10:11], s[12:13]
	s_andn2_b64 s[10:11], s[28:29], exec
	s_and_b64 s[12:13], s[38:39], exec
	s_or_b64 s[28:29], s[10:11], s[12:13]
	;; [unrolled: 3-line block ×3, first 2 shown]
	s_and_b64 s[36:37], s[44:45], exec
	s_mov_b32 s39, s49
.LBB34_240:                             ;   in Loop: Header=BB34_8 Depth=1
	s_or_b64 exec, exec, s[30:31]
	s_and_saveexec_b64 s[10:11], s[36:37]
	s_xor_b64 s[18:19], exec, s[10:11]
	s_cbranch_execz .LBB34_6
.LBB34_241:                             ;   in Loop: Header=BB34_8 Depth=1
	s_and_b32 s10, s57, -9
	s_cmp_eq_u32 s10, 0
	s_cbranch_scc1 .LBB34_4
; %bb.242:                              ;   in Loop: Header=BB34_8 Depth=1
	s_mov_b64 s[22:23], -1
                                        ; implicit-def: $sgpr84
                                        ; implicit-def: $sgpr39
                                        ; implicit-def: $sgpr0
                                        ; implicit-def: $sgpr1
	s_mov_b64 s[30:31], -1
	s_branch .LBB34_5
.LBB34_243:
	s_or_b64 exec, exec, s[78:79]
	s_xor_b64 s[8:9], s[64:65], -1
	s_xor_b64 s[0:1], s[60:61], -1
	;; [unrolled: 1-line block ×3, first 2 shown]
	s_mov_b64 s[4:5], 0
	s_and_saveexec_b64 s[2:3], s[0:1]
	s_xor_b64 s[2:3], exec, s[2:3]
	s_cbranch_execnz .LBB34_248
; %bb.244:
	s_andn2_saveexec_b64 s[0:1], s[2:3]
	s_cbranch_execnz .LBB34_268
.LBB34_245:
	s_or_b64 exec, exec, s[0:1]
	s_and_saveexec_b64 s[0:1], s[4:5]
.LBB34_246:
	; divergent unreachable
.LBB34_247:
	s_endpgm
.LBB34_248:
	s_and_saveexec_b64 s[0:1], s[8:9]
	s_xor_b64 s[4:5], exec, s[0:1]
	s_cbranch_execz .LBB34_266
; %bb.249:
	s_and_saveexec_b64 s[0:1], s[6:7]
	s_xor_b64 s[6:7], exec, s[0:1]
; %bb.250:
	v_xor_b32_e32 v35, 0xffff8000, v2
; %bb.251:
	s_or_b64 exec, exec, s[6:7]
	s_mov_b64 s[6:7], exec
	v_readlane_b32 s0, v48, 18
	v_readlane_b32 s1, v48, 19
	;; [unrolled: 1-line block ×4, first 2 shown]
	s_and_b64 s[0:1], s[6:7], s[0:1]
	v_readlane_b32 s18, v48, 30
	v_readlane_b32 s21, v48, 23
	;; [unrolled: 1-line block ×5, first 2 shown]
	s_mov_b64 exec, s[0:1]
	s_cbranch_execz .LBB34_253
; %bb.252:
	v_mov_b32_e32 v1, 0
	v_mov_b32_e32 v2, s68
	ds_write_b32 v1, v2 offset:4108
.LBB34_253:
	s_or_b64 exec, exec, s[6:7]
	v_mov_b32_e32 v1, 0
	s_waitcnt lgkmcnt(0)
	s_barrier
	ds_read_b32 v1, v1 offset:4108
	s_waitcnt lgkmcnt(0)
	v_min_i32_e32 v1, s68, v1
	v_cmp_lt_i32_e32 vcc, v0, v1
	s_and_saveexec_b64 s[6:7], vcc
	s_cbranch_execz .LBB34_263
; %bb.254:
	s_mov_b64 s[8:9], 0
	v_mov_b32_e32 v3, s90
                                        ; implicit-def: $sgpr10_sgpr11
                                        ; implicit-def: $sgpr14_sgpr15
                                        ; implicit-def: $sgpr12_sgpr13
	s_branch .LBB34_256
.LBB34_255:                             ;   in Loop: Header=BB34_256 Depth=1
	s_or_b64 exec, exec, s[16:17]
	s_and_b64 s[0:1], exec, s[14:15]
	s_or_b64 s[8:9], s[0:1], s[8:9]
	s_andn2_b64 s[0:1], s[10:11], exec
	s_and_b64 s[10:11], s[12:13], exec
	s_or_b64 s[10:11], s[0:1], s[10:11]
	s_andn2_b64 exec, exec, s[8:9]
	s_cbranch_execz .LBB34_258
.LBB34_256:                             ; =>This Inner Loop Header: Depth=1
	v_ashrrev_i32_e32 v7, 31, v6
	v_lshlrev_b64 v[4:5], 1, v[6:7]
	v_add_co_u32_e32 v4, vcc, s70, v4
	v_addc_co_u32_e32 v5, vcc, v3, v5, vcc
	global_load_ushort v4, v[4:5], off
	v_mov_b32_e32 v2, v0
	s_or_b64 s[12:13], s[12:13], exec
	s_or_b64 s[14:15], s[14:15], exec
                                        ; implicit-def: $vgpr0
	s_waitcnt vmcnt(0)
	v_cmp_ne_u16_e32 vcc, v4, v35
	s_and_saveexec_b64 s[16:17], vcc
	s_cbranch_execz .LBB34_255
; %bb.257:                              ;   in Loop: Header=BB34_256 Depth=1
	v_add_u32_e32 v0, s33, v2
	v_cmp_ge_i32_e32 vcc, v0, v1
	s_andn2_b64 s[0:1], s[14:15], exec
	s_and_b64 s[14:15], vcc, exec
	v_add_u32_e32 v6, s88, v6
	s_andn2_b64 s[12:13], s[12:13], exec
	s_or_b64 s[14:15], s[0:1], s[14:15]
	s_branch .LBB34_255
.LBB34_258:
	s_or_b64 exec, exec, s[8:9]
	s_and_saveexec_b64 s[0:1], s[10:11]
	s_xor_b64 s[0:1], exec, s[0:1]
	s_cbranch_execz .LBB34_263
; %bb.259:
	s_mov_b64 s[8:9], exec
	s_brev_b32 s0, -2
.LBB34_260:                             ; =>This Inner Loop Header: Depth=1
	s_ff1_i32_b64 s1, s[8:9]
	v_readlane_b32 s12, v2, s1
	s_lshl_b64 s[10:11], 1, s1
	s_min_i32 s0, s0, s12
	s_andn2_b64 s[8:9], s[8:9], s[10:11]
	s_cmp_lg_u64 s[8:9], 0
	s_cbranch_scc1 .LBB34_260
; %bb.261:
	v_mbcnt_lo_u32_b32 v0, exec_lo, 0
	v_mbcnt_hi_u32_b32 v0, exec_hi, v0
	v_cmp_eq_u32_e32 vcc, 0, v0
	s_and_saveexec_b64 s[8:9], vcc
	s_xor_b64 s[8:9], exec, s[8:9]
	s_cbranch_execz .LBB34_263
; %bb.262:
	v_mov_b32_e32 v0, 0
	v_mov_b32_e32 v1, s0
	ds_min_i32 v0, v1 offset:4108
.LBB34_263:
	s_or_b64 exec, exec, s[6:7]
	s_waitcnt lgkmcnt(0)
	s_barrier
	s_mov_b64 s[6:7], exec
	v_readlane_b32 s0, v48, 18
	v_readlane_b32 s1, v48, 19
	s_and_b64 s[0:1], s[6:7], s[0:1]
	s_mov_b64 exec, s[0:1]
	s_cbranch_execz .LBB34_265
; %bb.264:
	v_readlane_b32 s8, v48, 0
	s_mul_i32 s0, s19, s21
	v_readlane_b32 s10, v48, 2
	s_sub_i32 s0, s18, s0
	v_readlane_b32 s9, v48, 1
	v_readlane_b32 s11, v48, 3
	s_mov_b32 s14, s10
	s_mov_b64 s[12:13], s[8:9]
	s_mul_i32 s0, s0, s14
	v_readlane_b32 s1, v48, 21
	v_readlane_b32 s8, v48, 24
	;; [unrolled: 1-line block ×4, first 2 shown]
	s_xor_b32 s1, s1, s8
	s_mul_i32 s8, s14, s11
	v_readlane_b32 s9, v48, 13
	s_sub_i32 s8, s9, s8
	s_add_i32 s9, s14, 1
	s_sub_i32 s10, s8, s11
	s_cmp_ge_u32 s8, s11
	s_cselect_b32 s9, s9, s14
	s_cselect_b32 s8, s10, s8
	s_add_i32 s10, s9, 1
	s_cmp_ge_u32 s8, s11
	s_cselect_b32 s8, s10, s9
	s_xor_b32 s8, s8, s1
	s_sub_i32 s1, s8, s1
	s_mul_i32 s8, s1, s20
	s_sub_i32 s8, s19, s8
	s_mul_i32 s8, s8, s13
	s_add_i32 s0, s8, s0
	s_mul_i32 s1, s1, s12
	v_readlane_b32 s8, v48, 4
	s_add_i32 s0, s0, s1
	s_mul_i32 s1, s24, s23
	v_readlane_b32 s10, v48, 6
	s_sub_i32 s1, s18, s1
	v_readlane_b32 s9, v48, 5
	s_mov_b32 s14, s10
	s_mov_b64 s[12:13], s[8:9]
	s_mul_i32 s1, s1, s14
	v_readlane_b32 s8, v48, 26
	v_readlane_b32 s9, v48, 29
	;; [unrolled: 1-line block ×4, first 2 shown]
	s_xor_b32 s8, s8, s9
	s_mul_i32 s9, s15, s14
	v_readlane_b32 s10, v48, 16
	v_readlane_b32 s11, v48, 7
	s_sub_i32 s9, s10, s9
	s_add_i32 s10, s15, 1
	s_sub_i32 s11, s9, s14
	s_cmp_ge_u32 s9, s14
	s_cselect_b32 s10, s10, s15
	s_cselect_b32 s9, s11, s9
	s_add_i32 s11, s10, 1
	s_cmp_ge_u32 s9, s14
	s_cselect_b32 s9, s11, s10
	s_xor_b32 s9, s9, s8
	s_sub_i32 s8, s9, s8
	s_mul_i32 s9, s8, s22
	s_sub_i32 s9, s24, s9
	s_mul_i32 s9, s9, s13
	s_add_i32 s1, s9, s1
	s_mul_i32 s8, s8, s12
	s_add_i32 s8, s1, s8
	s_ashr_i32 s1, s0, 31
	v_mov_b32_e32 v2, 0
	s_lshl_b64 s[0:1], s[0:1], 1
	v_readlane_b32 s10, v48, 11
	ds_read_b32 v0, v2 offset:4108
	v_readlane_b32 s11, v48, 12
	s_add_u32 s0, s10, s0
	s_addc_u32 s1, s11, s1
	s_ashr_i32 s9, s8, 31
	s_lshl_b64 s[8:9], s[8:9], 3
	v_readlane_b32 s10, v48, 8
	v_readlane_b32 s11, v48, 9
	s_add_u32 s8, s10, s8
	s_addc_u32 s9, s11, s9
	s_waitcnt lgkmcnt(0)
	v_ashrrev_i32_e32 v1, 31, v0
	global_store_dwordx2 v2, v[0:1], s[8:9]
	global_store_short v2, v35, s[0:1]
.LBB34_265:
	s_or_b64 exec, exec, s[6:7]
.LBB34_266:
	s_or_saveexec_b64 s[0:1], s[4:5]
	s_mov_b64 s[4:5], 0
	s_xor_b64 exec, exec, s[0:1]
	s_cbranch_execnz .LBB34_269
.LBB34_267:
	s_or_b64 exec, exec, s[0:1]
	s_and_b64 s[4:5], s[4:5], exec
	s_andn2_saveexec_b64 s[0:1], s[2:3]
	s_cbranch_execz .LBB34_245
.LBB34_268:
	s_or_b64 s[4:5], s[4:5], exec
	s_trap 2
	s_or_b64 exec, exec, s[0:1]
	s_and_saveexec_b64 s[0:1], s[4:5]
	s_cbranch_execnz .LBB34_246
	s_branch .LBB34_247
.LBB34_269:
	s_mov_b64 s[4:5], exec
	s_trap 2
	s_branch .LBB34_267
	.section	.rodata,"a",@progbits
	.p2align	6, 0x0
	.amdhsa_kernel _ZN2at6native12_GLOBAL__N_114gatherKthValueIsiLi3EEEvNS_4cuda6detail10TensorInfoIKT_T0_EES8_S8_S8_S8_NS5_IS6_S8_EENS5_IlS8_EE
		.amdhsa_group_segment_fixed_size 4112
		.amdhsa_private_segment_fixed_size 0
		.amdhsa_kernarg_size 920
		.amdhsa_user_sgpr_count 6
		.amdhsa_user_sgpr_private_segment_buffer 1
		.amdhsa_user_sgpr_dispatch_ptr 0
		.amdhsa_user_sgpr_queue_ptr 0
		.amdhsa_user_sgpr_kernarg_segment_ptr 1
		.amdhsa_user_sgpr_dispatch_id 0
		.amdhsa_user_sgpr_flat_scratch_init 0
		.amdhsa_user_sgpr_kernarg_preload_length 0
		.amdhsa_user_sgpr_kernarg_preload_offset 0
		.amdhsa_user_sgpr_private_segment_size 0
		.amdhsa_uses_dynamic_stack 0
		.amdhsa_system_sgpr_private_segment_wavefront_offset 0
		.amdhsa_system_sgpr_workgroup_id_x 1
		.amdhsa_system_sgpr_workgroup_id_y 1
		.amdhsa_system_sgpr_workgroup_id_z 1
		.amdhsa_system_sgpr_workgroup_info 0
		.amdhsa_system_vgpr_workitem_id 0
		.amdhsa_next_free_vgpr 49
		.amdhsa_next_free_sgpr 96
		.amdhsa_accum_offset 52
		.amdhsa_reserve_vcc 1
		.amdhsa_reserve_flat_scratch 0
		.amdhsa_float_round_mode_32 0
		.amdhsa_float_round_mode_16_64 0
		.amdhsa_float_denorm_mode_32 3
		.amdhsa_float_denorm_mode_16_64 3
		.amdhsa_dx10_clamp 1
		.amdhsa_ieee_mode 1
		.amdhsa_fp16_overflow 0
		.amdhsa_tg_split 0
		.amdhsa_exception_fp_ieee_invalid_op 0
		.amdhsa_exception_fp_denorm_src 0
		.amdhsa_exception_fp_ieee_div_zero 0
		.amdhsa_exception_fp_ieee_overflow 0
		.amdhsa_exception_fp_ieee_underflow 0
		.amdhsa_exception_fp_ieee_inexact 0
		.amdhsa_exception_int_div_zero 0
	.end_amdhsa_kernel
	.section	.text._ZN2at6native12_GLOBAL__N_114gatherKthValueIsiLi3EEEvNS_4cuda6detail10TensorInfoIKT_T0_EES8_S8_S8_S8_NS5_IS6_S8_EENS5_IlS8_EE,"axG",@progbits,_ZN2at6native12_GLOBAL__N_114gatherKthValueIsiLi3EEEvNS_4cuda6detail10TensorInfoIKT_T0_EES8_S8_S8_S8_NS5_IS6_S8_EENS5_IlS8_EE,comdat
.Lfunc_end34:
	.size	_ZN2at6native12_GLOBAL__N_114gatherKthValueIsiLi3EEEvNS_4cuda6detail10TensorInfoIKT_T0_EES8_S8_S8_S8_NS5_IS6_S8_EENS5_IlS8_EE, .Lfunc_end34-_ZN2at6native12_GLOBAL__N_114gatherKthValueIsiLi3EEEvNS_4cuda6detail10TensorInfoIKT_T0_EES8_S8_S8_S8_NS5_IS6_S8_EENS5_IlS8_EE
                                        ; -- End function
	.section	.AMDGPU.csdata,"",@progbits
; Kernel info:
; codeLenInByte = 11044
; NumSgprs: 100
; NumVgprs: 49
; NumAgprs: 0
; TotalNumVgprs: 49
; ScratchSize: 0
; MemoryBound: 0
; FloatMode: 240
; IeeeMode: 1
; LDSByteSize: 4112 bytes/workgroup (compile time only)
; SGPRBlocks: 12
; VGPRBlocks: 6
; NumSGPRsForWavesPerEU: 100
; NumVGPRsForWavesPerEU: 49
; AccumOffset: 52
; Occupancy: 8
; WaveLimiterHint : 1
; COMPUTE_PGM_RSRC2:SCRATCH_EN: 0
; COMPUTE_PGM_RSRC2:USER_SGPR: 6
; COMPUTE_PGM_RSRC2:TRAP_HANDLER: 0
; COMPUTE_PGM_RSRC2:TGID_X_EN: 1
; COMPUTE_PGM_RSRC2:TGID_Y_EN: 1
; COMPUTE_PGM_RSRC2:TGID_Z_EN: 1
; COMPUTE_PGM_RSRC2:TIDIG_COMP_CNT: 0
; COMPUTE_PGM_RSRC3_GFX90A:ACCUM_OFFSET: 12
; COMPUTE_PGM_RSRC3_GFX90A:TG_SPLIT: 0
	.section	.text._ZN2at6native12_GLOBAL__N_114gatherKthValueIsiLin1EEEvNS_4cuda6detail10TensorInfoIKT_T0_EES8_S8_S8_S8_NS5_IS6_S8_EENS5_IlS8_EE,"axG",@progbits,_ZN2at6native12_GLOBAL__N_114gatherKthValueIsiLin1EEEvNS_4cuda6detail10TensorInfoIKT_T0_EES8_S8_S8_S8_NS5_IS6_S8_EENS5_IlS8_EE,comdat
	.globl	_ZN2at6native12_GLOBAL__N_114gatherKthValueIsiLin1EEEvNS_4cuda6detail10TensorInfoIKT_T0_EES8_S8_S8_S8_NS5_IS6_S8_EENS5_IlS8_EE ; -- Begin function _ZN2at6native12_GLOBAL__N_114gatherKthValueIsiLin1EEEvNS_4cuda6detail10TensorInfoIKT_T0_EES8_S8_S8_S8_NS5_IS6_S8_EENS5_IlS8_EE
	.p2align	8
	.type	_ZN2at6native12_GLOBAL__N_114gatherKthValueIsiLin1EEEvNS_4cuda6detail10TensorInfoIKT_T0_EES8_S8_S8_S8_NS5_IS6_S8_EENS5_IlS8_EE,@function
_ZN2at6native12_GLOBAL__N_114gatherKthValueIsiLin1EEEvNS_4cuda6detail10TensorInfoIKT_T0_EES8_S8_S8_S8_NS5_IS6_S8_EENS5_IlS8_EE: ; @_ZN2at6native12_GLOBAL__N_114gatherKthValueIsiLin1EEEvNS_4cuda6detail10TensorInfoIKT_T0_EES8_S8_S8_S8_NS5_IS6_S8_EENS5_IlS8_EE
; %bb.0:
	s_load_dwordx2 s[12:13], s[4:5], 0x298
	s_load_dwordx4 s[60:63], s[4:5], 0xd8
	s_add_u32 s10, s4, 0x298
	s_addc_u32 s11, s5, 0
	s_waitcnt lgkmcnt(0)
	s_mul_i32 s0, s13, s8
	s_add_i32 s0, s0, s7
	s_mul_i32 s0, s0, s12
	s_add_i32 s33, s0, s6
	s_cmp_ge_i32 s33, s62
	s_cbranch_scc1 .LBB35_256
; %bb.1:
	s_load_dword s0, s[4:5], 0xd0
	s_mov_b32 s3, 0
	s_mov_b32 s2, s33
	s_waitcnt lgkmcnt(0)
	s_cmp_lt_i32 s0, 2
	s_cbranch_scc1 .LBB35_4
; %bb.2:
	s_add_i32 s2, s0, -1
	s_add_i32 s7, s0, 1
	s_lshl_b64 s[0:1], s[2:3], 2
	s_add_u32 s0, s0, s4
	s_addc_u32 s1, s1, s5
	s_add_u32 s0, s0, 8
	s_addc_u32 s1, s1, 0
	s_mov_b32 s2, s33
.LBB35_3:                               ; =>This Inner Loop Header: Depth=1
	s_load_dword s8, s[0:1], 0x0
	s_load_dword s13, s[0:1], 0x64
	s_mov_b32 s9, s2
	s_abs_i32 s2, s2
	s_waitcnt lgkmcnt(0)
	s_abs_i32 s15, s8
	v_cvt_f32_u32_e32 v1, s15
	s_sub_i32 s16, 0, s15
	s_xor_b32 s14, s9, s8
	s_ashr_i32 s14, s14, 31
	v_rcp_iflag_f32_e32 v1, v1
	v_mul_f32_e32 v1, 0x4f7ffffe, v1
	v_cvt_u32_f32_e32 v1, v1
	v_readfirstlane_b32 s17, v1
	s_mul_i32 s16, s16, s17
	s_mul_hi_u32 s16, s17, s16
	s_add_i32 s17, s17, s16
	s_mul_hi_u32 s16, s2, s17
	s_mul_i32 s17, s16, s15
	s_sub_i32 s2, s2, s17
	s_add_i32 s18, s16, 1
	s_sub_i32 s17, s2, s15
	s_cmp_ge_u32 s2, s15
	s_cselect_b32 s16, s18, s16
	s_cselect_b32 s2, s17, s2
	s_add_i32 s17, s16, 1
	s_cmp_ge_u32 s2, s15
	s_cselect_b32 s2, s17, s16
	s_xor_b32 s2, s2, s14
	s_sub_i32 s2, s2, s14
	s_mul_i32 s8, s2, s8
	s_sub_i32 s8, s9, s8
	s_mul_i32 s8, s13, s8
	s_add_i32 s7, s7, -1
	s_add_i32 s3, s8, s3
	s_add_u32 s0, s0, -4
	s_addc_u32 s1, s1, -1
	s_cmp_gt_u32 s7, 2
	s_cbranch_scc1 .LBB35_3
.LBB35_4:
	s_load_dword s8, s[4:5], 0x1b8
	s_add_u32 s0, s4, 0xe8
	s_addc_u32 s1, s5, 0
	s_mov_b32 s65, 0
	s_mov_b32 s62, s33
	s_waitcnt lgkmcnt(0)
	s_cmp_lt_i32 s8, 2
	s_cbranch_scc1 .LBB35_7
; %bb.5:
	s_add_i32 s64, s8, -1
	s_add_i32 s7, s8, 1
	s_lshl_b64 s[8:9], s[64:65], 2
	s_add_u32 s8, s8, s0
	s_addc_u32 s9, s9, s1
	s_add_u32 s8, s8, 8
	s_addc_u32 s9, s9, 0
	s_mov_b32 s62, s33
.LBB35_6:                               ; =>This Inner Loop Header: Depth=1
	s_load_dword s13, s[8:9], 0x0
	s_load_dword s15, s[8:9], 0x64
	s_abs_i32 s16, s62
	s_mov_b32 s14, s62
	s_waitcnt lgkmcnt(0)
	s_abs_i32 s18, s13
	v_cvt_f32_u32_e32 v1, s18
	s_sub_i32 s19, 0, s18
	s_xor_b32 s17, s62, s13
	s_ashr_i32 s17, s17, 31
	v_rcp_iflag_f32_e32 v1, v1
	v_mul_f32_e32 v1, 0x4f7ffffe, v1
	v_cvt_u32_f32_e32 v1, v1
	v_readfirstlane_b32 s20, v1
	s_mul_i32 s19, s19, s20
	s_mul_hi_u32 s19, s20, s19
	s_add_i32 s20, s20, s19
	s_mul_hi_u32 s19, s16, s20
	s_mul_i32 s20, s19, s18
	s_sub_i32 s16, s16, s20
	s_add_i32 s21, s19, 1
	s_sub_i32 s20, s16, s18
	s_cmp_ge_u32 s16, s18
	s_cselect_b32 s19, s21, s19
	s_cselect_b32 s16, s20, s16
	s_add_i32 s20, s19, 1
	s_cmp_ge_u32 s16, s18
	s_cselect_b32 s16, s20, s19
	s_xor_b32 s16, s16, s17
	s_sub_i32 s62, s16, s17
	s_mul_i32 s13, s62, s13
	s_sub_i32 s13, s14, s13
	s_mul_i32 s13, s15, s13
	s_add_i32 s7, s7, -1
	s_add_i32 s65, s13, s65
	s_add_u32 s8, s8, -4
	s_addc_u32 s9, s9, -1
	s_cmp_gt_u32 s7, 2
	s_cbranch_scc1 .LBB35_6
.LBB35_7:
	s_load_dword s7, s[4:5], 0x6c
	s_load_dword s14, s[4:5], 0x290
	s_add_u32 s8, s4, 0x1c0
	s_addc_u32 s9, s5, 0
	s_mov_b32 s67, 0
	s_waitcnt lgkmcnt(0)
	s_cmp_lt_i32 s14, 2
	s_cbranch_scc1 .LBB35_10
; %bb.8:
	s_add_i32 s66, s14, -1
	s_add_i32 s13, s14, 1
	s_lshl_b64 s[14:15], s[66:67], 2
	s_add_u32 s8, s14, s8
	s_addc_u32 s9, s15, s9
	s_add_u32 s8, s8, 8
	s_addc_u32 s9, s9, 0
.LBB35_9:                               ; =>This Inner Loop Header: Depth=1
	s_load_dword s14, s[8:9], 0x0
	s_load_dword s16, s[8:9], 0x64
	s_abs_i32 s17, s33
	s_mov_b32 s15, s33
	s_waitcnt lgkmcnt(0)
	s_abs_i32 s19, s14
	v_cvt_f32_u32_e32 v1, s19
	s_sub_i32 s20, 0, s19
	s_xor_b32 s18, s33, s14
	s_ashr_i32 s18, s18, 31
	v_rcp_iflag_f32_e32 v1, v1
	v_mul_f32_e32 v1, 0x4f7ffffe, v1
	v_cvt_u32_f32_e32 v1, v1
	v_readfirstlane_b32 s21, v1
	s_mul_i32 s20, s20, s21
	s_mul_hi_u32 s20, s21, s20
	s_add_i32 s21, s21, s20
	s_mul_hi_u32 s20, s17, s21
	s_mul_i32 s21, s20, s19
	s_sub_i32 s17, s17, s21
	s_add_i32 s22, s20, 1
	s_sub_i32 s21, s17, s19
	s_cmp_ge_u32 s17, s19
	s_cselect_b32 s20, s22, s20
	s_cselect_b32 s17, s21, s17
	s_add_i32 s21, s20, 1
	s_cmp_ge_u32 s17, s19
	s_cselect_b32 s17, s21, s20
	s_xor_b32 s17, s17, s18
	s_sub_i32 s33, s17, s18
	s_mul_i32 s14, s33, s14
	s_sub_i32 s14, s15, s14
	s_mul_i32 s14, s16, s14
	s_add_i32 s13, s13, -1
	s_add_i32 s67, s14, s67
	s_add_u32 s8, s8, -4
	s_addc_u32 s9, s9, -1
	s_cmp_gt_u32 s13, 2
	s_cbranch_scc1 .LBB35_9
.LBB35_10:
	s_load_dword s0, s[0:1], 0x6c
                                        ; implicit-def: $vgpr48 : SGPR spill to VGPR lane
	s_waitcnt lgkmcnt(0)
	v_writelane_b32 v48, s0, 0
	s_load_dwordx2 s[8:9], s[4:5], 0x0
	s_load_dwordx2 s[0:1], s[4:5], 0xe8
	s_waitcnt lgkmcnt(0)
	v_writelane_b32 v48, s0, 1
	v_writelane_b32 v48, s1, 2
	s_load_dwordx2 s[0:1], s[4:5], 0x1c0
	s_waitcnt lgkmcnt(0)
	v_writelane_b32 v48, s0, 3
	v_writelane_b32 v48, s1, 4
	s_mov_b32 s0, 0
	v_writelane_b32 v48, s0, 5
	v_writelane_b32 v48, s1, 6
	v_cmp_eq_u32_e64 s[0:1], 0, v0
	s_mov_b64 s[14:15], exec
	v_writelane_b32 v48, s0, 7
	v_writelane_b32 v48, s1, 8
	s_and_b64 s[0:1], s[14:15], s[0:1]
	s_mov_b64 exec, s[0:1]
	s_cbranch_execz .LBB35_12
; %bb.11:
	v_mov_b32_e32 v2, 0
	v_mov_b32_e32 v3, s60
	;; [unrolled: 1-line block ×3, first 2 shown]
	ds_write_b96 v2, v[2:4] offset:4096
.LBB35_12:
	s_or_b64 exec, exec, s[14:15]
	s_load_dword s0, s[4:5], 0x22c
	s_waitcnt lgkmcnt(0)
	s_barrier
	v_mbcnt_lo_u32_b32 v1, -1, 0
	v_writelane_b32 v48, s0, 9
	s_mul_i32 s0, s7, s2
	s_load_dword s2, s[10:11], 0xc
	s_add_i32 s0, s0, s3
	s_ashr_i32 s1, s0, 31
	s_lshl_b64 s[0:1], s[0:1], 1
	s_add_u32 s64, s8, s0
	s_addc_u32 s80, s9, s1
	s_waitcnt lgkmcnt(0)
	s_and_b32 s66, s2, 0xffff
	v_mbcnt_hi_u32_b32 v13, -1, v1
	s_bfe_u32 s7, s2, 0xa0006
	v_cmp_gt_u32_e32 vcc, 64, v0
	v_cmp_gt_i32_e64 s[2:3], 4, v13
	s_add_i32 s0, s66, -1
	s_lshl_b32 s81, s66, 2
	s_and_b64 s[74:75], vcc, s[2:3]
	s_add_i32 s17, s0, s60
	s_cmpk_gt_i32 s60, 0x600
	v_writelane_b32 v48, s0, 10
	s_cselect_b64 s[0:1], -1, 0
	v_writelane_b32 v48, s0, 11
	s_cmp_gt_u32 s66, 63
	v_writelane_b32 v48, s1, 12
	s_cselect_b64 s[0:1], -1, 0
	v_writelane_b32 v48, s0, 13
	s_cmp_lt_u32 s6, s12
	v_writelane_b32 v48, s1, 14
	s_cselect_b32 s0, 12, 18
	s_add_u32 s0, s10, s0
	s_addc_u32 s1, s11, 0
	v_writelane_b32 v48, s0, 15
	v_writelane_b32 v48, s1, 16
	s_add_i32 s0, s7, -2
	s_lshr_b32 s1, s0, 1
	s_add_i32 s1, s1, 1
	s_cmpk_gt_u32 s66, 0x7f
	s_cselect_b64 s[2:3], -1, 0
	v_writelane_b32 v48, s2, 17
	v_mov_b32_e32 v9, 0
	v_writelane_b32 v48, s3, 18
	v_cmp_gt_u32_e64 s[4:5], 2, v0
	v_writelane_b32 v48, s4, 19
	v_mul_lo_u32 v6, v0, s63
	v_mov_b32_e32 v7, v9
	v_writelane_b32 v48, s5, 20
	v_lshlrev_b64 v[2:3], 1, v[6:7]
	v_cmp_gt_u32_e64 s[8:9], s60, v0
	v_mov_b32_e32 v7, s80
	v_add_co_u32_e32 v10, vcc, s64, v2
	v_writelane_b32 v48, s8, 21
	v_addc_co_u32_e32 v11, vcc, v7, v3, vcc
	v_writelane_b32 v48, s9, 22
	v_cmp_gt_i32_e64 s[8:9], s60, v0
	v_lshlrev_b64 v[2:3], v13, -1
	v_writelane_b32 v48, s8, 23
	v_not_b32_e32 v12, v2
	v_cvt_f32_u32_e32 v2, s81
	v_writelane_b32 v48, s9, 24
	s_and_b32 s6, s7, 0x3fe
	s_and_b32 s8, s1, 7
	s_cmp_gt_u32 s0, 13
	s_cselect_b64 s[10:11], -1, 0
	v_writelane_b32 v48, s10, 25
	v_rcp_iflag_f32_e32 v2, v2
	v_writelane_b32 v48, s11, 26
	s_and_b32 s0, s1, -8
	v_writelane_b32 v48, s0, 27
	s_cmp_lg_u32 s8, 0
	v_writelane_b32 v48, s8, 28
	s_cselect_b64 s[0:1], -1, 0
	v_writelane_b32 v48, s0, 29
	v_mul_f32_e32 v2, 0x4f7ffffe, v2
	v_writelane_b32 v48, s1, 30
	v_cvt_u32_f32_e32 v2, v2
	v_writelane_b32 v48, s7, 31
	s_cmp_lg_u32 s6, s7
	v_writelane_b32 v48, s6, 32
	s_cselect_b64 s[0:1], -1, 0
	v_writelane_b32 v48, s0, 33
	v_writelane_b32 v48, s1, 34
	s_sub_i32 s0, 0, s81
	v_readfirstlane_b32 s1, v2
	s_mul_i32 s0, s0, s1
	s_mul_hi_u32 s0, s1, s0
	s_add_i32 s72, s1, s0
	s_mul_hi_u32 s0, s60, s72
	s_mul_i32 s0, s0, s81
	s_sub_i32 s0, s60, s0
	s_sub_i32 s1, s0, s81
	s_cmp_ge_u32 s0, s81
	s_cselect_b32 s0, s1, s0
	s_sub_i32 s1, s0, s81
	v_cvt_f32_u32_e32 v5, s66
	s_cmp_ge_u32 s0, s81
	s_cselect_b32 s6, s1, s0
	s_sub_i32 s9, s60, s6
	v_add_u32_e32 v25, s9, v0
	v_rcp_iflag_f32_e32 v5, v5
	v_lshrrev_b32_e32 v1, 4, v0
	v_mul_lo_u32 v2, v25, s63
	v_and_b32_e32 v23, 60, v1
	v_not_b32_e32 v1, v3
	v_ashrrev_i32_e32 v3, 31, v2
	v_lshlrev_b64 v[2:3], 1, v[2:3]
	v_add_co_u32_e32 v14, vcc, s64, v2
	v_mul_f32_e32 v2, 0x4f7ffffe, v5
	v_lshlrev_b32_e32 v20, 2, v0
	v_cvt_u32_f32_e32 v2, v2
	v_cmp_gt_i32_e64 s[0:1], s9, v20
	v_writelane_b32 v48, s0, 35
	v_writelane_b32 v48, s1, 36
	v_cmp_gt_u32_e64 s[0:1], s60, v25
	v_writelane_b32 v48, s0, 37
	s_sub_i32 s7, 0, s66
	v_readfirstlane_b32 s8, v2
	v_writelane_b32 v48, s1, 38
	v_cmp_gt_i32_e64 s[0:1], s60, v25
	s_mul_i32 s7, s7, s8
	v_writelane_b32 v48, s0, 39
	s_mul_hi_u32 s7, s8, s7
	v_writelane_b32 v48, s1, 40
	s_abs_i32 s1, s17
	s_add_i32 s4, s8, s7
	s_mul_hi_u32 s7, s1, s4
	s_mul_i32 s7, s7, s66
	s_sub_i32 s1, s1, s7
	s_ashr_i32 s0, s17, 31
	s_sub_i32 s7, s1, s66
	s_cmp_ge_u32 s1, s66
	s_cselect_b32 s1, s7, s1
	s_sub_i32 s7, s1, s66
	s_cmp_ge_u32 s1, s66
	s_cselect_b32 s1, s7, s1
	s_xor_b32 s1, s1, s0
	s_sub_i32 s0, s0, s1
	v_mul_lo_u32 v2, s63, v20
	s_add_i32 s17, s17, s0
	v_add_u32_e32 v26, s63, v2
	v_or_b32_e32 v2, 2, v20
	v_writelane_b32 v48, s4, 41
	v_cmp_gt_i32_e64 s[0:1], s17, v0
	v_mul_lo_u32 v27, s63, v2
	v_or_b32_e32 v2, 3, v20
	s_add_i32 s7, s66, s60
	v_writelane_b32 v48, s0, 42
	v_mul_lo_u32 v28, s63, v2
	v_add_u32_e32 v2, s7, v0
	v_lshlrev_b32_e32 v21, 1, v0
	v_lshlrev_b32_e32 v4, 2, v13
	v_mov_b32_e32 v8, s80
	v_writelane_b32 v48, s1, 43
	s_mul_i32 s0, s63, s66
	v_subrev_u32_e32 v2, s6, v2
	v_cmp_eq_u32_e64 s[2:3], 0, v13
	v_add_u32_e32 v22, 0xc00, v21
	v_and_b32_e32 v24, 0x100, v4
	v_addc_co_u32_e32 v15, vcc, v8, v3, vcc
	s_lshl_b32 s1, s0, 2
	v_lshlrev_b32_e32 v29, 2, v6
	v_mul_lo_u32 v30, s63, v2
	v_lshlrev_b32_e32 v31, 3, v0
	s_lshl_b32 s16, s66, 3
	s_lshl_b32 s76, s66, 1
	v_or_b32_e32 v32, 0xc00, v4
	s_mov_b32 s78, 14
	s_mov_b64 s[90:91], 0
	s_mov_b32 s77, 0x8000
	v_mov_b32_e32 v33, 0xc00
	v_mov_b32_e32 v34, 0x5040100
	;; [unrolled: 1-line block ×3, first 2 shown]
	s_mov_b32 s79, 0
	s_mov_b32 s11, 0
	;; [unrolled: 1-line block ×3, first 2 shown]
                                        ; implicit-def: $sgpr92_sgpr93
                                        ; implicit-def: $sgpr68_sgpr69
                                        ; implicit-def: $sgpr94_sgpr95
                                        ; implicit-def: $sgpr70_sgpr71
                                        ; implicit-def: $sgpr84_sgpr85
                                        ; implicit-def: $sgpr86_sgpr87
	s_branch .LBB35_17
.LBB35_13:                              ;   in Loop: Header=BB35_17 Depth=1
	s_xor_b32 s79, s79, 1
	s_add_i32 s8, s78, -2
	s_cmp_eq_u32 s78, 0
	s_mov_b64 s[18:19], 0
	s_cselect_b64 s[22:23], -1, 0
	s_mov_b32 s78, s8
.LBB35_14:                              ;   in Loop: Header=BB35_17 Depth=1
	s_andn2_b64 s[12:13], s[26:27], exec
	s_and_b64 s[14:15], s[18:19], exec
	s_or_b64 s[26:27], s[12:13], s[14:15]
	s_andn2_b64 s[28:29], s[28:29], exec
	s_andn2_b64 s[24:25], s[24:25], exec
	s_orn2_b64 s[22:23], s[22:23], exec
	s_mov_b32 s61, s37
.LBB35_15:                              ;   in Loop: Header=BB35_17 Depth=1
	s_or_b64 exec, exec, s[6:7]
	s_andn2_b64 s[6:7], s[86:87], exec
	s_and_b64 s[12:13], s[26:27], exec
	s_or_b64 s[86:87], s[6:7], s[12:13]
	s_andn2_b64 s[6:7], s[84:85], exec
	s_and_b64 s[12:13], s[28:29], exec
	s_or_b64 s[84:85], s[6:7], s[12:13]
	;; [unrolled: 3-line block ×3, first 2 shown]
	s_orn2_b64 s[22:23], s[22:23], exec
.LBB35_16:                              ;   in Loop: Header=BB35_17 Depth=1
	s_or_b64 exec, exec, s[20:21]
	s_and_b64 s[6:7], exec, s[22:23]
	s_or_b64 s[90:91], s[6:7], s[90:91]
	s_andn2_b64 s[6:7], s[94:95], exec
	s_and_b64 s[12:13], s[86:87], exec
	s_or_b64 s[94:95], s[6:7], s[12:13]
	s_andn2_b64 s[6:7], s[68:69], exec
	s_and_b64 s[12:13], s[84:85], exec
	;; [unrolled: 3-line block ×3, first 2 shown]
	v_mov_b32_e32 v2, s11
	s_or_b64 s[92:93], s[6:7], s[12:13]
	s_andn2_b64 exec, exec, s[90:91]
	s_cbranch_execz .LBB35_252
.LBB35_17:                              ; =>This Loop Header: Depth=1
                                        ;     Child Loop BB35_22 Depth 2
                                        ;     Child Loop BB35_41 Depth 2
	;; [unrolled: 1-line block ×17, first 2 shown]
	ds_read_b64 v[2:3], v9 offset:4096
	s_waitcnt lgkmcnt(0)
	v_readfirstlane_b32 s73, v2
	s_cmp_gt_i32 s73, 0
	s_cbranch_scc1 .LBB35_48
; %bb.18:                               ;   in Loop: Header=BB35_17 Depth=1
	v_readlane_b32 s6, v48, 11
	v_readlane_b32 s7, v48, 12
	s_and_b64 vcc, exec, s[6:7]
	s_cbranch_vccz .LBB35_30
; %bb.19:                               ;   in Loop: Header=BB35_17 Depth=1
	s_movk_i32 s4, 0x601
	v_cmp_gt_i32_e32 vcc, s4, v3
	s_mov_b64 s[6:7], 0
	s_mov_b64 s[18:19], 0
	s_cbranch_vccz .LBB35_35
; %bb.20:                               ;   in Loop: Header=BB35_17 Depth=1
	v_readlane_b32 s12, v48, 15
	v_readlane_b32 s13, v48, 16
	s_nop 4
	global_load_ushort v2, v9, s[12:13]
	global_load_ushort v4, v[10:11], off
	s_mov_b64 s[20:21], 0
	s_waitcnt vmcnt(1)
	v_add_u32_e32 v5, v0, v2
	v_mul_lo_u32 v3, s63, v2
	v_mul_lo_u32 v8, s63, v5
	v_mov_b32_e32 v5, v0
	s_branch .LBB35_22
.LBB35_21:                              ;   in Loop: Header=BB35_22 Depth=2
	s_or_b64 exec, exec, s[18:19]
	v_cmp_le_i32_e32 vcc, s60, v5
	v_add_u32_e32 v8, v8, v3
	s_or_b64 s[20:21], vcc, s[20:21]
	v_mov_b32_e32 v4, v16
	s_andn2_b64 exec, exec, s[20:21]
	s_cbranch_execz .LBB35_31
.LBB35_22:                              ;   Parent Loop BB35_17 Depth=1
                                        ; =>  This Inner Loop Header: Depth=2
	v_add_u32_e32 v5, v5, v2
	v_cmp_gt_u32_e32 vcc, s60, v5
	s_waitcnt lgkmcnt(0)
	v_mov_b32_e32 v17, 0
	v_mov_b32_e32 v16, 0
	s_and_saveexec_b64 s[18:19], vcc
	s_cbranch_execz .LBB35_24
; %bb.23:                               ;   in Loop: Header=BB35_22 Depth=2
	v_lshlrev_b64 v[18:19], 1, v[8:9]
	v_add_co_u32_e32 v18, vcc, s64, v18
	v_addc_co_u32_e32 v19, vcc, v7, v19, vcc
	global_load_ushort v16, v[18:19], off
.LBB35_24:                              ;   in Loop: Header=BB35_22 Depth=2
	s_or_b64 exec, exec, s[18:19]
	s_waitcnt vmcnt(0)
	v_add_u32_sdwa v18, sext(v4), s77 dst_sel:DWORD dst_unused:UNUSED_PAD src0_sel:WORD_0 src1_sel:DWORD
	v_and_b32_e32 v18, s10, v18
	v_cmp_eq_u32_e32 vcc, s11, v18
	s_cmp_lg_u64 vcc, 0
	s_cselect_b64 s[12:13], -1, 0
	s_and_b64 s[12:13], s[2:3], s[12:13]
	s_and_saveexec_b64 s[22:23], s[12:13]
	s_cbranch_execz .LBB35_28
; %bb.25:                               ;   in Loop: Header=BB35_22 Depth=2
	s_mov_b64 s[26:27], exec
	v_mbcnt_lo_u32_b32 v17, s26, 0
	v_mbcnt_hi_u32_b32 v17, s27, v17
	s_bcnt1_i32_b64 s8, vcc
	v_cmp_eq_u32_e64 s[18:19], 0, v17
                                        ; implicit-def: $vgpr18
	s_and_saveexec_b64 s[24:25], s[18:19]
	s_cbranch_execz .LBB35_27
; %bb.26:                               ;   in Loop: Header=BB35_22 Depth=2
	s_bcnt1_i32_b64 s12, s[26:27]
	s_mul_i32 s12, s8, s12
	v_mov_b32_e32 v18, s12
	ds_add_rtn_u32 v18, v9, v18 offset:4104
.LBB35_27:                              ;   in Loop: Header=BB35_22 Depth=2
	s_or_b64 exec, exec, s[24:25]
	s_waitcnt lgkmcnt(0)
	v_readfirstlane_b32 s12, v18
	v_mov_b32_e32 v18, s12
	v_mad_u32_u24 v17, s8, v17, v18
.LBB35_28:                              ;   in Loop: Header=BB35_22 Depth=2
	s_or_b64 exec, exec, s[22:23]
	ds_bpermute_b32 v17, v24, v17
	s_and_saveexec_b64 s[18:19], vcc
	s_cbranch_execz .LBB35_21
; %bb.29:                               ;   in Loop: Header=BB35_22 Depth=2
	v_and_b32_e32 v19, vcc_lo, v12
	v_and_b32_e32 v18, vcc_hi, v1
	v_bcnt_u32_b32 v19, v19, 0
	v_bcnt_u32_b32 v18, v18, v19
	v_lshlrev_b32_e32 v18, 1, v18
	s_waitcnt lgkmcnt(0)
	v_lshl_add_u32 v17, v17, 1, v18
	ds_write_b16 v17, v4
	s_branch .LBB35_21
.LBB35_30:                              ;   in Loop: Header=BB35_17 Depth=1
	s_mov_b64 s[6:7], -1
	s_mov_b64 s[18:19], 0
	s_branch .LBB35_34
.LBB35_31:                              ;   in Loop: Header=BB35_17 Depth=1
	s_or_b64 exec, exec, s[20:21]
	s_waitcnt lgkmcnt(0)
	s_barrier
	s_mov_b64 s[18:19], exec
	v_readlane_b32 s12, v48, 7
	v_readlane_b32 s13, v48, 8
	s_and_b64 s[12:13], s[18:19], s[12:13]
	s_mov_b64 exec, s[12:13]
	s_cbranch_execz .LBB35_33
; %bb.32:                               ;   in Loop: Header=BB35_17 Depth=1
	ds_read_b32 v2, v9 offset:4104
	s_waitcnt lgkmcnt(0)
	ds_write_b32 v9, v2 offset:4096
.LBB35_33:                              ;   in Loop: Header=BB35_17 Depth=1
	s_or_b64 exec, exec, s[18:19]
	s_waitcnt lgkmcnt(0)
	s_barrier
	s_mov_b64 s[18:19], -1
.LBB35_34:                              ;   in Loop: Header=BB35_17 Depth=1
                                        ; implicit-def: $sgpr73
.LBB35_35:                              ;   in Loop: Header=BB35_17 Depth=1
	s_and_b64 vcc, exec, s[6:7]
	s_cbranch_vccz .LBB35_46
; %bb.36:                               ;   in Loop: Header=BB35_17 Depth=1
	v_mov_b32_e32 v2, 0
	s_mov_b64 s[6:7], exec
	v_readlane_b32 s12, v48, 21
	v_readlane_b32 s13, v48, 22
	s_and_b64 s[12:13], s[6:7], s[12:13]
	s_mov_b64 exec, s[12:13]
	s_cbranch_execz .LBB35_38
; %bb.37:                               ;   in Loop: Header=BB35_17 Depth=1
	global_load_ushort v2, v[10:11], off
.LBB35_38:                              ;   in Loop: Header=BB35_17 Depth=1
	s_or_b64 exec, exec, s[6:7]
	s_mov_b64 s[6:7], exec
	v_readlane_b32 s12, v48, 23
	v_readlane_b32 s13, v48, 24
	s_and_b64 s[12:13], s[6:7], s[12:13]
	s_mov_b64 exec, s[12:13]
	s_cbranch_execz .LBB35_43
; %bb.39:                               ;   in Loop: Header=BB35_17 Depth=1
	v_readlane_b32 s12, v48, 15
	v_readlane_b32 s13, v48, 16
	s_mov_b64 s[18:19], 0
	v_mov_b32_e32 v4, v21
	v_mov_b32_e32 v17, v0
	s_nop 1
	global_load_ushort v3, v9, s[12:13]
	s_waitcnt vmcnt(0)
	v_add_u32_e32 v8, v0, v3
	v_lshlrev_b32_e32 v5, 1, v3
	v_mul_lo_u32 v16, s63, v3
	v_mul_lo_u32 v8, s63, v8
	s_branch .LBB35_41
.LBB35_40:                              ;   in Loop: Header=BB35_41 Depth=2
	s_or_b64 exec, exec, s[20:21]
	v_cmp_le_i32_e32 vcc, s60, v17
	ds_write_b16 v4, v2
	v_add_u32_e32 v4, v4, v5
	v_add_u32_e32 v8, v8, v16
	s_or_b64 s[18:19], vcc, s[18:19]
	s_waitcnt vmcnt(0)
	v_mov_b32_e32 v2, v18
	s_andn2_b64 exec, exec, s[18:19]
	s_cbranch_execz .LBB35_43
.LBB35_41:                              ;   Parent Loop BB35_17 Depth=1
                                        ; =>  This Inner Loop Header: Depth=2
	v_add_u32_e32 v17, v17, v3
	v_cmp_gt_u32_e32 vcc, s60, v17
	v_mov_b32_e32 v18, 0
	s_and_saveexec_b64 s[20:21], vcc
	s_cbranch_execz .LBB35_40
; %bb.42:                               ;   in Loop: Header=BB35_41 Depth=2
	v_lshlrev_b64 v[18:19], 1, v[8:9]
	v_mov_b32_e32 v36, s80
	v_add_co_u32_e32 v18, vcc, s64, v18
	v_addc_co_u32_e32 v19, vcc, v36, v19, vcc
	global_load_ushort v18, v[18:19], off
	s_branch .LBB35_40
.LBB35_43:                              ;   in Loop: Header=BB35_17 Depth=1
	s_or_b64 exec, exec, s[6:7]
	s_waitcnt lgkmcnt(0)
	s_barrier
	s_mov_b64 s[6:7], exec
	v_readlane_b32 s12, v48, 7
	v_readlane_b32 s13, v48, 8
	s_and_b64 s[12:13], s[6:7], s[12:13]
	s_mov_b64 exec, s[12:13]
	s_cbranch_execz .LBB35_45
; %bb.44:                               ;   in Loop: Header=BB35_17 Depth=1
	s_waitcnt vmcnt(0)
	v_mov_b32_e32 v2, s60
	ds_write_b32 v9, v2 offset:4096
.LBB35_45:                              ;   in Loop: Header=BB35_17 Depth=1
	s_or_b64 exec, exec, s[6:7]
	s_mov_b64 s[18:19], -1
	s_waitcnt lgkmcnt(0)
	s_barrier
                                        ; implicit-def: $sgpr73
.LBB35_46:                              ;   in Loop: Header=BB35_17 Depth=1
	s_and_b64 vcc, exec, s[18:19]
	s_cbranch_vccz .LBB35_48
; %bb.47:                               ;   in Loop: Header=BB35_17 Depth=1
	s_waitcnt vmcnt(0)
	ds_read_b32 v2, v9 offset:4096
	s_waitcnt lgkmcnt(0)
	v_readfirstlane_b32 s73, v2
.LBB35_48:                              ;   in Loop: Header=BB35_17 Depth=1
	s_cmp_lt_i32 s73, 1
	s_cbranch_scc0 .LBB35_60
; %bb.49:                               ;   in Loop: Header=BB35_17 Depth=1
	s_waitcnt vmcnt(0)
	v_mov_b32_e32 v2, 0
	v_readlane_b32 s4, v48, 35
	s_mov_b32 s6, 0
	v_mov_b32_e32 v3, 0
	v_mov_b32_e32 v4, v2
	;; [unrolled: 1-line block ×3, first 2 shown]
	v_readlane_b32 s5, v48, 36
	s_and_saveexec_b64 s[88:89], s[4:5]
	s_cbranch_execz .LBB35_53
; %bb.50:                               ;   in Loop: Header=BB35_17 Depth=1
	s_and_b32 s7, s78, 0xfe
	s_mov_b64 s[82:83], 0
	s_mov_b32 s12, 0
	s_mov_b32 s13, 0
	s_mov_b32 s14, 0
	s_mov_b32 s15, 0
	v_mov_b32_e32 v8, v20
.LBB35_51:                              ;   Parent Loop BB35_17 Depth=1
                                        ; =>  This Inner Loop Header: Depth=2
	v_add_u32_e32 v2, s6, v29
	v_ashrrev_i32_e32 v3, 31, v2
	v_add_u32_e32 v4, s6, v26
	v_lshlrev_b64 v[2:3], 1, v[2:3]
	v_mov_b32_e32 v36, s80
	v_ashrrev_i32_e32 v5, 31, v4
	v_add_co_u32_e64 v2, s[18:19], s64, v2
	v_add_u32_e32 v16, s6, v27
	v_lshlrev_b64 v[4:5], 1, v[4:5]
	v_addc_co_u32_e64 v3, s[18:19], v36, v3, s[18:19]
	v_ashrrev_i32_e32 v17, 31, v16
	v_add_co_u32_e64 v4, s[18:19], s64, v4
	v_add_u32_e32 v18, s6, v28
	v_lshlrev_b64 v[16:17], 1, v[16:17]
	v_addc_co_u32_e64 v5, s[18:19], v36, v5, s[18:19]
	v_ashrrev_i32_e32 v19, 31, v18
	v_add_co_u32_e64 v16, s[18:19], s64, v16
	v_lshlrev_b64 v[18:19], 1, v[18:19]
	v_addc_co_u32_e64 v17, s[18:19], v36, v17, s[18:19]
	v_add_co_u32_e64 v18, s[18:19], s64, v18
	v_addc_co_u32_e64 v19, s[18:19], v36, v19, s[18:19]
	global_load_sshort v2, v[2:3], off
	s_nop 0
	global_load_sshort v3, v[4:5], off
	s_nop 0
	global_load_sshort v4, v[16:17], off
	global_load_sshort v5, v[18:19], off
	v_add_u32_e32 v8, s81, v8
	s_add_i32 s6, s6, s1
	v_cmp_le_i32_e32 vcc, s9, v8
	s_waitcnt vmcnt(3)
	v_add_u32_e32 v2, 0x8000, v2
	s_waitcnt vmcnt(2)
	v_add_u32_e32 v3, 0x8000, v3
	v_and_b32_e32 v16, s10, v2
	v_bfe_u32 v2, v2, s7, 2
	s_waitcnt vmcnt(1)
	v_add_u32_e32 v4, 0x8000, v4
	v_and_b32_e32 v17, s10, v3
	v_bfe_u32 v3, v3, s7, 2
	v_cmp_eq_u32_e64 s[18:19], s11, v16
	v_cmp_eq_u32_e64 s[26:27], 0, v2
	s_waitcnt vmcnt(0)
	v_add_u32_e32 v5, 0x8000, v5
	v_and_b32_e32 v18, s10, v4
	v_bfe_u32 v4, v4, s7, 2
	v_cmp_eq_u32_e64 s[20:21], s11, v17
	v_cmp_eq_u32_e64 s[28:29], 0, v3
	s_and_b64 s[26:27], s[18:19], s[26:27]
	v_and_b32_e32 v19, s10, v5
	v_bfe_u32 v5, v5, s7, 2
	v_cmp_eq_u32_e64 s[22:23], s11, v18
	v_cmp_eq_u32_e64 s[30:31], 0, v4
	;; [unrolled: 1-line block ×5, first 2 shown]
	v_cndmask_b32_e64 v2, 0, 1, s[26:27]
	s_and_b64 s[26:27], s[20:21], s[28:29]
	v_cmp_eq_u32_e64 s[24:25], s11, v19
	v_cmp_eq_u32_e64 s[34:35], 0, v5
	v_cmp_eq_u32_e64 s[38:39], 1, v3
	v_cmp_eq_u32_e64 s[46:47], 2, v3
	v_cmp_eq_u32_e64 s[54:55], 3, v3
	v_cndmask_b32_e64 v3, 0, 1, s[26:27]
	s_and_b64 s[26:27], s[22:23], s[30:31]
	v_cmp_eq_u32_e64 s[40:41], 1, v4
	v_cmp_eq_u32_e64 s[48:49], 2, v4
	;; [unrolled: 1-line block ×3, first 2 shown]
	v_cndmask_b32_e64 v4, 0, 1, s[26:27]
	s_and_b64 s[26:27], s[24:25], s[34:35]
	v_cmp_eq_u32_e64 s[42:43], 1, v5
	v_cmp_eq_u32_e64 s[50:51], 2, v5
	;; [unrolled: 1-line block ×3, first 2 shown]
	v_cndmask_b32_e64 v5, 0, 1, s[26:27]
	s_and_b64 s[26:27], s[18:19], s[36:37]
	v_cndmask_b32_e64 v16, 0, 1, s[26:27]
	s_and_b64 s[26:27], s[20:21], s[38:39]
	;; [unrolled: 2-line block ×5, first 2 shown]
	s_and_b64 s[18:19], s[18:19], s[52:53]
	v_cndmask_b32_e64 v36, 0, 1, s[26:27]
	s_and_b64 s[26:27], s[20:21], s[46:47]
	v_cndmask_b32_e64 v40, 0, 1, s[18:19]
	;; [unrolled: 2-line block ×7, first 2 shown]
	v_cndmask_b32_e64 v43, 0, 1, s[18:19]
	v_cmp_ne_u32_e64 s[18:19], 0, v2
	v_cmp_ne_u32_e64 s[20:21], 0, v3
	;; [unrolled: 1-line block ×11, first 2 shown]
	s_bcnt1_i32_b64 s8, s[18:19]
	s_bcnt1_i32_b64 s18, s[20:21]
	;; [unrolled: 1-line block ×8, first 2 shown]
	v_cmp_ne_u32_e64 s[40:41], 0, v38
	v_cmp_ne_u32_e64 s[48:49], 0, v42
	s_bcnt1_i32_b64 s23, s[30:31]
	s_bcnt1_i32_b64 s26, s[38:39]
	;; [unrolled: 1-line block ×3, first 2 shown]
	s_add_i32 s8, s15, s8
	s_add_i32 s14, s14, s21
	;; [unrolled: 1-line block ×4, first 2 shown]
	v_cmp_ne_u32_e64 s[34:35], 0, v19
	v_cmp_ne_u32_e64 s[42:43], 0, v39
	;; [unrolled: 1-line block ×3, first 2 shown]
	s_bcnt1_i32_b64 s27, s[40:41]
	s_bcnt1_i32_b64 s31, s[48:49]
	s_add_i32 s8, s8, s18
	s_add_i32 s14, s14, s22
	;; [unrolled: 1-line block ×4, first 2 shown]
	s_bcnt1_i32_b64 s24, s[34:35]
	s_bcnt1_i32_b64 s28, s[42:43]
	;; [unrolled: 1-line block ×3, first 2 shown]
	s_add_i32 s8, s8, s19
	s_add_i32 s14, s14, s23
	s_add_i32 s13, s13, s27
	s_add_i32 s12, s12, s31
	s_add_i32 s15, s8, s20
	s_add_i32 s14, s14, s24
	s_add_i32 s13, s13, s28
	s_add_i32 s12, s12, s34
	s_or_b64 s[82:83], vcc, s[82:83]
	v_mov_b32_e32 v2, s15
	v_mov_b32_e32 v3, s14
	;; [unrolled: 1-line block ×4, first 2 shown]
	s_andn2_b64 exec, exec, s[82:83]
	s_cbranch_execnz .LBB35_51
; %bb.52:                               ;   in Loop: Header=BB35_17 Depth=1
	s_or_b64 exec, exec, s[82:83]
.LBB35_53:                              ;   in Loop: Header=BB35_17 Depth=1
	s_or_b64 exec, exec, s[88:89]
	v_readlane_b32 s4, v48, 37
	v_mov_b32_e32 v8, 0
	v_readlane_b32 s5, v48, 38
	s_and_saveexec_b64 s[6:7], s[4:5]
	s_cbranch_execz .LBB35_55
; %bb.54:                               ;   in Loop: Header=BB35_17 Depth=1
	global_load_ushort v8, v[14:15], off
.LBB35_55:                              ;   in Loop: Header=BB35_17 Depth=1
	s_or_b64 exec, exec, s[6:7]
	v_readlane_b32 s4, v48, 39
	s_mov_b64 s[6:7], 0
	s_mov_b64 s[88:89], 0
	v_readlane_b32 s5, v48, 40
	s_and_saveexec_b64 s[20:21], s[4:5]
	s_cbranch_execz .LBB35_62
; %bb.56:                               ;   in Loop: Header=BB35_17 Depth=1
	s_and_b32 s8, s78, 0xfe
	s_mov_b64 s[22:23], 0
	v_mov_b32_e32 v16, v30
	v_mov_b32_e32 v18, v25
	s_branch .LBB35_58
.LBB35_57:                              ;   in Loop: Header=BB35_58 Depth=2
	s_or_b64 exec, exec, s[18:19]
	s_waitcnt vmcnt(0)
	v_add_u32_sdwa v8, sext(v8), s77 dst_sel:DWORD dst_unused:UNUSED_PAD src0_sel:WORD_0 src1_sel:DWORD
	v_and_b32_e32 v19, s10, v8
	v_bfe_u32 v8, v8, s8, 2
	v_cmp_eq_u32_e32 vcc, s11, v19
	v_cmp_eq_u32_e64 s[18:19], 0, v8
	s_and_b64 s[12:13], vcc, s[18:19]
	v_cndmask_b32_e64 v19, 0, 1, s[12:13]
	v_cmp_ne_u32_e64 s[18:19], 0, v19
	s_bcnt1_i32_b64 s12, s[18:19]
	v_cmp_eq_u32_e64 s[18:19], 1, v8
	v_add_u32_e32 v2, s12, v2
	s_and_b64 s[12:13], vcc, s[18:19]
	v_cndmask_b32_e64 v19, 0, 1, s[12:13]
	v_cmp_ne_u32_e64 s[18:19], 0, v19
	s_bcnt1_i32_b64 s12, s[18:19]
	v_cmp_eq_u32_e64 s[18:19], 2, v8
	v_add_u32_e32 v3, s12, v3
	;; [unrolled: 6-line block ×3, first 2 shown]
	s_and_b64 s[12:13], vcc, s[18:19]
	v_cndmask_b32_e64 v8, 0, 1, s[12:13]
	v_cmp_ne_u32_e32 vcc, 0, v8
	s_bcnt1_i32_b64 s12, vcc
	v_cmp_le_i32_e32 vcc, s60, v18
	v_add_u32_e32 v5, s12, v5
	v_add_u32_e32 v16, s0, v16
	s_or_b64 s[22:23], vcc, s[22:23]
	v_mov_b32_e32 v8, v17
	s_andn2_b64 exec, exec, s[22:23]
	s_cbranch_execz .LBB35_61
.LBB35_58:                              ;   Parent Loop BB35_17 Depth=1
                                        ; =>  This Inner Loop Header: Depth=2
	v_add_u32_e32 v18, s66, v18
	v_cmp_gt_u32_e32 vcc, s60, v18
	v_mov_b32_e32 v17, 0
	s_and_saveexec_b64 s[18:19], vcc
	s_cbranch_execz .LBB35_57
; %bb.59:                               ;   in Loop: Header=BB35_58 Depth=2
	v_ashrrev_i32_e32 v17, 31, v16
	v_lshlrev_b64 v[36:37], 1, v[16:17]
	v_mov_b32_e32 v17, s80
	v_add_co_u32_e32 v36, vcc, s64, v36
	v_addc_co_u32_e32 v37, vcc, v17, v37, vcc
	global_load_ushort v17, v[36:37], off
	s_branch .LBB35_57
.LBB35_60:                              ;   in Loop: Header=BB35_17 Depth=1
	s_mov_b64 s[88:89], 0
                                        ; implicit-def: $vgpr5
	s_cbranch_execnz .LBB35_63
	s_branch .LBB35_72
.LBB35_61:                              ;   in Loop: Header=BB35_17 Depth=1
	s_or_b64 exec, exec, s[22:23]
	s_mov_b64 s[88:89], exec
.LBB35_62:                              ;   in Loop: Header=BB35_17 Depth=1
	s_or_b64 exec, exec, s[20:21]
	s_and_b64 vcc, exec, s[6:7]
	s_cbranch_vccz .LBB35_72
.LBB35_63:                              ;   in Loop: Header=BB35_17 Depth=1
	s_mul_hi_u32 s6, s73, s72
	s_mul_i32 s6, s6, s81
	s_sub_i32 s6, s73, s6
	s_sub_i32 s7, s6, s81
	s_cmp_ge_u32 s6, s81
	s_cselect_b32 s6, s7, s6
	s_sub_i32 s7, s6, s81
	s_cmp_ge_u32 s6, s81
	s_cselect_b32 s6, s7, s6
	s_sub_i32 s12, s73, s6
	v_cmp_gt_u32_e32 vcc, s12, v20
	s_mov_b32 s14, 0
	s_waitcnt vmcnt(0)
	v_mov_b32_e32 v2, 0
	v_mov_b32_e32 v3, 0
	;; [unrolled: 1-line block ×4, first 2 shown]
	s_and_saveexec_b64 s[82:83], vcc
	s_cbranch_execz .LBB35_67
; %bb.64:                               ;   in Loop: Header=BB35_17 Depth=1
	s_mov_b32 s4, s72
	s_and_b32 s13, s78, 0xfe
	s_mov_b64 s[6:7], 0
	v_mov_b32_e32 v8, v31
	s_mov_b32 s15, 0
	s_mov_b32 s8, 0
	;; [unrolled: 1-line block ×3, first 2 shown]
	v_mov_b32_e32 v16, v20
.LBB35_65:                              ;   Parent Loop BB35_17 Depth=1
                                        ; =>  This Inner Loop Header: Depth=2
	ds_read_b64 v[2:3], v8
	v_add_u32_e32 v16, s81, v16
	v_cmp_le_i32_e32 vcc, s12, v16
	v_add_u32_e32 v8, s16, v8
	s_waitcnt lgkmcnt(0)
	v_add_u32_sdwa v4, sext(v2), s77 dst_sel:DWORD dst_unused:UNUSED_PAD src0_sel:WORD_0 src1_sel:DWORD
	v_add_u32_sdwa v2, sext(v2), s77 dst_sel:DWORD dst_unused:UNUSED_PAD src0_sel:WORD_1 src1_sel:DWORD
	v_and_b32_e32 v17, s10, v4
	v_bfe_u32 v4, v4, s13, 2
	v_add_u32_sdwa v5, sext(v3), s77 dst_sel:DWORD dst_unused:UNUSED_PAD src0_sel:WORD_0 src1_sel:DWORD
	v_and_b32_e32 v18, s10, v2
	v_bfe_u32 v2, v2, s13, 2
	v_cmp_eq_u32_e64 s[18:19], s11, v17
	v_cmp_eq_u32_e64 s[26:27], 0, v4
	v_add_u32_sdwa v3, sext(v3), s77 dst_sel:DWORD dst_unused:UNUSED_PAD src0_sel:WORD_1 src1_sel:DWORD
	v_and_b32_e32 v19, s10, v5
	v_bfe_u32 v5, v5, s13, 2
	v_cmp_eq_u32_e64 s[20:21], s11, v18
	v_cmp_eq_u32_e64 s[28:29], 0, v2
	s_and_b64 s[26:27], s[18:19], s[26:27]
	v_and_b32_e32 v36, s10, v3
	v_bfe_u32 v3, v3, s13, 2
	v_cmp_eq_u32_e64 s[22:23], s11, v19
	v_cmp_eq_u32_e64 s[30:31], 0, v5
	;; [unrolled: 1-line block ×5, first 2 shown]
	v_cndmask_b32_e64 v2, 0, 1, s[26:27]
	s_and_b64 s[26:27], s[20:21], s[28:29]
	v_cmp_eq_u32_e64 s[24:25], s11, v36
	v_cmp_eq_u32_e64 s[34:35], 0, v3
	;; [unrolled: 1-line block ×5, first 2 shown]
	v_cndmask_b32_e64 v3, 0, 1, s[26:27]
	s_and_b64 s[26:27], s[22:23], s[30:31]
	v_cmp_eq_u32_e64 s[36:37], 1, v4
	v_cmp_eq_u32_e64 s[44:45], 2, v4
	;; [unrolled: 1-line block ×3, first 2 shown]
	v_cndmask_b32_e64 v4, 0, 1, s[26:27]
	s_and_b64 s[26:27], s[24:25], s[34:35]
	v_cmp_eq_u32_e64 s[40:41], 1, v5
	v_cmp_eq_u32_e64 s[48:49], 2, v5
	;; [unrolled: 1-line block ×3, first 2 shown]
	v_cndmask_b32_e64 v5, 0, 1, s[26:27]
	s_and_b64 s[26:27], s[18:19], s[36:37]
	v_cndmask_b32_e64 v17, 0, 1, s[26:27]
	s_and_b64 s[26:27], s[20:21], s[38:39]
	;; [unrolled: 2-line block ×5, first 2 shown]
	s_and_b64 s[18:19], s[18:19], s[52:53]
	v_cndmask_b32_e64 v37, 0, 1, s[26:27]
	s_and_b64 s[26:27], s[20:21], s[46:47]
	v_cndmask_b32_e64 v41, 0, 1, s[18:19]
	;; [unrolled: 2-line block ×7, first 2 shown]
	v_cndmask_b32_e64 v44, 0, 1, s[18:19]
	v_cmp_ne_u32_e64 s[18:19], 0, v2
	v_cmp_ne_u32_e64 s[20:21], 0, v3
	;; [unrolled: 1-line block ×11, first 2 shown]
	s_bcnt1_i32_b64 s18, s[18:19]
	s_bcnt1_i32_b64 s19, s[20:21]
	;; [unrolled: 1-line block ×8, first 2 shown]
	v_cmp_ne_u32_e64 s[34:35], 0, v36
	v_cmp_ne_u32_e64 s[40:41], 0, v39
	;; [unrolled: 1-line block ×3, first 2 shown]
	s_bcnt1_i32_b64 s23, s[28:29]
	s_bcnt1_i32_b64 s27, s[38:39]
	;; [unrolled: 1-line block ×3, first 2 shown]
	s_add_i32 s18, s72, s18
	s_add_i32 s8, s8, s22
	;; [unrolled: 1-line block ×4, first 2 shown]
	v_cmp_ne_u32_e64 s[42:43], 0, v40
	v_cmp_ne_u32_e64 s[50:51], 0, v44
	s_bcnt1_i32_b64 s25, s[34:35]
	s_bcnt1_i32_b64 s28, s[40:41]
	;; [unrolled: 1-line block ×3, first 2 shown]
	s_add_i32 s18, s18, s19
	s_add_i32 s8, s8, s23
	;; [unrolled: 1-line block ×4, first 2 shown]
	s_bcnt1_i32_b64 s29, s[42:43]
	s_bcnt1_i32_b64 s35, s[50:51]
	s_add_i32 s18, s18, s20
	s_add_i32 s8, s8, s24
	;; [unrolled: 1-line block ×8, first 2 shown]
	s_or_b64 s[6:7], vcc, s[6:7]
	v_mov_b32_e32 v2, s72
	v_mov_b32_e32 v3, s8
	;; [unrolled: 1-line block ×4, first 2 shown]
	s_andn2_b64 exec, exec, s[6:7]
	s_cbranch_execnz .LBB35_65
; %bb.66:                               ;   in Loop: Header=BB35_17 Depth=1
	s_or_b64 exec, exec, s[6:7]
	s_mov_b32 s72, s4
.LBB35_67:                              ;   in Loop: Header=BB35_17 Depth=1
	s_or_b64 exec, exec, s[82:83]
	v_add_u32_e32 v8, s12, v0
	v_cmp_gt_i32_e32 vcc, s73, v8
	s_and_saveexec_b64 s[6:7], vcc
	s_cbranch_execz .LBB35_71
; %bb.68:                               ;   in Loop: Header=BB35_17 Depth=1
	s_and_b32 s8, s78, 0xfe
	v_lshlrev_b32_e32 v16, 1, v8
	s_mov_b64 s[28:29], 0
.LBB35_69:                              ;   Parent Loop BB35_17 Depth=1
                                        ; =>  This Inner Loop Header: Depth=2
	ds_read_i16 v17, v16
	v_add_u32_e32 v8, s66, v8
	v_cmp_le_i32_e32 vcc, s73, v8
	v_add_u32_e32 v16, s76, v16
	s_waitcnt lgkmcnt(0)
	v_add_u32_e32 v17, 0x8000, v17
	v_and_b32_e32 v18, s10, v17
	v_bfe_u32 v17, v17, s8, 2
	v_cmp_eq_u32_e64 s[18:19], s11, v18
	v_cmp_eq_u32_e64 s[20:21], 0, v17
	;; [unrolled: 1-line block ×3, first 2 shown]
	s_and_b64 s[12:13], s[18:19], s[20:21]
	v_cmp_eq_u32_e64 s[24:25], 2, v17
	v_cmp_eq_u32_e64 s[26:27], 3, v17
	v_cndmask_b32_e64 v17, 0, 1, s[12:13]
	s_and_b64 s[12:13], s[18:19], s[22:23]
	v_cndmask_b32_e64 v18, 0, 1, s[12:13]
	s_and_b64 s[12:13], s[18:19], s[24:25]
	;; [unrolled: 2-line block ×3, first 2 shown]
	v_cndmask_b32_e64 v36, 0, 1, s[12:13]
	v_cmp_ne_u32_e64 s[18:19], 0, v17
	v_cmp_ne_u32_e64 s[20:21], 0, v18
	;; [unrolled: 1-line block ×4, first 2 shown]
	s_bcnt1_i32_b64 s12, s[18:19]
	s_bcnt1_i32_b64 s13, s[20:21]
	;; [unrolled: 1-line block ×4, first 2 shown]
	v_add_u32_e32 v2, s12, v2
	v_add_u32_e32 v3, s13, v3
	;; [unrolled: 1-line block ×3, first 2 shown]
	s_or_b64 s[28:29], vcc, s[28:29]
	v_add_u32_e32 v5, s15, v5
	s_andn2_b64 exec, exec, s[28:29]
	s_cbranch_execnz .LBB35_69
; %bb.70:                               ;   in Loop: Header=BB35_17 Depth=1
	s_or_b64 exec, exec, s[28:29]
	s_or_b64 s[88:89], s[88:89], exec
.LBB35_71:                              ;   in Loop: Header=BB35_17 Depth=1
	s_or_b64 exec, exec, s[6:7]
.LBB35_72:                              ;   in Loop: Header=BB35_17 Depth=1
	s_and_saveexec_b64 s[6:7], s[88:89]
	s_or_b64 exec, exec, s[6:7]
	s_lshl_b32 s8, s79, 6
	s_and_saveexec_b64 s[6:7], s[2:3]
	s_cbranch_execz .LBB35_74
; %bb.73:                               ;   in Loop: Header=BB35_17 Depth=1
	s_waitcnt vmcnt(0)
	v_or_b32_e32 v8, s8, v23
	v_lshlrev_b32_e32 v8, 2, v8
	ds_write_b128 v8, v[2:5] offset:3072
.LBB35_74:                              ;   in Loop: Header=BB35_17 Depth=1
	s_or_b64 exec, exec, s[6:7]
	s_waitcnt lgkmcnt(0)
	s_barrier
	s_and_saveexec_b64 s[6:7], s[74:75]
	s_cbranch_execz .LBB35_88
; %bb.75:                               ;   in Loop: Header=BB35_17 Depth=1
	v_readlane_b32 s12, v48, 13
	v_readlane_b32 s13, v48, 14
	v_add_u32_e32 v4, s8, v13
	s_andn2_b64 vcc, exec, s[12:13]
	s_waitcnt vmcnt(0)
	v_mov_b32_e32 v2, 0
	s_cbranch_vccnz .LBB35_87
; %bb.76:                               ;   in Loop: Header=BB35_17 Depth=1
	v_readlane_b32 s14, v48, 17
	v_readlane_b32 s15, v48, 18
	s_mov_b32 s12, 0
	s_and_b64 vcc, exec, s[14:15]
	v_mov_b32_e32 v2, 0
	s_cbranch_vccz .LBB35_80
; %bb.77:                               ;   in Loop: Header=BB35_17 Depth=1
	v_readlane_b32 s12, v48, 25
	v_readlane_b32 s18, v48, 5
	;; [unrolled: 1-line block ×3, first 2 shown]
	v_lshl_add_u32 v5, v4, 2, v33
	v_readlane_b32 s19, v48, 6
	s_andn2_b64 vcc, exec, s[12:13]
	s_cbranch_vccnz .LBB35_81
; %bb.78:                               ;   in Loop: Header=BB35_17 Depth=1
	v_writelane_b32 v48, s18, 5
	v_writelane_b32 v48, s19, 6
	s_mov_b32 s19, 1
	s_mov_b32 s18, 0
	v_mov_b32_e32 v2, 0
	v_readlane_b32 s12, v48, 27
	v_mov_b32_e32 v3, 0
.LBB35_79:                              ;   Parent Loop BB35_17 Depth=1
                                        ; =>  This Inner Loop Header: Depth=2
	v_lshl_add_u32 v8, s18, 4, v5
	v_lshl_add_u32 v46, s19, 4, v5
	ds_read2_b32 v[16:17], v8 offset1:8
	ds_read2_b32 v[18:19], v46 offset1:8
	ds_read2_b32 v[36:37], v8 offset0:16 offset1:24
	ds_read2_b32 v[38:39], v46 offset0:16 offset1:24
	;; [unrolled: 1-line block ×6, first 2 shown]
	s_waitcnt lgkmcnt(7)
	v_add3_u32 v2, v16, v2, v17
	s_waitcnt lgkmcnt(6)
	v_add3_u32 v3, v18, v3, v19
	s_waitcnt lgkmcnt(4)
	v_add3_u32 v3, v38, v3, v39
	v_add3_u32 v2, v36, v2, v37
	s_add_i32 s19, s19, 16
	s_add_i32 s18, s18, 16
	s_add_i32 s12, s12, -8
	s_waitcnt lgkmcnt(3)
	v_add3_u32 v2, v40, v2, v41
	s_waitcnt lgkmcnt(2)
	v_add3_u32 v3, v42, v3, v43
	s_cmp_lg_u32 s12, 0
	s_waitcnt lgkmcnt(0)
	v_add3_u32 v3, v46, v3, v47
	v_add3_u32 v2, v44, v2, v45
	s_cbranch_scc1 .LBB35_79
	s_branch .LBB35_82
.LBB35_80:                              ;   in Loop: Header=BB35_17 Depth=1
	s_cbranch_execnz .LBB35_85
	s_branch .LBB35_87
.LBB35_81:                              ;   in Loop: Header=BB35_17 Depth=1
	s_mov_b32 s12, s18
	s_mov_b32 s19, s18
	v_writelane_b32 v48, s12, 5
	v_pk_mov_b32 v[2:3], s[18:19], s[18:19] op_sel:[0,1]
	s_mov_b32 s19, 1
	v_writelane_b32 v48, s13, 6
.LBB35_82:                              ;   in Loop: Header=BB35_17 Depth=1
	v_readlane_b32 s12, v48, 29
	v_readlane_b32 s13, v48, 30
	s_andn2_b64 vcc, exec, s[12:13]
	v_readlane_b32 s12, v48, 28
	s_cbranch_vccnz .LBB35_84
.LBB35_83:                              ;   Parent Loop BB35_17 Depth=1
                                        ; =>  This Inner Loop Header: Depth=2
	v_lshl_add_u32 v8, s18, 4, v5
	v_lshl_add_u32 v16, s19, 4, v5
	ds_read_b32 v16, v16
	ds_read_b32 v8, v8
	s_add_i32 s19, s19, 2
	s_add_i32 s18, s18, 2
	s_add_i32 s12, s12, -1
	s_cmp_lg_u32 s12, 0
	s_waitcnt lgkmcnt(1)
	v_add_u32_e32 v3, v16, v3
	s_waitcnt lgkmcnt(0)
	v_add_u32_e32 v2, v8, v2
	s_cbranch_scc1 .LBB35_83
.LBB35_84:                              ;   in Loop: Header=BB35_17 Depth=1
	v_readlane_b32 s18, v48, 33
	v_add_u32_e32 v2, v2, v3
	v_readlane_b32 s12, v48, 32
	v_readlane_b32 s19, v48, 34
	s_and_b64 vcc, exec, s[18:19]
	s_cbranch_vccz .LBB35_87
.LBB35_85:                              ;   in Loop: Header=BB35_17 Depth=1
	s_lshl_b32 s13, s79, 8
	s_lshl_b32 s14, s12, 4
	s_add_i32 s13, s13, s14
	v_add_u32_e32 v3, s13, v32
	v_readlane_b32 s13, v48, 31
	s_sub_i32 s12, s13, s12
.LBB35_86:                              ;   Parent Loop BB35_17 Depth=1
                                        ; =>  This Inner Loop Header: Depth=2
	ds_read_b32 v5, v3
	s_add_i32 s12, s12, -1
	v_add_u32_e32 v3, 16, v3
	s_cmp_eq_u32 s12, 0
	s_waitcnt lgkmcnt(0)
	v_add_u32_e32 v2, v5, v2
	s_cbranch_scc0 .LBB35_86
.LBB35_87:                              ;   in Loop: Header=BB35_17 Depth=1
	v_lshlrev_b32_e32 v3, 2, v4
	ds_write_b32 v3, v2 offset:3072
.LBB35_88:                              ;   in Loop: Header=BB35_17 Depth=1
	s_or_b64 exec, exec, s[6:7]
	s_lshl_b32 s6, s8, 2
	s_waitcnt vmcnt(0)
	v_mov_b32_e32 v2, s6
	s_waitcnt lgkmcnt(0)
	s_barrier
	ds_read_b128 v[2:5], v2 offset:3072
	s_and_b32 s45, s78, 0xfe
	s_lshl_b32 s53, 3, s45
	s_not_b32 s46, s53
	s_mov_b64 s[22:23], -1
	s_waitcnt lgkmcnt(0)
	v_readfirstlane_b32 s30, v2
	s_cmp_eq_u32 s30, 1
	s_cselect_b64 s[6:7], -1, 0
	s_cmp_eq_u32 s61, 1
	s_cselect_b64 s[12:13], -1, 0
	s_and_b64 s[24:25], s[6:7], s[12:13]
	v_readfirstlane_b32 s36, v3
	v_readfirstlane_b32 s44, v4
	;; [unrolled: 1-line block ×3, first 2 shown]
	s_and_b64 vcc, exec, s[24:25]
	s_cbranch_vccz .LBB35_100
; %bb.89:                               ;   in Loop: Header=BB35_17 Depth=1
	ds_read_b32 v2, v9 offset:4096
	v_readlane_b32 s4, v48, 19
	v_readlane_b32 s5, v48, 20
	s_waitcnt lgkmcnt(0)
	s_barrier
	v_readfirstlane_b32 s8, v2
	s_and_saveexec_b64 s[6:7], s[4:5]
	s_cbranch_execz .LBB35_91
; %bb.90:                               ;   in Loop: Header=BB35_17 Depth=1
	ds_write_b16 v22, v9
.LBB35_91:                              ;   in Loop: Header=BB35_17 Depth=1
	s_or_b64 exec, exec, s[6:7]
	s_and_b32 s11, s11, s46
	s_or_b32 s10, s10, s53
	s_cmp_lt_i32 s8, 1
	s_waitcnt lgkmcnt(0)
	s_barrier
	s_cbranch_scc0 .LBB35_101
; %bb.92:                               ;   in Loop: Header=BB35_17 Depth=1
	v_readlane_b32 s4, v48, 42
	s_mov_b64 s[6:7], 0
	v_readlane_b32 s5, v48, 43
                                        ; implicit-def: $vgpr35
	s_and_saveexec_b64 s[20:21], s[4:5]
	s_cbranch_execz .LBB35_103
; %bb.93:                               ;   in Loop: Header=BB35_17 Depth=1
	v_mov_b32_e32 v2, v6
	v_mov_b32_e32 v4, v0
                                        ; implicit-def: $sgpr26_sgpr27
	s_branch .LBB35_95
.LBB35_94:                              ;   in Loop: Header=BB35_95 Depth=2
	s_or_b64 exec, exec, s[18:19]
	s_waitcnt lgkmcnt(0)
	s_barrier
	s_waitcnt vmcnt(0)
	ds_read_b32 v3, v9 offset:3072
	v_add_u32_e32 v4, s66, v4
	v_cmp_le_i32_e64 s[18:19], s17, v4
	v_add_u32_e32 v2, s0, v2
	s_waitcnt lgkmcnt(0)
	v_cmp_ne_u16_e32 vcc, 0, v3
	s_or_b64 s[12:13], s[18:19], vcc
	s_and_b64 s[12:13], exec, s[12:13]
	s_or_b64 s[6:7], s[12:13], s[6:7]
	s_andn2_b64 s[12:13], s[26:27], exec
	s_and_b64 s[14:15], vcc, exec
	s_or_b64 s[26:27], s[12:13], s[14:15]
	s_barrier
	s_andn2_b64 exec, exec, s[6:7]
	s_cbranch_execz .LBB35_102
.LBB35_95:                              ;   Parent Loop BB35_17 Depth=1
                                        ; =>  This Inner Loop Header: Depth=2
	v_cmp_gt_i32_e32 vcc, s60, v4
	v_mov_b32_e32 v3, 0
	s_and_saveexec_b64 s[28:29], vcc
	s_cbranch_execz .LBB35_97
; %bb.96:                               ;   in Loop: Header=BB35_95 Depth=2
	v_ashrrev_i32_e32 v3, 31, v2
	v_lshlrev_b64 v[16:17], 1, v[2:3]
	v_mov_b32_e32 v3, s80
	v_add_co_u32_e64 v16, s[18:19], s64, v16
	v_addc_co_u32_e64 v17, s[18:19], v3, v17, s[18:19]
	global_load_ushort v3, v[16:17], off
.LBB35_97:                              ;   in Loop: Header=BB35_95 Depth=2
	s_or_b64 exec, exec, s[28:29]
	s_and_saveexec_b64 s[18:19], vcc
	s_cbranch_execz .LBB35_94
; %bb.98:                               ;   in Loop: Header=BB35_95 Depth=2
	s_waitcnt vmcnt(0)
	v_add_u32_sdwa v5, sext(v3), s77 dst_sel:DWORD dst_unused:UNUSED_PAD src0_sel:WORD_0 src1_sel:DWORD
	v_and_b32_e32 v5, s10, v5
	v_cmp_eq_u32_e32 vcc, s11, v5
	s_and_b64 exec, exec, vcc
	s_cbranch_execz .LBB35_94
; %bb.99:                               ;   in Loop: Header=BB35_95 Depth=2
	v_perm_b32 v3, v3, 1, v34
	ds_write_b32 v9, v3 offset:3072
	s_branch .LBB35_94
.LBB35_100:                             ;   in Loop: Header=BB35_17 Depth=1
	s_mov_b64 s[6:7], -1
                                        ; implicit-def: $sgpr18_sgpr19
                                        ; implicit-def: $sgpr26_sgpr27
                                        ; implicit-def: $sgpr20_sgpr21
	s_branch .LBB35_114
.LBB35_101:                             ;   in Loop: Header=BB35_17 Depth=1
	s_mov_b64 s[18:19], -1
	s_mov_b64 s[6:7], 0
                                        ; implicit-def: $sgpr20_sgpr21
                                        ; implicit-def: $vgpr35
	s_mov_b64 s[26:27], s[18:19]
	s_cbranch_execnz .LBB35_104
	s_branch .LBB35_114
.LBB35_102:                             ;   in Loop: Header=BB35_17 Depth=1
	s_or_b64 exec, exec, s[6:7]
	v_lshrrev_b32_e32 v35, 16, v3
	s_and_b64 s[6:7], s[26:27], exec
.LBB35_103:                             ;   in Loop: Header=BB35_17 Depth=1
	s_or_b64 exec, exec, s[20:21]
	s_mov_b64 s[20:21], -1
	s_mov_b64 s[18:19], 0
	s_mov_b64 s[26:27], s[18:19]
	s_branch .LBB35_114
.LBB35_104:                             ;   in Loop: Header=BB35_17 Depth=1
	v_readlane_b32 s6, v48, 10
	s_add_i32 s12, s8, s6
	s_abs_i32 s7, s12
	v_readlane_b32 s4, v48, 41
	s_mul_hi_u32 s13, s7, s4
	s_mul_i32 s13, s13, s66
	s_sub_i32 s7, s7, s13
	s_ashr_i32 s6, s12, 31
	s_sub_i32 s13, s7, s66
	s_cmp_ge_u32 s7, s66
	s_cselect_b32 s7, s13, s7
	s_sub_i32 s13, s7, s66
	s_cmp_ge_u32 s7, s66
	s_cselect_b32 s7, s13, s7
	s_xor_b32 s7, s7, s6
	s_sub_i32 s6, s6, s7
	s_add_i32 s12, s12, s6
	v_cmp_gt_i32_e32 vcc, s12, v0
	s_mov_b64 s[6:7], 0
                                        ; implicit-def: $vgpr35
	s_and_saveexec_b64 s[20:21], vcc
	s_cbranch_execz .LBB35_113
; %bb.105:                              ;   in Loop: Header=BB35_17 Depth=1
	v_mov_b32_e32 v2, v21
	v_mov_b32_e32 v3, v0
                                        ; implicit-def: $sgpr26_sgpr27
	s_branch .LBB35_107
.LBB35_106:                             ;   in Loop: Header=BB35_107 Depth=2
	s_or_b64 exec, exec, s[18:19]
	s_waitcnt lgkmcnt(0)
	s_barrier
	ds_read_b32 v4, v9 offset:3072
	v_add_u32_e32 v3, s66, v3
	v_cmp_le_i32_e64 s[18:19], s12, v3
	v_add_u32_e32 v2, s76, v2
	s_waitcnt lgkmcnt(0)
	v_cmp_ne_u16_e32 vcc, 0, v4
	s_or_b64 s[14:15], s[18:19], vcc
	s_and_b64 s[14:15], exec, s[14:15]
	s_or_b64 s[6:7], s[14:15], s[6:7]
	s_andn2_b64 s[14:15], s[26:27], exec
	s_and_b64 s[18:19], vcc, exec
	s_or_b64 s[26:27], s[14:15], s[18:19]
	s_barrier
	s_andn2_b64 exec, exec, s[6:7]
	s_cbranch_execz .LBB35_112
.LBB35_107:                             ;   Parent Loop BB35_17 Depth=1
                                        ; =>  This Inner Loop Header: Depth=2
	v_cmp_gt_i32_e32 vcc, s8, v3
	v_mov_b32_e32 v4, 0
	s_and_saveexec_b64 s[18:19], vcc
	s_cbranch_execz .LBB35_109
; %bb.108:                              ;   in Loop: Header=BB35_107 Depth=2
	ds_read_u16 v4, v2
.LBB35_109:                             ;   in Loop: Header=BB35_107 Depth=2
	s_or_b64 exec, exec, s[18:19]
	s_and_saveexec_b64 s[18:19], vcc
	s_cbranch_execz .LBB35_106
; %bb.110:                              ;   in Loop: Header=BB35_107 Depth=2
	s_waitcnt lgkmcnt(0)
	v_add_u32_sdwa v5, sext(v4), s77 dst_sel:DWORD dst_unused:UNUSED_PAD src0_sel:WORD_0 src1_sel:DWORD
	v_and_b32_e32 v5, s10, v5
	v_cmp_eq_u32_e32 vcc, s11, v5
	s_and_b64 exec, exec, vcc
	s_cbranch_execz .LBB35_106
; %bb.111:                              ;   in Loop: Header=BB35_107 Depth=2
	v_perm_b32 v4, v4, 1, v34
	ds_write_b32 v9, v4 offset:3072
	s_branch .LBB35_106
.LBB35_112:                             ;   in Loop: Header=BB35_17 Depth=1
	s_or_b64 exec, exec, s[6:7]
	v_lshrrev_b32_e32 v35, 16, v4
	s_and_b64 s[6:7], s[26:27], exec
.LBB35_113:                             ;   in Loop: Header=BB35_17 Depth=1
	s_or_b64 exec, exec, s[20:21]
	s_mov_b64 s[26:27], -1
	s_mov_b64 s[18:19], 0
	s_mov_b64 s[20:21], 0
.LBB35_114:                             ;   in Loop: Header=BB35_17 Depth=1
	s_andn2_b64 s[12:13], s[86:87], exec
	s_and_b64 s[14:15], s[18:19], exec
	s_or_b64 s[86:87], s[12:13], s[14:15]
	s_andn2_b64 s[12:13], s[84:85], exec
	s_and_b64 s[14:15], s[26:27], exec
	s_or_b64 s[84:85], s[12:13], s[14:15]
	;; [unrolled: 3-line block ×3, first 2 shown]
	s_and_saveexec_b64 s[20:21], s[6:7]
	s_cbranch_execz .LBB35_16
; %bb.115:                              ;   in Loop: Header=BB35_17 Depth=1
	s_xor_b64 s[12:13], s[24:25], -1
	s_mov_b64 s[6:7], 0
	s_andn2_b64 vcc, exec, s[12:13]
	s_mov_b32 s37, 1
	s_cbranch_vccnz .LBB35_126
; %bb.116:                              ;   in Loop: Header=BB35_17 Depth=1
	s_cmp_gt_i32 s61, s30
	s_mov_b64 s[6:7], -1
                                        ; implicit-def: $sgpr55
                                        ; implicit-def: $sgpr8
                                        ; implicit-def: $sgpr12
	s_cbranch_scc1 .LBB35_122
; %bb.117:                              ;   in Loop: Header=BB35_17 Depth=1
	ds_read_b32 v2, v9 offset:4096
	s_waitcnt lgkmcnt(0)
	v_cmp_ne_u32_e32 vcc, 0, v2
	s_cbranch_vccnz .LBB35_121
; %bb.118:                              ;   in Loop: Header=BB35_17 Depth=1
	s_mov_b64 s[6:7], exec
	v_readlane_b32 s12, v48, 7
	v_readlane_b32 s13, v48, 8
	s_and_b64 s[12:13], s[6:7], s[12:13]
	s_mov_b64 exec, s[12:13]
	s_cbranch_execz .LBB35_120
; %bb.119:                              ;   in Loop: Header=BB35_17 Depth=1
	v_mov_b32_e32 v2, s30
	ds_write_b32 v9, v2 offset:4100
.LBB35_120:                             ;   in Loop: Header=BB35_17 Depth=1
	s_or_b64 exec, exec, s[6:7]
	s_waitcnt lgkmcnt(0)
	s_barrier
.LBB35_121:                             ;   in Loop: Header=BB35_17 Depth=1
	s_and_b32 s8, s11, s46
	s_or_b32 s12, s10, s53
	s_mov_b64 s[6:7], 0
	s_mov_b32 s55, 8
.LBB35_122:                             ;   in Loop: Header=BB35_17 Depth=1
	s_andn2_b64 vcc, exec, s[6:7]
	s_cbranch_vccnz .LBB35_124
; %bb.123:                              ;   in Loop: Header=BB35_17 Depth=1
	s_sub_i32 s61, s61, s30
	s_mov_b64 s[6:7], -1
	s_mov_b32 s55, 0
	s_mov_b32 s8, s11
	;; [unrolled: 1-line block ×3, first 2 shown]
.LBB35_124:                             ;   in Loop: Header=BB35_17 Depth=1
	s_mov_b32 s10, s12
	s_mov_b32 s11, s8
	;; [unrolled: 1-line block ×3, first 2 shown]
	s_mov_b64 s[22:23], -1
	s_and_b64 vcc, exec, s[6:7]
	s_cbranch_vccnz .LBB35_127
.LBB35_125:                             ;   in Loop: Header=BB35_17 Depth=1
	s_mov_b64 s[18:19], -1
                                        ; implicit-def: $sgpr24_sgpr25
                                        ; implicit-def: $sgpr28_sgpr29
                                        ; implicit-def: $sgpr26_sgpr27
	s_and_saveexec_b64 s[6:7], s[18:19]
	s_xor_b64 s[6:7], exec, s[6:7]
	s_cbranch_execz .LBB35_15
	s_branch .LBB35_250
.LBB35_126:                             ;   in Loop: Header=BB35_17 Depth=1
	s_mov_b32 s55, 1
	s_mov_b64 s[22:23], -1
	s_and_b64 vcc, exec, s[6:7]
	s_cbranch_vccz .LBB35_125
.LBB35_127:                             ;   in Loop: Header=BB35_17 Depth=1
	s_cmp_eq_u32 s36, 1
	s_cselect_b64 s[6:7], -1, 0
	s_cmp_eq_u32 s37, 1
	s_cselect_b64 s[12:13], -1, 0
	s_and_b64 s[34:35], s[6:7], s[12:13]
	s_mov_b64 s[6:7], -1
	s_and_b64 vcc, exec, s[34:35]
	s_cbranch_vccz .LBB35_139
; %bb.128:                              ;   in Loop: Header=BB35_17 Depth=1
	ds_read_b32 v2, v9 offset:4096
	v_readlane_b32 s4, v48, 19
	v_readlane_b32 s5, v48, 20
	s_waitcnt lgkmcnt(0)
	s_barrier
	v_readfirstlane_b32 s8, v2
	s_and_saveexec_b64 s[6:7], s[4:5]
	s_cbranch_execz .LBB35_130
; %bb.129:                              ;   in Loop: Header=BB35_17 Depth=1
	ds_write_b16 v22, v9
.LBB35_130:                             ;   in Loop: Header=BB35_17 Depth=1
	s_or_b64 exec, exec, s[6:7]
	s_lshl_b32 s6, 1, s45
	s_and_b32 s7, s11, s46
	s_or_b32 s11, s7, s6
	s_or_b32 s10, s10, s53
	s_cmp_gt_i32 s8, 0
	s_waitcnt lgkmcnt(0)
	s_barrier
	s_cbranch_scc1 .LBB35_140
; %bb.131:                              ;   in Loop: Header=BB35_17 Depth=1
	v_readlane_b32 s4, v48, 42
	s_mov_b64 s[6:7], 0
	v_readlane_b32 s5, v48, 43
                                        ; implicit-def: $vgpr35
	s_and_saveexec_b64 s[24:25], s[4:5]
	s_cbranch_execz .LBB35_142
; %bb.132:                              ;   in Loop: Header=BB35_17 Depth=1
	v_mov_b32_e32 v2, v6
	v_mov_b32_e32 v4, v0
                                        ; implicit-def: $sgpr26_sgpr27
	s_branch .LBB35_134
.LBB35_133:                             ;   in Loop: Header=BB35_134 Depth=2
	s_or_b64 exec, exec, s[18:19]
	s_waitcnt lgkmcnt(0)
	s_barrier
	s_waitcnt vmcnt(0)
	ds_read_b32 v3, v9 offset:3072
	v_add_u32_e32 v4, s66, v4
	v_cmp_le_i32_e64 s[18:19], s17, v4
	v_add_u32_e32 v2, s0, v2
	s_waitcnt lgkmcnt(0)
	v_cmp_ne_u16_e32 vcc, 0, v3
	s_or_b64 s[12:13], s[18:19], vcc
	s_and_b64 s[12:13], exec, s[12:13]
	s_or_b64 s[6:7], s[12:13], s[6:7]
	s_andn2_b64 s[12:13], s[26:27], exec
	s_and_b64 s[14:15], vcc, exec
	s_or_b64 s[26:27], s[12:13], s[14:15]
	s_barrier
	s_andn2_b64 exec, exec, s[6:7]
	s_cbranch_execz .LBB35_141
.LBB35_134:                             ;   Parent Loop BB35_17 Depth=1
                                        ; =>  This Inner Loop Header: Depth=2
	v_cmp_gt_i32_e32 vcc, s60, v4
	v_mov_b32_e32 v3, 0
	s_and_saveexec_b64 s[28:29], vcc
	s_cbranch_execz .LBB35_136
; %bb.135:                              ;   in Loop: Header=BB35_134 Depth=2
	v_ashrrev_i32_e32 v3, 31, v2
	v_lshlrev_b64 v[16:17], 1, v[2:3]
	v_mov_b32_e32 v3, s80
	v_add_co_u32_e64 v16, s[18:19], s64, v16
	v_addc_co_u32_e64 v17, s[18:19], v3, v17, s[18:19]
	global_load_ushort v3, v[16:17], off
.LBB35_136:                             ;   in Loop: Header=BB35_134 Depth=2
	s_or_b64 exec, exec, s[28:29]
	s_and_saveexec_b64 s[18:19], vcc
	s_cbranch_execz .LBB35_133
; %bb.137:                              ;   in Loop: Header=BB35_134 Depth=2
	s_waitcnt vmcnt(0)
	v_add_u32_sdwa v5, sext(v3), s77 dst_sel:DWORD dst_unused:UNUSED_PAD src0_sel:WORD_0 src1_sel:DWORD
	v_and_b32_e32 v5, s10, v5
	v_cmp_eq_u32_e32 vcc, s11, v5
	s_and_b64 exec, exec, vcc
	s_cbranch_execz .LBB35_133
; %bb.138:                              ;   in Loop: Header=BB35_134 Depth=2
	v_perm_b32 v3, v3, 1, v34
	ds_write_b32 v9, v3 offset:3072
	s_branch .LBB35_133
.LBB35_139:                             ;   in Loop: Header=BB35_17 Depth=1
                                        ; implicit-def: $sgpr26_sgpr27
                                        ; implicit-def: $sgpr28_sgpr29
                                        ; implicit-def: $sgpr24_sgpr25
	s_branch .LBB35_153
.LBB35_140:                             ;   in Loop: Header=BB35_17 Depth=1
	s_mov_b64 s[26:27], -1
	s_mov_b64 s[6:7], 0
                                        ; implicit-def: $sgpr24_sgpr25
                                        ; implicit-def: $vgpr35
	s_mov_b64 s[28:29], s[26:27]
	s_cbranch_execnz .LBB35_143
	s_branch .LBB35_153
.LBB35_141:                             ;   in Loop: Header=BB35_17 Depth=1
	s_or_b64 exec, exec, s[6:7]
	v_lshrrev_b32_e32 v35, 16, v3
	s_and_b64 s[6:7], s[26:27], exec
.LBB35_142:                             ;   in Loop: Header=BB35_17 Depth=1
	s_or_b64 exec, exec, s[24:25]
	s_mov_b64 s[24:25], -1
	s_mov_b64 s[26:27], 0
	s_mov_b64 s[28:29], s[26:27]
	s_branch .LBB35_153
.LBB35_143:                             ;   in Loop: Header=BB35_17 Depth=1
	v_readlane_b32 s6, v48, 10
	s_add_i32 s12, s8, s6
	s_abs_i32 s7, s12
	v_readlane_b32 s4, v48, 41
	s_mul_hi_u32 s13, s7, s4
	s_mul_i32 s13, s13, s66
	s_sub_i32 s7, s7, s13
	s_ashr_i32 s6, s12, 31
	s_sub_i32 s13, s7, s66
	s_cmp_ge_u32 s7, s66
	s_cselect_b32 s7, s13, s7
	s_sub_i32 s13, s7, s66
	s_cmp_ge_u32 s7, s66
	s_cselect_b32 s7, s13, s7
	s_xor_b32 s7, s7, s6
	s_sub_i32 s6, s6, s7
	s_add_i32 s12, s12, s6
	v_cmp_gt_i32_e32 vcc, s12, v0
	s_mov_b64 s[6:7], 0
                                        ; implicit-def: $vgpr35
	s_and_saveexec_b64 s[24:25], vcc
	s_cbranch_execz .LBB35_152
; %bb.144:                              ;   in Loop: Header=BB35_17 Depth=1
	v_mov_b32_e32 v2, v21
	v_mov_b32_e32 v3, v0
                                        ; implicit-def: $sgpr26_sgpr27
	s_branch .LBB35_146
.LBB35_145:                             ;   in Loop: Header=BB35_146 Depth=2
	s_or_b64 exec, exec, s[18:19]
	s_waitcnt lgkmcnt(0)
	s_barrier
	ds_read_b32 v4, v9 offset:3072
	v_add_u32_e32 v3, s66, v3
	v_cmp_le_i32_e64 s[18:19], s12, v3
	v_add_u32_e32 v2, s76, v2
	s_waitcnt lgkmcnt(0)
	v_cmp_ne_u16_e32 vcc, 0, v4
	s_or_b64 s[14:15], s[18:19], vcc
	s_and_b64 s[14:15], exec, s[14:15]
	s_or_b64 s[6:7], s[14:15], s[6:7]
	s_andn2_b64 s[14:15], s[26:27], exec
	s_and_b64 s[18:19], vcc, exec
	s_or_b64 s[26:27], s[14:15], s[18:19]
	s_barrier
	s_andn2_b64 exec, exec, s[6:7]
	s_cbranch_execz .LBB35_151
.LBB35_146:                             ;   Parent Loop BB35_17 Depth=1
                                        ; =>  This Inner Loop Header: Depth=2
	v_cmp_gt_i32_e32 vcc, s8, v3
	v_mov_b32_e32 v4, 0
	s_and_saveexec_b64 s[18:19], vcc
	s_cbranch_execz .LBB35_148
; %bb.147:                              ;   in Loop: Header=BB35_146 Depth=2
	ds_read_u16 v4, v2
.LBB35_148:                             ;   in Loop: Header=BB35_146 Depth=2
	s_or_b64 exec, exec, s[18:19]
	s_and_saveexec_b64 s[18:19], vcc
	s_cbranch_execz .LBB35_145
; %bb.149:                              ;   in Loop: Header=BB35_146 Depth=2
	s_waitcnt lgkmcnt(0)
	v_add_u32_sdwa v5, sext(v4), s77 dst_sel:DWORD dst_unused:UNUSED_PAD src0_sel:WORD_0 src1_sel:DWORD
	v_and_b32_e32 v5, s10, v5
	v_cmp_eq_u32_e32 vcc, s11, v5
	s_and_b64 exec, exec, vcc
	s_cbranch_execz .LBB35_145
; %bb.150:                              ;   in Loop: Header=BB35_146 Depth=2
	v_perm_b32 v4, v4, 1, v34
	ds_write_b32 v9, v4 offset:3072
	s_branch .LBB35_145
.LBB35_151:                             ;   in Loop: Header=BB35_17 Depth=1
	s_or_b64 exec, exec, s[6:7]
	v_lshrrev_b32_e32 v35, 16, v4
	s_and_b64 s[6:7], s[26:27], exec
.LBB35_152:                             ;   in Loop: Header=BB35_17 Depth=1
	s_or_b64 exec, exec, s[24:25]
	s_mov_b64 s[28:29], -1
	s_mov_b64 s[26:27], 0
	s_mov_b64 s[24:25], 0
.LBB35_153:                             ;   in Loop: Header=BB35_17 Depth=1
	s_mov_b64 s[18:19], 0
                                        ; implicit-def: $sgpr55
	s_and_saveexec_b64 s[30:31], s[6:7]
	s_cbranch_execz .LBB35_249
; %bb.154:                              ;   in Loop: Header=BB35_17 Depth=1
	s_xor_b64 s[12:13], s[34:35], -1
	s_mov_b64 s[6:7], 0
	s_andn2_b64 vcc, exec, s[12:13]
	s_mov_b32 s47, 1
	s_cbranch_vccnz .LBB35_165
; %bb.155:                              ;   in Loop: Header=BB35_17 Depth=1
	s_cmp_gt_i32 s37, s36
	s_mov_b64 s[6:7], -1
                                        ; implicit-def: $sgpr55
                                        ; implicit-def: $sgpr8
                                        ; implicit-def: $sgpr12
	s_cbranch_scc1 .LBB35_161
; %bb.156:                              ;   in Loop: Header=BB35_17 Depth=1
	ds_read_b32 v2, v9 offset:4096
	s_waitcnt lgkmcnt(0)
	v_cmp_ne_u32_e32 vcc, 0, v2
	s_cbranch_vccnz .LBB35_160
; %bb.157:                              ;   in Loop: Header=BB35_17 Depth=1
	s_mov_b64 s[6:7], exec
	v_readlane_b32 s12, v48, 7
	v_readlane_b32 s13, v48, 8
	s_and_b64 s[12:13], s[6:7], s[12:13]
	s_mov_b64 exec, s[12:13]
	s_cbranch_execz .LBB35_159
; %bb.158:                              ;   in Loop: Header=BB35_17 Depth=1
	v_mov_b32_e32 v2, s36
	ds_write_b32 v9, v2 offset:4100
.LBB35_159:                             ;   in Loop: Header=BB35_17 Depth=1
	s_or_b64 exec, exec, s[6:7]
	s_waitcnt lgkmcnt(0)
	s_barrier
.LBB35_160:                             ;   in Loop: Header=BB35_17 Depth=1
	s_lshl_b32 s6, 1, s45
	s_and_b32 s7, s11, s46
	s_or_b32 s8, s7, s6
	s_or_b32 s12, s10, s53
	s_mov_b64 s[6:7], 0
	s_mov_b32 s55, 8
.LBB35_161:                             ;   in Loop: Header=BB35_17 Depth=1
	s_andn2_b64 vcc, exec, s[6:7]
	s_cbranch_vccnz .LBB35_163
; %bb.162:                              ;   in Loop: Header=BB35_17 Depth=1
	s_sub_i32 s37, s37, s36
	s_mov_b64 s[6:7], -1
	s_mov_b32 s55, 0
	s_mov_b32 s8, s11
	;; [unrolled: 1-line block ×3, first 2 shown]
.LBB35_163:                             ;   in Loop: Header=BB35_17 Depth=1
	s_mov_b32 s10, s12
	s_mov_b32 s11, s8
	;; [unrolled: 1-line block ×3, first 2 shown]
	s_andn2_b64 vcc, exec, s[6:7]
	s_mov_b64 s[18:19], -1
	s_cbranch_vccz .LBB35_166
.LBB35_164:                             ;   in Loop: Header=BB35_17 Depth=1
                                        ; implicit-def: $sgpr36_sgpr37
                                        ; implicit-def: $sgpr38_sgpr39
                                        ; implicit-def: $sgpr34_sgpr35
	s_branch .LBB35_248
.LBB35_165:                             ;   in Loop: Header=BB35_17 Depth=1
	s_mov_b32 s55, 1
	s_andn2_b64 vcc, exec, s[6:7]
	s_mov_b64 s[18:19], -1
	s_cbranch_vccnz .LBB35_164
.LBB35_166:                             ;   in Loop: Header=BB35_17 Depth=1
	s_cmp_eq_u32 s44, 1
	s_cselect_b64 s[6:7], -1, 0
	s_cmp_eq_u32 s47, 1
	s_cselect_b64 s[12:13], -1, 0
	s_and_b64 s[42:43], s[6:7], s[12:13]
	s_mov_b64 s[6:7], -1
	s_and_b64 vcc, exec, s[42:43]
	s_cbranch_vccz .LBB35_178
; %bb.167:                              ;   in Loop: Header=BB35_17 Depth=1
	ds_read_b32 v2, v9 offset:4096
	v_readlane_b32 s4, v48, 19
	v_readlane_b32 s5, v48, 20
	s_waitcnt lgkmcnt(0)
	s_barrier
	v_readfirstlane_b32 s8, v2
	s_and_saveexec_b64 s[6:7], s[4:5]
	s_cbranch_execz .LBB35_169
; %bb.168:                              ;   in Loop: Header=BB35_17 Depth=1
	ds_write_b16 v22, v9
.LBB35_169:                             ;   in Loop: Header=BB35_17 Depth=1
	s_or_b64 exec, exec, s[6:7]
	s_lshl_b32 s6, 2, s45
	s_and_b32 s7, s11, s46
	s_or_b32 s11, s7, s6
	s_or_b32 s10, s10, s53
	s_cmp_gt_i32 s8, 0
	s_waitcnt lgkmcnt(0)
	s_barrier
	s_cbranch_scc1 .LBB35_179
; %bb.170:                              ;   in Loop: Header=BB35_17 Depth=1
	v_readlane_b32 s4, v48, 42
	s_mov_b64 s[6:7], 0
	v_readlane_b32 s5, v48, 43
                                        ; implicit-def: $vgpr35
	s_and_saveexec_b64 s[34:35], s[4:5]
	s_cbranch_execz .LBB35_181
; %bb.171:                              ;   in Loop: Header=BB35_17 Depth=1
	v_mov_b32_e32 v2, v6
	v_mov_b32_e32 v4, v0
                                        ; implicit-def: $sgpr36_sgpr37
	s_branch .LBB35_173
.LBB35_172:                             ;   in Loop: Header=BB35_173 Depth=2
	s_or_b64 exec, exec, s[18:19]
	s_waitcnt lgkmcnt(0)
	s_barrier
	s_waitcnt vmcnt(0)
	ds_read_b32 v3, v9 offset:3072
	v_add_u32_e32 v4, s66, v4
	v_cmp_le_i32_e64 s[18:19], s17, v4
	v_add_u32_e32 v2, s0, v2
	s_waitcnt lgkmcnt(0)
	v_cmp_ne_u16_e32 vcc, 0, v3
	s_or_b64 s[12:13], s[18:19], vcc
	s_and_b64 s[12:13], exec, s[12:13]
	s_or_b64 s[6:7], s[12:13], s[6:7]
	s_andn2_b64 s[12:13], s[36:37], exec
	s_and_b64 s[14:15], vcc, exec
	s_or_b64 s[36:37], s[12:13], s[14:15]
	s_barrier
	s_andn2_b64 exec, exec, s[6:7]
	s_cbranch_execz .LBB35_180
.LBB35_173:                             ;   Parent Loop BB35_17 Depth=1
                                        ; =>  This Inner Loop Header: Depth=2
	v_cmp_gt_i32_e32 vcc, s60, v4
	v_mov_b32_e32 v3, 0
	s_and_saveexec_b64 s[38:39], vcc
	s_cbranch_execz .LBB35_175
; %bb.174:                              ;   in Loop: Header=BB35_173 Depth=2
	v_ashrrev_i32_e32 v3, 31, v2
	v_lshlrev_b64 v[16:17], 1, v[2:3]
	v_mov_b32_e32 v3, s80
	v_add_co_u32_e64 v16, s[18:19], s64, v16
	v_addc_co_u32_e64 v17, s[18:19], v3, v17, s[18:19]
	global_load_ushort v3, v[16:17], off
.LBB35_175:                             ;   in Loop: Header=BB35_173 Depth=2
	s_or_b64 exec, exec, s[38:39]
	s_and_saveexec_b64 s[18:19], vcc
	s_cbranch_execz .LBB35_172
; %bb.176:                              ;   in Loop: Header=BB35_173 Depth=2
	s_waitcnt vmcnt(0)
	v_add_u32_sdwa v5, sext(v3), s77 dst_sel:DWORD dst_unused:UNUSED_PAD src0_sel:WORD_0 src1_sel:DWORD
	v_and_b32_e32 v5, s10, v5
	v_cmp_eq_u32_e32 vcc, s11, v5
	s_and_b64 exec, exec, vcc
	s_cbranch_execz .LBB35_172
; %bb.177:                              ;   in Loop: Header=BB35_173 Depth=2
	v_perm_b32 v3, v3, 1, v34
	ds_write_b32 v9, v3 offset:3072
	s_branch .LBB35_172
.LBB35_178:                             ;   in Loop: Header=BB35_17 Depth=1
                                        ; implicit-def: $sgpr34_sgpr35
                                        ; implicit-def: $sgpr38_sgpr39
                                        ; implicit-def: $sgpr36_sgpr37
	s_branch .LBB35_192
.LBB35_179:                             ;   in Loop: Header=BB35_17 Depth=1
	s_mov_b64 s[34:35], -1
	s_mov_b64 s[6:7], 0
                                        ; implicit-def: $sgpr36_sgpr37
                                        ; implicit-def: $vgpr35
	s_mov_b64 s[38:39], s[34:35]
	s_cbranch_execnz .LBB35_182
	s_branch .LBB35_192
.LBB35_180:                             ;   in Loop: Header=BB35_17 Depth=1
	s_or_b64 exec, exec, s[6:7]
	v_lshrrev_b32_e32 v35, 16, v3
	s_and_b64 s[6:7], s[36:37], exec
.LBB35_181:                             ;   in Loop: Header=BB35_17 Depth=1
	s_or_b64 exec, exec, s[34:35]
	s_mov_b64 s[36:37], -1
	s_mov_b64 s[34:35], 0
	s_mov_b64 s[38:39], s[34:35]
	s_branch .LBB35_192
.LBB35_182:                             ;   in Loop: Header=BB35_17 Depth=1
	v_readlane_b32 s6, v48, 10
	s_add_i32 s12, s8, s6
	s_abs_i32 s7, s12
	v_readlane_b32 s4, v48, 41
	s_mul_hi_u32 s13, s7, s4
	s_mul_i32 s13, s13, s66
	s_sub_i32 s7, s7, s13
	s_ashr_i32 s6, s12, 31
	s_sub_i32 s13, s7, s66
	s_cmp_ge_u32 s7, s66
	s_cselect_b32 s7, s13, s7
	s_sub_i32 s13, s7, s66
	s_cmp_ge_u32 s7, s66
	s_cselect_b32 s7, s13, s7
	s_xor_b32 s7, s7, s6
	s_sub_i32 s6, s6, s7
	s_add_i32 s12, s12, s6
	v_cmp_gt_i32_e32 vcc, s12, v0
	s_mov_b64 s[6:7], 0
                                        ; implicit-def: $vgpr35
	s_and_saveexec_b64 s[34:35], vcc
	s_cbranch_execz .LBB35_191
; %bb.183:                              ;   in Loop: Header=BB35_17 Depth=1
	v_mov_b32_e32 v2, v21
	v_mov_b32_e32 v3, v0
                                        ; implicit-def: $sgpr36_sgpr37
	s_branch .LBB35_185
.LBB35_184:                             ;   in Loop: Header=BB35_185 Depth=2
	s_or_b64 exec, exec, s[18:19]
	s_waitcnt lgkmcnt(0)
	s_barrier
	ds_read_b32 v4, v9 offset:3072
	v_add_u32_e32 v3, s66, v3
	v_cmp_le_i32_e64 s[18:19], s12, v3
	v_add_u32_e32 v2, s76, v2
	s_waitcnt lgkmcnt(0)
	v_cmp_ne_u16_e32 vcc, 0, v4
	s_or_b64 s[14:15], s[18:19], vcc
	s_and_b64 s[14:15], exec, s[14:15]
	s_or_b64 s[6:7], s[14:15], s[6:7]
	s_andn2_b64 s[14:15], s[36:37], exec
	s_and_b64 s[18:19], vcc, exec
	s_or_b64 s[36:37], s[14:15], s[18:19]
	s_barrier
	s_andn2_b64 exec, exec, s[6:7]
	s_cbranch_execz .LBB35_190
.LBB35_185:                             ;   Parent Loop BB35_17 Depth=1
                                        ; =>  This Inner Loop Header: Depth=2
	v_cmp_gt_i32_e32 vcc, s8, v3
	v_mov_b32_e32 v4, 0
	s_and_saveexec_b64 s[18:19], vcc
	s_cbranch_execz .LBB35_187
; %bb.186:                              ;   in Loop: Header=BB35_185 Depth=2
	ds_read_u16 v4, v2
.LBB35_187:                             ;   in Loop: Header=BB35_185 Depth=2
	s_or_b64 exec, exec, s[18:19]
	s_and_saveexec_b64 s[18:19], vcc
	s_cbranch_execz .LBB35_184
; %bb.188:                              ;   in Loop: Header=BB35_185 Depth=2
	s_waitcnt lgkmcnt(0)
	v_add_u32_sdwa v5, sext(v4), s77 dst_sel:DWORD dst_unused:UNUSED_PAD src0_sel:WORD_0 src1_sel:DWORD
	v_and_b32_e32 v5, s10, v5
	v_cmp_eq_u32_e32 vcc, s11, v5
	s_and_b64 exec, exec, vcc
	s_cbranch_execz .LBB35_184
; %bb.189:                              ;   in Loop: Header=BB35_185 Depth=2
	v_perm_b32 v4, v4, 1, v34
	ds_write_b32 v9, v4 offset:3072
	s_branch .LBB35_184
.LBB35_190:                             ;   in Loop: Header=BB35_17 Depth=1
	s_or_b64 exec, exec, s[6:7]
	v_lshrrev_b32_e32 v35, 16, v4
	s_and_b64 s[6:7], s[36:37], exec
.LBB35_191:                             ;   in Loop: Header=BB35_17 Depth=1
	s_or_b64 exec, exec, s[34:35]
	s_mov_b64 s[38:39], -1
	s_mov_b64 s[34:35], 0
	s_mov_b64 s[36:37], 0
.LBB35_192:                             ;   in Loop: Header=BB35_17 Depth=1
	s_mov_b64 s[18:19], 0
                                        ; implicit-def: $sgpr55
	s_and_saveexec_b64 s[40:41], s[6:7]
	s_cbranch_execz .LBB35_247
; %bb.193:                              ;   in Loop: Header=BB35_17 Depth=1
	s_xor_b64 s[12:13], s[42:43], -1
	s_mov_b64 s[6:7], 0
	s_andn2_b64 vcc, exec, s[12:13]
	s_mov_b32 s54, 1
	s_cbranch_vccnz .LBB35_204
; %bb.194:                              ;   in Loop: Header=BB35_17 Depth=1
	s_cmp_gt_i32 s47, s44
	s_mov_b64 s[6:7], -1
                                        ; implicit-def: $sgpr55
                                        ; implicit-def: $sgpr8
                                        ; implicit-def: $sgpr12
	s_cbranch_scc1 .LBB35_200
; %bb.195:                              ;   in Loop: Header=BB35_17 Depth=1
	ds_read_b32 v2, v9 offset:4096
	s_waitcnt lgkmcnt(0)
	v_cmp_ne_u32_e32 vcc, 0, v2
	s_cbranch_vccnz .LBB35_199
; %bb.196:                              ;   in Loop: Header=BB35_17 Depth=1
	s_mov_b64 s[6:7], exec
	v_readlane_b32 s12, v48, 7
	v_readlane_b32 s13, v48, 8
	s_and_b64 s[12:13], s[6:7], s[12:13]
	s_mov_b64 exec, s[12:13]
	s_cbranch_execz .LBB35_198
; %bb.197:                              ;   in Loop: Header=BB35_17 Depth=1
	v_mov_b32_e32 v2, s44
	ds_write_b32 v9, v2 offset:4100
.LBB35_198:                             ;   in Loop: Header=BB35_17 Depth=1
	s_or_b64 exec, exec, s[6:7]
	s_waitcnt lgkmcnt(0)
	s_barrier
.LBB35_199:                             ;   in Loop: Header=BB35_17 Depth=1
	s_lshl_b32 s6, 2, s45
	s_and_b32 s7, s11, s46
	s_or_b32 s8, s7, s6
	s_or_b32 s12, s10, s53
	s_mov_b64 s[6:7], 0
	s_mov_b32 s55, 8
.LBB35_200:                             ;   in Loop: Header=BB35_17 Depth=1
	s_andn2_b64 vcc, exec, s[6:7]
	s_cbranch_vccnz .LBB35_202
; %bb.201:                              ;   in Loop: Header=BB35_17 Depth=1
	s_sub_i32 s47, s47, s44
	s_mov_b64 s[6:7], -1
	s_mov_b32 s55, 0
	s_mov_b32 s8, s11
	;; [unrolled: 1-line block ×3, first 2 shown]
.LBB35_202:                             ;   in Loop: Header=BB35_17 Depth=1
	s_mov_b32 s10, s12
	s_mov_b32 s11, s8
	;; [unrolled: 1-line block ×3, first 2 shown]
	s_andn2_b64 vcc, exec, s[6:7]
	s_mov_b64 s[50:51], -1
	s_cbranch_vccz .LBB35_205
.LBB35_203:                             ;   in Loop: Header=BB35_17 Depth=1
                                        ; implicit-def: $sgpr6_sgpr7
                                        ; implicit-def: $sgpr44_sgpr45
                                        ; implicit-def: $sgpr18_sgpr19
	s_branch .LBB35_246
.LBB35_204:                             ;   in Loop: Header=BB35_17 Depth=1
	s_mov_b32 s55, 1
	s_andn2_b64 vcc, exec, s[6:7]
	s_mov_b64 s[50:51], -1
	s_cbranch_vccnz .LBB35_203
.LBB35_205:                             ;   in Loop: Header=BB35_17 Depth=1
	s_cmp_eq_u32 s52, 1
	s_cselect_b64 s[6:7], -1, 0
	s_cmp_eq_u32 s54, 1
	s_cselect_b64 s[12:13], -1, 0
	s_and_b64 s[42:43], s[6:7], s[12:13]
	s_mov_b64 s[46:47], -1
	s_and_b64 vcc, exec, s[42:43]
	s_cbranch_vccz .LBB35_217
; %bb.206:                              ;   in Loop: Header=BB35_17 Depth=1
	ds_read_b32 v2, v9 offset:4096
	v_readlane_b32 s4, v48, 19
	v_readlane_b32 s5, v48, 20
	s_waitcnt lgkmcnt(0)
	s_barrier
	v_readfirstlane_b32 s8, v2
	s_and_saveexec_b64 s[6:7], s[4:5]
	s_cbranch_execz .LBB35_208
; %bb.207:                              ;   in Loop: Header=BB35_17 Depth=1
	ds_write_b16 v22, v9
.LBB35_208:                             ;   in Loop: Header=BB35_17 Depth=1
	s_or_b64 exec, exec, s[6:7]
	s_or_b32 s11, s11, s53
	s_or_b32 s10, s10, s53
	s_cmp_gt_i32 s8, 0
	s_waitcnt lgkmcnt(0)
	s_barrier
	s_cbranch_scc1 .LBB35_218
; %bb.209:                              ;   in Loop: Header=BB35_17 Depth=1
	v_readlane_b32 s4, v48, 42
	s_mov_b64 s[46:47], 0
	v_readlane_b32 s5, v48, 43
                                        ; implicit-def: $vgpr35
	s_and_saveexec_b64 s[6:7], s[4:5]
	s_cbranch_execz .LBB35_220
; %bb.210:                              ;   in Loop: Header=BB35_17 Depth=1
	s_mov_b64 s[44:45], 0
	v_mov_b32_e32 v2, v6
	v_mov_b32_e32 v4, v0
                                        ; implicit-def: $sgpr46_sgpr47
	s_branch .LBB35_212
.LBB35_211:                             ;   in Loop: Header=BB35_212 Depth=2
	s_or_b64 exec, exec, s[18:19]
	s_waitcnt lgkmcnt(0)
	s_barrier
	s_waitcnt vmcnt(0)
	ds_read_b32 v3, v9 offset:3072
	v_add_u32_e32 v4, s66, v4
	v_cmp_le_i32_e64 s[18:19], s17, v4
	v_add_u32_e32 v2, s0, v2
	s_waitcnt lgkmcnt(0)
	v_cmp_ne_u16_e32 vcc, 0, v3
	s_or_b64 s[12:13], s[18:19], vcc
	s_and_b64 s[12:13], exec, s[12:13]
	s_or_b64 s[44:45], s[12:13], s[44:45]
	s_andn2_b64 s[12:13], s[46:47], exec
	s_and_b64 s[14:15], vcc, exec
	s_or_b64 s[46:47], s[12:13], s[14:15]
	s_barrier
	s_andn2_b64 exec, exec, s[44:45]
	s_cbranch_execz .LBB35_219
.LBB35_212:                             ;   Parent Loop BB35_17 Depth=1
                                        ; =>  This Inner Loop Header: Depth=2
	v_cmp_gt_i32_e32 vcc, s60, v4
	v_mov_b32_e32 v3, 0
	s_and_saveexec_b64 s[48:49], vcc
	s_cbranch_execz .LBB35_214
; %bb.213:                              ;   in Loop: Header=BB35_212 Depth=2
	v_ashrrev_i32_e32 v3, 31, v2
	v_lshlrev_b64 v[16:17], 1, v[2:3]
	v_mov_b32_e32 v3, s80
	v_add_co_u32_e64 v16, s[18:19], s64, v16
	v_addc_co_u32_e64 v17, s[18:19], v3, v17, s[18:19]
	global_load_ushort v3, v[16:17], off
.LBB35_214:                             ;   in Loop: Header=BB35_212 Depth=2
	s_or_b64 exec, exec, s[48:49]
	s_and_saveexec_b64 s[18:19], vcc
	s_cbranch_execz .LBB35_211
; %bb.215:                              ;   in Loop: Header=BB35_212 Depth=2
	s_waitcnt vmcnt(0)
	v_add_u32_sdwa v5, sext(v3), s77 dst_sel:DWORD dst_unused:UNUSED_PAD src0_sel:WORD_0 src1_sel:DWORD
	v_and_b32_e32 v5, s10, v5
	v_cmp_eq_u32_e32 vcc, s11, v5
	s_and_b64 exec, exec, vcc
	s_cbranch_execz .LBB35_211
; %bb.216:                              ;   in Loop: Header=BB35_212 Depth=2
	v_perm_b32 v3, v3, 1, v34
	ds_write_b32 v9, v3 offset:3072
	s_branch .LBB35_211
.LBB35_217:                             ;   in Loop: Header=BB35_17 Depth=1
                                        ; implicit-def: $sgpr6_sgpr7
                                        ; implicit-def: $sgpr44_sgpr45
                                        ; implicit-def: $sgpr18_sgpr19
	s_branch .LBB35_231
.LBB35_218:                             ;   in Loop: Header=BB35_17 Depth=1
	s_mov_b64 s[6:7], -1
	s_mov_b64 s[46:47], 0
                                        ; implicit-def: $sgpr18_sgpr19
                                        ; implicit-def: $vgpr35
	s_mov_b64 s[44:45], s[6:7]
	s_cbranch_execnz .LBB35_221
	s_branch .LBB35_231
.LBB35_219:                             ;   in Loop: Header=BB35_17 Depth=1
	s_or_b64 exec, exec, s[44:45]
	v_lshrrev_b32_e32 v35, 16, v3
	s_and_b64 s[46:47], s[46:47], exec
.LBB35_220:                             ;   in Loop: Header=BB35_17 Depth=1
	s_or_b64 exec, exec, s[6:7]
	s_mov_b64 s[18:19], -1
	s_mov_b64 s[6:7], 0
	s_mov_b64 s[44:45], s[6:7]
	s_branch .LBB35_231
.LBB35_221:                             ;   in Loop: Header=BB35_17 Depth=1
	v_readlane_b32 s6, v48, 10
	s_add_i32 s12, s8, s6
	s_abs_i32 s7, s12
	v_readlane_b32 s4, v48, 41
	s_mul_hi_u32 s13, s7, s4
	s_mul_i32 s13, s13, s66
	s_sub_i32 s7, s7, s13
	s_ashr_i32 s6, s12, 31
	s_sub_i32 s13, s7, s66
	s_cmp_ge_u32 s7, s66
	s_cselect_b32 s7, s13, s7
	s_sub_i32 s13, s7, s66
	s_cmp_ge_u32 s7, s66
	s_cselect_b32 s7, s13, s7
	s_xor_b32 s7, s7, s6
	s_sub_i32 s6, s6, s7
	s_add_i32 s12, s12, s6
	v_cmp_gt_i32_e32 vcc, s12, v0
	s_mov_b64 s[46:47], 0
                                        ; implicit-def: $vgpr35
	s_and_saveexec_b64 s[6:7], vcc
	s_cbranch_execz .LBB35_230
; %bb.222:                              ;   in Loop: Header=BB35_17 Depth=1
	s_mov_b64 s[44:45], 0
	v_mov_b32_e32 v2, v21
	v_mov_b32_e32 v3, v0
                                        ; implicit-def: $sgpr46_sgpr47
	s_branch .LBB35_224
.LBB35_223:                             ;   in Loop: Header=BB35_224 Depth=2
	s_or_b64 exec, exec, s[18:19]
	s_waitcnt lgkmcnt(0)
	s_barrier
	ds_read_b32 v4, v9 offset:3072
	v_add_u32_e32 v3, s66, v3
	v_cmp_le_i32_e64 s[18:19], s12, v3
	v_add_u32_e32 v2, s76, v2
	s_waitcnt lgkmcnt(0)
	v_cmp_ne_u16_e32 vcc, 0, v4
	s_or_b64 s[14:15], s[18:19], vcc
	s_and_b64 s[14:15], exec, s[14:15]
	s_or_b64 s[44:45], s[14:15], s[44:45]
	s_andn2_b64 s[14:15], s[46:47], exec
	s_and_b64 s[18:19], vcc, exec
	s_or_b64 s[46:47], s[14:15], s[18:19]
	s_barrier
	s_andn2_b64 exec, exec, s[44:45]
	s_cbranch_execz .LBB35_229
.LBB35_224:                             ;   Parent Loop BB35_17 Depth=1
                                        ; =>  This Inner Loop Header: Depth=2
	v_cmp_gt_i32_e32 vcc, s8, v3
	v_mov_b32_e32 v4, 0
	s_and_saveexec_b64 s[18:19], vcc
	s_cbranch_execz .LBB35_226
; %bb.225:                              ;   in Loop: Header=BB35_224 Depth=2
	ds_read_u16 v4, v2
.LBB35_226:                             ;   in Loop: Header=BB35_224 Depth=2
	s_or_b64 exec, exec, s[18:19]
	s_and_saveexec_b64 s[18:19], vcc
	s_cbranch_execz .LBB35_223
; %bb.227:                              ;   in Loop: Header=BB35_224 Depth=2
	s_waitcnt lgkmcnt(0)
	v_add_u32_sdwa v5, sext(v4), s77 dst_sel:DWORD dst_unused:UNUSED_PAD src0_sel:WORD_0 src1_sel:DWORD
	v_and_b32_e32 v5, s10, v5
	v_cmp_eq_u32_e32 vcc, s11, v5
	s_and_b64 exec, exec, vcc
	s_cbranch_execz .LBB35_223
; %bb.228:                              ;   in Loop: Header=BB35_224 Depth=2
	v_perm_b32 v4, v4, 1, v34
	ds_write_b32 v9, v4 offset:3072
	s_branch .LBB35_223
.LBB35_229:                             ;   in Loop: Header=BB35_17 Depth=1
	s_or_b64 exec, exec, s[44:45]
	v_lshrrev_b32_e32 v35, 16, v4
	s_and_b64 s[46:47], s[46:47], exec
.LBB35_230:                             ;   in Loop: Header=BB35_17 Depth=1
	s_or_b64 exec, exec, s[6:7]
	s_mov_b64 s[44:45], -1
	s_mov_b64 s[6:7], 0
	s_mov_b64 s[18:19], 0
.LBB35_231:                             ;   in Loop: Header=BB35_17 Depth=1
	s_mov_b64 s[50:51], 0
                                        ; implicit-def: $sgpr55
	s_and_saveexec_b64 s[48:49], s[46:47]
	s_cbranch_execz .LBB35_245
; %bb.232:                              ;   in Loop: Header=BB35_17 Depth=1
	s_xor_b64 s[12:13], s[42:43], -1
	s_andn2_b64 vcc, exec, s[12:13]
	s_mov_b32 s55, 1
	s_cbranch_vccnz .LBB35_239
; %bb.233:                              ;   in Loop: Header=BB35_17 Depth=1
	s_cmp_gt_i32 s54, s52
	s_cbranch_scc1 .LBB35_240
; %bb.234:                              ;   in Loop: Header=BB35_17 Depth=1
	ds_read_b32 v2, v9 offset:4096
	s_waitcnt lgkmcnt(0)
	v_cmp_ne_u32_e32 vcc, 0, v2
	s_cbranch_vccnz .LBB35_238
; %bb.235:                              ;   in Loop: Header=BB35_17 Depth=1
	s_mov_b64 s[42:43], exec
	v_readlane_b32 s12, v48, 7
	v_readlane_b32 s13, v48, 8
	s_and_b64 s[12:13], s[42:43], s[12:13]
	s_mov_b64 exec, s[12:13]
	s_cbranch_execz .LBB35_237
; %bb.236:                              ;   in Loop: Header=BB35_17 Depth=1
	v_mov_b32_e32 v2, s52
	ds_write_b32 v9, v2 offset:4100
.LBB35_237:                             ;   in Loop: Header=BB35_17 Depth=1
	s_or_b64 exec, exec, s[42:43]
	s_waitcnt lgkmcnt(0)
	s_barrier
.LBB35_238:                             ;   in Loop: Header=BB35_17 Depth=1
	s_or_b32 s8, s11, s53
	s_or_b32 s12, s10, s53
	s_mov_b64 s[42:43], 0
	s_mov_b32 s55, 8
	s_branch .LBB35_241
.LBB35_239:                             ;   in Loop: Header=BB35_17 Depth=1
	s_mov_b32 s54, 1
	s_branch .LBB35_244
.LBB35_240:                             ;   in Loop: Header=BB35_17 Depth=1
	s_mov_b64 s[42:43], -1
                                        ; implicit-def: $sgpr55
                                        ; implicit-def: $sgpr8
                                        ; implicit-def: $sgpr12
.LBB35_241:                             ;   in Loop: Header=BB35_17 Depth=1
	s_andn2_b64 vcc, exec, s[42:43]
	s_cbranch_vccnz .LBB35_243
; %bb.242:                              ;   in Loop: Header=BB35_17 Depth=1
	s_sub_i32 s54, s54, s52
	s_mov_b32 s55, 8
	s_mov_b32 s8, s11
	;; [unrolled: 1-line block ×3, first 2 shown]
.LBB35_243:                             ;   in Loop: Header=BB35_17 Depth=1
	s_mov_b32 s11, s8
	s_mov_b32 s10, s12
.LBB35_244:                             ;   in Loop: Header=BB35_17 Depth=1
	s_mov_b64 s[50:51], exec
.LBB35_245:                             ;   in Loop: Header=BB35_17 Depth=1
	s_or_b64 exec, exec, s[48:49]
.LBB35_246:                             ;   in Loop: Header=BB35_17 Depth=1
	s_andn2_b64 s[12:13], s[34:35], exec
	s_and_b64 s[6:7], s[6:7], exec
	s_or_b64 s[34:35], s[12:13], s[6:7]
	s_andn2_b64 s[6:7], s[38:39], exec
	s_and_b64 s[12:13], s[44:45], exec
	s_or_b64 s[38:39], s[6:7], s[12:13]
	;; [unrolled: 3-line block ×3, first 2 shown]
	s_and_b64 s[18:19], s[50:51], exec
	s_mov_b32 s47, s54
.LBB35_247:                             ;   in Loop: Header=BB35_17 Depth=1
	s_or_b64 exec, exec, s[40:41]
.LBB35_248:                             ;   in Loop: Header=BB35_17 Depth=1
	s_andn2_b64 s[6:7], s[26:27], exec
	s_and_b64 s[12:13], s[34:35], exec
	s_or_b64 s[26:27], s[6:7], s[12:13]
	s_andn2_b64 s[6:7], s[28:29], exec
	s_and_b64 s[12:13], s[38:39], exec
	s_or_b64 s[28:29], s[6:7], s[12:13]
	;; [unrolled: 3-line block ×3, first 2 shown]
	s_and_b64 s[18:19], s[18:19], exec
	s_mov_b32 s37, s47
.LBB35_249:                             ;   in Loop: Header=BB35_17 Depth=1
	s_or_b64 exec, exec, s[30:31]
	s_and_saveexec_b64 s[6:7], s[18:19]
	s_xor_b64 s[6:7], exec, s[6:7]
	s_cbranch_execz .LBB35_15
.LBB35_250:                             ;   in Loop: Header=BB35_17 Depth=1
	s_and_b32 s8, s55, -9
	s_cmp_eq_u32 s8, 0
	s_cbranch_scc1 .LBB35_13
; %bb.251:                              ;   in Loop: Header=BB35_17 Depth=1
	s_mov_b64 s[18:19], -1
                                        ; implicit-def: $sgpr10
                                        ; implicit-def: $sgpr37
                                        ; implicit-def: $sgpr78
                                        ; implicit-def: $sgpr79
	s_mov_b64 s[22:23], -1
	s_branch .LBB35_14
.LBB35_252:
	s_or_b64 exec, exec, s[90:91]
	s_xor_b64 s[8:9], s[68:69], -1
	s_xor_b64 s[2:3], s[92:93], -1
	;; [unrolled: 1-line block ×3, first 2 shown]
	s_mov_b64 s[4:5], 0
	s_and_saveexec_b64 s[10:11], s[2:3]
	s_xor_b64 s[2:3], exec, s[10:11]
	s_cbranch_execnz .LBB35_257
; %bb.253:
	s_andn2_saveexec_b64 s[0:1], s[2:3]
	s_cbranch_execnz .LBB35_277
.LBB35_254:
	s_or_b64 exec, exec, s[0:1]
	s_and_saveexec_b64 s[0:1], s[4:5]
.LBB35_255:
	; divergent unreachable
.LBB35_256:
	s_endpgm
.LBB35_257:
	s_and_saveexec_b64 s[4:5], s[8:9]
	s_xor_b64 s[4:5], exec, s[4:5]
	s_cbranch_execz .LBB35_275
; %bb.258:
	s_and_saveexec_b64 s[8:9], s[6:7]
	s_xor_b64 s[6:7], exec, s[8:9]
; %bb.259:
	v_xor_b32_e32 v35, 0xffff8000, v2
; %bb.260:
	s_or_b64 exec, exec, s[6:7]
	s_mov_b64 s[6:7], exec
	v_readlane_b32 s8, v48, 7
	v_readlane_b32 s9, v48, 8
	s_and_b64 s[8:9], s[6:7], s[8:9]
	s_mov_b64 exec, s[8:9]
	s_cbranch_execz .LBB35_262
; %bb.261:
	v_mov_b32_e32 v1, 0
	v_mov_b32_e32 v2, s60
	ds_write_b32 v1, v2 offset:4108
.LBB35_262:
	s_or_b64 exec, exec, s[6:7]
	v_mov_b32_e32 v1, 0
	s_waitcnt lgkmcnt(0)
	s_barrier
	ds_read_b32 v1, v1 offset:4108
	s_waitcnt lgkmcnt(0)
	v_min_i32_e32 v1, s60, v1
	v_cmp_lt_i32_e32 vcc, v0, v1
	s_and_saveexec_b64 s[6:7], vcc
	s_cbranch_execz .LBB35_272
; %bb.263:
	s_mov_b64 s[8:9], 0
	v_mov_b32_e32 v3, s80
                                        ; implicit-def: $sgpr10_sgpr11
                                        ; implicit-def: $sgpr14_sgpr15
                                        ; implicit-def: $sgpr12_sgpr13
	s_branch .LBB35_265
.LBB35_264:                             ;   in Loop: Header=BB35_265 Depth=1
	s_or_b64 exec, exec, s[16:17]
	s_and_b64 s[16:17], exec, s[14:15]
	s_or_b64 s[8:9], s[16:17], s[8:9]
	s_andn2_b64 s[10:11], s[10:11], exec
	s_and_b64 s[16:17], s[12:13], exec
	s_or_b64 s[10:11], s[10:11], s[16:17]
	s_andn2_b64 exec, exec, s[8:9]
	s_cbranch_execz .LBB35_267
.LBB35_265:                             ; =>This Inner Loop Header: Depth=1
	v_ashrrev_i32_e32 v7, 31, v6
	v_lshlrev_b64 v[4:5], 1, v[6:7]
	v_add_co_u32_e32 v4, vcc, s64, v4
	v_addc_co_u32_e32 v5, vcc, v3, v5, vcc
	global_load_ushort v4, v[4:5], off
	v_mov_b32_e32 v2, v0
	s_or_b64 s[12:13], s[12:13], exec
	s_or_b64 s[14:15], s[14:15], exec
                                        ; implicit-def: $vgpr0
	s_waitcnt vmcnt(0)
	v_cmp_ne_u16_e32 vcc, v4, v35
	s_and_saveexec_b64 s[16:17], vcc
	s_cbranch_execz .LBB35_264
; %bb.266:                              ;   in Loop: Header=BB35_265 Depth=1
	v_add_u32_e32 v0, s66, v2
	v_cmp_ge_i32_e32 vcc, v0, v1
	s_andn2_b64 s[14:15], s[14:15], exec
	s_and_b64 s[18:19], vcc, exec
	v_add_u32_e32 v6, s0, v6
	s_andn2_b64 s[12:13], s[12:13], exec
	s_or_b64 s[14:15], s[14:15], s[18:19]
	s_branch .LBB35_264
.LBB35_267:
	s_or_b64 exec, exec, s[8:9]
	s_and_saveexec_b64 s[0:1], s[10:11]
	s_xor_b64 s[0:1], exec, s[0:1]
	s_cbranch_execz .LBB35_272
; %bb.268:
	s_mov_b64 s[8:9], exec
	s_brev_b32 s0, -2
.LBB35_269:                             ; =>This Inner Loop Header: Depth=1
	s_ff1_i32_b64 s1, s[8:9]
	v_readlane_b32 s12, v2, s1
	s_lshl_b64 s[10:11], 1, s1
	s_min_i32 s0, s0, s12
	s_andn2_b64 s[8:9], s[8:9], s[10:11]
	s_cmp_lg_u64 s[8:9], 0
	s_cbranch_scc1 .LBB35_269
; %bb.270:
	v_mbcnt_lo_u32_b32 v0, exec_lo, 0
	v_mbcnt_hi_u32_b32 v0, exec_hi, v0
	v_cmp_eq_u32_e32 vcc, 0, v0
	s_and_saveexec_b64 s[8:9], vcc
	s_xor_b64 s[8:9], exec, s[8:9]
	s_cbranch_execz .LBB35_272
; %bb.271:
	v_mov_b32_e32 v0, 0
	v_mov_b32_e32 v1, s0
	ds_min_i32 v0, v1 offset:4108
.LBB35_272:
	s_or_b64 exec, exec, s[6:7]
	s_waitcnt lgkmcnt(0)
	s_barrier
	s_mov_b64 s[6:7], exec
	v_readlane_b32 s0, v48, 7
	v_readlane_b32 s1, v48, 8
	s_and_b64 s[0:1], s[6:7], s[0:1]
	s_mov_b64 exec, s[0:1]
	s_cbranch_execz .LBB35_274
; %bb.273:
	v_readlane_b32 s0, v48, 0
	s_mul_i32 s0, s0, s62
	v_readlane_b32 s1, v48, 9
	s_add_i32 s0, s0, s65
	s_mul_i32 s1, s1, s33
	s_add_i32 s8, s1, s67
	s_ashr_i32 s1, s0, 31
	v_mov_b32_e32 v2, 0
	s_lshl_b64 s[0:1], s[0:1], 1
	v_readlane_b32 s10, v48, 1
	ds_read_b32 v0, v2 offset:4108
	v_readlane_b32 s11, v48, 2
	s_add_u32 s0, s10, s0
	s_addc_u32 s1, s11, s1
	s_ashr_i32 s9, s8, 31
	s_lshl_b64 s[8:9], s[8:9], 3
	v_readlane_b32 s10, v48, 3
	v_readlane_b32 s11, v48, 4
	s_add_u32 s8, s10, s8
	s_addc_u32 s9, s11, s9
	s_waitcnt lgkmcnt(0)
	v_ashrrev_i32_e32 v1, 31, v0
	global_store_dwordx2 v2, v[0:1], s[8:9]
	global_store_short v2, v35, s[0:1]
.LBB35_274:
	s_or_b64 exec, exec, s[6:7]
.LBB35_275:
	s_or_saveexec_b64 s[0:1], s[4:5]
	s_mov_b64 s[4:5], 0
	s_xor_b64 exec, exec, s[0:1]
	s_cbranch_execnz .LBB35_278
.LBB35_276:
	s_or_b64 exec, exec, s[0:1]
	s_and_b64 s[4:5], s[4:5], exec
	s_andn2_saveexec_b64 s[0:1], s[2:3]
	s_cbranch_execz .LBB35_254
.LBB35_277:
	s_or_b64 s[4:5], s[4:5], exec
	s_trap 2
	s_or_b64 exec, exec, s[0:1]
	s_and_saveexec_b64 s[0:1], s[4:5]
	s_cbranch_execnz .LBB35_255
	s_branch .LBB35_256
.LBB35_278:
	s_mov_b64 s[4:5], exec
	s_trap 2
	s_branch .LBB35_276
	.section	.rodata,"a",@progbits
	.p2align	6, 0x0
	.amdhsa_kernel _ZN2at6native12_GLOBAL__N_114gatherKthValueIsiLin1EEEvNS_4cuda6detail10TensorInfoIKT_T0_EES8_S8_S8_S8_NS5_IS6_S8_EENS5_IlS8_EE
		.amdhsa_group_segment_fixed_size 4112
		.amdhsa_private_segment_fixed_size 0
		.amdhsa_kernarg_size 920
		.amdhsa_user_sgpr_count 6
		.amdhsa_user_sgpr_private_segment_buffer 1
		.amdhsa_user_sgpr_dispatch_ptr 0
		.amdhsa_user_sgpr_queue_ptr 0
		.amdhsa_user_sgpr_kernarg_segment_ptr 1
		.amdhsa_user_sgpr_dispatch_id 0
		.amdhsa_user_sgpr_flat_scratch_init 0
		.amdhsa_user_sgpr_kernarg_preload_length 0
		.amdhsa_user_sgpr_kernarg_preload_offset 0
		.amdhsa_user_sgpr_private_segment_size 0
		.amdhsa_uses_dynamic_stack 0
		.amdhsa_system_sgpr_private_segment_wavefront_offset 0
		.amdhsa_system_sgpr_workgroup_id_x 1
		.amdhsa_system_sgpr_workgroup_id_y 1
		.amdhsa_system_sgpr_workgroup_id_z 1
		.amdhsa_system_sgpr_workgroup_info 0
		.amdhsa_system_vgpr_workitem_id 0
		.amdhsa_next_free_vgpr 49
		.amdhsa_next_free_sgpr 96
		.amdhsa_accum_offset 52
		.amdhsa_reserve_vcc 1
		.amdhsa_reserve_flat_scratch 0
		.amdhsa_float_round_mode_32 0
		.amdhsa_float_round_mode_16_64 0
		.amdhsa_float_denorm_mode_32 3
		.amdhsa_float_denorm_mode_16_64 3
		.amdhsa_dx10_clamp 1
		.amdhsa_ieee_mode 1
		.amdhsa_fp16_overflow 0
		.amdhsa_tg_split 0
		.amdhsa_exception_fp_ieee_invalid_op 0
		.amdhsa_exception_fp_denorm_src 0
		.amdhsa_exception_fp_ieee_div_zero 0
		.amdhsa_exception_fp_ieee_overflow 0
		.amdhsa_exception_fp_ieee_underflow 0
		.amdhsa_exception_fp_ieee_inexact 0
		.amdhsa_exception_int_div_zero 0
	.end_amdhsa_kernel
	.section	.text._ZN2at6native12_GLOBAL__N_114gatherKthValueIsiLin1EEEvNS_4cuda6detail10TensorInfoIKT_T0_EES8_S8_S8_S8_NS5_IS6_S8_EENS5_IlS8_EE,"axG",@progbits,_ZN2at6native12_GLOBAL__N_114gatherKthValueIsiLin1EEEvNS_4cuda6detail10TensorInfoIKT_T0_EES8_S8_S8_S8_NS5_IS6_S8_EENS5_IlS8_EE,comdat
.Lfunc_end35:
	.size	_ZN2at6native12_GLOBAL__N_114gatherKthValueIsiLin1EEEvNS_4cuda6detail10TensorInfoIKT_T0_EES8_S8_S8_S8_NS5_IS6_S8_EENS5_IlS8_EE, .Lfunc_end35-_ZN2at6native12_GLOBAL__N_114gatherKthValueIsiLin1EEEvNS_4cuda6detail10TensorInfoIKT_T0_EES8_S8_S8_S8_NS5_IS6_S8_EENS5_IlS8_EE
                                        ; -- End function
	.section	.AMDGPU.csdata,"",@progbits
; Kernel info:
; codeLenInByte = 10692
; NumSgprs: 100
; NumVgprs: 49
; NumAgprs: 0
; TotalNumVgprs: 49
; ScratchSize: 0
; MemoryBound: 0
; FloatMode: 240
; IeeeMode: 1
; LDSByteSize: 4112 bytes/workgroup (compile time only)
; SGPRBlocks: 12
; VGPRBlocks: 6
; NumSGPRsForWavesPerEU: 100
; NumVGPRsForWavesPerEU: 49
; AccumOffset: 52
; Occupancy: 8
; WaveLimiterHint : 1
; COMPUTE_PGM_RSRC2:SCRATCH_EN: 0
; COMPUTE_PGM_RSRC2:USER_SGPR: 6
; COMPUTE_PGM_RSRC2:TRAP_HANDLER: 0
; COMPUTE_PGM_RSRC2:TGID_X_EN: 1
; COMPUTE_PGM_RSRC2:TGID_Y_EN: 1
; COMPUTE_PGM_RSRC2:TGID_Z_EN: 1
; COMPUTE_PGM_RSRC2:TIDIG_COMP_CNT: 0
; COMPUTE_PGM_RSRC3_GFX90A:ACCUM_OFFSET: 12
; COMPUTE_PGM_RSRC3_GFX90A:TG_SPLIT: 0
	.section	.text._ZN2at6native12_GLOBAL__N_114gatherKthValueIslLi1EEEvNS_4cuda6detail10TensorInfoIKT_T0_EES8_S8_S8_S8_NS5_IS6_S8_EENS5_IlS8_EE,"axG",@progbits,_ZN2at6native12_GLOBAL__N_114gatherKthValueIslLi1EEEvNS_4cuda6detail10TensorInfoIKT_T0_EES8_S8_S8_S8_NS5_IS6_S8_EENS5_IlS8_EE,comdat
	.globl	_ZN2at6native12_GLOBAL__N_114gatherKthValueIslLi1EEEvNS_4cuda6detail10TensorInfoIKT_T0_EES8_S8_S8_S8_NS5_IS6_S8_EENS5_IlS8_EE ; -- Begin function _ZN2at6native12_GLOBAL__N_114gatherKthValueIslLi1EEEvNS_4cuda6detail10TensorInfoIKT_T0_EES8_S8_S8_S8_NS5_IS6_S8_EENS5_IlS8_EE
	.p2align	8
	.type	_ZN2at6native12_GLOBAL__N_114gatherKthValueIslLi1EEEvNS_4cuda6detail10TensorInfoIKT_T0_EES8_S8_S8_S8_NS5_IS6_S8_EENS5_IlS8_EE,@function
_ZN2at6native12_GLOBAL__N_114gatherKthValueIslLi1EEEvNS_4cuda6detail10TensorInfoIKT_T0_EES8_S8_S8_S8_NS5_IS6_S8_EENS5_IlS8_EE: ; @_ZN2at6native12_GLOBAL__N_114gatherKthValueIslLi1EEEvNS_4cuda6detail10TensorInfoIKT_T0_EES8_S8_S8_S8_NS5_IS6_S8_EENS5_IlS8_EE
; %bb.0:
	s_load_dwordx8 s[52:59], s[4:5], 0x1a0
	s_load_dwordx2 s[12:13], s[4:5], 0x500
	s_add_u32 s10, s4, 0x500
	s_addc_u32 s11, s5, 0
	s_mov_b32 s15, 0
	s_waitcnt lgkmcnt(0)
	v_mov_b32_e32 v2, s56
	s_mul_i32 s0, s13, s8
	s_add_i32 s0, s0, s7
	s_mul_i32 s0, s0, s12
	v_mov_b32_e32 v3, s57
	s_add_i32 s14, s0, s6
	v_cmp_ge_i64_e32 vcc, s[14:15], v[2:3]
	s_cbranch_vccnz .LBB36_279
; %bb.1:
	s_load_dwordx2 s[0:1], s[4:5], 0x430
                                        ; implicit-def: $vgpr52 : SGPR spill to VGPR lane
	v_cmp_eq_u32_e64 s[8:9], 0, v0
	s_waitcnt lgkmcnt(0)
	v_writelane_b32 v52, s0, 0
	v_writelane_b32 v52, s1, 1
	s_load_dwordx2 s[0:1], s[4:5], 0x360
	s_waitcnt lgkmcnt(0)
	v_writelane_b32 v52, s0, 2
	v_writelane_b32 v52, s1, 3
	s_load_dwordx2 s[0:1], s[4:5], 0x290
	;; [unrolled: 4-line block ×4, first 2 shown]
	s_load_dwordx2 s[0:1], s[4:5], 0x0
	s_mov_b64 s[4:5], exec
	v_writelane_b32 v52, s8, 8
	v_writelane_b32 v52, s9, 9
	s_and_b64 s[8:9], s[4:5], s[8:9]
	s_mov_b64 exec, s[8:9]
	s_cbranch_execz .LBB36_3
; %bb.2:
	v_mov_b32_e32 v2, 0
	v_mov_b32_e32 v4, s52
	;; [unrolled: 1-line block ×4, first 2 shown]
	ds_write_b32 v2, v2 offset:5136
	ds_write_b128 v2, v[2:5] offset:5120
.LBB36_3:
	s_or_b64 exec, exec, s[4:5]
	s_waitcnt lgkmcnt(0)
	s_mul_i32 s3, s3, s14
	s_mul_hi_u32 s4, s2, s14
	s_add_i32 s3, s4, s3
	s_mul_i32 s2, s2, s14
	s_mov_b32 s4, s14
	s_lshl_b64 s[2:3], s[2:3], 1
	v_writelane_b32 v52, s4, 10
	s_add_u32 s70, s0, s2
	v_writelane_b32 v52, s5, 11
	s_addc_u32 s71, s1, s3
	v_cmp_gt_u32_e64 s[0:1], 2, v0
	v_mov_b32_e32 v2, 0x600
	v_writelane_b32 v52, s0, 12
	v_mov_b32_e32 v3, 0
	v_writelane_b32 v52, s1, 13
	v_cmp_gt_i64_e64 s[0:1], s[52:53], v[2:3]
	v_writelane_b32 v52, s0, 14
	v_writelane_b32 v52, s1, 15
	v_mad_u64_u32 v[2:3], s[0:1], v0, s58, 0
	v_mov_b32_e32 v13, 0
	v_mbcnt_lo_u32_b32 v1, -1, 0
	v_mov_b32_e32 v4, v3
	v_mbcnt_hi_u32_b32 v32, -1, v1
	v_mov_b32_e32 v1, v13
	v_mad_u64_u32 v[4:5], s[0:1], v0, s59, v[4:5]
	v_cmp_gt_i64_e64 s[0:1], s[52:53], v[0:1]
	v_writelane_b32 v52, s0, 16
	s_barrier
	v_writelane_b32 v52, s1, 17
	s_load_dword s0, s[10:11], 0xc
	v_cmp_gt_u32_e32 vcc, 64, v0
	v_cmp_gt_i32_e64 s[2:3], 4, v32
	s_and_b64 s[46:47], vcc, s[2:3]
	v_mov_b32_e32 v3, v4
	s_waitcnt lgkmcnt(0)
	s_and_b32 s33, s0, 0xffff
	s_bfe_u32 s1, s0, 0xa0006
	v_cmp_gt_u16_e64 s[2:3], s0, 63
	v_writelane_b32 v52, s2, 18
	s_add_u32 s0, s33, -1
	v_writelane_b32 v52, s3, 19
	s_addc_u32 s2, 0, -1
	s_add_u32 s81, s0, s52
	s_addc_u32 s49, s2, s53
	s_cmp_lt_u32 s6, s12
	v_writelane_b32 v52, s0, 20
	s_cselect_b32 s0, 12, 18
	s_add_u32 s50, s10, s0
	s_addc_u32 s51, s11, 0
	s_add_i32 s0, s1, -1
	s_bfe_u32 s6, s33, 0x30006
	s_cmp_gt_u32 s0, 6
	v_writelane_b32 v52, s2, 21
	s_cselect_b64 s[2:3], -1, 0
	v_writelane_b32 v52, s2, 22
	s_and_b32 s89, s1, 0x3f8
	v_lshlrev_b64 v[4:5], 1, v[2:3]
	v_writelane_b32 v52, s3, 23
	s_cmp_lg_u32 s6, 0
	v_add_co_u32_e32 v10, vcc, s70, v4
	v_lshrrev_b32_e32 v4, 4, v0
	v_writelane_b32 v52, s6, 24
	s_cselect_b64 s[0:1], -1, 0
	v_mov_b32_e32 v6, s71
	v_and_b32_e32 v35, 60, v4
	v_lshlrev_b32_e32 v4, 2, v32
	v_writelane_b32 v52, s0, 25
	v_addc_co_u32_e32 v11, vcc, v6, v5, vcc
	v_and_b32_e32 v36, 0x100, v4
	v_lshlrev_b64 v[4:5], v32, -1
	v_writelane_b32 v52, s1, 26
	s_lshl_b64 s[0:1], s[58:59], 1
	v_lshlrev_b32_e32 v37, 3, v0
	v_not_b32_e32 v17, v5
	v_writelane_b32 v52, s0, 27
	v_or_b32_e32 v5, 6, v37
	v_writelane_b32 v52, s1, 28
	v_mad_u64_u32 v[18:19], s[0:1], s58, v5, 0
	v_not_b32_e32 v16, v4
	v_mov_b32_e32 v4, v19
	v_mad_u64_u32 v[4:5], s[0:1], s59, v5, v[4:5]
	s_lshl_b64 s[0:1], s[58:59], 3
	v_writelane_b32 v52, s0, 29
	v_or_b32_e32 v5, 4, v37
	v_writelane_b32 v52, s1, 30
	v_mad_u64_u32 v[20:21], s[0:1], s58, v5, 0
	v_mov_b32_e32 v19, v4
	v_mov_b32_e32 v4, v21
	v_mad_u64_u32 v[4:5], s[0:1], s59, v5, v[4:5]
	v_or_b32_e32 v5, 2, v37
	v_writelane_b32 v52, s70, 31
	v_mad_u64_u32 v[22:23], s[0:1], s58, v5, 0
	v_writelane_b32 v52, s71, 32
	v_mov_b32_e32 v21, v4
	v_mov_b32_e32 v4, v23
	v_writelane_b32 v52, s46, 33
	v_mad_u64_u32 v[4:5], s[0:1], s59, v5, v[4:5]
	v_writelane_b32 v52, s47, 34
	v_lshlrev_b64 v[24:25], 3, v[2:3]
	v_mov_b32_e32 v2, s53
	v_add_co_u32_e32 v38, vcc, s52, v0
	s_mul_i32 s0, s59, s33
	s_mul_hi_u32 s1, s58, s33
	v_writelane_b32 v52, s50, 35
	s_mov_b32 s73, 0
	v_cmp_eq_u32_e64 s[22:23], 0, v32
	v_lshlrev_b32_e32 v33, 1, v0
	v_addc_co_u32_e32 v39, vcc, 0, v2, vcc
	v_mov_b32_e32 v2, 0xc00
	s_add_i32 s1, s1, s0
	s_mul_i32 s0, s58, s33
	v_writelane_b32 v52, s51, 36
	v_add_u32_e32 v34, 0xc00, v33
	v_lshlrev_b32_e32 v14, 2, v0
	v_mov_b32_e32 v15, v13
	s_mov_b32 s88, s73
	v_mov_b32_e32 v23, v4
	v_lshl_or_b32 v40, v32, 3, v2
	s_lshl_b64 s[68:69], s[0:1], 1
	s_lshl_b32 s74, s33, 1
	s_mov_b32 s76, 14
	s_mov_b64 s[90:91], 0
	s_mov_b32 s75, 0x8000
	v_cvt_f32_ubyte0_e32 v41, 0
	v_mov_b32_e32 v42, 0x5040100
	v_mov_b32_e32 v43, 0
	s_mov_b32 s77, 0
	s_mov_b32 s1, 0
	;; [unrolled: 1-line block ×3, first 2 shown]
	v_writelane_b32 v52, s22, 37
                                        ; implicit-def: $sgpr30_sgpr31
                                        ; implicit-def: $sgpr4_sgpr5
                                        ; implicit-def: $sgpr62_sgpr63
                                        ; implicit-def: $sgpr36_sgpr37
                                        ; implicit-def: $sgpr92_sgpr93
                                        ; implicit-def: $sgpr94_sgpr95
	v_writelane_b32 v52, s23, 38
	s_branch .LBB36_8
.LBB36_4:                               ;   in Loop: Header=BB36_8 Depth=1
	s_xor_b32 s77, s77, 1
	s_add_i32 s10, s76, -2
	s_cmp_eq_u32 s76, 0
	s_mov_b64 s[6:7], 0
	s_cselect_b64 s[8:9], -1, 0
	s_mov_b32 s76, s10
.LBB36_5:                               ;   in Loop: Header=BB36_8 Depth=1
	s_andn2_b64 s[10:11], s[20:21], exec
	s_and_b64 s[6:7], s[6:7], exec
	s_or_b64 s[20:21], s[10:11], s[6:7]
	s_andn2_b64 s[22:23], s[22:23], exec
	s_andn2_b64 s[18:19], s[18:19], exec
	s_orn2_b64 s[14:15], s[8:9], exec
.LBB36_6:                               ;   in Loop: Header=BB36_8 Depth=1
	s_or_b64 exec, exec, s[2:3]
	s_andn2_b64 s[2:3], s[94:95], exec
	s_and_b64 s[6:7], s[20:21], exec
	s_or_b64 s[94:95], s[2:3], s[6:7]
	s_andn2_b64 s[2:3], s[92:93], exec
	s_and_b64 s[6:7], s[22:23], exec
	s_or_b64 s[92:93], s[2:3], s[6:7]
	;; [unrolled: 3-line block ×3, first 2 shown]
	s_orn2_b64 s[18:19], s[14:15], exec
.LBB36_7:                               ;   in Loop: Header=BB36_8 Depth=1
	s_or_b64 exec, exec, s[12:13]
	s_and_b64 s[2:3], exec, s[18:19]
	s_or_b64 s[90:91], s[2:3], s[90:91]
	s_andn2_b64 s[2:3], s[62:63], exec
	s_and_b64 s[6:7], s[94:95], exec
	s_or_b64 s[62:63], s[2:3], s[6:7]
	s_andn2_b64 s[2:3], s[4:5], exec
	s_and_b64 s[6:7], s[92:93], exec
	;; [unrolled: 3-line block ×3, first 2 shown]
	v_readlane_b32 s22, v52, 37
	v_mov_b32_e32 v2, s1
	s_or_b64 s[30:31], s[2:3], s[6:7]
	v_readlane_b32 s23, v52, 38
	s_andn2_b64 exec, exec, s[90:91]
	s_cbranch_execz .LBB36_275
.LBB36_8:                               ; =>This Loop Header: Depth=1
                                        ;     Child Loop BB36_13 Depth 2
                                        ;     Child Loop BB36_32 Depth 2
	;; [unrolled: 1-line block ×16, first 2 shown]
	ds_read_b128 v[2:5], v13 offset:5120
	s_waitcnt lgkmcnt(0)
	v_readfirstlane_b32 s83, v3
	v_readfirstlane_b32 s82, v2
	v_cmp_gt_i64_e64 s[2:3], s[82:83], 0
	s_and_b64 vcc, exec, s[2:3]
	s_cbranch_vccnz .LBB36_39
; %bb.9:                                ;   in Loop: Header=BB36_8 Depth=1
	v_readlane_b32 s2, v52, 14
	v_readlane_b32 s3, v52, 15
	s_and_b64 vcc, exec, s[2:3]
	s_cbranch_vccz .LBB36_21
; %bb.10:                               ;   in Loop: Header=BB36_8 Depth=1
	s_mov_b64 s[2:3], 0x601
	v_cmp_gt_i64_e32 vcc, s[2:3], v[4:5]
	s_mov_b64 s[2:3], 0
	s_mov_b64 s[6:7], 0
	s_cbranch_vccz .LBB36_26
; %bb.11:                               ;   in Loop: Header=BB36_8 Depth=1
	global_load_ushort v6, v13, s[50:51]
	global_load_ushort v7, v[10:11], off
	v_readlane_b32 s12, v52, 27
	v_pk_mov_b32 v[2:3], s[70:71], s[70:71] op_sel:[0,1]
	v_readlane_b32 s13, v52, 28
	s_mov_b64 s[8:9], 0
	s_waitcnt vmcnt(1)
	v_readfirstlane_b32 s6, v6
	s_and_b32 s6, 0xffff, s6
	v_add_u32_e32 v5, s6, v0
	s_mul_i32 s10, s13, s6
	s_mul_hi_u32 s11, s12, s6
	s_mul_i32 s18, s12, s6
	v_mad_u64_u32 v[2:3], s[6:7], s12, v5, v[2:3]
	v_mov_b32_e32 v4, v3
	v_mad_u64_u32 v[4:5], s[6:7], s13, v5, v[4:5]
	s_add_i32 s19, s11, s10
	v_mov_b32_e32 v3, v4
	v_pk_mov_b32 v[4:5], v[0:1], v[0:1] op_sel:[0,1]
	s_branch .LBB36_13
.LBB36_12:                              ;   in Loop: Header=BB36_13 Depth=2
	s_or_b64 exec, exec, s[6:7]
	v_mov_b32_e32 v7, s19
	v_add_co_u32_e32 v2, vcc, s18, v2
	v_addc_co_u32_e32 v3, vcc, v3, v7, vcc
	v_mov_b32_e32 v7, v8
	s_andn2_b64 exec, exec, s[8:9]
	s_cbranch_execz .LBB36_22
.LBB36_13:                              ;   Parent Loop BB36_8 Depth=1
                                        ; =>  This Inner Loop Header: Depth=2
	v_add_co_u32_sdwa v4, vcc, v4, v6 dst_sel:DWORD dst_unused:UNUSED_PAD src0_sel:DWORD src1_sel:WORD_0
	v_addc_co_u32_e32 v5, vcc, 0, v5, vcc
	v_cmp_gt_i64_e64 s[6:7], s[52:53], v[4:5]
	v_cmp_le_i64_e32 vcc, s[52:53], v[4:5]
	s_waitcnt lgkmcnt(0)
	v_mov_b32_e32 v9, 0
	v_mov_b32_e32 v8, 0
	s_and_saveexec_b64 s[10:11], s[6:7]
	s_cbranch_execz .LBB36_15
; %bb.14:                               ;   in Loop: Header=BB36_13 Depth=2
	global_load_ushort v8, v[2:3], off
.LBB36_15:                              ;   in Loop: Header=BB36_13 Depth=2
	s_or_b64 exec, exec, s[10:11]
	s_waitcnt vmcnt(0)
	v_add_u32_sdwa v12, sext(v7), s75 dst_sel:DWORD dst_unused:UNUSED_PAD src0_sel:WORD_0 src1_sel:DWORD
	v_and_b32_e32 v12, s0, v12
	v_cmp_eq_u32_e64 s[10:11], s1, v12
	s_cmp_lg_u64 s[10:11], 0
	s_cselect_b64 s[6:7], -1, 0
	s_and_b64 s[6:7], s[22:23], s[6:7]
	s_and_saveexec_b64 s[12:13], s[6:7]
	s_cbranch_execz .LBB36_19
; %bb.16:                               ;   in Loop: Header=BB36_13 Depth=2
	s_mov_b64 s[16:17], exec
	v_mbcnt_lo_u32_b32 v9, s16, 0
	v_mbcnt_hi_u32_b32 v9, s17, v9
	s_bcnt1_i32_b64 s20, s[10:11]
	v_cmp_eq_u32_e64 s[6:7], 0, v9
                                        ; implicit-def: $vgpr12
	s_and_saveexec_b64 s[14:15], s[6:7]
	s_cbranch_execz .LBB36_18
; %bb.17:                               ;   in Loop: Header=BB36_13 Depth=2
	s_bcnt1_i32_b64 s6, s[16:17]
	s_mul_i32 s6, s20, s6
	v_mov_b32_e32 v12, s6
	ds_add_rtn_u32 v12, v13, v12 offset:5136
.LBB36_18:                              ;   in Loop: Header=BB36_13 Depth=2
	s_or_b64 exec, exec, s[14:15]
	s_waitcnt lgkmcnt(0)
	v_readfirstlane_b32 s6, v12
	v_mov_b32_e32 v12, s6
	v_mad_u32_u24 v9, s20, v9, v12
.LBB36_19:                              ;   in Loop: Header=BB36_13 Depth=2
	s_or_b64 exec, exec, s[12:13]
	ds_bpermute_b32 v9, v36, v9
	s_and_b64 s[6:7], exec, vcc
	s_or_b64 s[8:9], s[6:7], s[8:9]
	s_and_saveexec_b64 s[6:7], s[10:11]
	s_cbranch_execz .LBB36_12
; %bb.20:                               ;   in Loop: Header=BB36_13 Depth=2
	v_and_b32_e32 v26, s10, v16
	v_and_b32_e32 v12, s11, v17
	v_bcnt_u32_b32 v26, v26, 0
	v_bcnt_u32_b32 v12, v12, v26
	v_lshlrev_b32_e32 v12, 1, v12
	s_waitcnt lgkmcnt(0)
	v_lshl_add_u32 v9, v9, 1, v12
	ds_write_b16 v9, v7
	s_branch .LBB36_12
.LBB36_21:                              ;   in Loop: Header=BB36_8 Depth=1
	s_mov_b64 s[2:3], -1
	s_mov_b64 s[6:7], 0
	s_branch .LBB36_25
.LBB36_22:                              ;   in Loop: Header=BB36_8 Depth=1
	s_or_b64 exec, exec, s[8:9]
	s_waitcnt lgkmcnt(0)
	s_barrier
	s_mov_b64 s[6:7], exec
	v_readlane_b32 s8, v52, 8
	v_readlane_b32 s9, v52, 9
	s_and_b64 s[8:9], s[6:7], s[8:9]
	s_mov_b64 exec, s[8:9]
	s_cbranch_execz .LBB36_24
; %bb.23:                               ;   in Loop: Header=BB36_8 Depth=1
	ds_read_b32 v2, v13 offset:5136
	s_waitcnt lgkmcnt(0)
	v_ashrrev_i32_e32 v3, 31, v2
	ds_write_b64 v13, v[2:3] offset:5120
.LBB36_24:                              ;   in Loop: Header=BB36_8 Depth=1
	s_or_b64 exec, exec, s[6:7]
	s_waitcnt lgkmcnt(0)
	s_barrier
	s_mov_b64 s[6:7], -1
.LBB36_25:                              ;   in Loop: Header=BB36_8 Depth=1
                                        ; implicit-def: $sgpr82_sgpr83
.LBB36_26:                              ;   in Loop: Header=BB36_8 Depth=1
	s_and_b64 vcc, exec, s[2:3]
	s_cbranch_vccz .LBB36_37
; %bb.27:                               ;   in Loop: Header=BB36_8 Depth=1
	v_mov_b32_e32 v6, 0
	s_mov_b64 s[2:3], exec
	v_readlane_b32 s6, v52, 16
	v_readlane_b32 s7, v52, 17
	s_and_b64 s[6:7], s[2:3], s[6:7]
	s_mov_b64 exec, s[6:7]
	s_cbranch_execz .LBB36_29
; %bb.28:                               ;   in Loop: Header=BB36_8 Depth=1
	global_load_ushort v6, v[10:11], off
.LBB36_29:                              ;   in Loop: Header=BB36_8 Depth=1
	s_or_b64 exec, exec, s[2:3]
	s_mov_b64 s[2:3], exec
	v_readlane_b32 s6, v52, 16
	v_readlane_b32 s7, v52, 17
	s_and_b64 s[6:7], s[2:3], s[6:7]
	s_mov_b64 exec, s[6:7]
	s_cbranch_execz .LBB36_34
; %bb.30:                               ;   in Loop: Header=BB36_8 Depth=1
	global_load_ushort v7, v13, s[50:51]
	v_readlane_b32 s14, v52, 27
	v_pk_mov_b32 v[2:3], s[70:71], s[70:71] op_sel:[0,1]
	v_readlane_b32 s15, v52, 28
	s_mov_b64 s[8:9], 0
	v_mov_b32_e32 v8, v33
	s_waitcnt vmcnt(0)
	v_readfirstlane_b32 s6, v7
	s_and_b32 s6, 0xffff, s6
	v_add_u32_e32 v5, s6, v0
	s_lshl_b32 s12, s6, 1
	s_mul_i32 s10, s15, s6
	s_mul_hi_u32 s11, s14, s6
	s_mul_i32 s13, s14, s6
	v_mad_u64_u32 v[2:3], s[6:7], s14, v5, v[2:3]
	v_mov_b32_e32 v4, v3
	v_mad_u64_u32 v[4:5], s[6:7], s15, v5, v[4:5]
	s_add_i32 s14, s11, s10
	v_mov_b32_e32 v3, v4
	v_pk_mov_b32 v[4:5], v[0:1], v[0:1] op_sel:[0,1]
	s_branch .LBB36_32
.LBB36_31:                              ;   in Loop: Header=BB36_32 Depth=2
	s_or_b64 exec, exec, s[10:11]
	s_and_b64 s[6:7], exec, vcc
	ds_write_b16 v8, v6
	v_mov_b32_e32 v6, s14
	v_add_co_u32_e32 v2, vcc, s13, v2
	s_or_b64 s[8:9], s[6:7], s[8:9]
	v_add_u32_e32 v8, s12, v8
	v_addc_co_u32_e32 v3, vcc, v3, v6, vcc
	s_waitcnt vmcnt(0)
	v_mov_b32_e32 v6, v9
	s_andn2_b64 exec, exec, s[8:9]
	s_cbranch_execz .LBB36_34
.LBB36_32:                              ;   Parent Loop BB36_8 Depth=1
                                        ; =>  This Inner Loop Header: Depth=2
	v_add_co_u32_sdwa v4, vcc, v4, v7 dst_sel:DWORD dst_unused:UNUSED_PAD src0_sel:DWORD src1_sel:WORD_0
	v_addc_co_u32_e32 v5, vcc, 0, v5, vcc
	v_cmp_gt_i64_e64 s[6:7], s[52:53], v[4:5]
	v_cmp_le_i64_e32 vcc, s[52:53], v[4:5]
	v_mov_b32_e32 v9, 0
	s_and_saveexec_b64 s[10:11], s[6:7]
	s_cbranch_execz .LBB36_31
; %bb.33:                               ;   in Loop: Header=BB36_32 Depth=2
	global_load_ushort v9, v[2:3], off
	s_branch .LBB36_31
.LBB36_34:                              ;   in Loop: Header=BB36_8 Depth=1
	s_or_b64 exec, exec, s[2:3]
	s_waitcnt lgkmcnt(0)
	s_barrier
	s_mov_b64 s[2:3], exec
	v_readlane_b32 s6, v52, 8
	v_readlane_b32 s7, v52, 9
	s_and_b64 s[6:7], s[2:3], s[6:7]
	s_mov_b64 exec, s[6:7]
	s_cbranch_execz .LBB36_36
; %bb.35:                               ;   in Loop: Header=BB36_8 Depth=1
	v_pk_mov_b32 v[2:3], s[52:53], s[52:53] op_sel:[0,1]
	ds_write_b64 v13, v[2:3] offset:5120
.LBB36_36:                              ;   in Loop: Header=BB36_8 Depth=1
	s_or_b64 exec, exec, s[2:3]
	s_mov_b64 s[6:7], -1
	s_waitcnt lgkmcnt(0)
	s_barrier
                                        ; implicit-def: $sgpr82_sgpr83
.LBB36_37:                              ;   in Loop: Header=BB36_8 Depth=1
	s_and_b64 vcc, exec, s[6:7]
	s_cbranch_vccz .LBB36_39
; %bb.38:                               ;   in Loop: Header=BB36_8 Depth=1
	ds_read_b64 v[2:3], v13 offset:5120
	s_waitcnt lgkmcnt(0)
	v_readfirstlane_b32 s82, v2
.LBB36_39:                              ;   in Loop: Header=BB36_8 Depth=1
	s_cmp_lt_i32 s82, 1
	s_cbranch_scc0 .LBB36_54
; %bb.40:                               ;   in Loop: Header=BB36_8 Depth=1
	global_load_ushort v2, v13, s[50:51]
	s_mov_b32 s2, s73
	s_waitcnt vmcnt(0)
	v_readfirstlane_b32 s3, v2
	s_and_b32 s72, s3, 0xffff
	s_lshl_b32 s78, s72, 2
	s_mov_b32 s3, s53
	s_cmp_lg_u64 s[2:3], 0
	s_cbranch_scc0 .LBB36_74
; %bb.41:                               ;   in Loop: Header=BB36_8 Depth=1
	v_cvt_f32_u32_e32 v2, s78
	s_sub_u32 s2, 0, s78
	s_subb_u32 s3, 0, 0
	v_mac_f32_e32 v2, 0x4f800000, v41
	v_rcp_f32_e32 v2, v2
	v_mul_f32_e32 v2, 0x5f7ffffc, v2
	v_mul_f32_e32 v3, 0x2f800000, v2
	v_trunc_f32_e32 v3, v3
	v_mac_f32_e32 v2, 0xcf800000, v3
	v_cvt_u32_f32_e32 v3, v3
	v_cvt_u32_f32_e32 v2, v2
	v_readfirstlane_b32 s6, v3
	v_readfirstlane_b32 s7, v2
	s_mul_i32 s8, s2, s6
	s_mul_hi_u32 s10, s2, s7
	s_mul_i32 s9, s3, s7
	s_add_i32 s8, s10, s8
	s_mul_i32 s11, s2, s7
	s_add_i32 s8, s8, s9
	s_mul_hi_u32 s10, s7, s11
	s_mul_hi_u32 s9, s7, s8
	s_mul_i32 s7, s7, s8
	s_add_u32 s7, s10, s7
	s_addc_u32 s9, 0, s9
	s_mul_hi_u32 s12, s6, s11
	s_mul_i32 s11, s6, s11
	s_add_u32 s7, s7, s11
	s_mul_hi_u32 s10, s6, s8
	s_addc_u32 s7, s9, s12
	s_addc_u32 s9, s10, 0
	s_mul_i32 s8, s6, s8
	s_add_u32 s7, s7, s8
	s_addc_u32 s8, 0, s9
	v_add_co_u32_e32 v2, vcc, s7, v2
	s_cmp_lg_u64 vcc, 0
	s_addc_u32 s6, s6, s8
	v_readfirstlane_b32 s8, v2
	s_mul_i32 s7, s2, s6
	s_mul_hi_u32 s9, s2, s8
	s_add_i32 s7, s9, s7
	s_mul_i32 s3, s3, s8
	s_add_i32 s7, s7, s3
	s_mul_i32 s2, s2, s8
	s_mul_hi_u32 s9, s6, s2
	s_mul_i32 s10, s6, s2
	s_mul_i32 s12, s8, s7
	s_mul_hi_u32 s2, s8, s2
	s_mul_hi_u32 s11, s8, s7
	s_add_u32 s2, s2, s12
	s_addc_u32 s8, 0, s11
	s_add_u32 s2, s2, s10
	s_mul_hi_u32 s3, s6, s7
	s_addc_u32 s2, s8, s9
	s_addc_u32 s3, s3, 0
	s_mul_i32 s7, s6, s7
	s_add_u32 s2, s2, s7
	s_addc_u32 s3, 0, s3
	v_add_co_u32_e32 v2, vcc, s2, v2
	s_cmp_lg_u64 vcc, 0
	s_addc_u32 s8, s6, s3
	s_ashr_i32 s2, s53, 31
	s_add_u32 s6, s52, s2
	s_mov_b32 s3, s2
	s_addc_u32 s7, s53, s2
	s_xor_b64 s[6:7], s[6:7], s[2:3]
	v_readfirstlane_b32 s10, v2
	s_mul_i32 s9, s6, s8
	s_mul_hi_u32 s11, s6, s10
	s_mul_hi_u32 s3, s6, s8
	s_add_u32 s9, s11, s9
	s_addc_u32 s3, 0, s3
	s_mul_hi_u32 s12, s7, s10
	s_mul_i32 s10, s7, s10
	s_add_u32 s9, s9, s10
	s_mul_hi_u32 s11, s7, s8
	s_addc_u32 s3, s3, s12
	s_addc_u32 s9, s11, 0
	s_mul_i32 s8, s7, s8
	s_add_u32 s3, s3, s8
	s_addc_u32 s8, 0, s9
	s_mul_hi_u32 s9, s78, s3
	s_mul_i32 s3, s78, s3
	s_mul_i32 s8, s78, s8
	v_mov_b32_e32 v2, s3
	s_add_i32 s9, s9, s8
	v_sub_co_u32_e32 v2, vcc, s6, v2
	s_cmp_lg_u64 vcc, 0
	s_subb_u32 s3, s7, s9
	v_subrev_co_u32_e32 v3, vcc, s78, v2
	s_cmp_lg_u64 vcc, 0
	s_subb_u32 s6, s3, 0
	v_subrev_co_u32_e32 v4, vcc, s78, v3
	s_cmp_lg_u64 vcc, 0
	s_subb_u32 s7, s6, 0
	v_cmp_le_u32_e32 vcc, s78, v3
	s_cmp_eq_u32 s6, 0
	v_cndmask_b32_e64 v5, 0, -1, vcc
	s_cselect_b64 vcc, -1, 0
	v_cndmask_b32_e32 v5, -1, v5, vcc
	v_mov_b32_e32 v6, s6
	v_mov_b32_e32 v7, s7
	v_cmp_ne_u32_e32 vcc, 0, v5
	v_cndmask_b32_e32 v5, v6, v7, vcc
	v_cndmask_b32_e32 v3, v3, v4, vcc
	v_cmp_le_u32_e32 vcc, s78, v2
	s_cmp_eq_u32 s3, 0
	v_cndmask_b32_e64 v4, 0, -1, vcc
	s_cselect_b64 vcc, -1, 0
	v_cndmask_b32_e32 v4, -1, v4, vcc
	v_cmp_ne_u32_e32 vcc, 0, v4
	v_mov_b32_e32 v6, s3
	v_cndmask_b32_e32 v2, v2, v3, vcc
	v_cndmask_b32_e32 v4, v6, v5, vcc
	v_xor_b32_e32 v2, s2, v2
	v_xor_b32_e32 v3, s2, v4
	v_mov_b32_e32 v4, s2
	v_subrev_co_u32_e32 v26, vcc, s2, v2
	v_subb_co_u32_e32 v27, vcc, v3, v4, vcc
	s_cbranch_execnz .LBB36_43
.LBB36_42:                              ;   in Loop: Header=BB36_8 Depth=1
	v_cvt_f32_u32_e32 v2, s78
	s_sub_i32 s2, 0, s78
	v_rcp_iflag_f32_e32 v2, v2
	v_mul_f32_e32 v2, 0x4f7ffffe, v2
	v_cvt_u32_f32_e32 v2, v2
	v_mul_lo_u32 v3, s2, v2
	v_mul_hi_u32 v3, v2, v3
	v_add_u32_e32 v2, v2, v3
	v_mul_hi_u32 v2, s52, v2
	v_mul_lo_u32 v2, v2, s78
	v_sub_u32_e32 v2, s52, v2
	v_subrev_u32_e32 v3, s78, v2
	v_cmp_le_u32_e32 vcc, s78, v2
	v_cndmask_b32_e32 v2, v2, v3, vcc
	v_subrev_u32_e32 v3, s78, v2
	v_cmp_le_u32_e32 vcc, s78, v2
	v_cndmask_b32_e32 v12, v2, v3, vcc
	v_pk_mov_b32 v[26:27], v[12:13], v[12:13] op_sel:[0,1]
.LBB36_43:                              ;   in Loop: Header=BB36_8 Depth=1
	v_mov_b32_e32 v2, s53
	v_sub_co_u32_e32 v28, vcc, s52, v26
	v_subb_co_u32_e32 v29, vcc, v2, v27, vcc
	v_pk_mov_b32 v[2:3], 0, 0
	v_cmp_gt_i64_e32 vcc, v[28:29], v[14:15]
	s_mov_b64 s[60:61], 0
	v_pk_mov_b32 v[4:5], v[2:3], v[2:3] op_sel:[0,1]
	v_pk_mov_b32 v[6:7], v[2:3], v[2:3] op_sel:[0,1]
	v_pk_mov_b32 v[8:9], v[2:3], v[2:3] op_sel:[0,1]
	s_and_saveexec_b64 s[84:85], vcc
	s_cbranch_execz .LBB36_47
; %bb.44:                               ;   in Loop: Header=BB36_8 Depth=1
	v_readlane_b32 s6, v52, 29
	v_readlane_b32 s7, v52, 30
	s_mul_i32 s2, s7, s72
	s_mul_hi_u32 s3, s6, s72
	s_mov_b64 s[56:57], s[30:31]
	s_mov_b64 s[66:67], s[36:37]
	s_mov_b32 s64, s77
	s_mov_b32 s87, s49
	;; [unrolled: 1-line block ×4, first 2 shown]
	s_and_b32 s83, s76, 0xfe
	s_add_i32 s81, s3, s2
	s_mul_i32 s79, s6, s72
	s_mov_b64 s[8:9], 0
	s_mov_b64 s[76:77], 0
	;; [unrolled: 1-line block ×4, first 2 shown]
	v_pk_mov_b32 v[30:31], v[14:15], v[14:15] op_sel:[0,1]
.LBB36_45:                              ;   Parent Loop BB36_8 Depth=1
                                        ; =>  This Inner Loop Header: Depth=2
	v_add_co_u32_e64 v30, s[6:7], s78, v30
	v_addc_co_u32_e64 v31, s[6:7], 0, v31, s[6:7]
	v_mov_b32_e32 v7, s71
	v_add_co_u32_e32 v2, vcc, s70, v22
	v_add_co_u32_e64 v8, s[6:7], s70, v24
	v_add_co_u32_e64 v4, s[10:11], s70, v20
	;; [unrolled: 1-line block ×3, first 2 shown]
	v_addc_co_u32_e64 v9, s[6:7], v7, v25, s[6:7]
	v_addc_co_u32_e32 v3, vcc, v7, v23, vcc
	v_addc_co_u32_e64 v5, vcc, v7, v21, s[10:11]
	v_addc_co_u32_e64 v7, vcc, v7, v19, s[12:13]
	global_load_sshort v8, v[8:9], off
	s_nop 0
	global_load_sshort v2, v[2:3], off
	s_nop 0
	;; [unrolled: 2-line block ×3, first 2 shown]
	global_load_sshort v4, v[6:7], off
	v_cmp_ge_i64_e32 vcc, v[30:31], v[28:29]
	s_waitcnt vmcnt(3)
	v_add_u32_e32 v5, 0x8000, v8
	s_waitcnt vmcnt(2)
	v_add_u32_e32 v2, 0x8000, v2
	v_and_b32_e32 v6, s0, v5
	v_bfe_u32 v5, v5, s83, 2
	s_waitcnt vmcnt(1)
	v_add_u32_e32 v3, 0x8000, v3
	v_and_b32_e32 v7, s0, v2
	v_bfe_u32 v2, v2, s83, 2
	v_cmp_eq_u32_e64 s[16:17], s1, v6
	v_cmp_eq_u32_e64 s[6:7], 0, v5
	s_waitcnt vmcnt(0)
	v_add_u32_e32 v4, 0x8000, v4
	v_and_b32_e32 v8, s0, v3
	v_bfe_u32 v3, v3, s83, 2
	v_cmp_eq_u32_e64 s[14:15], s1, v7
	v_cmp_eq_u32_e64 s[28:29], 0, v2
	s_and_b64 s[6:7], s[16:17], s[6:7]
	v_and_b32_e32 v9, s0, v4
	v_bfe_u32 v4, v4, s83, 2
	v_cmp_eq_u32_e64 s[12:13], s1, v8
	v_cmp_eq_u32_e64 s[30:31], 0, v3
	;; [unrolled: 1-line block ×5, first 2 shown]
	v_cndmask_b32_e64 v2, 0, 1, s[6:7]
	s_and_b64 s[6:7], s[14:15], s[28:29]
	v_cmp_eq_u32_e64 s[10:11], s1, v9
	v_cmp_eq_u32_e64 s[34:35], 0, v4
	;; [unrolled: 1-line block ×5, first 2 shown]
	v_cndmask_b32_e64 v3, 0, 1, s[6:7]
	s_and_b64 s[6:7], s[12:13], s[30:31]
	v_cmp_eq_u32_e64 s[42:43], 1, v4
	v_cmp_eq_u32_e64 s[50:51], 2, v4
	;; [unrolled: 1-line block ×3, first 2 shown]
	v_cndmask_b32_e64 v4, 0, 1, s[6:7]
	s_and_b64 s[6:7], s[10:11], s[34:35]
	v_cmp_eq_u32_e64 s[36:37], 1, v5
	v_cmp_eq_u32_e64 s[44:45], 2, v5
	;; [unrolled: 1-line block ×3, first 2 shown]
	v_cndmask_b32_e64 v5, 0, 1, s[6:7]
	v_cmp_ne_u32_e64 s[6:7], 0, v2
	v_cmp_ne_u32_e64 s[28:29], 0, v3
	v_cmp_ne_u32_e64 s[30:31], 0, v4
	v_cmp_ne_u32_e64 s[34:35], 0, v5
	s_bcnt1_i32_b64 s6, s[6:7]
	s_bcnt1_i32_b64 s7, s[28:29]
	s_bcnt1_i32_b64 s28, s[30:31]
	s_bcnt1_i32_b64 s29, s[34:35]
	s_add_u32 s6, s6, s26
	s_addc_u32 s26, 0, s27
	s_add_u32 s6, s6, s7
	s_addc_u32 s7, s26, 0
	s_add_u32 s6, s6, s28
	s_addc_u32 s7, s7, 0
	s_add_u32 s26, s6, s29
	s_addc_u32 s27, s7, 0
	s_and_b64 s[6:7], s[16:17], s[36:37]
	v_cndmask_b32_e64 v4, 0, 1, s[6:7]
	s_and_b64 s[6:7], s[14:15], s[38:39]
	v_cndmask_b32_e64 v5, 0, 1, s[6:7]
	s_and_b64 s[6:7], s[12:13], s[40:41]
	v_cndmask_b32_e64 v6, 0, 1, s[6:7]
	s_and_b64 s[6:7], s[10:11], s[42:43]
	v_cndmask_b32_e64 v7, 0, 1, s[6:7]
	v_cmp_ne_u32_e64 s[6:7], 0, v4
	v_cmp_ne_u32_e64 s[28:29], 0, v5
	v_cmp_ne_u32_e64 s[30:31], 0, v6
	v_cmp_ne_u32_e64 s[34:35], 0, v7
	s_bcnt1_i32_b64 s6, s[6:7]
	s_bcnt1_i32_b64 s7, s[28:29]
	s_bcnt1_i32_b64 s28, s[30:31]
	s_bcnt1_i32_b64 s29, s[34:35]
	s_add_u32 s2, s6, s2
	s_addc_u32 s3, 0, s3
	s_add_u32 s2, s2, s7
	s_addc_u32 s3, s3, 0
	s_add_u32 s2, s2, s28
	s_addc_u32 s3, s3, 0
	s_add_u32 s2, s2, s29
	s_addc_u32 s3, s3, 0
	s_and_b64 s[6:7], s[16:17], s[44:45]
	v_cndmask_b32_e64 v6, 0, 1, s[6:7]
	s_and_b64 s[6:7], s[14:15], s[46:47]
	v_cndmask_b32_e64 v7, 0, 1, s[6:7]
	s_and_b64 s[6:7], s[12:13], s[48:49]
	v_cndmask_b32_e64 v8, 0, 1, s[6:7]
	s_and_b64 s[6:7], s[10:11], s[50:51]
	;; [unrolled: 24-line block ×3, first 2 shown]
	v_cndmask_b32_e64 v44, 0, 1, s[6:7]
	v_cmp_ne_u32_e64 s[6:7], 0, v8
	v_cmp_ne_u32_e64 s[10:11], 0, v9
	;; [unrolled: 1-line block ×4, first 2 shown]
	s_bcnt1_i32_b64 s6, s[6:7]
	s_bcnt1_i32_b64 s7, s[10:11]
	;; [unrolled: 1-line block ×4, first 2 shown]
	s_add_u32 s6, s6, s8
	s_addc_u32 s8, 0, s9
	s_add_u32 s6, s6, s7
	s_addc_u32 s7, s8, 0
	;; [unrolled: 2-line block ×5, first 2 shown]
	v_pk_mov_b32 v[2:3], s[26:27], s[26:27] op_sel:[0,1]
	v_pk_mov_b32 v[4:5], s[2:3], s[2:3] op_sel:[0,1]
	;; [unrolled: 1-line block ×3, first 2 shown]
	s_or_b64 s[60:61], vcc, s[60:61]
	v_pk_mov_b32 v[8:9], s[8:9], s[8:9] op_sel:[0,1]
	s_andn2_b64 exec, exec, s[60:61]
	s_cbranch_execnz .LBB36_45
; %bb.46:                               ;   in Loop: Header=BB36_8 Depth=1
	s_or_b64 exec, exec, s[60:61]
	v_readlane_b32 s70, v52, 31
	v_readlane_b32 s46, v52, 33
	;; [unrolled: 1-line block ×6, first 2 shown]
	s_mov_b32 s81, s80
	s_mov_b32 s49, s87
	v_readlane_b32 s51, v52, 36
	s_mov_b32 s76, s86
	s_mov_b32 s77, s64
	s_mov_b64 s[36:37], s[66:67]
	s_mov_b64 s[30:31], s[56:57]
	v_readlane_b32 s23, v52, 38
.LBB36_47:                              ;   in Loop: Header=BB36_8 Depth=1
	s_or_b64 exec, exec, s[84:85]
	v_add_co_u32_e32 v28, vcc, v28, v0
	v_addc_co_u32_e32 v29, vcc, 0, v29, vcc
	v_cmp_gt_i64_e32 vcc, s[52:53], v[28:29]
	v_mov_b32_e32 v12, 0
	s_and_saveexec_b64 s[2:3], vcc
	s_cbranch_execz .LBB36_49
; %bb.48:                               ;   in Loop: Header=BB36_8 Depth=1
	v_mul_lo_u32 v12, v29, s58
	v_mul_lo_u32 v44, v28, s59
	v_mad_u64_u32 v[30:31], s[6:7], v28, s58, 0
	v_add3_u32 v31, v31, v44, v12
	v_lshlrev_b64 v[30:31], 1, v[30:31]
	v_mov_b32_e32 v12, s71
	v_add_co_u32_e64 v30, s[6:7], s70, v30
	v_addc_co_u32_e64 v31, s[6:7], v12, v31, s[6:7]
	global_load_ushort v12, v[30:31], off
.LBB36_49:                              ;   in Loop: Header=BB36_8 Depth=1
	s_or_b64 exec, exec, s[2:3]
	s_and_saveexec_b64 s[2:3], vcc
	s_cbranch_execz .LBB36_56
; %bb.50:                               ;   in Loop: Header=BB36_8 Depth=1
	v_mov_b32_e32 v30, s73
	v_add_co_u32_e32 v31, vcc, s72, v38
	v_addc_co_u32_e32 v30, vcc, v39, v30, vcc
	v_sub_co_u32_e32 v31, vcc, v31, v26
	v_subb_co_u32_e32 v26, vcc, v30, v27, vcc
	v_readlane_b32 s8, v52, 27
	v_mul_lo_u32 v30, s8, v26
	v_pk_mov_b32 v[26:27], s[70:71], s[70:71] op_sel:[0,1]
	v_readlane_b32 s9, v52, 28
	v_mad_u64_u32 v[26:27], s[6:7], s8, v31, v[26:27]
	v_mul_lo_u32 v44, s9, v31
	s_mul_i32 s6, s9, s72
	s_mul_hi_u32 s7, s8, s72
	s_and_b32 s12, s76, 0xfe
	v_add3_u32 v27, v44, v27, v30
	s_add_i32 s13, s7, s6
	s_mul_i32 s14, s8, s72
	s_mov_b64 s[8:9], 0
	s_branch .LBB36_52
.LBB36_51:                              ;   in Loop: Header=BB36_52 Depth=2
	s_or_b64 exec, exec, s[10:11]
	s_waitcnt vmcnt(0)
	v_add_u32_sdwa v12, sext(v12), s75 dst_sel:DWORD dst_unused:UNUSED_PAD src0_sel:WORD_0 src1_sel:DWORD
	s_and_b64 s[6:7], exec, vcc
	v_and_b32_e32 v31, s0, v12
	v_bfe_u32 v12, v12, s12, 2
	s_or_b64 s[8:9], s[6:7], s[8:9]
	v_cmp_eq_u32_e32 vcc, s1, v31
	v_cmp_eq_u32_e64 s[6:7], 0, v12
	s_and_b64 s[6:7], vcc, s[6:7]
	v_cndmask_b32_e64 v31, 0, 1, s[6:7]
	v_cmp_ne_u32_e64 s[6:7], 0, v31
	s_bcnt1_i32_b64 s6, s[6:7]
	v_add_co_u32_e64 v2, s[6:7], s6, v2
	v_addc_co_u32_e64 v3, s[6:7], 0, v3, s[6:7]
	v_cmp_eq_u32_e64 s[6:7], 1, v12
	s_and_b64 s[6:7], vcc, s[6:7]
	v_cndmask_b32_e64 v31, 0, 1, s[6:7]
	v_cmp_ne_u32_e64 s[6:7], 0, v31
	s_bcnt1_i32_b64 s6, s[6:7]
	v_add_co_u32_e64 v4, s[6:7], s6, v4
	v_addc_co_u32_e64 v5, s[6:7], 0, v5, s[6:7]
	;; [unrolled: 7-line block ×3, first 2 shown]
	v_cmp_eq_u32_e64 s[6:7], 3, v12
	s_and_b64 s[6:7], vcc, s[6:7]
	v_cndmask_b32_e64 v12, 0, 1, s[6:7]
	v_cmp_ne_u32_e32 vcc, 0, v12
	s_bcnt1_i32_b64 s6, vcc
	v_add_co_u32_e32 v8, vcc, s6, v8
	v_addc_co_u32_e32 v9, vcc, 0, v9, vcc
	v_mov_b32_e32 v12, s13
	v_add_co_u32_e32 v26, vcc, s14, v26
	v_addc_co_u32_e32 v27, vcc, v27, v12, vcc
	v_mov_b32_e32 v12, v30
	s_andn2_b64 exec, exec, s[8:9]
	s_cbranch_execz .LBB36_55
.LBB36_52:                              ;   Parent Loop BB36_8 Depth=1
                                        ; =>  This Inner Loop Header: Depth=2
	v_mov_b32_e32 v30, s73
	v_add_co_u32_e32 v28, vcc, s72, v28
	v_addc_co_u32_e32 v29, vcc, v29, v30, vcc
	v_cmp_gt_i64_e64 s[6:7], s[52:53], v[28:29]
	v_cmp_le_i64_e32 vcc, s[52:53], v[28:29]
	v_mov_b32_e32 v30, 0
	s_and_saveexec_b64 s[10:11], s[6:7]
	s_cbranch_execz .LBB36_51
; %bb.53:                               ;   in Loop: Header=BB36_52 Depth=2
	global_load_ushort v30, v[26:27], off
	s_branch .LBB36_51
.LBB36_54:                              ;   in Loop: Header=BB36_8 Depth=1
                                        ; implicit-def: $vgpr8_vgpr9
                                        ; implicit-def: $vgpr4_vgpr5
	s_cbranch_execnz .LBB36_57
	s_branch .LBB36_66
.LBB36_55:                              ;   in Loop: Header=BB36_8 Depth=1
	s_or_b64 exec, exec, s[8:9]
.LBB36_56:                              ;   in Loop: Header=BB36_8 Depth=1
	s_or_b64 exec, exec, s[2:3]
	s_branch .LBB36_66
.LBB36_57:                              ;   in Loop: Header=BB36_8 Depth=1
	global_load_ushort v8, v13, s[50:51]
	s_mov_b64 s[60:61], 0
	s_waitcnt vmcnt(0)
	v_readfirstlane_b32 s2, v8
	s_and_b32 s2, 0xffff, s2
	s_lshl_b32 s78, s2, 2
	v_cvt_f32_u32_e32 v2, s78
	s_sub_i32 s2, 0, s78
	v_and_b32_e32 v28, 0xffff, v8
	v_rcp_iflag_f32_e32 v6, v2
	v_pk_mov_b32 v[2:3], 0, 0
	v_pk_mov_b32 v[4:5], v[2:3], v[2:3] op_sel:[0,1]
	v_mul_f32_e32 v6, 0x4f7ffffe, v6
	v_cvt_u32_f32_e32 v9, v6
	v_pk_mov_b32 v[6:7], v[2:3], v[2:3] op_sel:[0,1]
	v_readfirstlane_b32 s3, v9
	s_mul_i32 s2, s2, s3
	s_mul_hi_u32 s2, s3, s2
	s_add_i32 s3, s3, s2
	s_mul_hi_u32 s2, s82, s3
	s_mul_i32 s2, s2, s78
	s_sub_i32 s2, s82, s2
	s_sub_i32 s3, s2, s78
	s_cmp_ge_u32 s2, s78
	s_cselect_b32 s2, s3, s2
	s_sub_i32 s3, s2, s78
	s_cmp_ge_u32 s2, s78
	s_cselect_b32 s2, s3, s2
	s_sub_i32 s72, s82, s2
	v_cmp_gt_u32_e32 vcc, s72, v14
	v_pk_mov_b32 v[8:9], v[2:3], v[2:3] op_sel:[0,1]
	s_and_saveexec_b64 s[2:3], vcc
	s_cbranch_execz .LBB36_61
; %bb.58:                               ;   in Loop: Header=BB36_8 Depth=1
	s_mov_b64 s[56:57], s[30:31]
	s_mov_b64 s[66:67], s[36:37]
	s_mov_b32 s64, s77
	s_mov_b32 s83, s49
	;; [unrolled: 1-line block ×3, first 2 shown]
	s_and_b32 s79, s76, 0xfe
	v_lshlrev_b32_e32 v12, 3, v28
	v_mov_b32_e32 v29, v37
	s_mov_b64 s[8:9], 0
	s_mov_b64 s[26:27], 0
	;; [unrolled: 1-line block ×4, first 2 shown]
	v_pk_mov_b32 v[26:27], v[14:15], v[14:15] op_sel:[0,1]
.LBB36_59:                              ;   Parent Loop BB36_8 Depth=1
                                        ; =>  This Inner Loop Header: Depth=2
	ds_read_b64 v[2:3], v29
	v_add_co_u32_e32 v26, vcc, s78, v26
	v_addc_co_u32_e32 v27, vcc, 0, v27, vcc
	s_waitcnt lgkmcnt(0)
	v_add_u32_sdwa v4, sext(v2), s75 dst_sel:DWORD dst_unused:UNUSED_PAD src0_sel:WORD_0 src1_sel:DWORD
	v_add_u32_sdwa v2, sext(v2), s75 dst_sel:DWORD dst_unused:UNUSED_PAD src0_sel:WORD_1 src1_sel:DWORD
	v_and_b32_e32 v6, s0, v4
	v_bfe_u32 v4, v4, s79, 2
	v_add_u32_sdwa v5, sext(v3), s75 dst_sel:DWORD dst_unused:UNUSED_PAD src0_sel:WORD_0 src1_sel:DWORD
	v_and_b32_e32 v7, s0, v2
	v_bfe_u32 v2, v2, s79, 2
	v_cmp_eq_u32_e64 s[16:17], s1, v6
	v_cmp_eq_u32_e64 s[6:7], 0, v4
	v_add_u32_sdwa v3, sext(v3), s75 dst_sel:DWORD dst_unused:UNUSED_PAD src0_sel:WORD_1 src1_sel:DWORD
	v_and_b32_e32 v8, s0, v5
	v_bfe_u32 v5, v5, s79, 2
	v_cmp_eq_u32_e64 s[14:15], s1, v7
	v_cmp_eq_u32_e64 s[28:29], 0, v2
	s_and_b64 s[6:7], s[16:17], s[6:7]
	v_and_b32_e32 v9, s0, v3
	v_bfe_u32 v3, v3, s79, 2
	v_cmp_eq_u32_e64 s[12:13], s1, v8
	v_cmp_eq_u32_e64 s[30:31], 0, v5
	;; [unrolled: 1-line block ×5, first 2 shown]
	v_cndmask_b32_e64 v2, 0, 1, s[6:7]
	s_and_b64 s[6:7], s[14:15], s[28:29]
	v_cmp_eq_u32_e64 s[10:11], s1, v9
	v_cmp_eq_u32_e64 s[34:35], 0, v3
	;; [unrolled: 1-line block ×5, first 2 shown]
	v_cndmask_b32_e64 v3, 0, 1, s[6:7]
	s_and_b64 s[6:7], s[12:13], s[30:31]
	v_cmp_eq_u32_e64 s[36:37], 1, v4
	v_cmp_eq_u32_e64 s[44:45], 2, v4
	;; [unrolled: 1-line block ×3, first 2 shown]
	v_cndmask_b32_e64 v4, 0, 1, s[6:7]
	s_and_b64 s[6:7], s[10:11], s[34:35]
	v_cmp_eq_u32_e64 s[40:41], 1, v5
	v_cmp_eq_u32_e64 s[48:49], 2, v5
	;; [unrolled: 1-line block ×3, first 2 shown]
	v_cndmask_b32_e64 v5, 0, 1, s[6:7]
	v_cmp_ne_u32_e64 s[6:7], 0, v2
	v_cmp_ne_u32_e64 s[28:29], 0, v3
	v_cmp_ne_u32_e64 s[30:31], 0, v4
	v_cmp_ne_u32_e64 s[34:35], 0, v5
	s_bcnt1_i32_b64 s6, s[6:7]
	s_bcnt1_i32_b64 s7, s[28:29]
	s_bcnt1_i32_b64 s28, s[30:31]
	s_bcnt1_i32_b64 s29, s[34:35]
	s_add_u32 s6, s6, s76
	s_addc_u32 s30, 0, s77
	s_add_u32 s6, s6, s7
	s_addc_u32 s7, s30, 0
	s_add_u32 s6, s6, s28
	s_addc_u32 s7, s7, 0
	s_add_u32 s76, s6, s29
	s_addc_u32 s77, s7, 0
	s_and_b64 s[6:7], s[16:17], s[36:37]
	v_cndmask_b32_e64 v4, 0, 1, s[6:7]
	s_and_b64 s[6:7], s[14:15], s[38:39]
	v_cndmask_b32_e64 v5, 0, 1, s[6:7]
	s_and_b64 s[6:7], s[12:13], s[40:41]
	v_cndmask_b32_e64 v6, 0, 1, s[6:7]
	s_and_b64 s[6:7], s[10:11], s[42:43]
	v_cndmask_b32_e64 v7, 0, 1, s[6:7]
	v_cmp_ne_u32_e64 s[6:7], 0, v4
	v_cmp_ne_u32_e64 s[28:29], 0, v5
	v_cmp_ne_u32_e64 s[30:31], 0, v6
	v_cmp_ne_u32_e64 s[34:35], 0, v7
	s_bcnt1_i32_b64 s6, s[6:7]
	s_bcnt1_i32_b64 s7, s[28:29]
	s_bcnt1_i32_b64 s28, s[30:31]
	s_bcnt1_i32_b64 s29, s[34:35]
	s_add_u32 s6, s6, s70
	s_addc_u32 s30, 0, s71
	s_add_u32 s6, s6, s7
	s_addc_u32 s7, s30, 0
	s_add_u32 s6, s6, s28
	s_addc_u32 s7, s7, 0
	s_add_u32 s70, s6, s29
	s_addc_u32 s71, s7, 0
	s_and_b64 s[6:7], s[16:17], s[44:45]
	v_cndmask_b32_e64 v6, 0, 1, s[6:7]
	s_and_b64 s[6:7], s[14:15], s[46:47]
	v_cndmask_b32_e64 v7, 0, 1, s[6:7]
	s_and_b64 s[6:7], s[12:13], s[48:49]
	v_cndmask_b32_e64 v8, 0, 1, s[6:7]
	s_and_b64 s[6:7], s[10:11], s[50:51]
	;; [unrolled: 24-line block ×3, first 2 shown]
	v_cndmask_b32_e64 v31, 0, 1, s[6:7]
	v_cmp_ne_u32_e64 s[6:7], 0, v8
	v_cmp_ne_u32_e64 s[10:11], 0, v9
	;; [unrolled: 1-line block ×4, first 2 shown]
	s_bcnt1_i32_b64 s6, s[6:7]
	s_bcnt1_i32_b64 s7, s[10:11]
	;; [unrolled: 1-line block ×4, first 2 shown]
	s_add_u32 s6, s6, s8
	s_addc_u32 s8, 0, s9
	s_add_u32 s6, s6, s7
	s_addc_u32 s7, s8, 0
	;; [unrolled: 2-line block ×3, first 2 shown]
	s_add_u32 s8, s6, s11
	v_cmp_le_u64_e32 vcc, s[72:73], v[26:27]
	s_addc_u32 s9, s7, 0
	v_add_u32_e32 v29, v29, v12
	v_pk_mov_b32 v[2:3], s[76:77], s[76:77] op_sel:[0,1]
	v_pk_mov_b32 v[4:5], s[70:71], s[70:71] op_sel:[0,1]
	;; [unrolled: 1-line block ×3, first 2 shown]
	s_or_b64 s[60:61], vcc, s[60:61]
	v_pk_mov_b32 v[8:9], s[8:9], s[8:9] op_sel:[0,1]
	s_andn2_b64 exec, exec, s[60:61]
	s_cbranch_execnz .LBB36_59
; %bb.60:                               ;   in Loop: Header=BB36_8 Depth=1
	s_or_b64 exec, exec, s[60:61]
	v_readlane_b32 s70, v52, 31
	v_readlane_b32 s46, v52, 33
	v_readlane_b32 s50, v52, 35
	v_readlane_b32 s22, v52, 37
	v_readlane_b32 s71, v52, 32
	v_readlane_b32 s47, v52, 34
	s_mov_b32 s49, s83
	v_readlane_b32 s51, v52, 36
	s_mov_b32 s76, s80
	s_mov_b32 s77, s64
	s_mov_b64 s[36:37], s[66:67]
	s_mov_b64 s[30:31], s[56:57]
	v_readlane_b32 s23, v52, 38
.LBB36_61:                              ;   in Loop: Header=BB36_8 Depth=1
	s_or_b64 exec, exec, s[2:3]
	v_add_u32_e32 v12, s72, v0
	v_cmp_gt_u32_e32 vcc, s82, v12
	s_and_saveexec_b64 s[2:3], vcc
	s_cbranch_execz .LBB36_65
; %bb.62:                               ;   in Loop: Header=BB36_8 Depth=1
	s_and_b32 s72, s82, 0x7fffffff
	s_and_b32 s18, s76, 0xfe
	v_lshlrev_b32_e32 v29, 1, v12
	v_lshlrev_b32_e32 v30, 1, v28
	s_mov_b64 s[8:9], 0
	v_pk_mov_b32 v[26:27], v[12:13], v[12:13] op_sel:[0,1]
.LBB36_63:                              ;   Parent Loop BB36_8 Depth=1
                                        ; =>  This Inner Loop Header: Depth=2
	ds_read_i16 v12, v29
	v_add_co_u32_e32 v26, vcc, v26, v28
	v_addc_co_u32_e32 v27, vcc, 0, v27, vcc
	s_waitcnt lgkmcnt(0)
	v_add_u32_e32 v12, 0x8000, v12
	v_and_b32_e32 v31, s0, v12
	v_bfe_u32 v12, v12, s18, 2
	v_cmp_eq_u32_e64 s[6:7], s1, v31
	v_cmp_eq_u32_e64 s[10:11], 0, v12
	;; [unrolled: 1-line block ×3, first 2 shown]
	s_and_b64 s[10:11], s[6:7], s[10:11]
	v_cmp_eq_u32_e64 s[14:15], 2, v12
	v_cmp_eq_u32_e64 s[16:17], 3, v12
	v_cndmask_b32_e64 v12, 0, 1, s[10:11]
	s_and_b64 s[10:11], s[6:7], s[12:13]
	v_cndmask_b32_e64 v31, 0, 1, s[10:11]
	s_and_b64 s[10:11], s[6:7], s[14:15]
	s_and_b64 s[6:7], s[6:7], s[16:17]
	v_cndmask_b32_e64 v45, 0, 1, s[6:7]
	v_cmp_ne_u32_e64 s[6:7], 0, v12
	s_bcnt1_i32_b64 s6, s[6:7]
	v_cndmask_b32_e64 v44, 0, 1, s[10:11]
	v_cmp_ne_u32_e64 s[10:11], 0, v31
	v_add_co_u32_e64 v2, s[6:7], s6, v2
	s_bcnt1_i32_b64 s10, s[10:11]
	v_addc_co_u32_e64 v3, s[6:7], 0, v3, s[6:7]
	v_cmp_ne_u32_e64 s[12:13], 0, v44
	v_cmp_ne_u32_e64 s[14:15], 0, v45
	v_add_co_u32_e64 v4, s[6:7], s10, v4
	v_cmp_le_u64_e32 vcc, s[72:73], v[26:27]
	s_bcnt1_i32_b64 s11, s[12:13]
	s_bcnt1_i32_b64 s12, s[14:15]
	v_addc_co_u32_e64 v5, s[6:7], 0, v5, s[6:7]
	v_add_co_u32_e64 v6, s[6:7], s11, v6
	s_or_b64 s[8:9], vcc, s[8:9]
	v_add_co_u32_e32 v8, vcc, s12, v8
	v_add_u32_e32 v29, v29, v30
	v_addc_co_u32_e64 v7, s[6:7], 0, v7, s[6:7]
	v_addc_co_u32_e32 v9, vcc, 0, v9, vcc
	s_andn2_b64 exec, exec, s[8:9]
	s_cbranch_execnz .LBB36_63
; %bb.64:                               ;   in Loop: Header=BB36_8 Depth=1
	s_or_b64 exec, exec, s[8:9]
.LBB36_65:                              ;   in Loop: Header=BB36_8 Depth=1
	s_or_b64 exec, exec, s[2:3]
.LBB36_66:                              ;   in Loop: Header=BB36_8 Depth=1
	s_lshl_b32 s6, s77, 6
	s_and_saveexec_b64 s[2:3], s[22:23]
	s_cbranch_execz .LBB36_68
; %bb.67:                               ;   in Loop: Header=BB36_8 Depth=1
	s_waitcnt vmcnt(0)
	v_or_b32_e32 v12, s6, v35
	v_lshlrev_b32_e32 v12, 3, v12
	ds_write_b128 v12, v[2:5] offset:3072
	ds_write_b128 v12, v[6:9] offset:3088
.LBB36_68:                              ;   in Loop: Header=BB36_8 Depth=1
	s_or_b64 exec, exec, s[2:3]
	s_waitcnt lgkmcnt(0)
	s_barrier
	s_and_saveexec_b64 s[2:3], s[46:47]
	s_cbranch_execz .LBB36_80
; %bb.69:                               ;   in Loop: Header=BB36_8 Depth=1
	v_readlane_b32 s8, v52, 18
	v_readlane_b32 s9, v52, 19
	s_andn2_b64 vcc, exec, s[8:9]
	v_pk_mov_b32 v[2:3], 0, 0
	s_cbranch_vccnz .LBB36_79
; %bb.70:                               ;   in Loop: Header=BB36_8 Depth=1
	v_readlane_b32 s8, v52, 22
	v_readlane_b32 s9, v52, 23
	s_andn2_b64 vcc, exec, s[8:9]
	s_cbranch_vccnz .LBB36_75
; %bb.71:                               ;   in Loop: Header=BB36_8 Depth=1
	v_lshl_add_u32 v4, s77, 9, v40
	s_mov_b32 s7, 0
	v_pk_mov_b32 v[2:3], 0, 0
.LBB36_72:                              ;   Parent Loop BB36_8 Depth=1
                                        ; =>  This Inner Loop Header: Depth=2
	s_waitcnt vmcnt(0)
	ds_read2_b64 v[6:9], v4 offset1:4
	ds_read2_b64 v[26:29], v4 offset0:8 offset1:12
	ds_read2_b64 v[44:47], v4 offset0:16 offset1:20
	;; [unrolled: 1-line block ×3, first 2 shown]
	s_add_i32 s7, s7, 8
	s_waitcnt lgkmcnt(3)
	v_add_co_u32_e32 v2, vcc, v6, v2
	v_addc_co_u32_e32 v3, vcc, v7, v3, vcc
	v_add_co_u32_e32 v2, vcc, v8, v2
	v_addc_co_u32_e32 v3, vcc, v9, v3, vcc
	s_waitcnt lgkmcnt(2)
	v_add_co_u32_e32 v2, vcc, v26, v2
	v_addc_co_u32_e32 v3, vcc, v27, v3, vcc
	v_add_co_u32_e32 v2, vcc, v28, v2
	v_addc_co_u32_e32 v3, vcc, v29, v3, vcc
	;; [unrolled: 5-line block ×3, first 2 shown]
	s_waitcnt lgkmcnt(0)
	v_add_co_u32_e32 v2, vcc, v48, v2
	v_addc_co_u32_e32 v3, vcc, v49, v3, vcc
	v_add_co_u32_e32 v2, vcc, v50, v2
	v_add_u32_e32 v4, 0x100, v4
	s_cmp_eq_u32 s89, s7
	v_addc_co_u32_e32 v3, vcc, v51, v3, vcc
	s_cbranch_scc0 .LBB36_72
; %bb.73:                               ;   in Loop: Header=BB36_8 Depth=1
	s_mov_b32 s7, s89
	s_branch .LBB36_76
.LBB36_74:                              ;   in Loop: Header=BB36_8 Depth=1
                                        ; implicit-def: $vgpr26_vgpr27
	s_branch .LBB36_42
.LBB36_75:                              ;   in Loop: Header=BB36_8 Depth=1
	s_mov_b32 s7, 0
	v_pk_mov_b32 v[2:3], 0, 0
.LBB36_76:                              ;   in Loop: Header=BB36_8 Depth=1
	v_readlane_b32 s8, v52, 25
	v_readlane_b32 s9, v52, 26
	s_andn2_b64 vcc, exec, s[8:9]
	s_cbranch_vccnz .LBB36_79
; %bb.77:                               ;   in Loop: Header=BB36_8 Depth=1
	s_lshl_b32 s8, s77, 9
	s_lshl_b32 s7, s7, 5
	s_add_i32 s8, s8, s7
	v_add_u32_e32 v4, s8, v40
	v_readlane_b32 s7, v52, 24
.LBB36_78:                              ;   Parent Loop BB36_8 Depth=1
                                        ; =>  This Inner Loop Header: Depth=2
	s_waitcnt vmcnt(0)
	ds_read_b64 v[6:7], v4
	s_add_i32 s7, s7, -1
	v_add_u32_e32 v4, 32, v4
	s_cmp_lg_u32 s7, 0
	s_waitcnt lgkmcnt(0)
	v_add_co_u32_e32 v2, vcc, v6, v2
	v_addc_co_u32_e32 v3, vcc, v7, v3, vcc
	s_cbranch_scc1 .LBB36_78
.LBB36_79:                              ;   in Loop: Header=BB36_8 Depth=1
	v_add_lshl_u32 v4, s6, v32, 3
	ds_write_b64 v4, v[2:3] offset:3072
.LBB36_80:                              ;   in Loop: Header=BB36_8 Depth=1
	s_or_b64 exec, exec, s[2:3]
	s_lshl_b32 s2, s6, 3
	s_waitcnt vmcnt(0)
	v_mov_b32_e32 v6, s2
	s_waitcnt lgkmcnt(0)
	s_barrier
	ds_read_b128 v[2:5], v6 offset:3072
	ds_read_b128 v[6:9], v6 offset:3088
	s_and_b32 s40, s76, 0xfe
	s_lshl_b32 s44, 3, s40
	s_not_b32 s41, s44
	s_waitcnt lgkmcnt(1)
	v_readfirstlane_b32 s15, v3
	v_readfirstlane_b32 s14, v2
	s_cmp_eq_u64 s[14:15], 1
	s_cselect_b64 s[2:3], -1, 0
	s_cmp_eq_u64 s[54:55], 1
	s_cselect_b64 s[6:7], -1, 0
	s_and_b64 s[20:21], s[2:3], s[6:7]
	v_readfirstlane_b32 s28, v4
	v_readfirstlane_b32 s29, v5
	s_waitcnt lgkmcnt(0)
	v_readfirstlane_b32 s16, v6
	v_readfirstlane_b32 s17, v7
	;; [unrolled: 1-line block ×4, first 2 shown]
	s_mov_b64 s[18:19], -1
	s_and_b64 vcc, exec, s[20:21]
	s_cbranch_vccz .LBB36_95
; %bb.81:                               ;   in Loop: Header=BB36_8 Depth=1
	ds_read_b64 v[2:3], v13 offset:5120
	s_waitcnt lgkmcnt(0)
	s_barrier
	v_readfirstlane_b32 s12, v2
	v_readfirstlane_b32 s13, v3
	s_mov_b64 s[2:3], exec
	v_readlane_b32 s6, v52, 12
	v_readlane_b32 s7, v52, 13
	s_and_b64 s[6:7], s[2:3], s[6:7]
	s_mov_b64 exec, s[6:7]
	s_cbranch_execz .LBB36_83
; %bb.82:                               ;   in Loop: Header=BB36_8 Depth=1
	ds_write_b16 v34, v13
.LBB36_83:                              ;   in Loop: Header=BB36_8 Depth=1
	s_or_b64 exec, exec, s[2:3]
	v_cmp_lt_i64_e64 s[2:3], s[12:13], 1
	s_and_b32 s1, s1, s41
	s_or_b32 s0, s0, s44
	s_and_b64 vcc, exec, s[2:3]
	s_waitcnt lgkmcnt(0)
	s_barrier
	s_cbranch_vccz .LBB36_96
; %bb.84:                               ;   in Loop: Header=BB36_8 Depth=1
	s_mov_b32 s48, s73
	s_cmp_lg_u64 s[48:49], 0
	s_cbranch_scc0 .LBB36_141
; %bb.85:                               ;   in Loop: Header=BB36_8 Depth=1
	v_cvt_f32_u32_e32 v2, s33
	s_sub_u32 s2, 0, s33
	s_subb_u32 s3, 0, 0
	v_mac_f32_e32 v2, 0x4f800000, v41
	v_rcp_f32_e32 v2, v2
	v_mul_f32_e32 v2, 0x5f7ffffc, v2
	v_mul_f32_e32 v3, 0x2f800000, v2
	v_trunc_f32_e32 v3, v3
	v_mac_f32_e32 v2, 0xcf800000, v3
	v_cvt_u32_f32_e32 v3, v3
	v_cvt_u32_f32_e32 v2, v2
	v_readfirstlane_b32 s6, v3
	v_readfirstlane_b32 s7, v2
	s_mul_i32 s8, s2, s6
	s_mul_hi_u32 s22, s2, s7
	s_mul_i32 s9, s3, s7
	s_add_i32 s8, s22, s8
	s_mul_i32 s23, s2, s7
	s_add_i32 s8, s8, s9
	s_mul_hi_u32 s22, s7, s23
	s_mul_hi_u32 s9, s7, s8
	s_mul_i32 s7, s7, s8
	s_add_u32 s7, s22, s7
	s_addc_u32 s9, 0, s9
	s_mul_hi_u32 s24, s6, s23
	s_mul_i32 s23, s6, s23
	s_add_u32 s7, s7, s23
	s_mul_hi_u32 s22, s6, s8
	s_addc_u32 s7, s9, s24
	s_addc_u32 s9, s22, 0
	s_mul_i32 s8, s6, s8
	s_add_u32 s7, s7, s8
	s_addc_u32 s8, 0, s9
	v_add_co_u32_e32 v2, vcc, s7, v2
	s_cmp_lg_u64 vcc, 0
	s_addc_u32 s6, s6, s8
	v_readfirstlane_b32 s8, v2
	s_mul_i32 s7, s2, s6
	s_mul_hi_u32 s9, s2, s8
	s_add_i32 s7, s9, s7
	s_mul_i32 s3, s3, s8
	s_add_i32 s7, s7, s3
	s_mul_i32 s2, s2, s8
	s_mul_hi_u32 s9, s6, s2
	s_mul_i32 s22, s6, s2
	s_mul_i32 s24, s8, s7
	s_mul_hi_u32 s2, s8, s2
	s_mul_hi_u32 s23, s8, s7
	s_add_u32 s2, s2, s24
	s_addc_u32 s8, 0, s23
	s_add_u32 s2, s2, s22
	s_mul_hi_u32 s3, s6, s7
	s_addc_u32 s2, s8, s9
	s_addc_u32 s3, s3, 0
	s_mul_i32 s7, s6, s7
	s_add_u32 s2, s2, s7
	s_addc_u32 s3, 0, s3
	v_add_co_u32_e32 v2, vcc, s2, v2
	s_cmp_lg_u64 vcc, 0
	s_addc_u32 s8, s6, s3
	s_ashr_i32 s2, s49, 31
	s_add_u32 s6, s81, s2
	s_mov_b32 s3, s2
	s_addc_u32 s7, s49, s2
	s_xor_b64 s[6:7], s[6:7], s[2:3]
	v_readfirstlane_b32 s22, v2
	s_mul_i32 s9, s6, s8
	s_mul_hi_u32 s23, s6, s22
	s_mul_hi_u32 s3, s6, s8
	s_add_u32 s9, s23, s9
	s_addc_u32 s3, 0, s3
	s_mul_hi_u32 s24, s7, s22
	s_mul_i32 s22, s7, s22
	s_add_u32 s9, s9, s22
	s_mul_hi_u32 s23, s7, s8
	s_addc_u32 s3, s3, s24
	s_addc_u32 s9, s23, 0
	s_mul_i32 s8, s7, s8
	s_add_u32 s3, s3, s8
	s_addc_u32 s8, 0, s9
	s_mul_hi_u32 s9, s33, s3
	s_mul_i32 s3, s33, s3
	s_mul_i32 s8, s33, s8
	v_mov_b32_e32 v2, s3
	s_add_i32 s9, s9, s8
	v_sub_co_u32_e32 v2, vcc, s6, v2
	s_cmp_lg_u64 vcc, 0
	s_subb_u32 s3, s7, s9
	v_subrev_co_u32_e32 v3, vcc, s33, v2
	s_cmp_lg_u64 vcc, 0
	s_subb_u32 s6, s3, 0
	v_subrev_co_u32_e32 v4, vcc, s33, v3
	s_cmp_lg_u64 vcc, 0
	s_subb_u32 s7, s6, 0
	v_cmp_le_u32_e32 vcc, s33, v3
	s_cmp_eq_u32 s6, 0
	v_cndmask_b32_e64 v5, 0, -1, vcc
	s_cselect_b64 vcc, -1, 0
	v_cndmask_b32_e32 v5, -1, v5, vcc
	v_mov_b32_e32 v6, s6
	v_mov_b32_e32 v7, s7
	v_cmp_ne_u32_e32 vcc, 0, v5
	v_cndmask_b32_e32 v5, v6, v7, vcc
	v_cndmask_b32_e32 v3, v3, v4, vcc
	v_cmp_le_u32_e32 vcc, s33, v2
	s_cmp_eq_u32 s3, 0
	v_cndmask_b32_e64 v4, 0, -1, vcc
	s_cselect_b64 vcc, -1, 0
	v_cndmask_b32_e32 v4, -1, v4, vcc
	v_cmp_ne_u32_e32 vcc, 0, v4
	v_mov_b32_e32 v6, s3
	v_cndmask_b32_e32 v2, v2, v3, vcc
	v_cndmask_b32_e32 v4, v6, v5, vcc
	v_xor_b32_e32 v2, s2, v2
	v_xor_b32_e32 v3, s2, v4
	v_mov_b32_e32 v4, s2
	v_subrev_co_u32_e32 v2, vcc, s2, v2
	v_subb_co_u32_e32 v3, vcc, v3, v4, vcc
	s_cbranch_execnz .LBB36_87
.LBB36_86:                              ;   in Loop: Header=BB36_8 Depth=1
	v_cvt_f32_u32_e32 v2, s33
	s_sub_i32 s2, 0, s33
	v_rcp_iflag_f32_e32 v2, v2
	v_mul_f32_e32 v2, 0x4f7ffffe, v2
	v_cvt_u32_f32_e32 v2, v2
	v_mul_lo_u32 v3, s2, v2
	v_mul_hi_u32 v3, v2, v3
	v_add_u32_e32 v2, v2, v3
	v_mul_hi_u32 v2, s81, v2
	v_mul_lo_u32 v2, v2, s33
	v_sub_u32_e32 v2, s81, v2
	v_subrev_u32_e32 v3, s33, v2
	v_cmp_le_u32_e32 vcc, s33, v2
	v_cndmask_b32_e32 v2, v2, v3, vcc
	v_subrev_u32_e32 v3, s33, v2
	v_cmp_le_u32_e32 vcc, s33, v2
	v_cndmask_b32_e32 v12, v2, v3, vcc
	v_pk_mov_b32 v[2:3], v[12:13], v[12:13] op_sel:[0,1]
.LBB36_87:                              ;   in Loop: Header=BB36_8 Depth=1
	v_mov_b32_e32 v4, s49
	v_sub_co_u32_e32 v2, vcc, s81, v2
	v_subb_co_u32_e32 v3, vcc, v4, v3, vcc
	v_cmp_gt_i64_e32 vcc, v[2:3], v[0:1]
	s_mov_b64 s[2:3], 0
                                        ; implicit-def: $vgpr43
	s_and_saveexec_b64 s[8:9], vcc
	s_cbranch_execz .LBB36_98
; %bb.88:                               ;   in Loop: Header=BB36_8 Depth=1
	v_pk_mov_b32 v[4:5], v[10:11], v[10:11] op_sel:[0,1]
	v_pk_mov_b32 v[6:7], v[0:1], v[0:1] op_sel:[0,1]
                                        ; implicit-def: $sgpr22_sgpr23
	s_branch .LBB36_90
.LBB36_89:                              ;   in Loop: Header=BB36_90 Depth=2
	s_or_b64 exec, exec, s[6:7]
	s_waitcnt lgkmcnt(0)
	s_barrier
	s_waitcnt vmcnt(0)
	ds_read_b32 v8, v13 offset:3072
	v_mov_b32_e32 v9, s88
	v_add_co_u32_e64 v6, s[6:7], s33, v6
	v_addc_co_u32_e64 v7, s[6:7], v7, v9, s[6:7]
	s_waitcnt lgkmcnt(0)
	v_cmp_ne_u16_e32 vcc, 0, v8
	v_cmp_ge_i64_e64 s[6:7], v[6:7], v[2:3]
	s_or_b64 s[24:25], vcc, s[6:7]
	v_mov_b32_e32 v9, s69
	v_add_co_u32_e64 v4, s[6:7], s68, v4
	v_addc_co_u32_e64 v5, s[6:7], v5, v9, s[6:7]
	s_and_b64 s[6:7], exec, s[24:25]
	s_or_b64 s[2:3], s[6:7], s[2:3]
	s_andn2_b64 s[6:7], s[22:23], exec
	s_and_b64 s[22:23], vcc, exec
	s_or_b64 s[22:23], s[6:7], s[22:23]
	s_barrier
	s_andn2_b64 exec, exec, s[2:3]
	s_cbranch_execz .LBB36_97
.LBB36_90:                              ;   Parent Loop BB36_8 Depth=1
                                        ; =>  This Inner Loop Header: Depth=2
	v_cmp_gt_i64_e32 vcc, s[52:53], v[6:7]
	v_mov_b32_e32 v8, 0
	s_and_saveexec_b64 s[6:7], vcc
	s_cbranch_execz .LBB36_92
; %bb.91:                               ;   in Loop: Header=BB36_90 Depth=2
	global_load_ushort v8, v[4:5], off
.LBB36_92:                              ;   in Loop: Header=BB36_90 Depth=2
	s_or_b64 exec, exec, s[6:7]
	s_and_saveexec_b64 s[6:7], vcc
	s_cbranch_execz .LBB36_89
; %bb.93:                               ;   in Loop: Header=BB36_90 Depth=2
	s_waitcnt vmcnt(0)
	v_add_u32_sdwa v9, sext(v8), s75 dst_sel:DWORD dst_unused:UNUSED_PAD src0_sel:WORD_0 src1_sel:DWORD
	v_and_b32_e32 v9, s0, v9
	v_cmp_eq_u32_e32 vcc, s1, v9
	s_and_b64 exec, exec, vcc
	s_cbranch_execz .LBB36_89
; %bb.94:                               ;   in Loop: Header=BB36_90 Depth=2
	v_perm_b32 v8, v8, 1, v42
	ds_write_b32 v13, v8 offset:3072
	s_branch .LBB36_89
.LBB36_95:                              ;   in Loop: Header=BB36_8 Depth=1
	s_mov_b64 s[2:3], -1
                                        ; implicit-def: $sgpr6_sgpr7
                                        ; implicit-def: $sgpr22_sgpr23
                                        ; implicit-def: $sgpr8_sgpr9
	s_branch .LBB36_112
.LBB36_96:                              ;   in Loop: Header=BB36_8 Depth=1
	s_mov_b64 s[6:7], -1
	s_mov_b64 s[2:3], 0
                                        ; implicit-def: $sgpr8_sgpr9
                                        ; implicit-def: $vgpr43
	s_mov_b64 s[22:23], s[6:7]
	s_cbranch_execnz .LBB36_99
	s_branch .LBB36_112
.LBB36_97:                              ;   in Loop: Header=BB36_8 Depth=1
	s_or_b64 exec, exec, s[2:3]
	v_lshrrev_b32_e32 v43, 16, v8
	s_and_b64 s[2:3], s[22:23], exec
.LBB36_98:                              ;   in Loop: Header=BB36_8 Depth=1
	s_or_b64 exec, exec, s[8:9]
	s_mov_b64 s[8:9], -1
	s_mov_b64 s[6:7], 0
	s_mov_b64 s[22:23], s[6:7]
	s_branch .LBB36_112
.LBB36_99:                              ;   in Loop: Header=BB36_8 Depth=1
	v_readlane_b32 s2, v52, 20
	s_add_u32 s8, s2, s12
	v_readlane_b32 s2, v52, 21
	s_addc_u32 s3, s2, s13
	s_mov_b32 s2, s73
	s_cmp_lg_u64 s[2:3], 0
	s_cbranch_scc0 .LBB36_142
; %bb.100:                              ;   in Loop: Header=BB36_8 Depth=1
	v_cvt_f32_u32_e32 v2, s33
	s_sub_u32 s2, 0, s33
	s_subb_u32 s6, 0, 0
	v_mac_f32_e32 v2, 0x4f800000, v41
	v_rcp_f32_e32 v2, v2
	v_mul_f32_e32 v2, 0x5f7ffffc, v2
	v_mul_f32_e32 v3, 0x2f800000, v2
	v_trunc_f32_e32 v3, v3
	v_mac_f32_e32 v2, 0xcf800000, v3
	v_cvt_u32_f32_e32 v3, v3
	v_cvt_u32_f32_e32 v2, v2
	v_readfirstlane_b32 s7, v3
	v_readfirstlane_b32 s9, v2
	s_mul_i32 s22, s2, s7
	s_mul_hi_u32 s24, s2, s9
	s_mul_i32 s23, s6, s9
	s_add_i32 s22, s24, s22
	s_mul_i32 s25, s2, s9
	s_add_i32 s22, s22, s23
	s_mul_hi_u32 s24, s9, s25
	s_mul_hi_u32 s23, s9, s22
	s_mul_i32 s9, s9, s22
	s_add_u32 s9, s24, s9
	s_addc_u32 s23, 0, s23
	s_mul_hi_u32 s26, s7, s25
	s_mul_i32 s25, s7, s25
	s_add_u32 s9, s9, s25
	s_mul_hi_u32 s24, s7, s22
	s_addc_u32 s9, s23, s26
	s_addc_u32 s23, s24, 0
	s_mul_i32 s22, s7, s22
	s_add_u32 s9, s9, s22
	s_addc_u32 s22, 0, s23
	v_add_co_u32_e32 v2, vcc, s9, v2
	s_cmp_lg_u64 vcc, 0
	s_addc_u32 s7, s7, s22
	v_readfirstlane_b32 s22, v2
	s_mul_i32 s9, s2, s7
	s_mul_hi_u32 s23, s2, s22
	s_add_i32 s9, s23, s9
	s_mul_i32 s6, s6, s22
	s_add_i32 s9, s9, s6
	s_mul_i32 s2, s2, s22
	s_mul_hi_u32 s23, s7, s2
	s_mul_i32 s24, s7, s2
	s_mul_i32 s26, s22, s9
	s_mul_hi_u32 s2, s22, s2
	s_mul_hi_u32 s25, s22, s9
	s_add_u32 s2, s2, s26
	s_addc_u32 s22, 0, s25
	s_add_u32 s2, s2, s24
	s_mul_hi_u32 s6, s7, s9
	s_addc_u32 s2, s22, s23
	s_addc_u32 s6, s6, 0
	s_mul_i32 s9, s7, s9
	s_add_u32 s2, s2, s9
	s_addc_u32 s6, 0, s6
	v_add_co_u32_e32 v2, vcc, s2, v2
	s_cmp_lg_u64 vcc, 0
	s_addc_u32 s2, s7, s6
	s_ashr_i32 s6, s3, 31
	s_add_u32 s22, s8, s6
	s_mov_b32 s7, s6
	s_addc_u32 s23, s3, s6
	s_xor_b64 s[22:23], s[22:23], s[6:7]
	v_readfirstlane_b32 s24, v2
	s_mul_i32 s9, s22, s2
	s_mul_hi_u32 s25, s22, s24
	s_mul_hi_u32 s7, s22, s2
	s_add_u32 s9, s25, s9
	s_addc_u32 s7, 0, s7
	s_mul_hi_u32 s26, s23, s24
	s_mul_i32 s24, s23, s24
	s_add_u32 s9, s9, s24
	s_mul_hi_u32 s25, s23, s2
	s_addc_u32 s7, s7, s26
	s_addc_u32 s9, s25, 0
	s_mul_i32 s2, s23, s2
	s_add_u32 s2, s7, s2
	s_addc_u32 s7, 0, s9
	s_mul_hi_u32 s9, s33, s2
	s_mul_i32 s2, s33, s2
	s_mul_i32 s7, s33, s7
	v_mov_b32_e32 v2, s2
	s_add_i32 s9, s9, s7
	v_sub_co_u32_e32 v2, vcc, s22, v2
	s_cmp_lg_u64 vcc, 0
	s_subb_u32 s2, s23, s9
	v_subrev_co_u32_e32 v3, vcc, s33, v2
	s_cmp_lg_u64 vcc, 0
	s_subb_u32 s7, s2, 0
	v_subrev_co_u32_e32 v4, vcc, s33, v3
	s_cmp_lg_u64 vcc, 0
	s_subb_u32 s9, s7, 0
	v_cmp_le_u32_e32 vcc, s33, v3
	s_cmp_eq_u32 s7, 0
	v_cndmask_b32_e64 v5, 0, -1, vcc
	s_cselect_b64 vcc, -1, 0
	v_cndmask_b32_e32 v5, -1, v5, vcc
	v_mov_b32_e32 v6, s7
	v_mov_b32_e32 v7, s9
	v_cmp_ne_u32_e32 vcc, 0, v5
	v_cndmask_b32_e32 v5, v6, v7, vcc
	v_cndmask_b32_e32 v3, v3, v4, vcc
	v_cmp_le_u32_e32 vcc, s33, v2
	s_cmp_eq_u32 s2, 0
	v_cndmask_b32_e64 v4, 0, -1, vcc
	s_cselect_b64 vcc, -1, 0
	v_cndmask_b32_e32 v4, -1, v4, vcc
	v_cmp_ne_u32_e32 vcc, 0, v4
	v_mov_b32_e32 v6, s2
	v_cndmask_b32_e32 v2, v2, v3, vcc
	v_cndmask_b32_e32 v4, v6, v5, vcc
	v_xor_b32_e32 v2, s6, v2
	v_xor_b32_e32 v3, s6, v4
	v_mov_b32_e32 v4, s6
	v_subrev_co_u32_e32 v2, vcc, s6, v2
	v_subb_co_u32_e32 v3, vcc, v3, v4, vcc
	s_cbranch_execnz .LBB36_102
.LBB36_101:                             ;   in Loop: Header=BB36_8 Depth=1
	v_cvt_f32_u32_e32 v2, s33
	s_sub_i32 s2, 0, s33
	v_rcp_iflag_f32_e32 v2, v2
	v_mul_f32_e32 v2, 0x4f7ffffe, v2
	v_cvt_u32_f32_e32 v2, v2
	v_mul_lo_u32 v3, s2, v2
	v_mul_hi_u32 v3, v2, v3
	v_add_u32_e32 v2, v2, v3
	v_mul_hi_u32 v2, s8, v2
	v_mul_lo_u32 v2, v2, s33
	v_sub_u32_e32 v2, s8, v2
	v_subrev_u32_e32 v3, s33, v2
	v_cmp_le_u32_e32 vcc, s33, v2
	v_cndmask_b32_e32 v2, v2, v3, vcc
	v_subrev_u32_e32 v3, s33, v2
	v_cmp_le_u32_e32 vcc, s33, v2
	v_cndmask_b32_e32 v12, v2, v3, vcc
	v_pk_mov_b32 v[2:3], v[12:13], v[12:13] op_sel:[0,1]
.LBB36_102:                             ;   in Loop: Header=BB36_8 Depth=1
	v_mov_b32_e32 v4, s3
	v_sub_co_u32_e32 v2, vcc, s8, v2
	v_subb_co_u32_e32 v3, vcc, v4, v3, vcc
	v_cmp_gt_i64_e32 vcc, v[2:3], v[0:1]
	s_mov_b64 s[2:3], 0
                                        ; implicit-def: $vgpr43
	s_and_saveexec_b64 s[8:9], vcc
	s_cbranch_execz .LBB36_111
; %bb.103:                              ;   in Loop: Header=BB36_8 Depth=1
	v_mov_b32_e32 v6, v33
	v_pk_mov_b32 v[4:5], v[0:1], v[0:1] op_sel:[0,1]
                                        ; implicit-def: $sgpr22_sgpr23
	s_branch .LBB36_105
.LBB36_104:                             ;   in Loop: Header=BB36_105 Depth=2
	s_or_b64 exec, exec, s[6:7]
	s_waitcnt lgkmcnt(0)
	s_barrier
	ds_read_b32 v7, v13 offset:3072
	v_mov_b32_e32 v8, s88
	v_add_co_u32_e64 v4, s[6:7], s33, v4
	v_addc_co_u32_e64 v5, s[6:7], v5, v8, s[6:7]
	s_waitcnt lgkmcnt(0)
	v_cmp_ne_u16_e32 vcc, 0, v7
	v_cmp_ge_i64_e64 s[6:7], v[4:5], v[2:3]
	s_or_b64 s[6:7], vcc, s[6:7]
	s_and_b64 s[6:7], exec, s[6:7]
	s_or_b64 s[2:3], s[6:7], s[2:3]
	s_andn2_b64 s[6:7], s[22:23], exec
	s_and_b64 s[22:23], vcc, exec
	v_add_u32_e32 v6, s74, v6
	s_or_b64 s[22:23], s[6:7], s[22:23]
	s_barrier
	s_andn2_b64 exec, exec, s[2:3]
	s_cbranch_execz .LBB36_110
.LBB36_105:                             ;   Parent Loop BB36_8 Depth=1
                                        ; =>  This Inner Loop Header: Depth=2
	v_cmp_gt_i64_e32 vcc, s[12:13], v[4:5]
	v_mov_b32_e32 v7, 0
	s_and_saveexec_b64 s[6:7], vcc
	s_cbranch_execz .LBB36_107
; %bb.106:                              ;   in Loop: Header=BB36_105 Depth=2
	ds_read_u16 v7, v6
.LBB36_107:                             ;   in Loop: Header=BB36_105 Depth=2
	s_or_b64 exec, exec, s[6:7]
	s_and_saveexec_b64 s[6:7], vcc
	s_cbranch_execz .LBB36_104
; %bb.108:                              ;   in Loop: Header=BB36_105 Depth=2
	s_waitcnt lgkmcnt(0)
	v_add_u32_sdwa v8, sext(v7), s75 dst_sel:DWORD dst_unused:UNUSED_PAD src0_sel:WORD_0 src1_sel:DWORD
	v_and_b32_e32 v8, s0, v8
	v_cmp_eq_u32_e32 vcc, s1, v8
	s_and_b64 exec, exec, vcc
	s_cbranch_execz .LBB36_104
; %bb.109:                              ;   in Loop: Header=BB36_105 Depth=2
	v_perm_b32 v7, v7, 1, v42
	ds_write_b32 v13, v7 offset:3072
	s_branch .LBB36_104
.LBB36_110:                             ;   in Loop: Header=BB36_8 Depth=1
	s_or_b64 exec, exec, s[2:3]
	v_lshrrev_b32_e32 v43, 16, v7
	s_and_b64 s[2:3], s[22:23], exec
.LBB36_111:                             ;   in Loop: Header=BB36_8 Depth=1
	s_or_b64 exec, exec, s[8:9]
	s_mov_b64 s[22:23], -1
	s_mov_b64 s[6:7], 0
	s_mov_b64 s[8:9], 0
.LBB36_112:                             ;   in Loop: Header=BB36_8 Depth=1
	s_andn2_b64 s[12:13], s[94:95], exec
	s_and_b64 s[6:7], s[6:7], exec
	s_or_b64 s[94:95], s[12:13], s[6:7]
	s_andn2_b64 s[6:7], s[92:93], exec
	s_and_b64 s[12:13], s[22:23], exec
	s_or_b64 s[92:93], s[6:7], s[12:13]
	s_andn2_b64 s[6:7], s[36:37], exec
	s_and_b64 s[8:9], s[8:9], exec
	s_or_b64 s[36:37], s[6:7], s[8:9]
	s_and_saveexec_b64 s[12:13], s[2:3]
	s_cbranch_execz .LBB36_7
; %bb.113:                              ;   in Loop: Header=BB36_8 Depth=1
	s_xor_b64 s[2:3], s[20:21], -1
	s_andn2_b64 vcc, exec, s[2:3]
	s_mov_b32 s45, 1
	s_cbranch_vccnz .LBB36_124
; %bb.114:                              ;   in Loop: Header=BB36_8 Depth=1
	v_pk_mov_b32 v[2:3], s[14:15], s[14:15] op_sel:[0,1]
	v_cmp_gt_i64_e32 vcc, s[54:55], v[2:3]
	s_mov_b64 s[2:3], -1
                                        ; implicit-def: $sgpr45
                                        ; implicit-def: $sgpr6
                                        ; implicit-def: $sgpr7
	s_cbranch_vccnz .LBB36_120
; %bb.115:                              ;   in Loop: Header=BB36_8 Depth=1
	ds_read_b64 v[2:3], v13 offset:5120
	s_waitcnt lgkmcnt(0)
	v_cmp_ne_u64_e32 vcc, 0, v[2:3]
	s_cbranch_vccnz .LBB36_119
; %bb.116:                              ;   in Loop: Header=BB36_8 Depth=1
	s_mov_b64 s[2:3], exec
	v_readlane_b32 s6, v52, 8
	v_readlane_b32 s7, v52, 9
	s_and_b64 s[6:7], s[2:3], s[6:7]
	s_mov_b64 exec, s[6:7]
	s_cbranch_execz .LBB36_118
; %bb.117:                              ;   in Loop: Header=BB36_8 Depth=1
	v_pk_mov_b32 v[2:3], s[14:15], s[14:15] op_sel:[0,1]
	ds_write_b64 v13, v[2:3] offset:5128
.LBB36_118:                             ;   in Loop: Header=BB36_8 Depth=1
	s_or_b64 exec, exec, s[2:3]
	s_waitcnt lgkmcnt(0)
	s_barrier
.LBB36_119:                             ;   in Loop: Header=BB36_8 Depth=1
	s_and_b32 s6, s1, s41
	s_or_b32 s7, s0, s44
	s_mov_b64 s[2:3], 0
	s_mov_b32 s45, 8
.LBB36_120:                             ;   in Loop: Header=BB36_8 Depth=1
	s_andn2_b64 vcc, exec, s[2:3]
	s_cbranch_vccnz .LBB36_122
; %bb.121:                              ;   in Loop: Header=BB36_8 Depth=1
	s_sub_u32 s54, s54, s14
	s_subb_u32 s55, s55, s15
	s_mov_b64 s[2:3], -1
	s_mov_b32 s45, 0
	s_mov_b32 s6, s1
	;; [unrolled: 1-line block ×3, first 2 shown]
.LBB36_122:                             ;   in Loop: Header=BB36_8 Depth=1
	s_mov_b32 s0, s7
	s_mov_b32 s1, s6
	s_mov_b64 s[14:15], -1
	s_and_b64 vcc, exec, s[2:3]
	s_cbranch_vccnz .LBB36_125
.LBB36_123:                             ;   in Loop: Header=BB36_8 Depth=1
	s_mov_b64 s[6:7], -1
                                        ; implicit-def: $sgpr18_sgpr19
                                        ; implicit-def: $sgpr22_sgpr23
                                        ; implicit-def: $sgpr20_sgpr21
	s_and_saveexec_b64 s[2:3], s[6:7]
	s_xor_b64 s[2:3], exec, s[2:3]
	s_cbranch_execz .LBB36_6
	s_branch .LBB36_271
.LBB36_124:                             ;   in Loop: Header=BB36_8 Depth=1
	s_mov_b64 s[54:55], 1
	s_mov_b64 s[14:15], -1
	s_branch .LBB36_123
.LBB36_125:                             ;   in Loop: Header=BB36_8 Depth=1
	s_cmp_eq_u64 s[28:29], 1
	s_cselect_b64 s[2:3], -1, 0
	s_cmp_eq_u64 s[54:55], 1
	s_cselect_b64 s[6:7], -1, 0
	s_mov_b64 s[78:79], s[30:31]
	s_and_b64 s[30:31], s[2:3], s[6:7]
	s_mov_b64 s[2:3], -1
	s_and_b64 vcc, exec, s[30:31]
	s_cbranch_vccz .LBB36_140
; %bb.126:                              ;   in Loop: Header=BB36_8 Depth=1
	ds_read_b64 v[2:3], v13 offset:5120
	s_waitcnt lgkmcnt(0)
	s_barrier
	v_readfirstlane_b32 s24, v2
	v_readfirstlane_b32 s25, v3
	s_mov_b64 s[2:3], exec
	v_readlane_b32 s6, v52, 12
	v_readlane_b32 s7, v52, 13
	s_and_b64 s[6:7], s[2:3], s[6:7]
	s_mov_b64 exec, s[6:7]
	s_cbranch_execz .LBB36_128
; %bb.127:                              ;   in Loop: Header=BB36_8 Depth=1
	ds_write_b16 v34, v13
.LBB36_128:                             ;   in Loop: Header=BB36_8 Depth=1
	s_or_b64 exec, exec, s[2:3]
	s_lshl_b32 s2, 1, s40
	s_and_b32 s1, s1, s41
	s_or_b32 s1, s1, s2
	v_cmp_gt_i64_e64 s[2:3], s[24:25], 0
	s_or_b32 s0, s0, s44
	s_and_b64 vcc, exec, s[2:3]
	s_waitcnt lgkmcnt(0)
	s_barrier
	s_cbranch_vccnz .LBB36_143
; %bb.129:                              ;   in Loop: Header=BB36_8 Depth=1
	s_mov_b32 s48, s73
	s_cmp_lg_u64 s[48:49], 0
	s_cbranch_scc0 .LBB36_188
; %bb.130:                              ;   in Loop: Header=BB36_8 Depth=1
	v_cvt_f32_u32_e32 v2, s33
	s_sub_u32 s2, 0, s33
	s_subb_u32 s3, 0, 0
	v_mac_f32_e32 v2, 0x4f800000, v41
	v_rcp_f32_e32 v2, v2
	v_mul_f32_e32 v2, 0x5f7ffffc, v2
	v_mul_f32_e32 v3, 0x2f800000, v2
	v_trunc_f32_e32 v3, v3
	v_mac_f32_e32 v2, 0xcf800000, v3
	v_cvt_u32_f32_e32 v3, v3
	v_cvt_u32_f32_e32 v2, v2
	v_readfirstlane_b32 s6, v3
	v_readfirstlane_b32 s7, v2
	s_mul_i32 s8, s2, s6
	s_mul_hi_u32 s18, s2, s7
	s_mul_i32 s9, s3, s7
	s_add_i32 s8, s18, s8
	s_mul_i32 s19, s2, s7
	s_add_i32 s8, s8, s9
	s_mul_hi_u32 s18, s7, s19
	s_mul_hi_u32 s9, s7, s8
	s_mul_i32 s7, s7, s8
	s_add_u32 s7, s18, s7
	s_addc_u32 s9, 0, s9
	s_mul_hi_u32 s20, s6, s19
	s_mul_i32 s19, s6, s19
	s_add_u32 s7, s7, s19
	s_mul_hi_u32 s18, s6, s8
	s_addc_u32 s7, s9, s20
	s_addc_u32 s9, s18, 0
	s_mul_i32 s8, s6, s8
	s_add_u32 s7, s7, s8
	s_addc_u32 s8, 0, s9
	v_add_co_u32_e32 v2, vcc, s7, v2
	s_cmp_lg_u64 vcc, 0
	s_addc_u32 s6, s6, s8
	v_readfirstlane_b32 s8, v2
	s_mul_i32 s7, s2, s6
	s_mul_hi_u32 s9, s2, s8
	s_add_i32 s7, s9, s7
	s_mul_i32 s3, s3, s8
	s_add_i32 s7, s7, s3
	s_mul_i32 s2, s2, s8
	s_mul_hi_u32 s9, s6, s2
	s_mul_i32 s18, s6, s2
	s_mul_i32 s20, s8, s7
	s_mul_hi_u32 s2, s8, s2
	s_mul_hi_u32 s19, s8, s7
	s_add_u32 s2, s2, s20
	s_addc_u32 s8, 0, s19
	s_add_u32 s2, s2, s18
	s_mul_hi_u32 s3, s6, s7
	s_addc_u32 s2, s8, s9
	s_addc_u32 s3, s3, 0
	s_mul_i32 s7, s6, s7
	s_add_u32 s2, s2, s7
	s_addc_u32 s3, 0, s3
	v_add_co_u32_e32 v2, vcc, s2, v2
	s_cmp_lg_u64 vcc, 0
	s_addc_u32 s8, s6, s3
	s_ashr_i32 s2, s49, 31
	s_add_u32 s6, s81, s2
	s_mov_b32 s3, s2
	s_addc_u32 s7, s49, s2
	s_xor_b64 s[6:7], s[6:7], s[2:3]
	v_readfirstlane_b32 s18, v2
	s_mul_i32 s9, s6, s8
	s_mul_hi_u32 s19, s6, s18
	s_mul_hi_u32 s3, s6, s8
	s_add_u32 s9, s19, s9
	s_addc_u32 s3, 0, s3
	s_mul_hi_u32 s20, s7, s18
	s_mul_i32 s18, s7, s18
	s_add_u32 s9, s9, s18
	s_mul_hi_u32 s19, s7, s8
	s_addc_u32 s3, s3, s20
	s_addc_u32 s9, s19, 0
	s_mul_i32 s8, s7, s8
	s_add_u32 s3, s3, s8
	s_addc_u32 s8, 0, s9
	s_mul_hi_u32 s9, s33, s3
	s_mul_i32 s3, s33, s3
	s_mul_i32 s8, s33, s8
	v_mov_b32_e32 v2, s3
	s_add_i32 s9, s9, s8
	v_sub_co_u32_e32 v2, vcc, s6, v2
	s_cmp_lg_u64 vcc, 0
	s_subb_u32 s3, s7, s9
	v_subrev_co_u32_e32 v3, vcc, s33, v2
	s_cmp_lg_u64 vcc, 0
	s_subb_u32 s6, s3, 0
	v_subrev_co_u32_e32 v4, vcc, s33, v3
	s_cmp_lg_u64 vcc, 0
	s_subb_u32 s7, s6, 0
	v_cmp_le_u32_e32 vcc, s33, v3
	s_cmp_eq_u32 s6, 0
	v_cndmask_b32_e64 v5, 0, -1, vcc
	s_cselect_b64 vcc, -1, 0
	v_cndmask_b32_e32 v5, -1, v5, vcc
	v_mov_b32_e32 v6, s6
	v_mov_b32_e32 v7, s7
	v_cmp_ne_u32_e32 vcc, 0, v5
	v_cndmask_b32_e32 v5, v6, v7, vcc
	v_cndmask_b32_e32 v3, v3, v4, vcc
	v_cmp_le_u32_e32 vcc, s33, v2
	s_cmp_eq_u32 s3, 0
	v_cndmask_b32_e64 v4, 0, -1, vcc
	s_cselect_b64 vcc, -1, 0
	v_cndmask_b32_e32 v4, -1, v4, vcc
	v_cmp_ne_u32_e32 vcc, 0, v4
	v_mov_b32_e32 v6, s3
	v_cndmask_b32_e32 v2, v2, v3, vcc
	v_cndmask_b32_e32 v4, v6, v5, vcc
	v_xor_b32_e32 v2, s2, v2
	v_xor_b32_e32 v3, s2, v4
	v_mov_b32_e32 v4, s2
	v_subrev_co_u32_e32 v2, vcc, s2, v2
	v_subb_co_u32_e32 v3, vcc, v3, v4, vcc
	s_cbranch_execnz .LBB36_132
.LBB36_131:                             ;   in Loop: Header=BB36_8 Depth=1
	v_cvt_f32_u32_e32 v2, s33
	s_sub_i32 s2, 0, s33
	v_rcp_iflag_f32_e32 v2, v2
	v_mul_f32_e32 v2, 0x4f7ffffe, v2
	v_cvt_u32_f32_e32 v2, v2
	v_mul_lo_u32 v3, s2, v2
	v_mul_hi_u32 v3, v2, v3
	v_add_u32_e32 v2, v2, v3
	v_mul_hi_u32 v2, s81, v2
	v_mul_lo_u32 v2, v2, s33
	v_sub_u32_e32 v2, s81, v2
	v_subrev_u32_e32 v3, s33, v2
	v_cmp_le_u32_e32 vcc, s33, v2
	v_cndmask_b32_e32 v2, v2, v3, vcc
	v_subrev_u32_e32 v3, s33, v2
	v_cmp_le_u32_e32 vcc, s33, v2
	v_cndmask_b32_e32 v12, v2, v3, vcc
	v_pk_mov_b32 v[2:3], v[12:13], v[12:13] op_sel:[0,1]
.LBB36_132:                             ;   in Loop: Header=BB36_8 Depth=1
	v_mov_b32_e32 v4, s49
	v_sub_co_u32_e32 v2, vcc, s81, v2
	v_subb_co_u32_e32 v3, vcc, v4, v3, vcc
	v_cmp_gt_i64_e32 vcc, v[2:3], v[0:1]
	s_mov_b64 s[2:3], 0
                                        ; implicit-def: $vgpr43
	s_and_saveexec_b64 s[8:9], vcc
	s_cbranch_execz .LBB36_145
; %bb.133:                              ;   in Loop: Header=BB36_8 Depth=1
	v_pk_mov_b32 v[4:5], v[10:11], v[10:11] op_sel:[0,1]
	v_pk_mov_b32 v[6:7], v[0:1], v[0:1] op_sel:[0,1]
                                        ; implicit-def: $sgpr18_sgpr19
	s_branch .LBB36_135
.LBB36_134:                             ;   in Loop: Header=BB36_135 Depth=2
	s_or_b64 exec, exec, s[6:7]
	s_waitcnt lgkmcnt(0)
	s_barrier
	s_waitcnt vmcnt(0)
	ds_read_b32 v8, v13 offset:3072
	v_mov_b32_e32 v9, s88
	v_add_co_u32_e64 v6, s[6:7], s33, v6
	v_addc_co_u32_e64 v7, s[6:7], v7, v9, s[6:7]
	s_waitcnt lgkmcnt(0)
	v_cmp_ne_u16_e32 vcc, 0, v8
	v_cmp_ge_i64_e64 s[6:7], v[6:7], v[2:3]
	s_or_b64 s[20:21], vcc, s[6:7]
	v_mov_b32_e32 v9, s69
	v_add_co_u32_e64 v4, s[6:7], s68, v4
	v_addc_co_u32_e64 v5, s[6:7], v5, v9, s[6:7]
	s_and_b64 s[6:7], exec, s[20:21]
	s_or_b64 s[2:3], s[6:7], s[2:3]
	s_andn2_b64 s[6:7], s[18:19], exec
	s_and_b64 s[18:19], vcc, exec
	s_or_b64 s[18:19], s[6:7], s[18:19]
	s_barrier
	s_andn2_b64 exec, exec, s[2:3]
	s_cbranch_execz .LBB36_144
.LBB36_135:                             ;   Parent Loop BB36_8 Depth=1
                                        ; =>  This Inner Loop Header: Depth=2
	v_cmp_gt_i64_e32 vcc, s[52:53], v[6:7]
	v_mov_b32_e32 v8, 0
	s_and_saveexec_b64 s[6:7], vcc
	s_cbranch_execz .LBB36_137
; %bb.136:                              ;   in Loop: Header=BB36_135 Depth=2
	global_load_ushort v8, v[4:5], off
.LBB36_137:                             ;   in Loop: Header=BB36_135 Depth=2
	s_or_b64 exec, exec, s[6:7]
	s_and_saveexec_b64 s[6:7], vcc
	s_cbranch_execz .LBB36_134
; %bb.138:                              ;   in Loop: Header=BB36_135 Depth=2
	s_waitcnt vmcnt(0)
	v_add_u32_sdwa v9, sext(v8), s75 dst_sel:DWORD dst_unused:UNUSED_PAD src0_sel:WORD_0 src1_sel:DWORD
	v_and_b32_e32 v9, s0, v9
	v_cmp_eq_u32_e32 vcc, s1, v9
	s_and_b64 exec, exec, vcc
	s_cbranch_execz .LBB36_134
; %bb.139:                              ;   in Loop: Header=BB36_135 Depth=2
	v_perm_b32 v8, v8, 1, v42
	ds_write_b32 v13, v8 offset:3072
	s_branch .LBB36_134
.LBB36_140:                             ;   in Loop: Header=BB36_8 Depth=1
                                        ; implicit-def: $sgpr20_sgpr21
                                        ; implicit-def: $sgpr22_sgpr23
                                        ; implicit-def: $sgpr18_sgpr19
	s_branch .LBB36_159
.LBB36_141:                             ;   in Loop: Header=BB36_8 Depth=1
                                        ; implicit-def: $vgpr2_vgpr3
	s_branch .LBB36_86
.LBB36_142:                             ;   in Loop: Header=BB36_8 Depth=1
                                        ; implicit-def: $vgpr2_vgpr3
	s_branch .LBB36_101
.LBB36_143:                             ;   in Loop: Header=BB36_8 Depth=1
	s_mov_b64 s[20:21], -1
	s_mov_b64 s[2:3], 0
                                        ; implicit-def: $sgpr18_sgpr19
                                        ; implicit-def: $vgpr43
	s_mov_b64 s[22:23], s[20:21]
	s_cbranch_execnz .LBB36_146
	s_branch .LBB36_159
.LBB36_144:                             ;   in Loop: Header=BB36_8 Depth=1
	s_or_b64 exec, exec, s[2:3]
	v_lshrrev_b32_e32 v43, 16, v8
	s_and_b64 s[2:3], s[18:19], exec
.LBB36_145:                             ;   in Loop: Header=BB36_8 Depth=1
	s_or_b64 exec, exec, s[8:9]
	s_mov_b64 s[18:19], -1
	s_mov_b64 s[20:21], 0
	s_mov_b64 s[22:23], s[20:21]
	s_branch .LBB36_159
.LBB36_146:                             ;   in Loop: Header=BB36_8 Depth=1
	v_readlane_b32 s2, v52, 20
	s_add_u32 s8, s2, s24
	v_readlane_b32 s2, v52, 21
	s_addc_u32 s3, s2, s25
	s_mov_b32 s2, s73
	s_cmp_lg_u64 s[2:3], 0
	s_cbranch_scc0 .LBB36_189
; %bb.147:                              ;   in Loop: Header=BB36_8 Depth=1
	v_cvt_f32_u32_e32 v2, s33
	s_sub_u32 s2, 0, s33
	s_subb_u32 s6, 0, 0
	v_mac_f32_e32 v2, 0x4f800000, v41
	v_rcp_f32_e32 v2, v2
	v_mul_f32_e32 v2, 0x5f7ffffc, v2
	v_mul_f32_e32 v3, 0x2f800000, v2
	v_trunc_f32_e32 v3, v3
	v_mac_f32_e32 v2, 0xcf800000, v3
	v_cvt_u32_f32_e32 v3, v3
	v_cvt_u32_f32_e32 v2, v2
	v_readfirstlane_b32 s7, v3
	v_readfirstlane_b32 s9, v2
	s_mul_i32 s18, s2, s7
	s_mul_hi_u32 s20, s2, s9
	s_mul_i32 s19, s6, s9
	s_add_i32 s18, s20, s18
	s_mul_i32 s21, s2, s9
	s_add_i32 s18, s18, s19
	s_mul_hi_u32 s20, s9, s21
	s_mul_hi_u32 s19, s9, s18
	s_mul_i32 s9, s9, s18
	s_add_u32 s9, s20, s9
	s_addc_u32 s19, 0, s19
	s_mul_hi_u32 s22, s7, s21
	s_mul_i32 s21, s7, s21
	s_add_u32 s9, s9, s21
	s_mul_hi_u32 s20, s7, s18
	s_addc_u32 s9, s19, s22
	s_addc_u32 s19, s20, 0
	s_mul_i32 s18, s7, s18
	s_add_u32 s9, s9, s18
	s_addc_u32 s18, 0, s19
	v_add_co_u32_e32 v2, vcc, s9, v2
	s_cmp_lg_u64 vcc, 0
	s_addc_u32 s7, s7, s18
	v_readfirstlane_b32 s18, v2
	s_mul_i32 s9, s2, s7
	s_mul_hi_u32 s19, s2, s18
	s_add_i32 s9, s19, s9
	s_mul_i32 s6, s6, s18
	s_add_i32 s9, s9, s6
	s_mul_i32 s2, s2, s18
	s_mul_hi_u32 s19, s7, s2
	s_mul_i32 s20, s7, s2
	s_mul_i32 s22, s18, s9
	s_mul_hi_u32 s2, s18, s2
	s_mul_hi_u32 s21, s18, s9
	s_add_u32 s2, s2, s22
	s_addc_u32 s18, 0, s21
	s_add_u32 s2, s2, s20
	s_mul_hi_u32 s6, s7, s9
	s_addc_u32 s2, s18, s19
	s_addc_u32 s6, s6, 0
	s_mul_i32 s9, s7, s9
	s_add_u32 s2, s2, s9
	s_addc_u32 s6, 0, s6
	v_add_co_u32_e32 v2, vcc, s2, v2
	s_cmp_lg_u64 vcc, 0
	s_addc_u32 s2, s7, s6
	s_ashr_i32 s6, s3, 31
	s_add_u32 s18, s8, s6
	s_mov_b32 s7, s6
	s_addc_u32 s19, s3, s6
	s_xor_b64 s[18:19], s[18:19], s[6:7]
	v_readfirstlane_b32 s20, v2
	s_mul_i32 s9, s18, s2
	s_mul_hi_u32 s21, s18, s20
	s_mul_hi_u32 s7, s18, s2
	s_add_u32 s9, s21, s9
	s_addc_u32 s7, 0, s7
	s_mul_hi_u32 s22, s19, s20
	s_mul_i32 s20, s19, s20
	s_add_u32 s9, s9, s20
	s_mul_hi_u32 s21, s19, s2
	s_addc_u32 s7, s7, s22
	s_addc_u32 s9, s21, 0
	s_mul_i32 s2, s19, s2
	s_add_u32 s2, s7, s2
	s_addc_u32 s7, 0, s9
	s_mul_hi_u32 s9, s33, s2
	s_mul_i32 s2, s33, s2
	s_mul_i32 s7, s33, s7
	v_mov_b32_e32 v2, s2
	s_add_i32 s9, s9, s7
	v_sub_co_u32_e32 v2, vcc, s18, v2
	s_cmp_lg_u64 vcc, 0
	s_subb_u32 s2, s19, s9
	v_subrev_co_u32_e32 v3, vcc, s33, v2
	s_cmp_lg_u64 vcc, 0
	s_subb_u32 s7, s2, 0
	v_subrev_co_u32_e32 v4, vcc, s33, v3
	s_cmp_lg_u64 vcc, 0
	s_subb_u32 s9, s7, 0
	v_cmp_le_u32_e32 vcc, s33, v3
	s_cmp_eq_u32 s7, 0
	v_cndmask_b32_e64 v5, 0, -1, vcc
	s_cselect_b64 vcc, -1, 0
	v_cndmask_b32_e32 v5, -1, v5, vcc
	v_mov_b32_e32 v6, s7
	v_mov_b32_e32 v7, s9
	v_cmp_ne_u32_e32 vcc, 0, v5
	v_cndmask_b32_e32 v5, v6, v7, vcc
	v_cndmask_b32_e32 v3, v3, v4, vcc
	v_cmp_le_u32_e32 vcc, s33, v2
	s_cmp_eq_u32 s2, 0
	v_cndmask_b32_e64 v4, 0, -1, vcc
	s_cselect_b64 vcc, -1, 0
	v_cndmask_b32_e32 v4, -1, v4, vcc
	v_cmp_ne_u32_e32 vcc, 0, v4
	v_mov_b32_e32 v6, s2
	v_cndmask_b32_e32 v2, v2, v3, vcc
	v_cndmask_b32_e32 v4, v6, v5, vcc
	v_xor_b32_e32 v2, s6, v2
	v_xor_b32_e32 v3, s6, v4
	v_mov_b32_e32 v4, s6
	v_subrev_co_u32_e32 v2, vcc, s6, v2
	v_subb_co_u32_e32 v3, vcc, v3, v4, vcc
	s_cbranch_execnz .LBB36_149
.LBB36_148:                             ;   in Loop: Header=BB36_8 Depth=1
	v_cvt_f32_u32_e32 v2, s33
	s_sub_i32 s2, 0, s33
	v_rcp_iflag_f32_e32 v2, v2
	v_mul_f32_e32 v2, 0x4f7ffffe, v2
	v_cvt_u32_f32_e32 v2, v2
	v_mul_lo_u32 v3, s2, v2
	v_mul_hi_u32 v3, v2, v3
	v_add_u32_e32 v2, v2, v3
	v_mul_hi_u32 v2, s8, v2
	v_mul_lo_u32 v2, v2, s33
	v_sub_u32_e32 v2, s8, v2
	v_subrev_u32_e32 v3, s33, v2
	v_cmp_le_u32_e32 vcc, s33, v2
	v_cndmask_b32_e32 v2, v2, v3, vcc
	v_subrev_u32_e32 v3, s33, v2
	v_cmp_le_u32_e32 vcc, s33, v2
	v_cndmask_b32_e32 v12, v2, v3, vcc
	v_pk_mov_b32 v[2:3], v[12:13], v[12:13] op_sel:[0,1]
.LBB36_149:                             ;   in Loop: Header=BB36_8 Depth=1
	v_mov_b32_e32 v4, s3
	v_sub_co_u32_e32 v2, vcc, s8, v2
	v_subb_co_u32_e32 v3, vcc, v4, v3, vcc
	v_cmp_gt_i64_e32 vcc, v[2:3], v[0:1]
	s_mov_b64 s[2:3], 0
                                        ; implicit-def: $vgpr43
	s_and_saveexec_b64 s[8:9], vcc
	s_cbranch_execz .LBB36_158
; %bb.150:                              ;   in Loop: Header=BB36_8 Depth=1
	v_mov_b32_e32 v6, v33
	v_pk_mov_b32 v[4:5], v[0:1], v[0:1] op_sel:[0,1]
                                        ; implicit-def: $sgpr18_sgpr19
	s_branch .LBB36_152
.LBB36_151:                             ;   in Loop: Header=BB36_152 Depth=2
	s_or_b64 exec, exec, s[6:7]
	s_waitcnt lgkmcnt(0)
	s_barrier
	ds_read_b32 v7, v13 offset:3072
	v_mov_b32_e32 v8, s88
	v_add_co_u32_e64 v4, s[6:7], s33, v4
	v_addc_co_u32_e64 v5, s[6:7], v5, v8, s[6:7]
	s_waitcnt lgkmcnt(0)
	v_cmp_ne_u16_e32 vcc, 0, v7
	v_cmp_ge_i64_e64 s[6:7], v[4:5], v[2:3]
	s_or_b64 s[6:7], vcc, s[6:7]
	s_and_b64 s[6:7], exec, s[6:7]
	s_or_b64 s[2:3], s[6:7], s[2:3]
	s_andn2_b64 s[6:7], s[18:19], exec
	s_and_b64 s[18:19], vcc, exec
	v_add_u32_e32 v6, s74, v6
	s_or_b64 s[18:19], s[6:7], s[18:19]
	s_barrier
	s_andn2_b64 exec, exec, s[2:3]
	s_cbranch_execz .LBB36_157
.LBB36_152:                             ;   Parent Loop BB36_8 Depth=1
                                        ; =>  This Inner Loop Header: Depth=2
	v_cmp_gt_i64_e32 vcc, s[24:25], v[4:5]
	v_mov_b32_e32 v7, 0
	s_and_saveexec_b64 s[6:7], vcc
	s_cbranch_execz .LBB36_154
; %bb.153:                              ;   in Loop: Header=BB36_152 Depth=2
	ds_read_u16 v7, v6
.LBB36_154:                             ;   in Loop: Header=BB36_152 Depth=2
	s_or_b64 exec, exec, s[6:7]
	s_and_saveexec_b64 s[6:7], vcc
	s_cbranch_execz .LBB36_151
; %bb.155:                              ;   in Loop: Header=BB36_152 Depth=2
	s_waitcnt lgkmcnt(0)
	v_add_u32_sdwa v8, sext(v7), s75 dst_sel:DWORD dst_unused:UNUSED_PAD src0_sel:WORD_0 src1_sel:DWORD
	v_and_b32_e32 v8, s0, v8
	v_cmp_eq_u32_e32 vcc, s1, v8
	s_and_b64 exec, exec, vcc
	s_cbranch_execz .LBB36_151
; %bb.156:                              ;   in Loop: Header=BB36_152 Depth=2
	v_perm_b32 v7, v7, 1, v42
	ds_write_b32 v13, v7 offset:3072
	s_branch .LBB36_151
.LBB36_157:                             ;   in Loop: Header=BB36_8 Depth=1
	s_or_b64 exec, exec, s[2:3]
	v_lshrrev_b32_e32 v43, 16, v7
	s_and_b64 s[2:3], s[18:19], exec
.LBB36_158:                             ;   in Loop: Header=BB36_8 Depth=1
	s_or_b64 exec, exec, s[8:9]
	s_mov_b64 s[22:23], -1
	s_mov_b64 s[20:21], 0
	s_mov_b64 s[18:19], 0
.LBB36_159:                             ;   in Loop: Header=BB36_8 Depth=1
	s_mov_b64 s[6:7], 0
                                        ; implicit-def: $sgpr45
	s_and_saveexec_b64 s[24:25], s[2:3]
	s_cbranch_execz .LBB36_270
; %bb.160:                              ;   in Loop: Header=BB36_8 Depth=1
	s_xor_b64 s[2:3], s[30:31], -1
	s_andn2_b64 vcc, exec, s[2:3]
	s_mov_b32 s45, 1
	s_cbranch_vccnz .LBB36_171
; %bb.161:                              ;   in Loop: Header=BB36_8 Depth=1
	v_pk_mov_b32 v[2:3], s[28:29], s[28:29] op_sel:[0,1]
	v_cmp_gt_i64_e32 vcc, s[54:55], v[2:3]
	s_mov_b64 s[2:3], -1
                                        ; implicit-def: $sgpr45
                                        ; implicit-def: $sgpr6
                                        ; implicit-def: $sgpr7
	s_cbranch_vccnz .LBB36_167
; %bb.162:                              ;   in Loop: Header=BB36_8 Depth=1
	ds_read_b64 v[2:3], v13 offset:5120
	s_waitcnt lgkmcnt(0)
	v_cmp_ne_u64_e32 vcc, 0, v[2:3]
	s_cbranch_vccnz .LBB36_166
; %bb.163:                              ;   in Loop: Header=BB36_8 Depth=1
	s_mov_b64 s[2:3], exec
	v_readlane_b32 s6, v52, 8
	v_readlane_b32 s7, v52, 9
	s_and_b64 s[6:7], s[2:3], s[6:7]
	s_mov_b64 exec, s[6:7]
	s_cbranch_execz .LBB36_165
; %bb.164:                              ;   in Loop: Header=BB36_8 Depth=1
	v_pk_mov_b32 v[2:3], s[28:29], s[28:29] op_sel:[0,1]
	ds_write_b64 v13, v[2:3] offset:5128
.LBB36_165:                             ;   in Loop: Header=BB36_8 Depth=1
	s_or_b64 exec, exec, s[2:3]
	s_waitcnt lgkmcnt(0)
	s_barrier
.LBB36_166:                             ;   in Loop: Header=BB36_8 Depth=1
	s_lshl_b32 s2, 1, s40
	s_and_b32 s3, s1, s41
	s_or_b32 s6, s3, s2
	s_or_b32 s7, s0, s44
	s_mov_b64 s[2:3], 0
	s_mov_b32 s45, 8
.LBB36_167:                             ;   in Loop: Header=BB36_8 Depth=1
	s_andn2_b64 vcc, exec, s[2:3]
	s_cbranch_vccnz .LBB36_169
; %bb.168:                              ;   in Loop: Header=BB36_8 Depth=1
	s_sub_u32 s54, s54, s28
	s_subb_u32 s55, s55, s29
	s_mov_b64 s[2:3], -1
	s_mov_b32 s45, 0
	s_mov_b32 s6, s1
	;; [unrolled: 1-line block ×3, first 2 shown]
.LBB36_169:                             ;   in Loop: Header=BB36_8 Depth=1
	s_mov_b32 s0, s7
	s_mov_b32 s1, s6
	s_andn2_b64 vcc, exec, s[2:3]
	s_mov_b64 s[6:7], -1
	s_cbranch_vccz .LBB36_172
.LBB36_170:                             ;   in Loop: Header=BB36_8 Depth=1
                                        ; implicit-def: $sgpr30_sgpr31
                                        ; implicit-def: $sgpr34_sgpr35
                                        ; implicit-def: $sgpr28_sgpr29
	s_branch .LBB36_269
.LBB36_171:                             ;   in Loop: Header=BB36_8 Depth=1
	s_mov_b64 s[54:55], 1
	s_mov_b64 s[6:7], -1
	s_cbranch_execnz .LBB36_170
.LBB36_172:                             ;   in Loop: Header=BB36_8 Depth=1
	s_cmp_eq_u64 s[16:17], 1
	s_cselect_b64 s[2:3], -1, 0
	s_cmp_eq_u64 s[54:55], 1
	s_cselect_b64 s[6:7], -1, 0
	s_and_b64 s[38:39], s[2:3], s[6:7]
	s_mov_b64 s[60:61], s[36:37]
	s_mov_b64 s[2:3], -1
	s_and_b64 vcc, exec, s[38:39]
	s_cbranch_vccz .LBB36_187
; %bb.173:                              ;   in Loop: Header=BB36_8 Depth=1
	ds_read_b64 v[2:3], v13 offset:5120
	s_waitcnt lgkmcnt(0)
	s_barrier
	v_readfirstlane_b32 s36, v2
	v_readfirstlane_b32 s37, v3
	s_mov_b64 s[2:3], exec
	v_readlane_b32 s6, v52, 12
	v_readlane_b32 s7, v52, 13
	s_and_b64 s[6:7], s[2:3], s[6:7]
	s_mov_b64 exec, s[6:7]
	s_cbranch_execz .LBB36_175
; %bb.174:                              ;   in Loop: Header=BB36_8 Depth=1
	ds_write_b16 v34, v13
.LBB36_175:                             ;   in Loop: Header=BB36_8 Depth=1
	s_or_b64 exec, exec, s[2:3]
	s_lshl_b32 s2, 2, s40
	s_and_b32 s1, s1, s41
	s_or_b32 s1, s1, s2
	v_cmp_gt_i64_e64 s[2:3], s[36:37], 0
	s_or_b32 s0, s0, s44
	s_and_b64 vcc, exec, s[2:3]
	s_waitcnt lgkmcnt(0)
	s_barrier
	s_cbranch_vccnz .LBB36_190
; %bb.176:                              ;   in Loop: Header=BB36_8 Depth=1
	s_mov_b32 s48, s73
	s_cmp_lg_u64 s[48:49], 0
	s_cbranch_scc0 .LBB36_235
; %bb.177:                              ;   in Loop: Header=BB36_8 Depth=1
	v_cvt_f32_u32_e32 v2, s33
	s_sub_u32 s2, 0, s33
	s_subb_u32 s3, 0, 0
	v_mac_f32_e32 v2, 0x4f800000, v41
	v_rcp_f32_e32 v2, v2
	v_mul_f32_e32 v2, 0x5f7ffffc, v2
	v_mul_f32_e32 v3, 0x2f800000, v2
	v_trunc_f32_e32 v3, v3
	v_mac_f32_e32 v2, 0xcf800000, v3
	v_cvt_u32_f32_e32 v3, v3
	v_cvt_u32_f32_e32 v2, v2
	v_readfirstlane_b32 s6, v3
	v_readfirstlane_b32 s7, v2
	s_mul_i32 s8, s2, s6
	s_mul_hi_u32 s26, s2, s7
	s_mul_i32 s9, s3, s7
	s_add_i32 s8, s26, s8
	s_mul_i32 s27, s2, s7
	s_add_i32 s8, s8, s9
	s_mul_hi_u32 s26, s7, s27
	s_mul_hi_u32 s9, s7, s8
	s_mul_i32 s7, s7, s8
	s_add_u32 s7, s26, s7
	s_addc_u32 s9, 0, s9
	s_mul_hi_u32 s28, s6, s27
	s_mul_i32 s27, s6, s27
	s_add_u32 s7, s7, s27
	s_mul_hi_u32 s26, s6, s8
	s_addc_u32 s7, s9, s28
	s_addc_u32 s9, s26, 0
	s_mul_i32 s8, s6, s8
	s_add_u32 s7, s7, s8
	s_addc_u32 s8, 0, s9
	v_add_co_u32_e32 v2, vcc, s7, v2
	s_cmp_lg_u64 vcc, 0
	s_addc_u32 s6, s6, s8
	v_readfirstlane_b32 s8, v2
	s_mul_i32 s7, s2, s6
	s_mul_hi_u32 s9, s2, s8
	s_add_i32 s7, s9, s7
	s_mul_i32 s3, s3, s8
	s_add_i32 s7, s7, s3
	s_mul_i32 s2, s2, s8
	s_mul_hi_u32 s9, s6, s2
	s_mul_i32 s26, s6, s2
	s_mul_i32 s28, s8, s7
	s_mul_hi_u32 s2, s8, s2
	s_mul_hi_u32 s27, s8, s7
	s_add_u32 s2, s2, s28
	s_addc_u32 s8, 0, s27
	s_add_u32 s2, s2, s26
	s_mul_hi_u32 s3, s6, s7
	s_addc_u32 s2, s8, s9
	s_addc_u32 s3, s3, 0
	s_mul_i32 s7, s6, s7
	s_add_u32 s2, s2, s7
	s_addc_u32 s3, 0, s3
	v_add_co_u32_e32 v2, vcc, s2, v2
	s_cmp_lg_u64 vcc, 0
	s_addc_u32 s8, s6, s3
	s_ashr_i32 s2, s49, 31
	s_add_u32 s6, s81, s2
	s_mov_b32 s3, s2
	s_addc_u32 s7, s49, s2
	s_xor_b64 s[6:7], s[6:7], s[2:3]
	v_readfirstlane_b32 s26, v2
	s_mul_i32 s9, s6, s8
	s_mul_hi_u32 s27, s6, s26
	s_mul_hi_u32 s3, s6, s8
	s_add_u32 s9, s27, s9
	s_addc_u32 s3, 0, s3
	s_mul_hi_u32 s28, s7, s26
	s_mul_i32 s26, s7, s26
	s_add_u32 s9, s9, s26
	s_mul_hi_u32 s27, s7, s8
	s_addc_u32 s3, s3, s28
	s_addc_u32 s9, s27, 0
	s_mul_i32 s8, s7, s8
	s_add_u32 s3, s3, s8
	s_addc_u32 s8, 0, s9
	s_mul_hi_u32 s9, s33, s3
	s_mul_i32 s3, s33, s3
	s_mul_i32 s8, s33, s8
	v_mov_b32_e32 v2, s3
	s_add_i32 s9, s9, s8
	v_sub_co_u32_e32 v2, vcc, s6, v2
	s_cmp_lg_u64 vcc, 0
	s_subb_u32 s3, s7, s9
	v_subrev_co_u32_e32 v3, vcc, s33, v2
	s_cmp_lg_u64 vcc, 0
	s_subb_u32 s6, s3, 0
	v_subrev_co_u32_e32 v4, vcc, s33, v3
	s_cmp_lg_u64 vcc, 0
	s_subb_u32 s7, s6, 0
	v_cmp_le_u32_e32 vcc, s33, v3
	s_cmp_eq_u32 s6, 0
	v_cndmask_b32_e64 v5, 0, -1, vcc
	s_cselect_b64 vcc, -1, 0
	v_cndmask_b32_e32 v5, -1, v5, vcc
	v_mov_b32_e32 v6, s6
	v_mov_b32_e32 v7, s7
	v_cmp_ne_u32_e32 vcc, 0, v5
	v_cndmask_b32_e32 v5, v6, v7, vcc
	v_cndmask_b32_e32 v3, v3, v4, vcc
	v_cmp_le_u32_e32 vcc, s33, v2
	s_cmp_eq_u32 s3, 0
	v_cndmask_b32_e64 v4, 0, -1, vcc
	s_cselect_b64 vcc, -1, 0
	v_cndmask_b32_e32 v4, -1, v4, vcc
	v_cmp_ne_u32_e32 vcc, 0, v4
	v_mov_b32_e32 v6, s3
	v_cndmask_b32_e32 v2, v2, v3, vcc
	v_cndmask_b32_e32 v4, v6, v5, vcc
	v_xor_b32_e32 v2, s2, v2
	v_xor_b32_e32 v3, s2, v4
	v_mov_b32_e32 v4, s2
	v_subrev_co_u32_e32 v2, vcc, s2, v2
	v_subb_co_u32_e32 v3, vcc, v3, v4, vcc
	s_cbranch_execnz .LBB36_179
.LBB36_178:                             ;   in Loop: Header=BB36_8 Depth=1
	v_cvt_f32_u32_e32 v2, s33
	s_sub_i32 s2, 0, s33
	v_rcp_iflag_f32_e32 v2, v2
	v_mul_f32_e32 v2, 0x4f7ffffe, v2
	v_cvt_u32_f32_e32 v2, v2
	v_mul_lo_u32 v3, s2, v2
	v_mul_hi_u32 v3, v2, v3
	v_add_u32_e32 v2, v2, v3
	v_mul_hi_u32 v2, s81, v2
	v_mul_lo_u32 v2, v2, s33
	v_sub_u32_e32 v2, s81, v2
	v_subrev_u32_e32 v3, s33, v2
	v_cmp_le_u32_e32 vcc, s33, v2
	v_cndmask_b32_e32 v2, v2, v3, vcc
	v_subrev_u32_e32 v3, s33, v2
	v_cmp_le_u32_e32 vcc, s33, v2
	v_cndmask_b32_e32 v12, v2, v3, vcc
	v_pk_mov_b32 v[2:3], v[12:13], v[12:13] op_sel:[0,1]
.LBB36_179:                             ;   in Loop: Header=BB36_8 Depth=1
	v_mov_b32_e32 v4, s49
	v_sub_co_u32_e32 v2, vcc, s81, v2
	v_subb_co_u32_e32 v3, vcc, v4, v3, vcc
	v_cmp_gt_i64_e32 vcc, v[2:3], v[0:1]
	s_mov_b64 s[2:3], 0
                                        ; implicit-def: $vgpr43
	s_and_saveexec_b64 s[8:9], vcc
	s_cbranch_execz .LBB36_192
; %bb.180:                              ;   in Loop: Header=BB36_8 Depth=1
	v_pk_mov_b32 v[4:5], v[10:11], v[10:11] op_sel:[0,1]
	v_pk_mov_b32 v[6:7], v[0:1], v[0:1] op_sel:[0,1]
                                        ; implicit-def: $sgpr26_sgpr27
	s_branch .LBB36_182
.LBB36_181:                             ;   in Loop: Header=BB36_182 Depth=2
	s_or_b64 exec, exec, s[6:7]
	s_waitcnt lgkmcnt(0)
	s_barrier
	s_waitcnt vmcnt(0)
	ds_read_b32 v8, v13 offset:3072
	v_mov_b32_e32 v9, s88
	v_add_co_u32_e64 v6, s[6:7], s33, v6
	v_addc_co_u32_e64 v7, s[6:7], v7, v9, s[6:7]
	s_waitcnt lgkmcnt(0)
	v_cmp_ne_u16_e32 vcc, 0, v8
	v_cmp_ge_i64_e64 s[6:7], v[6:7], v[2:3]
	s_or_b64 s[28:29], vcc, s[6:7]
	v_mov_b32_e32 v9, s69
	v_add_co_u32_e64 v4, s[6:7], s68, v4
	v_addc_co_u32_e64 v5, s[6:7], v5, v9, s[6:7]
	s_and_b64 s[6:7], exec, s[28:29]
	s_or_b64 s[2:3], s[6:7], s[2:3]
	s_andn2_b64 s[6:7], s[26:27], exec
	s_and_b64 s[26:27], vcc, exec
	s_or_b64 s[26:27], s[6:7], s[26:27]
	s_barrier
	s_andn2_b64 exec, exec, s[2:3]
	s_cbranch_execz .LBB36_191
.LBB36_182:                             ;   Parent Loop BB36_8 Depth=1
                                        ; =>  This Inner Loop Header: Depth=2
	v_cmp_gt_i64_e32 vcc, s[52:53], v[6:7]
	v_mov_b32_e32 v8, 0
	s_and_saveexec_b64 s[6:7], vcc
	s_cbranch_execz .LBB36_184
; %bb.183:                              ;   in Loop: Header=BB36_182 Depth=2
	global_load_ushort v8, v[4:5], off
.LBB36_184:                             ;   in Loop: Header=BB36_182 Depth=2
	s_or_b64 exec, exec, s[6:7]
	s_and_saveexec_b64 s[6:7], vcc
	s_cbranch_execz .LBB36_181
; %bb.185:                              ;   in Loop: Header=BB36_182 Depth=2
	s_waitcnt vmcnt(0)
	v_add_u32_sdwa v9, sext(v8), s75 dst_sel:DWORD dst_unused:UNUSED_PAD src0_sel:WORD_0 src1_sel:DWORD
	v_and_b32_e32 v9, s0, v9
	v_cmp_eq_u32_e32 vcc, s1, v9
	s_and_b64 exec, exec, vcc
	s_cbranch_execz .LBB36_181
; %bb.186:                              ;   in Loop: Header=BB36_182 Depth=2
	v_perm_b32 v8, v8, 1, v42
	ds_write_b32 v13, v8 offset:3072
	s_branch .LBB36_181
.LBB36_187:                             ;   in Loop: Header=BB36_8 Depth=1
                                        ; implicit-def: $sgpr28_sgpr29
                                        ; implicit-def: $sgpr34_sgpr35
                                        ; implicit-def: $sgpr30_sgpr31
	s_branch .LBB36_206
.LBB36_188:                             ;   in Loop: Header=BB36_8 Depth=1
                                        ; implicit-def: $vgpr2_vgpr3
	s_branch .LBB36_131
.LBB36_189:                             ;   in Loop: Header=BB36_8 Depth=1
                                        ; implicit-def: $vgpr2_vgpr3
	s_branch .LBB36_148
.LBB36_190:                             ;   in Loop: Header=BB36_8 Depth=1
	s_mov_b64 s[28:29], -1
	s_mov_b64 s[2:3], 0
                                        ; implicit-def: $sgpr30_sgpr31
                                        ; implicit-def: $vgpr43
	s_mov_b64 s[34:35], s[28:29]
	s_cbranch_execnz .LBB36_193
	s_branch .LBB36_206
.LBB36_191:                             ;   in Loop: Header=BB36_8 Depth=1
	s_or_b64 exec, exec, s[2:3]
	v_lshrrev_b32_e32 v43, 16, v8
	s_and_b64 s[2:3], s[26:27], exec
.LBB36_192:                             ;   in Loop: Header=BB36_8 Depth=1
	s_or_b64 exec, exec, s[8:9]
	s_mov_b64 s[30:31], -1
	s_mov_b64 s[28:29], 0
	s_mov_b64 s[34:35], s[28:29]
	s_branch .LBB36_206
.LBB36_193:                             ;   in Loop: Header=BB36_8 Depth=1
	v_readlane_b32 s2, v52, 20
	s_add_u32 s8, s2, s36
	v_readlane_b32 s2, v52, 21
	s_addc_u32 s3, s2, s37
	s_mov_b32 s2, s73
	s_cmp_lg_u64 s[2:3], 0
	s_cbranch_scc0 .LBB36_236
; %bb.194:                              ;   in Loop: Header=BB36_8 Depth=1
	v_cvt_f32_u32_e32 v2, s33
	s_sub_u32 s2, 0, s33
	s_subb_u32 s6, 0, 0
	v_mac_f32_e32 v2, 0x4f800000, v41
	v_rcp_f32_e32 v2, v2
	v_mul_f32_e32 v2, 0x5f7ffffc, v2
	v_mul_f32_e32 v3, 0x2f800000, v2
	v_trunc_f32_e32 v3, v3
	v_mac_f32_e32 v2, 0xcf800000, v3
	v_cvt_u32_f32_e32 v3, v3
	v_cvt_u32_f32_e32 v2, v2
	v_readfirstlane_b32 s7, v3
	v_readfirstlane_b32 s9, v2
	s_mul_i32 s26, s2, s7
	s_mul_hi_u32 s28, s2, s9
	s_mul_i32 s27, s6, s9
	s_add_i32 s26, s28, s26
	s_mul_i32 s29, s2, s9
	s_add_i32 s26, s26, s27
	s_mul_hi_u32 s28, s9, s29
	s_mul_hi_u32 s27, s9, s26
	s_mul_i32 s9, s9, s26
	s_add_u32 s9, s28, s9
	s_addc_u32 s27, 0, s27
	s_mul_hi_u32 s30, s7, s29
	s_mul_i32 s29, s7, s29
	s_add_u32 s9, s9, s29
	s_mul_hi_u32 s28, s7, s26
	s_addc_u32 s9, s27, s30
	s_addc_u32 s27, s28, 0
	s_mul_i32 s26, s7, s26
	s_add_u32 s9, s9, s26
	s_addc_u32 s26, 0, s27
	v_add_co_u32_e32 v2, vcc, s9, v2
	s_cmp_lg_u64 vcc, 0
	s_addc_u32 s7, s7, s26
	v_readfirstlane_b32 s26, v2
	s_mul_i32 s9, s2, s7
	s_mul_hi_u32 s27, s2, s26
	s_add_i32 s9, s27, s9
	s_mul_i32 s6, s6, s26
	s_add_i32 s9, s9, s6
	s_mul_i32 s2, s2, s26
	s_mul_hi_u32 s27, s7, s2
	s_mul_i32 s28, s7, s2
	s_mul_i32 s30, s26, s9
	s_mul_hi_u32 s2, s26, s2
	s_mul_hi_u32 s29, s26, s9
	s_add_u32 s2, s2, s30
	s_addc_u32 s26, 0, s29
	s_add_u32 s2, s2, s28
	s_mul_hi_u32 s6, s7, s9
	s_addc_u32 s2, s26, s27
	s_addc_u32 s6, s6, 0
	s_mul_i32 s9, s7, s9
	s_add_u32 s2, s2, s9
	s_addc_u32 s6, 0, s6
	v_add_co_u32_e32 v2, vcc, s2, v2
	s_cmp_lg_u64 vcc, 0
	s_addc_u32 s2, s7, s6
	s_ashr_i32 s6, s3, 31
	s_add_u32 s26, s8, s6
	s_mov_b32 s7, s6
	s_addc_u32 s27, s3, s6
	s_xor_b64 s[26:27], s[26:27], s[6:7]
	v_readfirstlane_b32 s28, v2
	s_mul_i32 s9, s26, s2
	s_mul_hi_u32 s29, s26, s28
	s_mul_hi_u32 s7, s26, s2
	s_add_u32 s9, s29, s9
	s_addc_u32 s7, 0, s7
	s_mul_hi_u32 s30, s27, s28
	s_mul_i32 s28, s27, s28
	s_add_u32 s9, s9, s28
	s_mul_hi_u32 s29, s27, s2
	s_addc_u32 s7, s7, s30
	s_addc_u32 s9, s29, 0
	s_mul_i32 s2, s27, s2
	s_add_u32 s2, s7, s2
	s_addc_u32 s7, 0, s9
	s_mul_hi_u32 s9, s33, s2
	s_mul_i32 s2, s33, s2
	s_mul_i32 s7, s33, s7
	v_mov_b32_e32 v2, s2
	s_add_i32 s9, s9, s7
	v_sub_co_u32_e32 v2, vcc, s26, v2
	s_cmp_lg_u64 vcc, 0
	s_subb_u32 s2, s27, s9
	v_subrev_co_u32_e32 v3, vcc, s33, v2
	s_cmp_lg_u64 vcc, 0
	s_subb_u32 s7, s2, 0
	v_subrev_co_u32_e32 v4, vcc, s33, v3
	s_cmp_lg_u64 vcc, 0
	s_subb_u32 s9, s7, 0
	v_cmp_le_u32_e32 vcc, s33, v3
	s_cmp_eq_u32 s7, 0
	v_cndmask_b32_e64 v5, 0, -1, vcc
	s_cselect_b64 vcc, -1, 0
	v_cndmask_b32_e32 v5, -1, v5, vcc
	v_mov_b32_e32 v6, s7
	v_mov_b32_e32 v7, s9
	v_cmp_ne_u32_e32 vcc, 0, v5
	v_cndmask_b32_e32 v5, v6, v7, vcc
	v_cndmask_b32_e32 v3, v3, v4, vcc
	v_cmp_le_u32_e32 vcc, s33, v2
	s_cmp_eq_u32 s2, 0
	v_cndmask_b32_e64 v4, 0, -1, vcc
	s_cselect_b64 vcc, -1, 0
	v_cndmask_b32_e32 v4, -1, v4, vcc
	v_cmp_ne_u32_e32 vcc, 0, v4
	v_mov_b32_e32 v6, s2
	v_cndmask_b32_e32 v2, v2, v3, vcc
	v_cndmask_b32_e32 v4, v6, v5, vcc
	v_xor_b32_e32 v2, s6, v2
	v_xor_b32_e32 v3, s6, v4
	v_mov_b32_e32 v4, s6
	v_subrev_co_u32_e32 v2, vcc, s6, v2
	v_subb_co_u32_e32 v3, vcc, v3, v4, vcc
	s_cbranch_execnz .LBB36_196
.LBB36_195:                             ;   in Loop: Header=BB36_8 Depth=1
	v_cvt_f32_u32_e32 v2, s33
	s_sub_i32 s2, 0, s33
	v_rcp_iflag_f32_e32 v2, v2
	v_mul_f32_e32 v2, 0x4f7ffffe, v2
	v_cvt_u32_f32_e32 v2, v2
	v_mul_lo_u32 v3, s2, v2
	v_mul_hi_u32 v3, v2, v3
	v_add_u32_e32 v2, v2, v3
	v_mul_hi_u32 v2, s8, v2
	v_mul_lo_u32 v2, v2, s33
	v_sub_u32_e32 v2, s8, v2
	v_subrev_u32_e32 v3, s33, v2
	v_cmp_le_u32_e32 vcc, s33, v2
	v_cndmask_b32_e32 v2, v2, v3, vcc
	v_subrev_u32_e32 v3, s33, v2
	v_cmp_le_u32_e32 vcc, s33, v2
	v_cndmask_b32_e32 v12, v2, v3, vcc
	v_pk_mov_b32 v[2:3], v[12:13], v[12:13] op_sel:[0,1]
.LBB36_196:                             ;   in Loop: Header=BB36_8 Depth=1
	v_mov_b32_e32 v4, s3
	v_sub_co_u32_e32 v2, vcc, s8, v2
	v_subb_co_u32_e32 v3, vcc, v4, v3, vcc
	v_cmp_gt_i64_e32 vcc, v[2:3], v[0:1]
	s_mov_b64 s[2:3], 0
                                        ; implicit-def: $vgpr43
	s_and_saveexec_b64 s[8:9], vcc
	s_cbranch_execz .LBB36_205
; %bb.197:                              ;   in Loop: Header=BB36_8 Depth=1
	v_mov_b32_e32 v6, v33
	v_pk_mov_b32 v[4:5], v[0:1], v[0:1] op_sel:[0,1]
                                        ; implicit-def: $sgpr26_sgpr27
	s_branch .LBB36_199
.LBB36_198:                             ;   in Loop: Header=BB36_199 Depth=2
	s_or_b64 exec, exec, s[6:7]
	s_waitcnt lgkmcnt(0)
	s_barrier
	ds_read_b32 v7, v13 offset:3072
	v_mov_b32_e32 v8, s88
	v_add_co_u32_e64 v4, s[6:7], s33, v4
	v_addc_co_u32_e64 v5, s[6:7], v5, v8, s[6:7]
	s_waitcnt lgkmcnt(0)
	v_cmp_ne_u16_e32 vcc, 0, v7
	v_cmp_ge_i64_e64 s[6:7], v[4:5], v[2:3]
	s_or_b64 s[6:7], vcc, s[6:7]
	s_and_b64 s[6:7], exec, s[6:7]
	s_or_b64 s[2:3], s[6:7], s[2:3]
	s_andn2_b64 s[6:7], s[26:27], exec
	s_and_b64 s[26:27], vcc, exec
	v_add_u32_e32 v6, s74, v6
	s_or_b64 s[26:27], s[6:7], s[26:27]
	s_barrier
	s_andn2_b64 exec, exec, s[2:3]
	s_cbranch_execz .LBB36_204
.LBB36_199:                             ;   Parent Loop BB36_8 Depth=1
                                        ; =>  This Inner Loop Header: Depth=2
	v_cmp_gt_i64_e32 vcc, s[36:37], v[4:5]
	v_mov_b32_e32 v7, 0
	s_and_saveexec_b64 s[6:7], vcc
	s_cbranch_execz .LBB36_201
; %bb.200:                              ;   in Loop: Header=BB36_199 Depth=2
	ds_read_u16 v7, v6
.LBB36_201:                             ;   in Loop: Header=BB36_199 Depth=2
	s_or_b64 exec, exec, s[6:7]
	s_and_saveexec_b64 s[6:7], vcc
	s_cbranch_execz .LBB36_198
; %bb.202:                              ;   in Loop: Header=BB36_199 Depth=2
	s_waitcnt lgkmcnt(0)
	v_add_u32_sdwa v8, sext(v7), s75 dst_sel:DWORD dst_unused:UNUSED_PAD src0_sel:WORD_0 src1_sel:DWORD
	v_and_b32_e32 v8, s0, v8
	v_cmp_eq_u32_e32 vcc, s1, v8
	s_and_b64 exec, exec, vcc
	s_cbranch_execz .LBB36_198
; %bb.203:                              ;   in Loop: Header=BB36_199 Depth=2
	v_perm_b32 v7, v7, 1, v42
	ds_write_b32 v13, v7 offset:3072
	s_branch .LBB36_198
.LBB36_204:                             ;   in Loop: Header=BB36_8 Depth=1
	s_or_b64 exec, exec, s[2:3]
	v_lshrrev_b32_e32 v43, 16, v7
	s_and_b64 s[2:3], s[26:27], exec
.LBB36_205:                             ;   in Loop: Header=BB36_8 Depth=1
	s_or_b64 exec, exec, s[8:9]
	s_mov_b64 s[34:35], -1
	s_mov_b64 s[28:29], 0
	s_mov_b64 s[30:31], 0
.LBB36_206:                             ;   in Loop: Header=BB36_8 Depth=1
	s_mov_b64 s[6:7], 0
                                        ; implicit-def: $sgpr45
	s_and_saveexec_b64 s[36:37], s[2:3]
	s_cbranch_execz .LBB36_268
; %bb.207:                              ;   in Loop: Header=BB36_8 Depth=1
	s_xor_b64 s[2:3], s[38:39], -1
	s_andn2_b64 vcc, exec, s[2:3]
	s_mov_b32 s45, 1
	s_cbranch_vccnz .LBB36_218
; %bb.208:                              ;   in Loop: Header=BB36_8 Depth=1
	v_pk_mov_b32 v[2:3], s[16:17], s[16:17] op_sel:[0,1]
	v_cmp_gt_i64_e32 vcc, s[54:55], v[2:3]
	s_mov_b64 s[2:3], -1
                                        ; implicit-def: $sgpr45
                                        ; implicit-def: $sgpr6
                                        ; implicit-def: $sgpr7
	s_cbranch_vccnz .LBB36_214
; %bb.209:                              ;   in Loop: Header=BB36_8 Depth=1
	ds_read_b64 v[2:3], v13 offset:5120
	s_waitcnt lgkmcnt(0)
	v_cmp_ne_u64_e32 vcc, 0, v[2:3]
	s_cbranch_vccnz .LBB36_213
; %bb.210:                              ;   in Loop: Header=BB36_8 Depth=1
	s_mov_b64 s[2:3], exec
	v_readlane_b32 s6, v52, 8
	v_readlane_b32 s7, v52, 9
	s_and_b64 s[6:7], s[2:3], s[6:7]
	s_mov_b64 exec, s[6:7]
	s_cbranch_execz .LBB36_212
; %bb.211:                              ;   in Loop: Header=BB36_8 Depth=1
	v_pk_mov_b32 v[2:3], s[16:17], s[16:17] op_sel:[0,1]
	ds_write_b64 v13, v[2:3] offset:5128
.LBB36_212:                             ;   in Loop: Header=BB36_8 Depth=1
	s_or_b64 exec, exec, s[2:3]
	s_waitcnt lgkmcnt(0)
	s_barrier
.LBB36_213:                             ;   in Loop: Header=BB36_8 Depth=1
	s_lshl_b32 s2, 2, s40
	s_and_b32 s3, s1, s41
	s_or_b32 s6, s3, s2
	s_or_b32 s7, s0, s44
	s_mov_b64 s[2:3], 0
	s_mov_b32 s45, 8
.LBB36_214:                             ;   in Loop: Header=BB36_8 Depth=1
	s_andn2_b64 vcc, exec, s[2:3]
	s_cbranch_vccnz .LBB36_216
; %bb.215:                              ;   in Loop: Header=BB36_8 Depth=1
	s_sub_u32 s54, s54, s16
	s_subb_u32 s55, s55, s17
	s_mov_b64 s[2:3], -1
	s_mov_b32 s45, 0
	s_mov_b32 s6, s1
	;; [unrolled: 1-line block ×3, first 2 shown]
.LBB36_216:                             ;   in Loop: Header=BB36_8 Depth=1
	s_mov_b32 s0, s7
	s_mov_b32 s1, s6
	s_andn2_b64 vcc, exec, s[2:3]
	s_mov_b64 s[40:41], -1
	s_cbranch_vccz .LBB36_219
.LBB36_217:                             ;   in Loop: Header=BB36_8 Depth=1
                                        ; implicit-def: $sgpr2_sgpr3
                                        ; implicit-def: $sgpr8_sgpr9
                                        ; implicit-def: $sgpr6_sgpr7
	s_branch .LBB36_267
.LBB36_218:                             ;   in Loop: Header=BB36_8 Depth=1
	s_mov_b64 s[54:55], 1
	s_mov_b64 s[40:41], -1
	s_cbranch_execnz .LBB36_217
.LBB36_219:                             ;   in Loop: Header=BB36_8 Depth=1
	s_cmp_eq_u64 s[10:11], 1
	s_cselect_b64 s[2:3], -1, 0
	s_cmp_eq_u64 s[54:55], 1
	s_cselect_b64 s[6:7], -1, 0
	s_and_b64 s[16:17], s[2:3], s[6:7]
	s_mov_b64 s[26:27], -1
	s_and_b64 vcc, exec, s[16:17]
	s_cbranch_vccz .LBB36_234
; %bb.220:                              ;   in Loop: Header=BB36_8 Depth=1
	ds_read_b64 v[2:3], v13 offset:5120
	s_waitcnt lgkmcnt(0)
	s_barrier
	v_readfirstlane_b32 s38, v2
	v_readfirstlane_b32 s39, v3
	s_mov_b64 s[2:3], exec
	v_readlane_b32 s6, v52, 12
	v_readlane_b32 s7, v52, 13
	s_and_b64 s[6:7], s[2:3], s[6:7]
	s_mov_b64 exec, s[6:7]
	s_cbranch_execz .LBB36_222
; %bb.221:                              ;   in Loop: Header=BB36_8 Depth=1
	ds_write_b16 v34, v13
.LBB36_222:                             ;   in Loop: Header=BB36_8 Depth=1
	s_or_b64 exec, exec, s[2:3]
	v_cmp_gt_i64_e64 s[2:3], s[38:39], 0
	s_or_b32 s1, s1, s44
	s_or_b32 s0, s0, s44
	s_and_b64 vcc, exec, s[2:3]
	s_waitcnt lgkmcnt(0)
	s_barrier
	s_cbranch_vccnz .LBB36_237
; %bb.223:                              ;   in Loop: Header=BB36_8 Depth=1
	s_mov_b32 s48, s73
	s_cmp_lg_u64 s[48:49], 0
	s_cbranch_scc0 .LBB36_273
; %bb.224:                              ;   in Loop: Header=BB36_8 Depth=1
	v_cvt_f32_u32_e32 v2, s33
	s_sub_u32 s2, 0, s33
	s_subb_u32 s3, 0, 0
	v_mac_f32_e32 v2, 0x4f800000, v41
	v_rcp_f32_e32 v2, v2
	v_mul_f32_e32 v2, 0x5f7ffffc, v2
	v_mul_f32_e32 v3, 0x2f800000, v2
	v_trunc_f32_e32 v3, v3
	v_mac_f32_e32 v2, 0xcf800000, v3
	v_cvt_u32_f32_e32 v3, v3
	v_cvt_u32_f32_e32 v2, v2
	v_readfirstlane_b32 s6, v3
	v_readfirstlane_b32 s7, v2
	s_mul_i32 s8, s2, s6
	s_mul_hi_u32 s26, s2, s7
	s_mul_i32 s9, s3, s7
	s_add_i32 s8, s26, s8
	s_mul_i32 s27, s2, s7
	s_add_i32 s8, s8, s9
	s_mul_hi_u32 s26, s7, s27
	s_mul_hi_u32 s9, s7, s8
	s_mul_i32 s7, s7, s8
	s_add_u32 s7, s26, s7
	s_addc_u32 s9, 0, s9
	s_mul_hi_u32 s40, s6, s27
	s_mul_i32 s27, s6, s27
	s_add_u32 s7, s7, s27
	s_mul_hi_u32 s26, s6, s8
	s_addc_u32 s7, s9, s40
	s_addc_u32 s9, s26, 0
	s_mul_i32 s8, s6, s8
	s_add_u32 s7, s7, s8
	s_addc_u32 s8, 0, s9
	v_add_co_u32_e32 v2, vcc, s7, v2
	s_cmp_lg_u64 vcc, 0
	s_addc_u32 s6, s6, s8
	v_readfirstlane_b32 s8, v2
	s_mul_i32 s7, s2, s6
	s_mul_hi_u32 s9, s2, s8
	s_add_i32 s7, s9, s7
	s_mul_i32 s3, s3, s8
	s_add_i32 s7, s7, s3
	s_mul_i32 s2, s2, s8
	s_mul_hi_u32 s9, s6, s2
	s_mul_i32 s26, s6, s2
	s_mul_i32 s40, s8, s7
	s_mul_hi_u32 s2, s8, s2
	s_mul_hi_u32 s27, s8, s7
	s_add_u32 s2, s2, s40
	s_addc_u32 s8, 0, s27
	s_add_u32 s2, s2, s26
	s_mul_hi_u32 s3, s6, s7
	s_addc_u32 s2, s8, s9
	s_addc_u32 s3, s3, 0
	s_mul_i32 s7, s6, s7
	s_add_u32 s2, s2, s7
	s_addc_u32 s3, 0, s3
	v_add_co_u32_e32 v2, vcc, s2, v2
	s_cmp_lg_u64 vcc, 0
	s_addc_u32 s8, s6, s3
	s_ashr_i32 s2, s49, 31
	s_add_u32 s6, s81, s2
	s_mov_b32 s3, s2
	s_addc_u32 s7, s49, s2
	s_xor_b64 s[6:7], s[6:7], s[2:3]
	v_readfirstlane_b32 s26, v2
	s_mul_i32 s9, s6, s8
	s_mul_hi_u32 s27, s6, s26
	s_mul_hi_u32 s3, s6, s8
	s_add_u32 s9, s27, s9
	s_addc_u32 s3, 0, s3
	s_mul_hi_u32 s40, s7, s26
	s_mul_i32 s26, s7, s26
	s_add_u32 s9, s9, s26
	s_mul_hi_u32 s27, s7, s8
	s_addc_u32 s3, s3, s40
	s_addc_u32 s9, s27, 0
	s_mul_i32 s8, s7, s8
	s_add_u32 s3, s3, s8
	s_addc_u32 s8, 0, s9
	s_mul_hi_u32 s9, s33, s3
	s_mul_i32 s3, s33, s3
	s_mul_i32 s8, s33, s8
	v_mov_b32_e32 v2, s3
	s_add_i32 s9, s9, s8
	v_sub_co_u32_e32 v2, vcc, s6, v2
	s_cmp_lg_u64 vcc, 0
	s_subb_u32 s3, s7, s9
	v_subrev_co_u32_e32 v3, vcc, s33, v2
	s_cmp_lg_u64 vcc, 0
	s_subb_u32 s6, s3, 0
	v_subrev_co_u32_e32 v4, vcc, s33, v3
	s_cmp_lg_u64 vcc, 0
	s_subb_u32 s7, s6, 0
	v_cmp_le_u32_e32 vcc, s33, v3
	s_cmp_eq_u32 s6, 0
	v_cndmask_b32_e64 v5, 0, -1, vcc
	s_cselect_b64 vcc, -1, 0
	v_cndmask_b32_e32 v5, -1, v5, vcc
	v_mov_b32_e32 v6, s6
	v_mov_b32_e32 v7, s7
	v_cmp_ne_u32_e32 vcc, 0, v5
	v_cndmask_b32_e32 v5, v6, v7, vcc
	v_cndmask_b32_e32 v3, v3, v4, vcc
	v_cmp_le_u32_e32 vcc, s33, v2
	s_cmp_eq_u32 s3, 0
	v_cndmask_b32_e64 v4, 0, -1, vcc
	s_cselect_b64 vcc, -1, 0
	v_cndmask_b32_e32 v4, -1, v4, vcc
	v_cmp_ne_u32_e32 vcc, 0, v4
	v_mov_b32_e32 v6, s3
	v_cndmask_b32_e32 v2, v2, v3, vcc
	v_cndmask_b32_e32 v4, v6, v5, vcc
	v_xor_b32_e32 v2, s2, v2
	v_xor_b32_e32 v3, s2, v4
	v_mov_b32_e32 v4, s2
	v_subrev_co_u32_e32 v2, vcc, s2, v2
	v_subb_co_u32_e32 v3, vcc, v3, v4, vcc
	s_cbranch_execnz .LBB36_226
.LBB36_225:                             ;   in Loop: Header=BB36_8 Depth=1
	v_cvt_f32_u32_e32 v2, s33
	s_sub_i32 s2, 0, s33
	v_rcp_iflag_f32_e32 v2, v2
	v_mul_f32_e32 v2, 0x4f7ffffe, v2
	v_cvt_u32_f32_e32 v2, v2
	v_mul_lo_u32 v3, s2, v2
	v_mul_hi_u32 v3, v2, v3
	v_add_u32_e32 v2, v2, v3
	v_mul_hi_u32 v2, s81, v2
	v_mul_lo_u32 v2, v2, s33
	v_sub_u32_e32 v2, s81, v2
	v_subrev_u32_e32 v3, s33, v2
	v_cmp_le_u32_e32 vcc, s33, v2
	v_cndmask_b32_e32 v2, v2, v3, vcc
	v_subrev_u32_e32 v3, s33, v2
	v_cmp_le_u32_e32 vcc, s33, v2
	v_cndmask_b32_e32 v12, v2, v3, vcc
	v_pk_mov_b32 v[2:3], v[12:13], v[12:13] op_sel:[0,1]
.LBB36_226:                             ;   in Loop: Header=BB36_8 Depth=1
	v_mov_b32_e32 v4, s49
	v_sub_co_u32_e32 v2, vcc, s81, v2
	v_subb_co_u32_e32 v3, vcc, v4, v3, vcc
	v_cmp_gt_i64_e32 vcc, v[2:3], v[0:1]
	s_mov_b64 s[26:27], 0
                                        ; implicit-def: $vgpr43
	s_and_saveexec_b64 s[2:3], vcc
	s_cbranch_execz .LBB36_239
; %bb.227:                              ;   in Loop: Header=BB36_8 Depth=1
	s_mov_b64 s[8:9], 0
	v_pk_mov_b32 v[4:5], v[10:11], v[10:11] op_sel:[0,1]
	v_pk_mov_b32 v[6:7], v[0:1], v[0:1] op_sel:[0,1]
                                        ; implicit-def: $sgpr26_sgpr27
	s_branch .LBB36_229
.LBB36_228:                             ;   in Loop: Header=BB36_229 Depth=2
	s_or_b64 exec, exec, s[6:7]
	s_waitcnt lgkmcnt(0)
	s_barrier
	s_waitcnt vmcnt(0)
	ds_read_b32 v8, v13 offset:3072
	v_mov_b32_e32 v9, s88
	v_add_co_u32_e64 v6, s[6:7], s33, v6
	v_addc_co_u32_e64 v7, s[6:7], v7, v9, s[6:7]
	s_waitcnt lgkmcnt(0)
	v_cmp_ne_u16_e32 vcc, 0, v8
	v_cmp_ge_i64_e64 s[6:7], v[6:7], v[2:3]
	s_or_b64 s[40:41], vcc, s[6:7]
	v_mov_b32_e32 v9, s69
	v_add_co_u32_e64 v4, s[6:7], s68, v4
	v_addc_co_u32_e64 v5, s[6:7], v5, v9, s[6:7]
	s_and_b64 s[6:7], exec, s[40:41]
	s_or_b64 s[8:9], s[6:7], s[8:9]
	s_andn2_b64 s[6:7], s[26:27], exec
	s_and_b64 s[26:27], vcc, exec
	s_or_b64 s[26:27], s[6:7], s[26:27]
	s_barrier
	s_andn2_b64 exec, exec, s[8:9]
	s_cbranch_execz .LBB36_238
.LBB36_229:                             ;   Parent Loop BB36_8 Depth=1
                                        ; =>  This Inner Loop Header: Depth=2
	v_cmp_gt_i64_e32 vcc, s[52:53], v[6:7]
	v_mov_b32_e32 v8, 0
	s_and_saveexec_b64 s[6:7], vcc
	s_cbranch_execz .LBB36_231
; %bb.230:                              ;   in Loop: Header=BB36_229 Depth=2
	global_load_ushort v8, v[4:5], off
.LBB36_231:                             ;   in Loop: Header=BB36_229 Depth=2
	s_or_b64 exec, exec, s[6:7]
	s_and_saveexec_b64 s[6:7], vcc
	s_cbranch_execz .LBB36_228
; %bb.232:                              ;   in Loop: Header=BB36_229 Depth=2
	s_waitcnt vmcnt(0)
	v_add_u32_sdwa v9, sext(v8), s75 dst_sel:DWORD dst_unused:UNUSED_PAD src0_sel:WORD_0 src1_sel:DWORD
	v_and_b32_e32 v9, s0, v9
	v_cmp_eq_u32_e32 vcc, s1, v9
	s_and_b64 exec, exec, vcc
	s_cbranch_execz .LBB36_228
; %bb.233:                              ;   in Loop: Header=BB36_229 Depth=2
	v_perm_b32 v8, v8, 1, v42
	ds_write_b32 v13, v8 offset:3072
	s_branch .LBB36_228
.LBB36_234:                             ;   in Loop: Header=BB36_8 Depth=1
                                        ; implicit-def: $sgpr2_sgpr3
                                        ; implicit-def: $sgpr8_sgpr9
                                        ; implicit-def: $sgpr6_sgpr7
	s_branch .LBB36_253
.LBB36_235:                             ;   in Loop: Header=BB36_8 Depth=1
                                        ; implicit-def: $vgpr2_vgpr3
	s_branch .LBB36_178
.LBB36_236:                             ;   in Loop: Header=BB36_8 Depth=1
                                        ; implicit-def: $vgpr2_vgpr3
	s_branch .LBB36_195
.LBB36_237:                             ;   in Loop: Header=BB36_8 Depth=1
	s_mov_b64 s[2:3], -1
	s_mov_b64 s[26:27], 0
                                        ; implicit-def: $sgpr6_sgpr7
                                        ; implicit-def: $vgpr43
	s_mov_b64 s[8:9], s[2:3]
	s_cbranch_execnz .LBB36_240
	s_branch .LBB36_253
.LBB36_238:                             ;   in Loop: Header=BB36_8 Depth=1
	s_or_b64 exec, exec, s[8:9]
	v_lshrrev_b32_e32 v43, 16, v8
	s_and_b64 s[26:27], s[26:27], exec
.LBB36_239:                             ;   in Loop: Header=BB36_8 Depth=1
	s_or_b64 exec, exec, s[2:3]
	s_mov_b64 s[6:7], -1
	s_mov_b64 s[2:3], 0
	s_mov_b64 s[8:9], s[2:3]
	s_branch .LBB36_253
.LBB36_240:                             ;   in Loop: Header=BB36_8 Depth=1
	v_readlane_b32 s2, v52, 20
	s_add_u32 s8, s2, s38
	v_readlane_b32 s2, v52, 21
	s_addc_u32 s3, s2, s39
	s_mov_b32 s2, s73
	s_cmp_lg_u64 s[2:3], 0
	s_cbranch_scc0 .LBB36_274
; %bb.241:                              ;   in Loop: Header=BB36_8 Depth=1
	v_cvt_f32_u32_e32 v2, s33
	s_sub_u32 s2, 0, s33
	s_subb_u32 s6, 0, 0
	v_mac_f32_e32 v2, 0x4f800000, v41
	v_rcp_f32_e32 v2, v2
	v_mul_f32_e32 v2, 0x5f7ffffc, v2
	v_mul_f32_e32 v3, 0x2f800000, v2
	v_trunc_f32_e32 v3, v3
	v_mac_f32_e32 v2, 0xcf800000, v3
	v_cvt_u32_f32_e32 v3, v3
	v_cvt_u32_f32_e32 v2, v2
	v_readfirstlane_b32 s7, v3
	v_readfirstlane_b32 s9, v2
	s_mul_i32 s26, s2, s7
	s_mul_hi_u32 s40, s2, s9
	s_mul_i32 s27, s6, s9
	s_add_i32 s26, s40, s26
	s_mul_i32 s41, s2, s9
	s_add_i32 s26, s26, s27
	s_mul_hi_u32 s40, s9, s41
	s_mul_hi_u32 s27, s9, s26
	s_mul_i32 s9, s9, s26
	s_add_u32 s9, s40, s9
	s_addc_u32 s27, 0, s27
	s_mul_hi_u32 s42, s7, s41
	s_mul_i32 s41, s7, s41
	s_add_u32 s9, s9, s41
	s_mul_hi_u32 s40, s7, s26
	s_addc_u32 s9, s27, s42
	s_addc_u32 s27, s40, 0
	s_mul_i32 s26, s7, s26
	s_add_u32 s9, s9, s26
	s_addc_u32 s26, 0, s27
	v_add_co_u32_e32 v2, vcc, s9, v2
	s_cmp_lg_u64 vcc, 0
	s_addc_u32 s7, s7, s26
	v_readfirstlane_b32 s26, v2
	s_mul_i32 s9, s2, s7
	s_mul_hi_u32 s27, s2, s26
	s_add_i32 s9, s27, s9
	s_mul_i32 s6, s6, s26
	s_add_i32 s9, s9, s6
	s_mul_i32 s2, s2, s26
	s_mul_hi_u32 s27, s7, s2
	s_mul_i32 s40, s7, s2
	s_mul_i32 s42, s26, s9
	s_mul_hi_u32 s2, s26, s2
	s_mul_hi_u32 s41, s26, s9
	s_add_u32 s2, s2, s42
	s_addc_u32 s26, 0, s41
	s_add_u32 s2, s2, s40
	s_mul_hi_u32 s6, s7, s9
	s_addc_u32 s2, s26, s27
	s_addc_u32 s6, s6, 0
	s_mul_i32 s9, s7, s9
	s_add_u32 s2, s2, s9
	s_addc_u32 s6, 0, s6
	v_add_co_u32_e32 v2, vcc, s2, v2
	s_cmp_lg_u64 vcc, 0
	s_addc_u32 s2, s7, s6
	s_ashr_i32 s6, s3, 31
	s_add_u32 s26, s8, s6
	s_mov_b32 s7, s6
	s_addc_u32 s27, s3, s6
	s_xor_b64 s[26:27], s[26:27], s[6:7]
	v_readfirstlane_b32 s40, v2
	s_mul_i32 s9, s26, s2
	s_mul_hi_u32 s41, s26, s40
	s_mul_hi_u32 s7, s26, s2
	s_add_u32 s9, s41, s9
	s_addc_u32 s7, 0, s7
	s_mul_hi_u32 s42, s27, s40
	s_mul_i32 s40, s27, s40
	s_add_u32 s9, s9, s40
	s_mul_hi_u32 s41, s27, s2
	s_addc_u32 s7, s7, s42
	s_addc_u32 s9, s41, 0
	s_mul_i32 s2, s27, s2
	s_add_u32 s2, s7, s2
	s_addc_u32 s7, 0, s9
	s_mul_hi_u32 s9, s33, s2
	s_mul_i32 s2, s33, s2
	s_mul_i32 s7, s33, s7
	v_mov_b32_e32 v2, s2
	s_add_i32 s9, s9, s7
	v_sub_co_u32_e32 v2, vcc, s26, v2
	s_cmp_lg_u64 vcc, 0
	s_subb_u32 s2, s27, s9
	v_subrev_co_u32_e32 v3, vcc, s33, v2
	s_cmp_lg_u64 vcc, 0
	s_subb_u32 s7, s2, 0
	v_subrev_co_u32_e32 v4, vcc, s33, v3
	s_cmp_lg_u64 vcc, 0
	s_subb_u32 s9, s7, 0
	v_cmp_le_u32_e32 vcc, s33, v3
	s_cmp_eq_u32 s7, 0
	v_cndmask_b32_e64 v5, 0, -1, vcc
	s_cselect_b64 vcc, -1, 0
	v_cndmask_b32_e32 v5, -1, v5, vcc
	v_mov_b32_e32 v6, s7
	v_mov_b32_e32 v7, s9
	v_cmp_ne_u32_e32 vcc, 0, v5
	v_cndmask_b32_e32 v5, v6, v7, vcc
	v_cndmask_b32_e32 v3, v3, v4, vcc
	v_cmp_le_u32_e32 vcc, s33, v2
	s_cmp_eq_u32 s2, 0
	v_cndmask_b32_e64 v4, 0, -1, vcc
	s_cselect_b64 vcc, -1, 0
	v_cndmask_b32_e32 v4, -1, v4, vcc
	v_cmp_ne_u32_e32 vcc, 0, v4
	v_mov_b32_e32 v6, s2
	v_cndmask_b32_e32 v2, v2, v3, vcc
	v_cndmask_b32_e32 v4, v6, v5, vcc
	v_xor_b32_e32 v2, s6, v2
	v_xor_b32_e32 v3, s6, v4
	v_mov_b32_e32 v4, s6
	v_subrev_co_u32_e32 v2, vcc, s6, v2
	v_subb_co_u32_e32 v3, vcc, v3, v4, vcc
	s_cbranch_execnz .LBB36_243
.LBB36_242:                             ;   in Loop: Header=BB36_8 Depth=1
	v_cvt_f32_u32_e32 v2, s33
	s_sub_i32 s2, 0, s33
	v_rcp_iflag_f32_e32 v2, v2
	v_mul_f32_e32 v2, 0x4f7ffffe, v2
	v_cvt_u32_f32_e32 v2, v2
	v_mul_lo_u32 v3, s2, v2
	v_mul_hi_u32 v3, v2, v3
	v_add_u32_e32 v2, v2, v3
	v_mul_hi_u32 v2, s8, v2
	v_mul_lo_u32 v2, v2, s33
	v_sub_u32_e32 v2, s8, v2
	v_subrev_u32_e32 v3, s33, v2
	v_cmp_le_u32_e32 vcc, s33, v2
	v_cndmask_b32_e32 v2, v2, v3, vcc
	v_subrev_u32_e32 v3, s33, v2
	v_cmp_le_u32_e32 vcc, s33, v2
	v_cndmask_b32_e32 v12, v2, v3, vcc
	v_pk_mov_b32 v[2:3], v[12:13], v[12:13] op_sel:[0,1]
.LBB36_243:                             ;   in Loop: Header=BB36_8 Depth=1
	v_mov_b32_e32 v4, s3
	v_sub_co_u32_e32 v2, vcc, s8, v2
	v_subb_co_u32_e32 v3, vcc, v4, v3, vcc
	v_cmp_gt_i64_e32 vcc, v[2:3], v[0:1]
	s_mov_b64 s[26:27], 0
                                        ; implicit-def: $vgpr43
	s_and_saveexec_b64 s[2:3], vcc
	s_cbranch_execz .LBB36_252
; %bb.244:                              ;   in Loop: Header=BB36_8 Depth=1
	s_mov_b64 s[8:9], 0
	v_mov_b32_e32 v6, v33
	v_pk_mov_b32 v[4:5], v[0:1], v[0:1] op_sel:[0,1]
                                        ; implicit-def: $sgpr26_sgpr27
	s_branch .LBB36_246
.LBB36_245:                             ;   in Loop: Header=BB36_246 Depth=2
	s_or_b64 exec, exec, s[6:7]
	s_waitcnt lgkmcnt(0)
	s_barrier
	ds_read_b32 v7, v13 offset:3072
	v_mov_b32_e32 v8, s88
	v_add_co_u32_e64 v4, s[6:7], s33, v4
	v_addc_co_u32_e64 v5, s[6:7], v5, v8, s[6:7]
	s_waitcnt lgkmcnt(0)
	v_cmp_ne_u16_e32 vcc, 0, v7
	v_cmp_ge_i64_e64 s[6:7], v[4:5], v[2:3]
	s_or_b64 s[6:7], vcc, s[6:7]
	s_and_b64 s[6:7], exec, s[6:7]
	s_or_b64 s[8:9], s[6:7], s[8:9]
	s_andn2_b64 s[6:7], s[26:27], exec
	s_and_b64 s[26:27], vcc, exec
	v_add_u32_e32 v6, s74, v6
	s_or_b64 s[26:27], s[6:7], s[26:27]
	s_barrier
	s_andn2_b64 exec, exec, s[8:9]
	s_cbranch_execz .LBB36_251
.LBB36_246:                             ;   Parent Loop BB36_8 Depth=1
                                        ; =>  This Inner Loop Header: Depth=2
	v_cmp_gt_i64_e32 vcc, s[38:39], v[4:5]
	v_mov_b32_e32 v7, 0
	s_and_saveexec_b64 s[6:7], vcc
	s_cbranch_execz .LBB36_248
; %bb.247:                              ;   in Loop: Header=BB36_246 Depth=2
	ds_read_u16 v7, v6
.LBB36_248:                             ;   in Loop: Header=BB36_246 Depth=2
	s_or_b64 exec, exec, s[6:7]
	s_and_saveexec_b64 s[6:7], vcc
	s_cbranch_execz .LBB36_245
; %bb.249:                              ;   in Loop: Header=BB36_246 Depth=2
	s_waitcnt lgkmcnt(0)
	v_add_u32_sdwa v8, sext(v7), s75 dst_sel:DWORD dst_unused:UNUSED_PAD src0_sel:WORD_0 src1_sel:DWORD
	v_and_b32_e32 v8, s0, v8
	v_cmp_eq_u32_e32 vcc, s1, v8
	s_and_b64 exec, exec, vcc
	s_cbranch_execz .LBB36_245
; %bb.250:                              ;   in Loop: Header=BB36_246 Depth=2
	v_perm_b32 v7, v7, 1, v42
	ds_write_b32 v13, v7 offset:3072
	s_branch .LBB36_245
.LBB36_251:                             ;   in Loop: Header=BB36_8 Depth=1
	s_or_b64 exec, exec, s[8:9]
	v_lshrrev_b32_e32 v43, 16, v7
	s_and_b64 s[26:27], s[26:27], exec
.LBB36_252:                             ;   in Loop: Header=BB36_8 Depth=1
	s_or_b64 exec, exec, s[2:3]
	s_mov_b64 s[8:9], -1
	s_mov_b64 s[2:3], 0
	s_mov_b64 s[6:7], 0
.LBB36_253:                             ;   in Loop: Header=BB36_8 Depth=1
	s_mov_b64 s[40:41], 0
                                        ; implicit-def: $sgpr45
                                        ; implicit-def: $sgpr42_sgpr43
	s_and_saveexec_b64 s[38:39], s[26:27]
	s_cbranch_execz .LBB36_266
; %bb.254:                              ;   in Loop: Header=BB36_8 Depth=1
	s_xor_b64 s[16:17], s[16:17], -1
	s_mov_b64 s[42:43], 1
	s_andn2_b64 vcc, exec, s[16:17]
	s_mov_b32 s45, 1
	s_cbranch_vccnz .LBB36_265
; %bb.255:                              ;   in Loop: Header=BB36_8 Depth=1
	v_pk_mov_b32 v[2:3], s[10:11], s[10:11] op_sel:[0,1]
	v_cmp_gt_i64_e32 vcc, s[54:55], v[2:3]
	s_cbranch_vccnz .LBB36_261
; %bb.256:                              ;   in Loop: Header=BB36_8 Depth=1
	ds_read_b64 v[2:3], v13 offset:5120
	s_waitcnt lgkmcnt(0)
	v_cmp_ne_u64_e32 vcc, 0, v[2:3]
	s_cbranch_vccnz .LBB36_260
; %bb.257:                              ;   in Loop: Header=BB36_8 Depth=1
	s_mov_b64 s[16:17], exec
	v_readlane_b32 s26, v52, 8
	v_readlane_b32 s27, v52, 9
	s_and_b64 s[26:27], s[16:17], s[26:27]
	s_mov_b64 exec, s[26:27]
	s_cbranch_execz .LBB36_259
; %bb.258:                              ;   in Loop: Header=BB36_8 Depth=1
	v_pk_mov_b32 v[2:3], s[10:11], s[10:11] op_sel:[0,1]
	ds_write_b64 v13, v[2:3] offset:5128
.LBB36_259:                             ;   in Loop: Header=BB36_8 Depth=1
	s_or_b64 exec, exec, s[16:17]
	s_waitcnt lgkmcnt(0)
	s_barrier
.LBB36_260:                             ;   in Loop: Header=BB36_8 Depth=1
	s_or_b32 s26, s1, s44
	s_or_b32 s27, s0, s44
	s_mov_b64 s[16:17], 0
	s_mov_b32 s45, 8
	s_branch .LBB36_262
.LBB36_261:                             ;   in Loop: Header=BB36_8 Depth=1
	s_mov_b64 s[16:17], -1
                                        ; implicit-def: $sgpr45
                                        ; implicit-def: $sgpr26
                                        ; implicit-def: $sgpr27
.LBB36_262:                             ;   in Loop: Header=BB36_8 Depth=1
	s_andn2_b64 vcc, exec, s[16:17]
	s_cbranch_vccnz .LBB36_264
; %bb.263:                              ;   in Loop: Header=BB36_8 Depth=1
	s_sub_u32 s54, s54, s10
	s_subb_u32 s55, s55, s11
	s_mov_b32 s45, 8
	s_mov_b32 s26, s1
	;; [unrolled: 1-line block ×3, first 2 shown]
.LBB36_264:                             ;   in Loop: Header=BB36_8 Depth=1
	s_mov_b64 s[42:43], s[54:55]
	s_mov_b32 s1, s26
	s_mov_b32 s0, s27
.LBB36_265:                             ;   in Loop: Header=BB36_8 Depth=1
	s_mov_b64 s[40:41], exec
.LBB36_266:                             ;   in Loop: Header=BB36_8 Depth=1
	s_or_b64 exec, exec, s[38:39]
	s_mov_b64 s[54:55], s[42:43]
.LBB36_267:                             ;   in Loop: Header=BB36_8 Depth=1
	s_andn2_b64 s[10:11], s[28:29], exec
	s_and_b64 s[2:3], s[2:3], exec
	s_or_b64 s[28:29], s[10:11], s[2:3]
	s_andn2_b64 s[2:3], s[34:35], exec
	s_and_b64 s[8:9], s[8:9], exec
	s_or_b64 s[34:35], s[2:3], s[8:9]
	;; [unrolled: 3-line block ×3, first 2 shown]
	s_and_b64 s[6:7], s[40:41], exec
.LBB36_268:                             ;   in Loop: Header=BB36_8 Depth=1
	s_or_b64 exec, exec, s[36:37]
	s_mov_b64 s[36:37], s[60:61]
.LBB36_269:                             ;   in Loop: Header=BB36_8 Depth=1
	s_andn2_b64 s[2:3], s[20:21], exec
	s_and_b64 s[8:9], s[28:29], exec
	s_or_b64 s[20:21], s[2:3], s[8:9]
	s_andn2_b64 s[2:3], s[22:23], exec
	s_and_b64 s[8:9], s[34:35], exec
	s_or_b64 s[22:23], s[2:3], s[8:9]
	;; [unrolled: 3-line block ×3, first 2 shown]
	s_and_b64 s[6:7], s[6:7], exec
.LBB36_270:                             ;   in Loop: Header=BB36_8 Depth=1
	s_or_b64 exec, exec, s[24:25]
	s_mov_b64 s[30:31], s[78:79]
	s_and_saveexec_b64 s[2:3], s[6:7]
	s_xor_b64 s[2:3], exec, s[2:3]
	s_cbranch_execz .LBB36_6
.LBB36_271:                             ;   in Loop: Header=BB36_8 Depth=1
	s_and_b32 s6, s45, -9
	s_cmp_eq_u32 s6, 0
	s_cbranch_scc1 .LBB36_4
; %bb.272:                              ;   in Loop: Header=BB36_8 Depth=1
	s_mov_b64 s[6:7], -1
                                        ; implicit-def: $sgpr0
                                        ; implicit-def: $sgpr76
                                        ; implicit-def: $sgpr77
	s_mov_b64 s[8:9], -1
	s_branch .LBB36_5
.LBB36_273:                             ;   in Loop: Header=BB36_8 Depth=1
                                        ; implicit-def: $vgpr2_vgpr3
	s_branch .LBB36_225
.LBB36_274:                             ;   in Loop: Header=BB36_8 Depth=1
                                        ; implicit-def: $vgpr2_vgpr3
	s_branch .LBB36_242
.LBB36_275:
	s_or_b64 exec, exec, s[90:91]
	s_xor_b64 s[6:7], s[4:5], -1
	s_xor_b64 s[0:1], s[30:31], -1
	;; [unrolled: 1-line block ×3, first 2 shown]
	s_mov_b64 s[2:3], 0
	s_and_saveexec_b64 s[8:9], s[0:1]
	s_xor_b64 s[0:1], exec, s[8:9]
	s_cbranch_execnz .LBB36_280
; %bb.276:
	s_andn2_saveexec_b64 s[0:1], s[0:1]
	s_cbranch_execnz .LBB36_302
.LBB36_277:
	s_or_b64 exec, exec, s[0:1]
	s_and_saveexec_b64 s[0:1], s[2:3]
.LBB36_278:
	; divergent unreachable
.LBB36_279:
	s_endpgm
.LBB36_280:
	s_and_saveexec_b64 s[2:3], s[6:7]
	s_xor_b64 s[2:3], exec, s[2:3]
	s_cbranch_execz .LBB36_300
; %bb.281:
	s_and_saveexec_b64 s[6:7], s[4:5]
	s_xor_b64 s[4:5], exec, s[6:7]
; %bb.282:
	v_xor_b32_e32 v43, 0xffff8000, v2
; %bb.283:
	s_or_b64 exec, exec, s[4:5]
	s_mov_b64 s[4:5], exec
	v_readlane_b32 s6, v52, 8
	v_readlane_b32 s7, v52, 9
	s_and_b64 s[6:7], s[4:5], s[6:7]
	v_readlane_b32 s24, v52, 10
	v_readlane_b32 s25, v52, 11
	s_mov_b64 exec, s[6:7]
	s_cbranch_execz .LBB36_285
; %bb.284:
	v_mov_b32_e32 v2, 0
	v_mov_b32_e32 v3, s52
	ds_write_b32 v2, v3 offset:5140
.LBB36_285:
	s_or_b64 exec, exec, s[4:5]
	s_waitcnt lgkmcnt(0)
	s_barrier
	s_mov_b64 s[4:5], exec
	v_readlane_b32 s6, v52, 16
	v_readlane_b32 s7, v52, 17
	s_and_b64 s[6:7], s[4:5], s[6:7]
	s_mov_b64 exec, s[6:7]
	s_cbranch_execz .LBB36_297
; %bb.286:
	v_mov_b32_e32 v2, 0
	ds_read_b32 v4, v2 offset:5140
	s_mov_b64 s[6:7], 0
                                        ; implicit-def: $sgpr8_sgpr9
                                        ; implicit-def: $sgpr10_sgpr11
                                        ; implicit-def: $sgpr12_sgpr13
	s_waitcnt lgkmcnt(0)
	v_ashrrev_i32_e32 v5, 31, v4
	s_branch .LBB36_289
.LBB36_287:                             ;   in Loop: Header=BB36_289 Depth=1
	s_or_b64 exec, exec, s[18:19]
	s_andn2_b64 s[12:13], s[12:13], exec
	s_and_b64 s[16:17], s[16:17], exec
	s_or_b64 s[12:13], s[12:13], s[16:17]
	s_andn2_b64 s[10:11], s[10:11], exec
	s_and_b64 s[16:17], s[20:21], exec
	s_or_b64 s[10:11], s[10:11], s[16:17]
.LBB36_288:                             ;   in Loop: Header=BB36_289 Depth=1
	s_or_b64 exec, exec, s[14:15]
	s_and_b64 s[14:15], exec, s[10:11]
	s_or_b64 s[6:7], s[14:15], s[6:7]
	s_andn2_b64 s[8:9], s[8:9], exec
	s_and_b64 s[14:15], s[12:13], exec
	s_or_b64 s[8:9], s[8:9], s[14:15]
	s_andn2_b64 exec, exec, s[6:7]
	s_cbranch_execz .LBB36_292
.LBB36_289:                             ; =>This Inner Loop Header: Depth=1
	v_pk_mov_b32 v[2:3], v[0:1], v[0:1] op_sel:[0,1]
	v_cmp_lt_i64_e32 vcc, v[2:3], v[4:5]
	s_or_b64 s[12:13], s[12:13], exec
	s_or_b64 s[10:11], s[10:11], exec
                                        ; implicit-def: $vgpr0_vgpr1
	s_and_saveexec_b64 s[14:15], vcc
	s_cbranch_execz .LBB36_288
; %bb.290:                              ;   in Loop: Header=BB36_289 Depth=1
	global_load_ushort v0, v[10:11], off
	s_mov_b64 s[20:21], -1
	s_mov_b64 s[16:17], 0
	s_waitcnt vmcnt(0)
	v_cmp_ne_u16_e32 vcc, v0, v43
                                        ; implicit-def: $vgpr0_vgpr1
	s_and_saveexec_b64 s[18:19], vcc
	s_cbranch_execz .LBB36_287
; %bb.291:                              ;   in Loop: Header=BB36_289 Depth=1
	v_mov_b32_e32 v1, s88
	v_add_co_u32_e32 v0, vcc, s33, v2
	v_addc_co_u32_e32 v1, vcc, v3, v1, vcc
	v_mov_b32_e32 v3, s69
	v_add_co_u32_e32 v10, vcc, s68, v10
	v_addc_co_u32_e32 v11, vcc, v11, v3, vcc
	v_cmp_le_i64_e32 vcc, s[52:53], v[0:1]
	s_mov_b64 s[16:17], exec
	s_orn2_b64 s[20:21], vcc, exec
	s_branch .LBB36_287
.LBB36_292:
	s_or_b64 exec, exec, s[6:7]
	s_xor_b64 s[6:7], s[8:9], -1
	s_and_saveexec_b64 s[8:9], s[6:7]
	s_xor_b64 s[8:9], exec, s[8:9]
	s_cbranch_execz .LBB36_297
; %bb.293:
	s_mov_b64 s[6:7], exec
	s_brev_b32 s8, -2
.LBB36_294:                             ; =>This Inner Loop Header: Depth=1
	s_ff1_i32_b64 s9, s[6:7]
	v_readlane_b32 s12, v2, s9
	s_lshl_b64 s[10:11], 1, s9
	s_min_i32 s8, s8, s12
	s_andn2_b64 s[6:7], s[6:7], s[10:11]
	s_cmp_lg_u64 s[6:7], 0
	s_cbranch_scc1 .LBB36_294
; %bb.295:
	v_mbcnt_lo_u32_b32 v0, exec_lo, 0
	v_mbcnt_hi_u32_b32 v0, exec_hi, v0
	v_cmp_eq_u32_e32 vcc, 0, v0
	s_and_saveexec_b64 s[6:7], vcc
	s_xor_b64 s[6:7], exec, s[6:7]
	s_cbranch_execz .LBB36_297
; %bb.296:
	v_mov_b32_e32 v0, 0
	v_mov_b32_e32 v1, s8
	ds_min_i32 v0, v1 offset:5140
.LBB36_297:
	s_or_b64 exec, exec, s[4:5]
	s_waitcnt lgkmcnt(0)
	s_barrier
	s_mov_b64 s[4:5], exec
	v_readlane_b32 s6, v52, 8
	v_readlane_b32 s7, v52, 9
	s_and_b64 s[6:7], s[4:5], s[6:7]
	s_mov_b64 exec, s[6:7]
	s_cbranch_execz .LBB36_299
; %bb.298:
	v_readlane_b32 s8, v52, 4
	v_readlane_b32 s9, v52, 5
	v_readlane_b32 s10, v52, 0
	s_mul_i32 s6, s9, s24
	s_mul_hi_u32 s7, s8, s24
	v_readlane_b32 s11, v52, 1
	v_mov_b32_e32 v2, 0
	s_add_i32 s7, s7, s6
	s_mul_i32 s6, s8, s24
	s_mul_i32 s8, s11, s24
	s_mul_hi_u32 s9, s10, s24
	ds_read_b32 v0, v2 offset:5140
	s_add_i32 s9, s9, s8
	s_mul_i32 s8, s10, s24
	s_lshl_b64 s[6:7], s[6:7], 1
	v_readlane_b32 s10, v52, 6
	v_readlane_b32 s11, v52, 7
	s_add_u32 s6, s10, s6
	s_addc_u32 s7, s11, s7
	s_lshl_b64 s[8:9], s[8:9], 3
	v_readlane_b32 s10, v52, 2
	v_readlane_b32 s11, v52, 3
	s_add_u32 s8, s10, s8
	s_addc_u32 s9, s11, s9
	s_waitcnt lgkmcnt(0)
	v_ashrrev_i32_e32 v1, 31, v0
	global_store_dwordx2 v2, v[0:1], s[8:9]
	global_store_short v2, v43, s[6:7]
.LBB36_299:
	s_or_b64 exec, exec, s[4:5]
.LBB36_300:
	s_or_saveexec_b64 s[2:3], s[2:3]
	s_mov_b64 s[4:5], 0
	s_xor_b64 exec, exec, s[2:3]
	s_cbranch_execnz .LBB36_303
.LBB36_301:
	s_or_b64 exec, exec, s[2:3]
	s_and_b64 s[2:3], s[4:5], exec
	s_andn2_saveexec_b64 s[0:1], s[0:1]
	s_cbranch_execz .LBB36_277
.LBB36_302:
	s_or_b64 s[2:3], s[2:3], exec
	s_trap 2
	s_or_b64 exec, exec, s[0:1]
	s_and_saveexec_b64 s[0:1], s[2:3]
	s_cbranch_execnz .LBB36_278
	s_branch .LBB36_279
.LBB36_303:
	s_mov_b64 s[4:5], exec
	s_trap 2
	s_branch .LBB36_301
	.section	.rodata,"a",@progbits
	.p2align	6, 0x0
	.amdhsa_kernel _ZN2at6native12_GLOBAL__N_114gatherKthValueIslLi1EEEvNS_4cuda6detail10TensorInfoIKT_T0_EES8_S8_S8_S8_NS5_IS6_S8_EENS5_IlS8_EE
		.amdhsa_group_segment_fixed_size 5144
		.amdhsa_private_segment_fixed_size 0
		.amdhsa_kernarg_size 1536
		.amdhsa_user_sgpr_count 6
		.amdhsa_user_sgpr_private_segment_buffer 1
		.amdhsa_user_sgpr_dispatch_ptr 0
		.amdhsa_user_sgpr_queue_ptr 0
		.amdhsa_user_sgpr_kernarg_segment_ptr 1
		.amdhsa_user_sgpr_dispatch_id 0
		.amdhsa_user_sgpr_flat_scratch_init 0
		.amdhsa_user_sgpr_kernarg_preload_length 0
		.amdhsa_user_sgpr_kernarg_preload_offset 0
		.amdhsa_user_sgpr_private_segment_size 0
		.amdhsa_uses_dynamic_stack 0
		.amdhsa_system_sgpr_private_segment_wavefront_offset 0
		.amdhsa_system_sgpr_workgroup_id_x 1
		.amdhsa_system_sgpr_workgroup_id_y 1
		.amdhsa_system_sgpr_workgroup_id_z 1
		.amdhsa_system_sgpr_workgroup_info 0
		.amdhsa_system_vgpr_workitem_id 0
		.amdhsa_next_free_vgpr 53
		.amdhsa_next_free_sgpr 96
		.amdhsa_accum_offset 56
		.amdhsa_reserve_vcc 1
		.amdhsa_reserve_flat_scratch 0
		.amdhsa_float_round_mode_32 0
		.amdhsa_float_round_mode_16_64 0
		.amdhsa_float_denorm_mode_32 3
		.amdhsa_float_denorm_mode_16_64 3
		.amdhsa_dx10_clamp 1
		.amdhsa_ieee_mode 1
		.amdhsa_fp16_overflow 0
		.amdhsa_tg_split 0
		.amdhsa_exception_fp_ieee_invalid_op 0
		.amdhsa_exception_fp_denorm_src 0
		.amdhsa_exception_fp_ieee_div_zero 0
		.amdhsa_exception_fp_ieee_overflow 0
		.amdhsa_exception_fp_ieee_underflow 0
		.amdhsa_exception_fp_ieee_inexact 0
		.amdhsa_exception_int_div_zero 0
	.end_amdhsa_kernel
	.section	.text._ZN2at6native12_GLOBAL__N_114gatherKthValueIslLi1EEEvNS_4cuda6detail10TensorInfoIKT_T0_EES8_S8_S8_S8_NS5_IS6_S8_EENS5_IlS8_EE,"axG",@progbits,_ZN2at6native12_GLOBAL__N_114gatherKthValueIslLi1EEEvNS_4cuda6detail10TensorInfoIKT_T0_EES8_S8_S8_S8_NS5_IS6_S8_EENS5_IlS8_EE,comdat
.Lfunc_end36:
	.size	_ZN2at6native12_GLOBAL__N_114gatherKthValueIslLi1EEEvNS_4cuda6detail10TensorInfoIKT_T0_EES8_S8_S8_S8_NS5_IS6_S8_EENS5_IlS8_EE, .Lfunc_end36-_ZN2at6native12_GLOBAL__N_114gatherKthValueIslLi1EEEvNS_4cuda6detail10TensorInfoIKT_T0_EES8_S8_S8_S8_NS5_IS6_S8_EENS5_IlS8_EE
                                        ; -- End function
	.section	.AMDGPU.csdata,"",@progbits
; Kernel info:
; codeLenInByte = 16088
; NumSgprs: 100
; NumVgprs: 53
; NumAgprs: 0
; TotalNumVgprs: 53
; ScratchSize: 0
; MemoryBound: 0
; FloatMode: 240
; IeeeMode: 1
; LDSByteSize: 5144 bytes/workgroup (compile time only)
; SGPRBlocks: 12
; VGPRBlocks: 6
; NumSGPRsForWavesPerEU: 100
; NumVGPRsForWavesPerEU: 53
; AccumOffset: 56
; Occupancy: 8
; WaveLimiterHint : 1
; COMPUTE_PGM_RSRC2:SCRATCH_EN: 0
; COMPUTE_PGM_RSRC2:USER_SGPR: 6
; COMPUTE_PGM_RSRC2:TRAP_HANDLER: 0
; COMPUTE_PGM_RSRC2:TGID_X_EN: 1
; COMPUTE_PGM_RSRC2:TGID_Y_EN: 1
; COMPUTE_PGM_RSRC2:TGID_Z_EN: 1
; COMPUTE_PGM_RSRC2:TIDIG_COMP_CNT: 0
; COMPUTE_PGM_RSRC3_GFX90A:ACCUM_OFFSET: 13
; COMPUTE_PGM_RSRC3_GFX90A:TG_SPLIT: 0
	.section	.text._ZN2at6native12_GLOBAL__N_114gatherKthValueIslLi2EEEvNS_4cuda6detail10TensorInfoIKT_T0_EES8_S8_S8_S8_NS5_IS6_S8_EENS5_IlS8_EE,"axG",@progbits,_ZN2at6native12_GLOBAL__N_114gatherKthValueIslLi2EEEvNS_4cuda6detail10TensorInfoIKT_T0_EES8_S8_S8_S8_NS5_IS6_S8_EENS5_IlS8_EE,comdat
	.globl	_ZN2at6native12_GLOBAL__N_114gatherKthValueIslLi2EEEvNS_4cuda6detail10TensorInfoIKT_T0_EES8_S8_S8_S8_NS5_IS6_S8_EENS5_IlS8_EE ; -- Begin function _ZN2at6native12_GLOBAL__N_114gatherKthValueIslLi2EEEvNS_4cuda6detail10TensorInfoIKT_T0_EES8_S8_S8_S8_NS5_IS6_S8_EENS5_IlS8_EE
	.p2align	8
	.type	_ZN2at6native12_GLOBAL__N_114gatherKthValueIslLi2EEEvNS_4cuda6detail10TensorInfoIKT_T0_EES8_S8_S8_S8_NS5_IS6_S8_EENS5_IlS8_EE,@function
_ZN2at6native12_GLOBAL__N_114gatherKthValueIslLi2EEEvNS_4cuda6detail10TensorInfoIKT_T0_EES8_S8_S8_S8_NS5_IS6_S8_EENS5_IlS8_EE: ; @_ZN2at6native12_GLOBAL__N_114gatherKthValueIslLi2EEEvNS_4cuda6detail10TensorInfoIKT_T0_EES8_S8_S8_S8_NS5_IS6_S8_EENS5_IlS8_EE
; %bb.0:
	s_load_dwordx8 s[52:59], s[4:5], 0x1a0
	s_load_dwordx2 s[14:15], s[4:5], 0x500
	s_add_u32 s12, s4, 0x500
	s_addc_u32 s13, s5, 0
	s_mov_b32 s29, 0
	s_waitcnt lgkmcnt(0)
	v_mov_b32_e32 v2, s56
	s_mul_i32 s0, s15, s8
	s_add_i32 s0, s0, s7
	s_mul_i32 s0, s0, s14
	v_mov_b32_e32 v3, s57
	s_add_i32 s28, s0, s6
	v_cmp_ge_i64_e32 vcc, s[28:29], v[2:3]
	s_cbranch_vccnz .LBB37_288
; %bb.1:
	s_load_dwordx2 s[2:3], s[4:5], 0x10
	s_load_dwordx2 s[24:25], s[4:5], 0x1d0
	s_mov_b32 s0, s29
                                        ; implicit-def: $vgpr50 : SGPR spill to VGPR lane
	s_waitcnt lgkmcnt(0)
	s_mov_b32 s1, s3
	s_cmp_lg_u64 s[0:1], 0
	v_writelane_b32 v50, s24, 0
	v_writelane_b32 v50, s25, 1
	s_cbranch_scc0 .LBB37_301
; %bb.2:
	s_ashr_i32 s8, s3, 31
	s_add_u32 s0, s2, s8
	s_mov_b32 s9, s8
	s_addc_u32 s1, s3, s8
	s_xor_b64 s[16:17], s[0:1], s[8:9]
	v_cvt_f32_u32_e32 v1, s16
	v_cvt_f32_u32_e32 v2, s17
	s_sub_u32 s0, 0, s16
	s_subb_u32 s1, 0, s17
	v_madmk_f32 v1, v2, 0x4f800000, v1
	v_rcp_f32_e32 v1, v1
	v_mul_f32_e32 v1, 0x5f7ffffc, v1
	v_mul_f32_e32 v2, 0x2f800000, v1
	v_trunc_f32_e32 v2, v2
	v_madmk_f32 v1, v2, 0xcf800000, v1
	v_cvt_u32_f32_e32 v2, v2
	v_cvt_u32_f32_e32 v1, v1
	v_readfirstlane_b32 s7, v2
	v_readfirstlane_b32 s15, v1
	s_mul_i32 s18, s0, s7
	s_mul_hi_u32 s20, s0, s15
	s_mul_i32 s19, s1, s15
	s_add_i32 s18, s20, s18
	s_add_i32 s18, s18, s19
	s_mul_i32 s21, s0, s15
	s_mul_hi_u32 s19, s15, s18
	s_mul_i32 s20, s15, s18
	s_mul_hi_u32 s15, s15, s21
	s_add_u32 s15, s15, s20
	s_addc_u32 s19, 0, s19
	s_mul_hi_u32 s22, s7, s21
	s_mul_i32 s21, s7, s21
	s_add_u32 s15, s15, s21
	s_mul_hi_u32 s20, s7, s18
	s_addc_u32 s15, s19, s22
	s_addc_u32 s19, s20, 0
	s_mul_i32 s18, s7, s18
	s_add_u32 s15, s15, s18
	s_addc_u32 s18, 0, s19
	v_add_co_u32_e32 v1, vcc, s15, v1
	s_cmp_lg_u64 vcc, 0
	s_addc_u32 s7, s7, s18
	v_readfirstlane_b32 s18, v1
	s_mul_i32 s15, s0, s7
	s_mul_hi_u32 s19, s0, s18
	s_add_i32 s15, s19, s15
	s_mul_i32 s1, s1, s18
	s_add_i32 s15, s15, s1
	s_mul_i32 s0, s0, s18
	s_mul_hi_u32 s19, s7, s0
	s_mul_i32 s20, s7, s0
	s_mul_i32 s22, s18, s15
	s_mul_hi_u32 s0, s18, s0
	s_mul_hi_u32 s21, s18, s15
	s_add_u32 s0, s0, s22
	s_addc_u32 s18, 0, s21
	s_add_u32 s0, s0, s20
	s_mul_hi_u32 s1, s7, s15
	s_addc_u32 s0, s18, s19
	s_addc_u32 s1, s1, 0
	s_mul_i32 s15, s7, s15
	s_add_u32 s0, s0, s15
	s_addc_u32 s1, 0, s1
	v_add_co_u32_e32 v1, vcc, s0, v1
	s_cmp_lg_u64 vcc, 0
	s_addc_u32 s7, s7, s1
	s_ashr_i32 s18, 0, 31
	s_add_u32 s0, s28, s18
	s_mov_b32 s19, s18
	s_addc_u32 s1, 0, s18
	s_xor_b64 s[20:21], s[0:1], s[18:19]
	v_readfirstlane_b32 s15, v1
	s_mul_i32 s1, s20, s7
	s_mul_hi_u32 s22, s20, s15
	s_mul_hi_u32 s0, s20, s7
	s_add_u32 s1, s22, s1
	s_addc_u32 s0, 0, s0
	s_mul_hi_u32 s23, s21, s15
	s_mul_i32 s15, s21, s15
	s_add_u32 s1, s1, s15
	s_mul_hi_u32 s22, s21, s7
	s_addc_u32 s0, s0, s23
	s_addc_u32 s1, s22, 0
	s_mul_i32 s7, s21, s7
	s_add_u32 s7, s0, s7
	s_addc_u32 s15, 0, s1
	s_mul_i32 s0, s16, s15
	s_mul_hi_u32 s1, s16, s7
	s_add_i32 s0, s1, s0
	s_mul_i32 s1, s17, s7
	s_add_i32 s22, s0, s1
	s_mul_i32 s1, s16, s7
	v_mov_b32_e32 v1, s1
	s_sub_i32 s0, s21, s22
	v_sub_co_u32_e32 v1, vcc, s20, v1
	s_cmp_lg_u64 vcc, 0
	s_subb_u32 s20, s0, s17
	v_subrev_co_u32_e64 v2, s[0:1], s16, v1
	s_cmp_lg_u64 s[0:1], 0
	s_subb_u32 s0, s20, 0
	s_cmp_ge_u32 s0, s17
	v_readfirstlane_b32 s20, v2
	s_cselect_b32 s1, -1, 0
	s_cmp_ge_u32 s20, s16
	s_cselect_b32 s20, -1, 0
	s_cmp_eq_u32 s0, s17
	s_cselect_b32 s0, s20, s1
	s_add_u32 s1, s7, 1
	s_addc_u32 s20, s15, 0
	s_add_u32 s23, s7, 2
	s_addc_u32 s24, s15, 0
	s_cmp_lg_u32 s0, 0
	s_cselect_b32 s0, s23, s1
	s_cselect_b32 s1, s24, s20
	s_cmp_lg_u64 vcc, 0
	s_subb_u32 s20, s21, s22
	s_cmp_ge_u32 s20, s17
	v_readfirstlane_b32 s22, v1
	s_cselect_b32 s21, -1, 0
	s_cmp_ge_u32 s22, s16
	s_cselect_b32 s16, -1, 0
	s_cmp_eq_u32 s20, s17
	s_cselect_b32 s16, s16, s21
	s_load_dwordx2 s[24:25], s[4:5], 0x1d0
	s_cmp_lg_u32 s16, 0
	s_cselect_b32 s1, s1, s15
	s_cselect_b32 s0, s0, s7
	s_xor_b64 s[8:9], s[18:19], s[8:9]
	s_xor_b64 s[0:1], s[0:1], s[8:9]
	s_sub_u32 s16, s0, s8
	s_subb_u32 s17, s1, s9
	s_cbranch_execnz .LBB37_4
.LBB37_3:
	v_cvt_f32_u32_e32 v1, s2
	s_sub_i32 s0, 0, s2
	s_mov_b32 s17, 0
	v_rcp_iflag_f32_e32 v1, v1
	v_mul_f32_e32 v1, 0x4f7ffffe, v1
	v_cvt_u32_f32_e32 v1, v1
	v_readfirstlane_b32 s1, v1
	s_mul_i32 s0, s0, s1
	s_mul_hi_u32 s0, s1, s0
	s_add_i32 s1, s1, s0
	s_mul_hi_u32 s0, s28, s1
	s_mul_i32 s7, s0, s2
	s_sub_i32 s7, s28, s7
	s_add_i32 s1, s0, 1
	s_sub_i32 s8, s7, s2
	s_cmp_ge_u32 s7, s2
	s_cselect_b32 s0, s1, s0
	s_cselect_b32 s7, s8, s7
	s_add_i32 s1, s0, 1
	s_cmp_ge_u32 s7, s2
	s_cselect_b32 s16, s1, s0
.LBB37_4:
	s_load_dwordx2 s[30:31], s[4:5], 0x370
	s_mov_b32 s0, 0
	s_waitcnt lgkmcnt(0)
	s_mov_b32 s1, s25
	s_cmp_lg_u64 s[0:1], 0
	s_cbranch_scc0 .LBB37_302
; %bb.5:
	s_ashr_i32 s8, s25, 31
	s_add_u32 s0, s24, s8
	s_mov_b32 s9, s8
	s_addc_u32 s1, s25, s8
	s_xor_b64 s[18:19], s[0:1], s[8:9]
	v_cvt_f32_u32_e32 v1, s18
	v_cvt_f32_u32_e32 v2, s19
	s_sub_u32 s0, 0, s18
	s_subb_u32 s1, 0, s19
	v_madmk_f32 v1, v2, 0x4f800000, v1
	v_rcp_f32_e32 v1, v1
	v_mul_f32_e32 v1, 0x5f7ffffc, v1
	v_mul_f32_e32 v2, 0x2f800000, v1
	v_trunc_f32_e32 v2, v2
	v_madmk_f32 v1, v2, 0xcf800000, v1
	v_cvt_u32_f32_e32 v2, v2
	v_cvt_u32_f32_e32 v1, v1
	v_readfirstlane_b32 s7, v2
	v_readfirstlane_b32 s15, v1
	s_mul_i32 s20, s0, s7
	s_mul_hi_u32 s22, s0, s15
	s_mul_i32 s21, s1, s15
	s_add_i32 s20, s22, s20
	s_add_i32 s20, s20, s21
	s_mul_i32 s23, s0, s15
	s_mul_hi_u32 s21, s15, s20
	s_mul_i32 s22, s15, s20
	s_mul_hi_u32 s15, s15, s23
	s_add_u32 s15, s15, s22
	s_addc_u32 s21, 0, s21
	s_mul_hi_u32 s24, s7, s23
	s_mul_i32 s23, s7, s23
	s_add_u32 s15, s15, s23
	s_mul_hi_u32 s22, s7, s20
	s_addc_u32 s15, s21, s24
	s_addc_u32 s21, s22, 0
	s_mul_i32 s20, s7, s20
	s_add_u32 s15, s15, s20
	s_addc_u32 s20, 0, s21
	v_add_co_u32_e32 v1, vcc, s15, v1
	s_cmp_lg_u64 vcc, 0
	s_addc_u32 s7, s7, s20
	v_readfirstlane_b32 s20, v1
	s_mul_i32 s15, s0, s7
	s_mul_hi_u32 s21, s0, s20
	s_add_i32 s15, s21, s15
	s_mul_i32 s1, s1, s20
	s_add_i32 s15, s15, s1
	s_mul_i32 s0, s0, s20
	s_mul_hi_u32 s21, s7, s0
	s_mul_i32 s22, s7, s0
	s_mul_i32 s24, s20, s15
	s_mul_hi_u32 s0, s20, s0
	s_mul_hi_u32 s23, s20, s15
	s_add_u32 s0, s0, s24
	s_addc_u32 s20, 0, s23
	s_add_u32 s0, s0, s22
	s_mul_hi_u32 s1, s7, s15
	s_addc_u32 s0, s20, s21
	s_addc_u32 s1, s1, 0
	s_mul_i32 s15, s7, s15
	s_add_u32 s0, s0, s15
	s_addc_u32 s1, 0, s1
	v_add_co_u32_e32 v1, vcc, s0, v1
	s_cmp_lg_u64 vcc, 0
	s_addc_u32 s7, s7, s1
	s_ashr_i32 s20, 0, 31
	s_add_u32 s0, s28, s20
	s_mov_b32 s21, s20
	s_addc_u32 s1, 0, s20
	s_xor_b64 s[22:23], s[0:1], s[20:21]
	v_readfirstlane_b32 s15, v1
	s_mul_i32 s1, s22, s7
	s_mul_hi_u32 s24, s22, s15
	s_mul_hi_u32 s0, s22, s7
	s_add_u32 s1, s24, s1
	s_addc_u32 s0, 0, s0
	s_mul_hi_u32 s25, s23, s15
	s_mul_i32 s15, s23, s15
	s_add_u32 s1, s1, s15
	s_mul_hi_u32 s24, s23, s7
	s_addc_u32 s0, s0, s25
	s_addc_u32 s1, s24, 0
	s_mul_i32 s7, s23, s7
	s_add_u32 s7, s0, s7
	s_addc_u32 s15, 0, s1
	s_mul_i32 s0, s18, s15
	s_mul_hi_u32 s1, s18, s7
	s_add_i32 s0, s1, s0
	s_mul_i32 s1, s19, s7
	s_add_i32 s24, s0, s1
	s_mul_i32 s1, s18, s7
	v_mov_b32_e32 v1, s1
	s_sub_i32 s0, s23, s24
	v_sub_co_u32_e32 v1, vcc, s22, v1
	s_cmp_lg_u64 vcc, 0
	s_subb_u32 s22, s0, s19
	v_subrev_co_u32_e64 v2, s[0:1], s18, v1
	s_cmp_lg_u64 s[0:1], 0
	s_subb_u32 s0, s22, 0
	s_cmp_ge_u32 s0, s19
	v_readfirstlane_b32 s22, v2
	s_cselect_b32 s1, -1, 0
	s_cmp_ge_u32 s22, s18
	s_cselect_b32 s22, -1, 0
	s_cmp_eq_u32 s0, s19
	s_cselect_b32 s0, s22, s1
	s_add_u32 s1, s7, 1
	s_addc_u32 s22, s15, 0
	s_add_u32 s25, s7, 2
	s_addc_u32 s26, s15, 0
	s_cmp_lg_u32 s0, 0
	s_cselect_b32 s0, s25, s1
	s_cselect_b32 s1, s26, s22
	s_cmp_lg_u64 vcc, 0
	s_subb_u32 s22, s23, s24
	s_cmp_ge_u32 s22, s19
	v_readfirstlane_b32 s24, v1
	s_cselect_b32 s23, -1, 0
	s_cmp_ge_u32 s24, s18
	s_cselect_b32 s18, -1, 0
	s_cmp_eq_u32 s22, s19
	s_cselect_b32 s18, s18, s23
	s_cmp_lg_u32 s18, 0
	s_cselect_b32 s1, s1, s15
	s_cselect_b32 s0, s0, s7
	s_xor_b64 s[8:9], s[20:21], s[8:9]
	s_load_dwordx2 s[24:25], s[4:5], 0x1d0
	s_xor_b64 s[0:1], s[0:1], s[8:9]
	s_sub_u32 s0, s0, s8
	s_subb_u32 s1, s1, s9
	v_writelane_b32 v50, s0, 2
	v_writelane_b32 v50, s1, 3
	s_cbranch_execnz .LBB37_7
.LBB37_6:
	s_waitcnt lgkmcnt(0)
	v_cvt_f32_u32_e32 v1, s24
	s_sub_i32 s0, 0, s24
	s_mov_b32 s9, 0
	v_rcp_iflag_f32_e32 v1, v1
	v_mul_f32_e32 v1, 0x4f7ffffe, v1
	v_cvt_u32_f32_e32 v1, v1
	v_readfirstlane_b32 s1, v1
	s_mul_i32 s0, s0, s1
	s_mul_hi_u32 s0, s1, s0
	s_add_i32 s1, s1, s0
	s_mul_hi_u32 s0, s28, s1
	s_mul_i32 s7, s0, s24
	s_sub_i32 s7, s28, s7
	s_add_i32 s1, s0, 1
	s_sub_i32 s8, s7, s24
	s_cmp_ge_u32 s7, s24
	s_cselect_b32 s0, s1, s0
	s_cselect_b32 s7, s8, s7
	s_add_i32 s1, s0, 1
	s_cmp_ge_u32 s7, s24
	s_cselect_b32 s8, s1, s0
	v_writelane_b32 v50, s8, 2
	v_writelane_b32 v50, s9, 3
.LBB37_7:
	s_mov_b32 s0, 0
	s_mov_b32 s1, s31
	s_cmp_lg_u64 s[0:1], 0
	s_cbranch_scc0 .LBB37_303
; %bb.8:
	s_ashr_i32 s10, s31, 31
	s_add_u32 s0, s30, s10
	s_mov_b32 s11, s10
	s_addc_u32 s1, s31, s10
	s_xor_b64 s[18:19], s[0:1], s[10:11]
	v_cvt_f32_u32_e32 v1, s18
	v_cvt_f32_u32_e32 v2, s19
	s_sub_u32 s0, 0, s18
	s_subb_u32 s1, 0, s19
	v_madmk_f32 v1, v2, 0x4f800000, v1
	v_rcp_f32_e32 v1, v1
	v_mul_f32_e32 v1, 0x5f7ffffc, v1
	v_mul_f32_e32 v2, 0x2f800000, v1
	v_trunc_f32_e32 v2, v2
	v_madmk_f32 v1, v2, 0xcf800000, v1
	v_cvt_u32_f32_e32 v2, v2
	v_cvt_u32_f32_e32 v1, v1
	v_readfirstlane_b32 s7, v2
	v_readfirstlane_b32 s15, v1
	s_mul_i32 s20, s0, s7
	s_mul_hi_u32 s22, s0, s15
	s_mul_i32 s21, s1, s15
	s_add_i32 s20, s22, s20
	s_add_i32 s20, s20, s21
	s_mul_i32 s23, s0, s15
	s_mul_hi_u32 s21, s15, s20
	s_mul_i32 s22, s15, s20
	s_mul_hi_u32 s15, s15, s23
	s_add_u32 s15, s15, s22
	s_addc_u32 s21, 0, s21
	s_waitcnt lgkmcnt(0)
	s_mul_hi_u32 s24, s7, s23
	s_mul_i32 s23, s7, s23
	s_add_u32 s15, s15, s23
	s_mul_hi_u32 s22, s7, s20
	s_addc_u32 s15, s21, s24
	s_addc_u32 s21, s22, 0
	s_mul_i32 s20, s7, s20
	s_add_u32 s15, s15, s20
	s_addc_u32 s20, 0, s21
	v_add_co_u32_e32 v1, vcc, s15, v1
	s_cmp_lg_u64 vcc, 0
	s_addc_u32 s7, s7, s20
	v_readfirstlane_b32 s20, v1
	s_mul_i32 s15, s0, s7
	s_mul_hi_u32 s21, s0, s20
	s_add_i32 s15, s21, s15
	s_mul_i32 s1, s1, s20
	s_add_i32 s15, s15, s1
	s_mul_i32 s0, s0, s20
	s_mul_hi_u32 s21, s7, s0
	s_mul_i32 s22, s7, s0
	s_mul_i32 s24, s20, s15
	s_mul_hi_u32 s0, s20, s0
	s_mul_hi_u32 s23, s20, s15
	s_add_u32 s0, s0, s24
	s_addc_u32 s20, 0, s23
	s_add_u32 s0, s0, s22
	s_mul_hi_u32 s1, s7, s15
	s_addc_u32 s0, s20, s21
	s_addc_u32 s1, s1, 0
	s_mul_i32 s15, s7, s15
	s_add_u32 s0, s0, s15
	s_addc_u32 s1, 0, s1
	v_add_co_u32_e32 v1, vcc, s0, v1
	s_cmp_lg_u64 vcc, 0
	s_addc_u32 s7, s7, s1
	s_ashr_i32 s20, 0, 31
	s_add_u32 s0, s28, s20
	s_mov_b32 s21, s20
	s_addc_u32 s1, 0, s20
	s_xor_b64 s[22:23], s[0:1], s[20:21]
	v_readfirstlane_b32 s15, v1
	s_mul_i32 s1, s22, s7
	s_mul_hi_u32 s24, s22, s15
	s_mul_hi_u32 s0, s22, s7
	s_add_u32 s1, s24, s1
	s_addc_u32 s0, 0, s0
	s_mul_hi_u32 s25, s23, s15
	s_mul_i32 s15, s23, s15
	s_add_u32 s1, s1, s15
	s_mul_hi_u32 s24, s23, s7
	s_addc_u32 s0, s0, s25
	s_addc_u32 s1, s24, 0
	s_mul_i32 s7, s23, s7
	s_add_u32 s7, s0, s7
	s_addc_u32 s15, 0, s1
	s_mul_i32 s0, s18, s15
	s_mul_hi_u32 s1, s18, s7
	s_add_i32 s0, s1, s0
	s_mul_i32 s1, s19, s7
	s_add_i32 s24, s0, s1
	s_mul_i32 s1, s18, s7
	v_mov_b32_e32 v1, s1
	s_sub_i32 s0, s23, s24
	v_sub_co_u32_e32 v1, vcc, s22, v1
	s_cmp_lg_u64 vcc, 0
	s_subb_u32 s22, s0, s19
	v_subrev_co_u32_e64 v2, s[0:1], s18, v1
	s_cmp_lg_u64 s[0:1], 0
	s_subb_u32 s0, s22, 0
	s_cmp_ge_u32 s0, s19
	v_readfirstlane_b32 s22, v2
	s_cselect_b32 s1, -1, 0
	s_cmp_ge_u32 s22, s18
	s_cselect_b32 s22, -1, 0
	s_cmp_eq_u32 s0, s19
	s_cselect_b32 s0, s22, s1
	s_add_u32 s1, s7, 1
	s_addc_u32 s22, s15, 0
	s_add_u32 s25, s7, 2
	s_addc_u32 s26, s15, 0
	s_cmp_lg_u32 s0, 0
	s_cselect_b32 s0, s25, s1
	s_cselect_b32 s1, s26, s22
	s_cmp_lg_u64 vcc, 0
	s_subb_u32 s22, s23, s24
	s_cmp_ge_u32 s22, s19
	v_readfirstlane_b32 s24, v1
	s_cselect_b32 s23, -1, 0
	s_cmp_ge_u32 s24, s18
	s_cselect_b32 s18, -1, 0
	s_cmp_eq_u32 s22, s19
	s_cselect_b32 s18, s18, s23
	s_cmp_lg_u32 s18, 0
	s_cselect_b32 s1, s1, s15
	s_cselect_b32 s0, s0, s7
	s_xor_b64 s[10:11], s[20:21], s[10:11]
	s_xor_b64 s[0:1], s[0:1], s[10:11]
	s_sub_u32 s0, s0, s10
	s_subb_u32 s1, s1, s11
	v_writelane_b32 v50, s0, 4
	v_writelane_b32 v50, s1, 5
	s_load_dwordx2 s[0:1], s[4:5], 0x0
	s_cbranch_execnz .LBB37_10
.LBB37_9:
	v_cvt_f32_u32_e32 v1, s30
	s_sub_i32 s7, 0, s30
	s_mov_b32 s11, 0
	v_rcp_iflag_f32_e32 v1, v1
	v_mul_f32_e32 v1, 0x4f7ffffe, v1
	v_cvt_u32_f32_e32 v1, v1
	v_readfirstlane_b32 s8, v1
	s_mul_i32 s7, s7, s8
	s_mul_hi_u32 s7, s8, s7
	s_add_i32 s8, s8, s7
	s_mul_hi_u32 s7, s28, s8
	s_mul_i32 s9, s7, s30
	s_sub_i32 s9, s28, s9
	s_add_i32 s8, s7, 1
	s_sub_i32 s10, s9, s30
	s_cmp_ge_u32 s9, s30
	s_cselect_b32 s7, s8, s7
	s_cselect_b32 s9, s10, s9
	s_add_i32 s8, s7, 1
	s_cmp_ge_u32 s9, s30
	s_cselect_b32 s10, s8, s7
	v_writelane_b32 v50, s10, 4
	v_writelane_b32 v50, s11, 5
.LBB37_10:
	s_load_dwordx2 s[8:9], s[4:5], 0x360
	v_writelane_b32 v50, s30, 6
	v_writelane_b32 v50, s31, 7
	s_mov_b32 s81, 0
	v_cmp_eq_u32_e64 s[20:21], 0, v0
	s_waitcnt lgkmcnt(0)
	v_writelane_b32 v50, s8, 8
	v_writelane_b32 v50, s9, 9
	s_load_dwordx2 s[8:9], s[4:5], 0x1c0
	s_waitcnt lgkmcnt(0)
	v_writelane_b32 v50, s8, 10
	v_writelane_b32 v50, s9, 11
	s_load_dwordx4 s[8:11], s[4:5], 0xd0
	s_mov_b64 s[18:19], exec
	v_writelane_b32 v50, s20, 12
	v_writelane_b32 v50, s21, 13
	s_and_b64 s[20:21], s[18:19], s[20:21]
	s_mov_b64 exec, s[20:21]
	s_cbranch_execz .LBB37_12
; %bb.11:
	v_mov_b32_e32 v2, 0
	v_mov_b32_e32 v4, s52
	;; [unrolled: 1-line block ×4, first 2 shown]
	ds_write_b32 v2, v2 offset:5136
	ds_write_b128 v2, v[2:5] offset:5120
.LBB37_12:
	s_or_b64 exec, exec, s[18:19]
	s_load_dwordx4 s[20:23], s[4:5], 0x430
                                        ; kill: killed $sgpr4 killed $sgpr5
	s_mul_i32 s3, s16, s3
	v_mov_b32_e32 v2, 0x600
	v_mov_b32_e32 v3, 0
	;; [unrolled: 1-line block ×3, first 2 shown]
	s_waitcnt lgkmcnt(0)
	v_writelane_b32 v50, s20, 14
	v_writelane_b32 v50, s21, 15
	;; [unrolled: 1-line block ×4, first 2 shown]
	s_load_dwordx4 s[20:23], s[4:5], 0x290
	s_mul_hi_u32 s4, s16, s2
	s_add_i32 s3, s4, s3
	s_mul_i32 s4, s17, s2
	s_add_i32 s3, s3, s4
	s_waitcnt lgkmcnt(0)
	v_writelane_b32 v50, s20, 18
	v_writelane_b32 v50, s21, 19
	;; [unrolled: 1-line block ×4, first 2 shown]
	s_mul_i32 s2, s16, s2
	s_mov_b32 s4, s28
	v_writelane_b32 v50, s4, 22
	s_sub_u32 s2, s28, s2
	v_writelane_b32 v50, s5, 23
	s_subb_u32 s3, 0, s3
	s_mul_i32 s4, s2, s11
	s_mul_hi_u32 s5, s2, s10
	s_add_i32 s4, s5, s4
	s_mul_i32 s3, s3, s10
	s_add_i32 s3, s4, s3
	s_mul_i32 s4, s16, s9
	s_mul_hi_u32 s5, s16, s8
	s_add_i32 s4, s5, s4
	s_mul_i32 s5, s17, s8
	s_mul_i32 s2, s2, s10
	s_add_i32 s5, s4, s5
	s_mul_i32 s4, s16, s8
	s_lshl_b64 s[4:5], s[4:5], 1
	s_lshl_b64 s[2:3], s[2:3], 1
	s_add_u32 s2, s4, s2
	s_addc_u32 s3, s5, s3
	s_add_u32 s84, s0, s2
	s_addc_u32 s85, s1, s3
	v_cmp_gt_u32_e64 s[0:1], 2, v0
	v_writelane_b32 v50, s0, 24
	v_writelane_b32 v50, s1, 25
	v_cmp_gt_i64_e64 s[0:1], s[52:53], v[2:3]
	v_writelane_b32 v50, s0, 26
	v_writelane_b32 v50, s1, 27
	v_mad_u64_u32 v[2:3], s[0:1], v0, s58, 0
	v_mbcnt_lo_u32_b32 v1, -1, 0
	v_mov_b32_e32 v4, v3
	v_mbcnt_hi_u32_b32 v34, -1, v1
	v_mov_b32_e32 v1, v13
	v_mad_u64_u32 v[4:5], s[0:1], v0, s59, v[4:5]
	v_cmp_gt_i64_e64 s[0:1], s[52:53], v[0:1]
	v_writelane_b32 v50, s0, 28
	s_barrier
	v_writelane_b32 v50, s1, 29
	s_load_dword s0, s[12:13], 0xc
	v_cmp_gt_u32_e32 vcc, 64, v0
	v_cmp_gt_i32_e64 s[2:3], 4, v34
	s_and_b64 s[46:47], vcc, s[2:3]
	v_mov_b32_e32 v3, v4
	s_waitcnt lgkmcnt(0)
	s_and_b32 s33, s0, 0xffff
	s_bfe_u32 s1, s0, 0xa0006
	v_cmp_gt_u16_e64 s[2:3], s0, 63
	v_writelane_b32 v50, s2, 30
	s_add_u32 s0, s33, -1
	v_writelane_b32 v50, s3, 31
	s_addc_u32 s2, 0, -1
	v_writelane_b32 v50, s0, 32
	s_add_u32 s0, s0, s52
	s_addc_u32 s91, s2, s53
	s_cmp_lt_u32 s6, s14
	v_writelane_b32 v50, s0, 33
	s_cselect_b32 s0, 12, 18
	s_add_u32 s48, s12, s0
	v_writelane_b32 v50, s2, 34
	s_addc_u32 s49, s13, 0
	s_add_i32 s0, s1, -1
	s_bfe_u32 s2, s33, 0x30006
	s_cmp_gt_u32 s0, 6
	v_lshlrev_b64 v[4:5], 1, v[2:3]
	s_cselect_b64 s[6:7], -1, 0
	v_add_co_u32_e32 v10, vcc, s84, v4
	v_lshrrev_b32_e32 v4, 4, v0
	v_writelane_b32 v50, s6, 35
	s_and_b32 s60, s1, 0x3f8
	v_mov_b32_e32 v6, s85
	v_and_b32_e32 v37, 60, v4
	v_lshlrev_b32_e32 v4, 2, v34
	v_writelane_b32 v50, s7, 36
	s_cmp_lg_u32 s2, 0
	v_addc_co_u32_e32 v11, vcc, v6, v5, vcc
	v_and_b32_e32 v38, 0x100, v4
	v_lshlrev_b64 v[4:5], v34, -1
	v_writelane_b32 v50, s2, 37
	s_cselect_b64 s[0:1], -1, 0
	v_lshlrev_b32_e32 v39, 3, v0
	v_not_b32_e32 v17, v5
	v_writelane_b32 v50, s0, 38
	v_or_b32_e32 v5, 6, v39
	v_writelane_b32 v50, s1, 39
	v_mad_u64_u32 v[18:19], s[0:1], s58, v5, 0
	v_not_b32_e32 v16, v4
	v_mov_b32_e32 v4, v19
	v_mad_u64_u32 v[4:5], s[0:1], s59, v5, v[4:5]
	s_lshl_b64 s[0:1], s[58:59], 3
	v_writelane_b32 v50, s0, 40
	v_or_b32_e32 v5, 4, v39
	v_writelane_b32 v50, s1, 41
	v_mad_u64_u32 v[20:21], s[0:1], s58, v5, 0
	v_mov_b32_e32 v19, v4
	v_mov_b32_e32 v4, v21
	v_mad_u64_u32 v[4:5], s[0:1], s59, v5, v[4:5]
	v_or_b32_e32 v5, 2, v39
	v_mad_u64_u32 v[22:23], s[0:1], s58, v5, 0
	v_mov_b32_e32 v21, v4
	v_mov_b32_e32 v4, v23
	v_mad_u64_u32 v[4:5], s[0:1], s59, v5, v[4:5]
	v_lshlrev_b64 v[24:25], 3, v[2:3]
	v_mov_b32_e32 v2, s53
	v_add_co_u32_e32 v40, vcc, s52, v0
	s_mul_i32 s0, s59, s33
	s_mul_hi_u32 s1, s58, s33
	v_writelane_b32 v50, s46, 42
	v_lshlrev_b32_e32 v35, 1, v0
	v_addc_co_u32_e32 v41, vcc, 0, v2, vcc
	v_mov_b32_e32 v2, 0xc00
	s_add_i32 s1, s1, s0
	s_mul_i32 s0, s58, s33
	v_writelane_b32 v50, s47, 43
	v_cmp_eq_u32_e64 s[4:5], 0, v34
	v_add_u32_e32 v36, 0xc00, v35
	v_lshlrev_b32_e32 v14, 2, v0
	v_mov_b32_e32 v15, v13
	s_mov_b32 s26, s81
	s_lshl_b64 s[78:79], s[58:59], 1
	v_mov_b32_e32 v23, v4
	v_lshl_or_b32 v42, v34, 3, v2
	s_lshl_b64 s[82:83], s[0:1], 1
	s_lshl_b32 s61, s33, 1
	s_mov_b32 s86, 14
	s_mov_b64 s[62:63], 0
	s_mov_b32 s27, 0x8000
	v_cvt_f32_ubyte0_e32 v43, 0
	v_mov_b32_e32 v44, 0x5040100
	v_mov_b32_e32 v45, 0
	s_mov_b32 s87, 0
	s_mov_b32 s93, 0
	;; [unrolled: 1-line block ×3, first 2 shown]
	v_writelane_b32 v50, s48, 44
                                        ; implicit-def: $sgpr66_sgpr67
                                        ; implicit-def: $sgpr70_sgpr71
                                        ; implicit-def: $sgpr68_sgpr69
                                        ; implicit-def: $sgpr72_sgpr73
                                        ; implicit-def: $sgpr74_sgpr75
                                        ; implicit-def: $sgpr64_sgpr65
	v_writelane_b32 v50, s49, 45
	s_branch .LBB37_17
.LBB37_13:                              ;   in Loop: Header=BB37_17 Depth=1
	s_xor_b32 s87, s87, 1
	s_add_i32 s8, s86, -2
	s_cmp_eq_u32 s86, 0
	s_mov_b64 s[2:3], 0
	s_cselect_b64 s[6:7], -1, 0
	s_mov_b32 s86, s8
.LBB37_14:                              ;   in Loop: Header=BB37_17 Depth=1
	s_andn2_b64 s[8:9], s[20:21], exec
	s_and_b64 s[2:3], s[2:3], exec
	s_or_b64 s[20:21], s[8:9], s[2:3]
	s_andn2_b64 s[22:23], s[22:23], exec
	s_andn2_b64 s[18:19], s[18:19], exec
	s_orn2_b64 s[14:15], s[6:7], exec
.LBB37_15:                              ;   in Loop: Header=BB37_17 Depth=1
	s_or_b64 exec, exec, s[0:1]
	s_andn2_b64 s[0:1], s[64:65], exec
	s_and_b64 s[2:3], s[20:21], exec
	s_or_b64 s[64:65], s[0:1], s[2:3]
	s_andn2_b64 s[0:1], s[74:75], exec
	s_and_b64 s[2:3], s[22:23], exec
	s_or_b64 s[74:75], s[0:1], s[2:3]
	s_andn2_b64 s[0:1], s[72:73], exec
	s_and_b64 s[2:3], s[18:19], exec
	s_or_b64 s[72:73], s[0:1], s[2:3]
	s_orn2_b64 s[18:19], s[14:15], exec
.LBB37_16:                              ;   in Loop: Header=BB37_17 Depth=1
	s_or_b64 exec, exec, s[12:13]
	s_and_b64 s[0:1], exec, s[18:19]
	s_or_b64 s[62:63], s[0:1], s[62:63]
	s_andn2_b64 s[0:1], s[68:69], exec
	s_and_b64 s[2:3], s[64:65], exec
	s_or_b64 s[68:69], s[0:1], s[2:3]
	s_andn2_b64 s[0:1], s[70:71], exec
	s_and_b64 s[2:3], s[74:75], exec
	s_or_b64 s[70:71], s[0:1], s[2:3]
	s_andn2_b64 s[0:1], s[66:67], exec
	s_and_b64 s[2:3], s[72:73], exec
	v_mov_b32_e32 v2, s93
	s_or_b64 s[66:67], s[0:1], s[2:3]
	s_andn2_b64 exec, exec, s[62:63]
	s_cbranch_execz .LBB37_284
.LBB37_17:                              ; =>This Loop Header: Depth=1
                                        ;     Child Loop BB37_22 Depth 2
                                        ;     Child Loop BB37_41 Depth 2
	;; [unrolled: 1-line block ×16, first 2 shown]
	ds_read_b128 v[2:5], v13 offset:5120
	s_waitcnt lgkmcnt(0)
	v_readfirstlane_b32 s95, v3
	v_readfirstlane_b32 s94, v2
	v_cmp_gt_i64_e64 s[0:1], s[94:95], 0
	s_and_b64 vcc, exec, s[0:1]
	s_cbranch_vccnz .LBB37_48
; %bb.18:                               ;   in Loop: Header=BB37_17 Depth=1
	v_readlane_b32 s0, v50, 26
	v_readlane_b32 s1, v50, 27
	s_and_b64 vcc, exec, s[0:1]
	s_cbranch_vccz .LBB37_30
; %bb.19:                               ;   in Loop: Header=BB37_17 Depth=1
	s_mov_b64 s[0:1], 0x601
	v_cmp_gt_i64_e32 vcc, s[0:1], v[4:5]
	s_mov_b64 s[0:1], 0
	s_mov_b64 s[2:3], 0
	s_cbranch_vccz .LBB37_35
; %bb.20:                               ;   in Loop: Header=BB37_17 Depth=1
	global_load_ushort v6, v13, s[48:49]
	global_load_ushort v7, v[10:11], off
	v_pk_mov_b32 v[2:3], s[84:85], s[84:85] op_sel:[0,1]
	s_waitcnt vmcnt(1)
	v_readfirstlane_b32 s6, v6
	s_and_b32 s6, 0xffff, s6
	v_add_u32_e32 v5, s6, v0
	s_mul_i32 s8, s79, s6
	s_mul_hi_u32 s9, s78, s6
	s_mul_i32 s16, s78, s6
	v_mad_u64_u32 v[2:3], s[6:7], s78, v5, v[2:3]
	v_mov_b32_e32 v4, v3
	v_mad_u64_u32 v[4:5], s[6:7], s79, v5, v[4:5]
	s_add_i32 s17, s9, s8
	v_mov_b32_e32 v3, v4
	v_pk_mov_b32 v[4:5], v[0:1], v[0:1] op_sel:[0,1]
	s_branch .LBB37_22
.LBB37_21:                              ;   in Loop: Header=BB37_22 Depth=2
	s_or_b64 exec, exec, s[6:7]
	v_mov_b32_e32 v7, s17
	v_add_co_u32_e32 v2, vcc, s16, v2
	v_addc_co_u32_e32 v3, vcc, v3, v7, vcc
	v_mov_b32_e32 v7, v8
	s_andn2_b64 exec, exec, s[2:3]
	s_cbranch_execz .LBB37_31
.LBB37_22:                              ;   Parent Loop BB37_17 Depth=1
                                        ; =>  This Inner Loop Header: Depth=2
	v_add_co_u32_sdwa v4, vcc, v4, v6 dst_sel:DWORD dst_unused:UNUSED_PAD src0_sel:DWORD src1_sel:WORD_0
	v_addc_co_u32_e32 v5, vcc, 0, v5, vcc
	v_cmp_gt_i64_e64 s[6:7], s[52:53], v[4:5]
	v_cmp_le_i64_e32 vcc, s[52:53], v[4:5]
	s_waitcnt lgkmcnt(0)
	v_mov_b32_e32 v9, 0
	v_mov_b32_e32 v8, 0
	s_and_saveexec_b64 s[8:9], s[6:7]
	s_cbranch_execz .LBB37_24
; %bb.23:                               ;   in Loop: Header=BB37_22 Depth=2
	global_load_ushort v8, v[2:3], off
.LBB37_24:                              ;   in Loop: Header=BB37_22 Depth=2
	s_or_b64 exec, exec, s[8:9]
	s_waitcnt vmcnt(0)
	v_add_u32_sdwa v12, sext(v7), s27 dst_sel:DWORD dst_unused:UNUSED_PAD src0_sel:WORD_0 src1_sel:DWORD
	v_and_b32_e32 v12, s92, v12
	v_cmp_eq_u32_e64 s[10:11], s93, v12
	s_cmp_lg_u64 s[10:11], 0
	s_cselect_b64 s[6:7], -1, 0
	s_and_b64 s[6:7], s[4:5], s[6:7]
	s_and_saveexec_b64 s[8:9], s[6:7]
	s_cbranch_execz .LBB37_28
; %bb.25:                               ;   in Loop: Header=BB37_22 Depth=2
	s_mov_b64 s[14:15], exec
	v_mbcnt_lo_u32_b32 v9, s14, 0
	v_mbcnt_hi_u32_b32 v9, s15, v9
	s_bcnt1_i32_b64 s18, s[10:11]
	v_cmp_eq_u32_e64 s[6:7], 0, v9
                                        ; implicit-def: $vgpr12
	s_and_saveexec_b64 s[12:13], s[6:7]
	s_cbranch_execz .LBB37_27
; %bb.26:                               ;   in Loop: Header=BB37_22 Depth=2
	s_bcnt1_i32_b64 s6, s[14:15]
	s_mul_i32 s6, s18, s6
	v_mov_b32_e32 v12, s6
	ds_add_rtn_u32 v12, v13, v12 offset:5136
.LBB37_27:                              ;   in Loop: Header=BB37_22 Depth=2
	s_or_b64 exec, exec, s[12:13]
	s_waitcnt lgkmcnt(0)
	v_readfirstlane_b32 s6, v12
	v_mov_b32_e32 v12, s6
	v_mad_u32_u24 v9, s18, v9, v12
.LBB37_28:                              ;   in Loop: Header=BB37_22 Depth=2
	s_or_b64 exec, exec, s[8:9]
	ds_bpermute_b32 v9, v38, v9
	s_and_b64 s[6:7], exec, vcc
	s_or_b64 s[2:3], s[6:7], s[2:3]
	s_and_saveexec_b64 s[6:7], s[10:11]
	s_cbranch_execz .LBB37_21
; %bb.29:                               ;   in Loop: Header=BB37_22 Depth=2
	v_and_b32_e32 v26, s10, v16
	v_and_b32_e32 v12, s11, v17
	v_bcnt_u32_b32 v26, v26, 0
	v_bcnt_u32_b32 v12, v12, v26
	v_lshlrev_b32_e32 v12, 1, v12
	s_waitcnt lgkmcnt(0)
	v_lshl_add_u32 v9, v9, 1, v12
	ds_write_b16 v9, v7
	s_branch .LBB37_21
.LBB37_30:                              ;   in Loop: Header=BB37_17 Depth=1
	s_mov_b64 s[0:1], -1
	s_mov_b64 s[2:3], 0
	s_branch .LBB37_34
.LBB37_31:                              ;   in Loop: Header=BB37_17 Depth=1
	s_or_b64 exec, exec, s[2:3]
	s_waitcnt lgkmcnt(0)
	s_barrier
	s_mov_b64 s[2:3], exec
	v_readlane_b32 s6, v50, 12
	v_readlane_b32 s7, v50, 13
	s_and_b64 s[6:7], s[2:3], s[6:7]
	s_mov_b64 exec, s[6:7]
	s_cbranch_execz .LBB37_33
; %bb.32:                               ;   in Loop: Header=BB37_17 Depth=1
	ds_read_b32 v2, v13 offset:5136
	s_waitcnt lgkmcnt(0)
	v_ashrrev_i32_e32 v3, 31, v2
	ds_write_b64 v13, v[2:3] offset:5120
.LBB37_33:                              ;   in Loop: Header=BB37_17 Depth=1
	s_or_b64 exec, exec, s[2:3]
	s_waitcnt lgkmcnt(0)
	s_barrier
	s_mov_b64 s[2:3], -1
.LBB37_34:                              ;   in Loop: Header=BB37_17 Depth=1
                                        ; implicit-def: $sgpr94_sgpr95
.LBB37_35:                              ;   in Loop: Header=BB37_17 Depth=1
	s_and_b64 vcc, exec, s[0:1]
	s_cbranch_vccz .LBB37_46
; %bb.36:                               ;   in Loop: Header=BB37_17 Depth=1
	v_mov_b32_e32 v6, 0
	s_mov_b64 s[0:1], exec
	v_readlane_b32 s2, v50, 28
	v_readlane_b32 s3, v50, 29
	s_and_b64 s[2:3], s[0:1], s[2:3]
	s_mov_b64 exec, s[2:3]
	s_cbranch_execz .LBB37_38
; %bb.37:                               ;   in Loop: Header=BB37_17 Depth=1
	global_load_ushort v6, v[10:11], off
.LBB37_38:                              ;   in Loop: Header=BB37_17 Depth=1
	s_or_b64 exec, exec, s[0:1]
	s_mov_b64 s[0:1], exec
	v_readlane_b32 s2, v50, 28
	v_readlane_b32 s3, v50, 29
	s_and_b64 s[2:3], s[0:1], s[2:3]
	s_mov_b64 exec, s[2:3]
	s_cbranch_execz .LBB37_43
; %bb.39:                               ;   in Loop: Header=BB37_17 Depth=1
	global_load_ushort v7, v13, s[48:49]
	v_pk_mov_b32 v[2:3], s[84:85], s[84:85] op_sel:[0,1]
	s_mov_b64 s[2:3], 0
	v_mov_b32_e32 v8, v35
	s_waitcnt vmcnt(0)
	v_readfirstlane_b32 s6, v7
	s_and_b32 s6, 0xffff, s6
	v_add_u32_e32 v5, s6, v0
	s_lshl_b32 s10, s6, 1
	s_mul_i32 s8, s79, s6
	s_mul_hi_u32 s9, s78, s6
	s_mul_i32 s11, s78, s6
	v_mad_u64_u32 v[2:3], s[6:7], s78, v5, v[2:3]
	v_mov_b32_e32 v4, v3
	v_mad_u64_u32 v[4:5], s[6:7], s79, v5, v[4:5]
	s_add_i32 s12, s9, s8
	v_mov_b32_e32 v3, v4
	v_pk_mov_b32 v[4:5], v[0:1], v[0:1] op_sel:[0,1]
	s_branch .LBB37_41
.LBB37_40:                              ;   in Loop: Header=BB37_41 Depth=2
	s_or_b64 exec, exec, s[8:9]
	s_and_b64 s[6:7], exec, vcc
	ds_write_b16 v8, v6
	v_mov_b32_e32 v6, s12
	v_add_co_u32_e32 v2, vcc, s11, v2
	s_or_b64 s[2:3], s[6:7], s[2:3]
	v_add_u32_e32 v8, s10, v8
	v_addc_co_u32_e32 v3, vcc, v3, v6, vcc
	s_waitcnt vmcnt(0)
	v_mov_b32_e32 v6, v9
	s_andn2_b64 exec, exec, s[2:3]
	s_cbranch_execz .LBB37_43
.LBB37_41:                              ;   Parent Loop BB37_17 Depth=1
                                        ; =>  This Inner Loop Header: Depth=2
	v_add_co_u32_sdwa v4, vcc, v4, v7 dst_sel:DWORD dst_unused:UNUSED_PAD src0_sel:DWORD src1_sel:WORD_0
	v_addc_co_u32_e32 v5, vcc, 0, v5, vcc
	v_cmp_gt_i64_e64 s[6:7], s[52:53], v[4:5]
	v_cmp_le_i64_e32 vcc, s[52:53], v[4:5]
	v_mov_b32_e32 v9, 0
	s_and_saveexec_b64 s[8:9], s[6:7]
	s_cbranch_execz .LBB37_40
; %bb.42:                               ;   in Loop: Header=BB37_41 Depth=2
	global_load_ushort v9, v[2:3], off
	s_branch .LBB37_40
.LBB37_43:                              ;   in Loop: Header=BB37_17 Depth=1
	s_or_b64 exec, exec, s[0:1]
	s_waitcnt lgkmcnt(0)
	s_barrier
	s_mov_b64 s[0:1], exec
	v_readlane_b32 s2, v50, 12
	v_readlane_b32 s3, v50, 13
	s_and_b64 s[2:3], s[0:1], s[2:3]
	s_mov_b64 exec, s[2:3]
	s_cbranch_execz .LBB37_45
; %bb.44:                               ;   in Loop: Header=BB37_17 Depth=1
	v_pk_mov_b32 v[2:3], s[52:53], s[52:53] op_sel:[0,1]
	ds_write_b64 v13, v[2:3] offset:5120
.LBB37_45:                              ;   in Loop: Header=BB37_17 Depth=1
	s_or_b64 exec, exec, s[0:1]
	s_mov_b64 s[2:3], -1
	s_waitcnt lgkmcnt(0)
	s_barrier
                                        ; implicit-def: $sgpr94_sgpr95
.LBB37_46:                              ;   in Loop: Header=BB37_17 Depth=1
	s_and_b64 vcc, exec, s[2:3]
	s_cbranch_vccz .LBB37_48
; %bb.47:                               ;   in Loop: Header=BB37_17 Depth=1
	ds_read_b64 v[2:3], v13 offset:5120
	s_waitcnt lgkmcnt(0)
	v_readfirstlane_b32 s94, v2
.LBB37_48:                              ;   in Loop: Header=BB37_17 Depth=1
	s_cmp_lt_i32 s94, 1
	s_cbranch_scc0 .LBB37_63
; %bb.49:                               ;   in Loop: Header=BB37_17 Depth=1
	global_load_ushort v2, v13, s[48:49]
	s_mov_b32 s0, s81
	s_waitcnt vmcnt(0)
	v_readfirstlane_b32 s1, v2
	s_and_b32 s1, 0xffff, s1
	s_lshl_b32 s80, s1, 2
	s_mov_b32 s1, s53
	s_cmp_lg_u64 s[0:1], 0
	s_cbranch_scc0 .LBB37_83
; %bb.50:                               ;   in Loop: Header=BB37_17 Depth=1
	v_cvt_f32_u32_e32 v3, s80
	s_sub_u32 s0, 0, s80
	s_subb_u32 s1, 0, 0
	v_mac_f32_e32 v3, 0x4f800000, v43
	v_rcp_f32_e32 v3, v3
	v_mul_f32_e32 v3, 0x5f7ffffc, v3
	v_mul_f32_e32 v4, 0x2f800000, v3
	v_trunc_f32_e32 v4, v4
	v_mac_f32_e32 v3, 0xcf800000, v4
	v_cvt_u32_f32_e32 v4, v4
	v_cvt_u32_f32_e32 v3, v3
	v_readfirstlane_b32 s2, v4
	v_readfirstlane_b32 s3, v3
	s_mul_i32 s6, s0, s2
	s_mul_hi_u32 s8, s0, s3
	s_mul_i32 s7, s1, s3
	s_add_i32 s6, s8, s6
	s_mul_i32 s9, s0, s3
	s_add_i32 s6, s6, s7
	s_mul_hi_u32 s8, s3, s9
	s_mul_hi_u32 s7, s3, s6
	s_mul_i32 s3, s3, s6
	s_add_u32 s3, s8, s3
	s_addc_u32 s7, 0, s7
	s_mul_hi_u32 s10, s2, s9
	s_mul_i32 s9, s2, s9
	s_add_u32 s3, s3, s9
	s_mul_hi_u32 s8, s2, s6
	s_addc_u32 s3, s7, s10
	s_addc_u32 s7, s8, 0
	s_mul_i32 s6, s2, s6
	s_add_u32 s3, s3, s6
	s_addc_u32 s6, 0, s7
	v_add_co_u32_e32 v3, vcc, s3, v3
	s_cmp_lg_u64 vcc, 0
	s_addc_u32 s2, s2, s6
	v_readfirstlane_b32 s6, v3
	s_mul_i32 s3, s0, s2
	s_mul_hi_u32 s7, s0, s6
	s_add_i32 s3, s7, s3
	s_mul_i32 s1, s1, s6
	s_add_i32 s3, s3, s1
	s_mul_i32 s0, s0, s6
	s_mul_hi_u32 s7, s2, s0
	s_mul_i32 s8, s2, s0
	s_mul_i32 s10, s6, s3
	s_mul_hi_u32 s0, s6, s0
	s_mul_hi_u32 s9, s6, s3
	s_add_u32 s0, s0, s10
	s_addc_u32 s6, 0, s9
	s_add_u32 s0, s0, s8
	s_mul_hi_u32 s1, s2, s3
	s_addc_u32 s0, s6, s7
	s_addc_u32 s1, s1, 0
	s_mul_i32 s3, s2, s3
	s_add_u32 s0, s0, s3
	s_addc_u32 s1, 0, s1
	v_add_co_u32_e32 v3, vcc, s0, v3
	s_cmp_lg_u64 vcc, 0
	s_addc_u32 s6, s2, s1
	s_ashr_i32 s0, s53, 31
	s_add_u32 s2, s52, s0
	s_mov_b32 s1, s0
	s_addc_u32 s3, s53, s0
	s_xor_b64 s[2:3], s[2:3], s[0:1]
	v_readfirstlane_b32 s8, v3
	s_mul_i32 s7, s2, s6
	s_mul_hi_u32 s9, s2, s8
	s_mul_hi_u32 s1, s2, s6
	s_add_u32 s7, s9, s7
	s_addc_u32 s1, 0, s1
	s_mul_hi_u32 s10, s3, s8
	s_mul_i32 s8, s3, s8
	s_add_u32 s7, s7, s8
	s_mul_hi_u32 s9, s3, s6
	s_addc_u32 s1, s1, s10
	s_addc_u32 s7, s9, 0
	s_mul_i32 s6, s3, s6
	s_add_u32 s1, s1, s6
	s_addc_u32 s6, 0, s7
	s_mul_hi_u32 s7, s80, s1
	s_mul_i32 s1, s80, s1
	s_mul_i32 s6, s80, s6
	v_mov_b32_e32 v3, s1
	s_add_i32 s7, s7, s6
	v_sub_co_u32_e32 v3, vcc, s2, v3
	s_cmp_lg_u64 vcc, 0
	s_subb_u32 s1, s3, s7
	v_subrev_co_u32_e32 v4, vcc, s80, v3
	s_cmp_lg_u64 vcc, 0
	s_subb_u32 s2, s1, 0
	v_subrev_co_u32_e32 v5, vcc, s80, v4
	s_cmp_lg_u64 vcc, 0
	s_subb_u32 s3, s2, 0
	v_cmp_le_u32_e32 vcc, s80, v4
	s_cmp_eq_u32 s2, 0
	v_cndmask_b32_e64 v6, 0, -1, vcc
	s_cselect_b64 vcc, -1, 0
	v_cndmask_b32_e32 v6, -1, v6, vcc
	v_mov_b32_e32 v7, s2
	v_mov_b32_e32 v8, s3
	v_cmp_ne_u32_e32 vcc, 0, v6
	v_cndmask_b32_e32 v6, v7, v8, vcc
	v_cndmask_b32_e32 v4, v4, v5, vcc
	v_cmp_le_u32_e32 vcc, s80, v3
	s_cmp_eq_u32 s1, 0
	v_cndmask_b32_e64 v5, 0, -1, vcc
	s_cselect_b64 vcc, -1, 0
	v_cndmask_b32_e32 v5, -1, v5, vcc
	v_cmp_ne_u32_e32 vcc, 0, v5
	v_mov_b32_e32 v7, s1
	v_cndmask_b32_e32 v3, v3, v4, vcc
	v_cndmask_b32_e32 v5, v7, v6, vcc
	v_xor_b32_e32 v3, s0, v3
	v_xor_b32_e32 v4, s0, v5
	v_mov_b32_e32 v5, s0
	v_subrev_co_u32_e32 v26, vcc, s0, v3
	v_subb_co_u32_e32 v27, vcc, v4, v5, vcc
	s_cbranch_execnz .LBB37_52
.LBB37_51:                              ;   in Loop: Header=BB37_17 Depth=1
	v_cvt_f32_u32_e32 v3, s80
	s_sub_i32 s0, 0, s80
	v_rcp_iflag_f32_e32 v3, v3
	v_mul_f32_e32 v3, 0x4f7ffffe, v3
	v_cvt_u32_f32_e32 v3, v3
	v_mul_lo_u32 v4, s0, v3
	v_mul_hi_u32 v4, v3, v4
	v_add_u32_e32 v3, v3, v4
	v_mul_hi_u32 v3, s52, v3
	v_mul_lo_u32 v3, v3, s80
	v_sub_u32_e32 v3, s52, v3
	v_subrev_u32_e32 v4, s80, v3
	v_cmp_le_u32_e32 vcc, s80, v3
	v_cndmask_b32_e32 v3, v3, v4, vcc
	v_subrev_u32_e32 v4, s80, v3
	v_cmp_le_u32_e32 vcc, s80, v3
	v_cndmask_b32_e32 v12, v3, v4, vcc
	v_pk_mov_b32 v[26:27], v[12:13], v[12:13] op_sel:[0,1]
.LBB37_52:                              ;   in Loop: Header=BB37_17 Depth=1
	v_and_b32_e32 v12, 0xffff, v2
	v_mov_b32_e32 v2, s53
	v_sub_co_u32_e32 v28, vcc, s52, v26
	v_subb_co_u32_e32 v29, vcc, v2, v27, vcc
	v_pk_mov_b32 v[2:3], 0, 0
	v_cmp_gt_i64_e32 vcc, v[28:29], v[14:15]
	s_mov_b64 s[56:57], 0
	v_pk_mov_b32 v[4:5], v[2:3], v[2:3] op_sel:[0,1]
	v_pk_mov_b32 v[6:7], v[2:3], v[2:3] op_sel:[0,1]
	v_pk_mov_b32 v[8:9], v[2:3], v[2:3] op_sel:[0,1]
	s_and_saveexec_b64 s[76:77], vcc
	s_cbranch_execz .LBB37_56
; %bb.53:                               ;   in Loop: Header=BB37_17 Depth=1
	v_readlane_b32 s0, v50, 40
	v_readlane_b32 s1, v50, 41
	v_mul_lo_u32 v2, s1, v12
	v_mul_hi_u32 v3, s0, v12
	s_and_b32 s90, s86, 0xfe
	v_add_u32_e32 v46, v3, v2
	v_mul_lo_u32 v47, s0, v12
	v_pk_mov_b32 v[30:31], s[84:85], s[84:85] op_sel:[0,1]
	s_mov_b64 s[0:1], 0
	s_mov_b64 s[8:9], 0
	;; [unrolled: 1-line block ×4, first 2 shown]
	v_pk_mov_b32 v[32:33], v[14:15], v[14:15] op_sel:[0,1]
.LBB37_54:                              ;   Parent Loop BB37_17 Depth=1
                                        ; =>  This Inner Loop Header: Depth=2
	v_add_co_u32_e32 v2, vcc, v30, v24
	v_addc_co_u32_e32 v3, vcc, v31, v25, vcc
	v_add_co_u32_e32 v4, vcc, v30, v22
	v_addc_co_u32_e32 v5, vcc, v31, v23, vcc
	;; [unrolled: 2-line block ×4, first 2 shown]
	global_load_sshort v2, v[2:3], off
	s_nop 0
	global_load_sshort v3, v[4:5], off
	s_nop 0
	global_load_sshort v4, v[6:7], off
	global_load_sshort v5, v[8:9], off
	v_add_co_u32_e32 v32, vcc, s80, v32
	v_addc_co_u32_e32 v33, vcc, 0, v33, vcc
	v_add_co_u32_e32 v30, vcc, v30, v47
	v_addc_co_u32_e32 v31, vcc, v31, v46, vcc
	v_cmp_ge_i64_e32 vcc, v[32:33], v[28:29]
	s_waitcnt vmcnt(3)
	v_add_u32_e32 v2, 0x8000, v2
	s_waitcnt vmcnt(2)
	v_add_u32_e32 v3, 0x8000, v3
	v_and_b32_e32 v6, s92, v2
	v_bfe_u32 v2, v2, s90, 2
	s_waitcnt vmcnt(1)
	v_add_u32_e32 v4, 0x8000, v4
	v_and_b32_e32 v7, s92, v3
	v_bfe_u32 v3, v3, s90, 2
	v_cmp_eq_u32_e64 s[16:17], s93, v6
	v_cmp_eq_u32_e64 s[6:7], 0, v2
	s_waitcnt vmcnt(0)
	v_add_u32_e32 v5, 0x8000, v5
	v_and_b32_e32 v8, s92, v4
	v_bfe_u32 v4, v4, s90, 2
	v_cmp_eq_u32_e64 s[14:15], s93, v7
	v_cmp_eq_u32_e64 s[28:29], 0, v3
	s_and_b64 s[6:7], s[16:17], s[6:7]
	v_and_b32_e32 v9, s92, v5
	v_bfe_u32 v5, v5, s90, 2
	v_cmp_eq_u32_e64 s[12:13], s93, v8
	v_cmp_eq_u32_e64 s[30:31], 0, v4
	;; [unrolled: 1-line block ×5, first 2 shown]
	v_cndmask_b32_e64 v2, 0, 1, s[6:7]
	s_and_b64 s[6:7], s[14:15], s[28:29]
	v_cmp_eq_u32_e64 s[10:11], s93, v9
	v_cmp_eq_u32_e64 s[34:35], 0, v5
	;; [unrolled: 1-line block ×5, first 2 shown]
	v_cndmask_b32_e64 v3, 0, 1, s[6:7]
	s_and_b64 s[6:7], s[12:13], s[30:31]
	v_cmp_eq_u32_e64 s[40:41], 1, v4
	v_cmp_eq_u32_e64 s[48:49], 2, v4
	;; [unrolled: 1-line block ×3, first 2 shown]
	v_cndmask_b32_e64 v4, 0, 1, s[6:7]
	s_and_b64 s[6:7], s[10:11], s[34:35]
	v_cmp_eq_u32_e64 s[42:43], 1, v5
	v_cmp_eq_u32_e64 s[50:51], 2, v5
	;; [unrolled: 1-line block ×3, first 2 shown]
	v_cndmask_b32_e64 v5, 0, 1, s[6:7]
	v_cmp_ne_u32_e64 s[6:7], 0, v2
	v_cmp_ne_u32_e64 s[28:29], 0, v3
	v_cmp_ne_u32_e64 s[30:31], 0, v4
	v_cmp_ne_u32_e64 s[34:35], 0, v5
	s_bcnt1_i32_b64 s6, s[6:7]
	s_bcnt1_i32_b64 s7, s[28:29]
	s_bcnt1_i32_b64 s28, s[30:31]
	s_bcnt1_i32_b64 s29, s[34:35]
	s_add_u32 s2, s6, s2
	s_addc_u32 s3, 0, s3
	s_add_u32 s2, s2, s7
	s_addc_u32 s3, s3, 0
	s_add_u32 s2, s2, s28
	s_addc_u32 s3, s3, 0
	s_add_u32 s2, s2, s29
	s_addc_u32 s3, s3, 0
	s_and_b64 s[6:7], s[16:17], s[36:37]
	v_cndmask_b32_e64 v4, 0, 1, s[6:7]
	s_and_b64 s[6:7], s[14:15], s[38:39]
	v_cndmask_b32_e64 v5, 0, 1, s[6:7]
	s_and_b64 s[6:7], s[12:13], s[40:41]
	v_cndmask_b32_e64 v6, 0, 1, s[6:7]
	s_and_b64 s[6:7], s[10:11], s[42:43]
	v_cndmask_b32_e64 v7, 0, 1, s[6:7]
	v_cmp_ne_u32_e64 s[6:7], 0, v4
	v_cmp_ne_u32_e64 s[28:29], 0, v5
	v_cmp_ne_u32_e64 s[30:31], 0, v6
	v_cmp_ne_u32_e64 s[34:35], 0, v7
	s_bcnt1_i32_b64 s6, s[6:7]
	s_bcnt1_i32_b64 s7, s[28:29]
	s_bcnt1_i32_b64 s28, s[30:31]
	s_bcnt1_i32_b64 s29, s[34:35]
	s_add_u32 s6, s6, s88
	s_addc_u32 s30, 0, s89
	s_add_u32 s6, s6, s7
	s_addc_u32 s7, s30, 0
	s_add_u32 s6, s6, s28
	s_addc_u32 s7, s7, 0
	s_add_u32 s88, s6, s29
	s_addc_u32 s89, s7, 0
	s_and_b64 s[6:7], s[16:17], s[44:45]
	v_cndmask_b32_e64 v6, 0, 1, s[6:7]
	s_and_b64 s[6:7], s[14:15], s[46:47]
	v_cndmask_b32_e64 v7, 0, 1, s[6:7]
	s_and_b64 s[6:7], s[12:13], s[48:49]
	v_cndmask_b32_e64 v8, 0, 1, s[6:7]
	s_and_b64 s[6:7], s[10:11], s[50:51]
	;; [unrolled: 24-line block ×3, first 2 shown]
	v_cndmask_b32_e64 v49, 0, 1, s[6:7]
	v_cmp_ne_u32_e64 s[6:7], 0, v8
	v_cmp_ne_u32_e64 s[10:11], 0, v9
	;; [unrolled: 1-line block ×4, first 2 shown]
	s_bcnt1_i32_b64 s6, s[6:7]
	s_bcnt1_i32_b64 s7, s[10:11]
	;; [unrolled: 1-line block ×4, first 2 shown]
	s_add_u32 s0, s6, s0
	s_addc_u32 s1, 0, s1
	s_add_u32 s0, s0, s7
	s_addc_u32 s1, s1, 0
	;; [unrolled: 2-line block ×4, first 2 shown]
	v_pk_mov_b32 v[2:3], s[2:3], s[2:3] op_sel:[0,1]
	v_pk_mov_b32 v[4:5], s[88:89], s[88:89] op_sel:[0,1]
	;; [unrolled: 1-line block ×3, first 2 shown]
	s_or_b64 s[56:57], vcc, s[56:57]
	v_pk_mov_b32 v[8:9], s[0:1], s[0:1] op_sel:[0,1]
	s_andn2_b64 exec, exec, s[56:57]
	s_cbranch_execnz .LBB37_54
; %bb.55:                               ;   in Loop: Header=BB37_17 Depth=1
	s_or_b64 exec, exec, s[56:57]
	v_readlane_b32 s46, v50, 42
	v_readlane_b32 s48, v50, 44
	;; [unrolled: 1-line block ×4, first 2 shown]
.LBB37_56:                              ;   in Loop: Header=BB37_17 Depth=1
	s_or_b64 exec, exec, s[76:77]
	v_add_co_u32_e32 v28, vcc, v28, v0
	v_addc_co_u32_e32 v29, vcc, 0, v29, vcc
	v_cmp_gt_i64_e32 vcc, s[52:53], v[28:29]
	v_mov_b32_e32 v32, 0
	s_and_saveexec_b64 s[0:1], vcc
	s_cbranch_execz .LBB37_58
; %bb.57:                               ;   in Loop: Header=BB37_17 Depth=1
	v_mul_lo_u32 v32, v29, s58
	v_mul_lo_u32 v33, v28, s59
	v_mad_u64_u32 v[30:31], s[2:3], v28, s58, 0
	v_add3_u32 v31, v31, v33, v32
	v_lshlrev_b64 v[30:31], 1, v[30:31]
	v_mov_b32_e32 v32, s85
	v_add_co_u32_e64 v30, s[6:7], s84, v30
	v_addc_co_u32_e64 v31, s[6:7], v32, v31, s[6:7]
	global_load_ushort v32, v[30:31], off
.LBB37_58:                              ;   in Loop: Header=BB37_17 Depth=1
	s_or_b64 exec, exec, s[0:1]
	s_and_saveexec_b64 s[0:1], vcc
	s_cbranch_execz .LBB37_65
; %bb.59:                               ;   in Loop: Header=BB37_17 Depth=1
	v_add_co_u32_e32 v30, vcc, v40, v12
	v_addc_co_u32_e32 v31, vcc, 0, v41, vcc
	v_sub_co_u32_e32 v30, vcc, v30, v26
	v_subb_co_u32_e32 v26, vcc, v31, v27, vcc
	v_mul_lo_u32 v31, s78, v26
	v_pk_mov_b32 v[26:27], s[84:85], s[84:85] op_sel:[0,1]
	v_mul_lo_u32 v33, s79, v30
	v_mad_u64_u32 v[26:27], s[2:3], s78, v30, v[26:27]
	v_add3_u32 v27, v33, v27, v31
	v_mul_lo_u32 v30, s79, v12
	v_mul_hi_u32 v31, s78, v12
	s_and_b32 s10, s86, 0xfe
	v_add_u32_e32 v30, v31, v30
	v_mul_lo_u32 v31, s78, v12
	s_mov_b64 s[2:3], 0
	s_branch .LBB37_61
.LBB37_60:                              ;   in Loop: Header=BB37_61 Depth=2
	s_or_b64 exec, exec, s[8:9]
	s_waitcnt vmcnt(0)
	v_add_u32_sdwa v32, sext(v32), s27 dst_sel:DWORD dst_unused:UNUSED_PAD src0_sel:WORD_0 src1_sel:DWORD
	s_and_b64 s[6:7], exec, vcc
	v_and_b32_e32 v46, s92, v32
	v_bfe_u32 v32, v32, s10, 2
	s_or_b64 s[2:3], s[6:7], s[2:3]
	v_cmp_eq_u32_e32 vcc, s93, v46
	v_cmp_eq_u32_e64 s[6:7], 0, v32
	s_and_b64 s[6:7], vcc, s[6:7]
	v_cndmask_b32_e64 v46, 0, 1, s[6:7]
	v_cmp_ne_u32_e64 s[6:7], 0, v46
	s_bcnt1_i32_b64 s6, s[6:7]
	v_add_co_u32_e64 v2, s[6:7], s6, v2
	v_addc_co_u32_e64 v3, s[6:7], 0, v3, s[6:7]
	v_cmp_eq_u32_e64 s[6:7], 1, v32
	s_and_b64 s[6:7], vcc, s[6:7]
	v_cndmask_b32_e64 v46, 0, 1, s[6:7]
	v_cmp_ne_u32_e64 s[6:7], 0, v46
	s_bcnt1_i32_b64 s6, s[6:7]
	v_add_co_u32_e64 v4, s[6:7], s6, v4
	v_addc_co_u32_e64 v5, s[6:7], 0, v5, s[6:7]
	;; [unrolled: 7-line block ×3, first 2 shown]
	v_cmp_eq_u32_e64 s[6:7], 3, v32
	s_and_b64 s[6:7], vcc, s[6:7]
	v_cndmask_b32_e64 v32, 0, 1, s[6:7]
	v_cmp_ne_u32_e32 vcc, 0, v32
	s_bcnt1_i32_b64 s6, vcc
	v_add_co_u32_e32 v8, vcc, s6, v8
	v_addc_co_u32_e32 v9, vcc, 0, v9, vcc
	v_add_co_u32_e32 v26, vcc, v26, v31
	v_addc_co_u32_e32 v27, vcc, v27, v30, vcc
	v_mov_b32_e32 v32, v33
	s_andn2_b64 exec, exec, s[2:3]
	s_cbranch_execz .LBB37_64
.LBB37_61:                              ;   Parent Loop BB37_17 Depth=1
                                        ; =>  This Inner Loop Header: Depth=2
	v_add_co_u32_e32 v28, vcc, v28, v12
	v_addc_co_u32_e32 v29, vcc, 0, v29, vcc
	v_cmp_gt_i64_e64 s[6:7], s[52:53], v[28:29]
	v_cmp_le_i64_e32 vcc, s[52:53], v[28:29]
	v_mov_b32_e32 v33, 0
	s_and_saveexec_b64 s[8:9], s[6:7]
	s_cbranch_execz .LBB37_60
; %bb.62:                               ;   in Loop: Header=BB37_61 Depth=2
	global_load_ushort v33, v[26:27], off
	s_branch .LBB37_60
.LBB37_63:                              ;   in Loop: Header=BB37_17 Depth=1
                                        ; implicit-def: $vgpr8_vgpr9
                                        ; implicit-def: $vgpr4_vgpr5
	s_cbranch_execnz .LBB37_66
	s_branch .LBB37_75
.LBB37_64:                              ;   in Loop: Header=BB37_17 Depth=1
	s_or_b64 exec, exec, s[2:3]
.LBB37_65:                              ;   in Loop: Header=BB37_17 Depth=1
	s_or_b64 exec, exec, s[0:1]
	s_branch .LBB37_75
.LBB37_66:                              ;   in Loop: Header=BB37_17 Depth=1
	global_load_ushort v8, v13, s[48:49]
	s_mov_b64 s[56:57], 0
	s_waitcnt vmcnt(0)
	v_readfirstlane_b32 s0, v8
	s_and_b32 s0, 0xffff, s0
	s_lshl_b32 s90, s0, 2
	v_cvt_f32_u32_e32 v2, s90
	s_sub_i32 s0, 0, s90
	v_and_b32_e32 v28, 0xffff, v8
	v_rcp_iflag_f32_e32 v6, v2
	v_pk_mov_b32 v[2:3], 0, 0
	v_pk_mov_b32 v[4:5], v[2:3], v[2:3] op_sel:[0,1]
	v_mul_f32_e32 v6, 0x4f7ffffe, v6
	v_cvt_u32_f32_e32 v9, v6
	v_pk_mov_b32 v[6:7], v[2:3], v[2:3] op_sel:[0,1]
	v_readfirstlane_b32 s1, v9
	s_mul_i32 s0, s0, s1
	s_mul_hi_u32 s0, s1, s0
	s_add_i32 s1, s1, s0
	s_mul_hi_u32 s0, s94, s1
	s_mul_i32 s0, s0, s90
	s_sub_i32 s0, s94, s0
	s_sub_i32 s1, s0, s90
	s_cmp_ge_u32 s0, s90
	s_cselect_b32 s0, s1, s0
	s_sub_i32 s1, s0, s90
	s_cmp_ge_u32 s0, s90
	s_cselect_b32 s0, s1, s0
	s_sub_i32 s80, s94, s0
	v_cmp_gt_u32_e32 vcc, s80, v14
	v_pk_mov_b32 v[8:9], v[2:3], v[2:3] op_sel:[0,1]
	s_and_saveexec_b64 s[0:1], vcc
	s_cbranch_execz .LBB37_70
; %bb.67:                               ;   in Loop: Header=BB37_17 Depth=1
	s_and_b32 s95, s86, 0xfe
	v_lshlrev_b32_e32 v12, 3, v28
	v_mov_b32_e32 v29, v39
	s_mov_b64 s[2:3], 0
	s_mov_b64 s[8:9], 0
	;; [unrolled: 1-line block ×4, first 2 shown]
	v_pk_mov_b32 v[26:27], v[14:15], v[14:15] op_sel:[0,1]
.LBB37_68:                              ;   Parent Loop BB37_17 Depth=1
                                        ; =>  This Inner Loop Header: Depth=2
	ds_read_b64 v[2:3], v29
	v_add_co_u32_e32 v26, vcc, s90, v26
	v_addc_co_u32_e32 v27, vcc, 0, v27, vcc
	s_waitcnt lgkmcnt(0)
	v_add_u32_sdwa v4, sext(v2), s27 dst_sel:DWORD dst_unused:UNUSED_PAD src0_sel:WORD_0 src1_sel:DWORD
	v_add_u32_sdwa v2, sext(v2), s27 dst_sel:DWORD dst_unused:UNUSED_PAD src0_sel:WORD_1 src1_sel:DWORD
	v_and_b32_e32 v6, s92, v4
	v_bfe_u32 v4, v4, s95, 2
	v_add_u32_sdwa v5, sext(v3), s27 dst_sel:DWORD dst_unused:UNUSED_PAD src0_sel:WORD_0 src1_sel:DWORD
	v_and_b32_e32 v7, s92, v2
	v_bfe_u32 v2, v2, s95, 2
	v_cmp_eq_u32_e64 s[16:17], s93, v6
	v_cmp_eq_u32_e64 s[6:7], 0, v4
	v_add_u32_sdwa v3, sext(v3), s27 dst_sel:DWORD dst_unused:UNUSED_PAD src0_sel:WORD_1 src1_sel:DWORD
	v_and_b32_e32 v8, s92, v5
	v_bfe_u32 v5, v5, s95, 2
	v_cmp_eq_u32_e64 s[14:15], s93, v7
	v_cmp_eq_u32_e64 s[28:29], 0, v2
	s_and_b64 s[6:7], s[16:17], s[6:7]
	v_and_b32_e32 v9, s92, v3
	v_bfe_u32 v3, v3, s95, 2
	v_cmp_eq_u32_e64 s[12:13], s93, v8
	v_cmp_eq_u32_e64 s[30:31], 0, v5
	;; [unrolled: 1-line block ×5, first 2 shown]
	v_cndmask_b32_e64 v2, 0, 1, s[6:7]
	s_and_b64 s[6:7], s[14:15], s[28:29]
	v_cmp_eq_u32_e64 s[10:11], s93, v9
	v_cmp_eq_u32_e64 s[34:35], 0, v3
	;; [unrolled: 1-line block ×5, first 2 shown]
	v_cndmask_b32_e64 v3, 0, 1, s[6:7]
	s_and_b64 s[6:7], s[12:13], s[30:31]
	v_cmp_eq_u32_e64 s[36:37], 1, v4
	v_cmp_eq_u32_e64 s[44:45], 2, v4
	;; [unrolled: 1-line block ×3, first 2 shown]
	v_cndmask_b32_e64 v4, 0, 1, s[6:7]
	s_and_b64 s[6:7], s[10:11], s[34:35]
	v_cmp_eq_u32_e64 s[40:41], 1, v5
	v_cmp_eq_u32_e64 s[48:49], 2, v5
	v_cmp_eq_u32_e64 s[20:21], 3, v5
	v_cndmask_b32_e64 v5, 0, 1, s[6:7]
	v_cmp_ne_u32_e64 s[6:7], 0, v2
	v_cmp_ne_u32_e64 s[28:29], 0, v3
	v_cmp_ne_u32_e64 s[30:31], 0, v4
	v_cmp_ne_u32_e64 s[34:35], 0, v5
	s_bcnt1_i32_b64 s6, s[6:7]
	s_bcnt1_i32_b64 s7, s[28:29]
	s_bcnt1_i32_b64 s28, s[30:31]
	s_bcnt1_i32_b64 s29, s[34:35]
	s_add_u32 s6, s6, s88
	s_addc_u32 s30, 0, s89
	s_add_u32 s6, s6, s7
	s_addc_u32 s7, s30, 0
	s_add_u32 s6, s6, s28
	s_addc_u32 s7, s7, 0
	s_add_u32 s88, s6, s29
	s_addc_u32 s89, s7, 0
	s_and_b64 s[6:7], s[16:17], s[36:37]
	v_cndmask_b32_e64 v4, 0, 1, s[6:7]
	s_and_b64 s[6:7], s[14:15], s[38:39]
	v_cndmask_b32_e64 v5, 0, 1, s[6:7]
	s_and_b64 s[6:7], s[12:13], s[40:41]
	v_cndmask_b32_e64 v6, 0, 1, s[6:7]
	s_and_b64 s[6:7], s[10:11], s[42:43]
	v_cndmask_b32_e64 v7, 0, 1, s[6:7]
	v_cmp_ne_u32_e64 s[6:7], 0, v4
	v_cmp_ne_u32_e64 s[28:29], 0, v5
	v_cmp_ne_u32_e64 s[30:31], 0, v6
	v_cmp_ne_u32_e64 s[34:35], 0, v7
	s_bcnt1_i32_b64 s6, s[6:7]
	s_bcnt1_i32_b64 s7, s[28:29]
	s_bcnt1_i32_b64 s28, s[30:31]
	s_bcnt1_i32_b64 s29, s[34:35]
	s_add_u32 s6, s6, s76
	s_addc_u32 s30, 0, s77
	s_add_u32 s6, s6, s7
	s_addc_u32 s7, s30, 0
	s_add_u32 s6, s6, s28
	s_addc_u32 s7, s7, 0
	s_add_u32 s76, s6, s29
	s_addc_u32 s77, s7, 0
	s_and_b64 s[6:7], s[16:17], s[44:45]
	v_cndmask_b32_e64 v6, 0, 1, s[6:7]
	s_and_b64 s[6:7], s[14:15], s[46:47]
	v_cndmask_b32_e64 v7, 0, 1, s[6:7]
	s_and_b64 s[6:7], s[12:13], s[48:49]
	v_cndmask_b32_e64 v8, 0, 1, s[6:7]
	s_and_b64 s[6:7], s[10:11], s[50:51]
	;; [unrolled: 24-line block ×3, first 2 shown]
	v_cndmask_b32_e64 v31, 0, 1, s[6:7]
	v_cmp_ne_u32_e64 s[6:7], 0, v8
	v_cmp_ne_u32_e64 s[10:11], 0, v9
	;; [unrolled: 1-line block ×4, first 2 shown]
	s_bcnt1_i32_b64 s6, s[6:7]
	s_bcnt1_i32_b64 s7, s[10:11]
	;; [unrolled: 1-line block ×4, first 2 shown]
	s_add_u32 s2, s6, s2
	s_addc_u32 s3, 0, s3
	s_add_u32 s2, s2, s7
	s_addc_u32 s3, s3, 0
	;; [unrolled: 2-line block ×3, first 2 shown]
	s_add_u32 s2, s2, s11
	v_cmp_le_u64_e32 vcc, s[80:81], v[26:27]
	s_addc_u32 s3, s3, 0
	v_add_u32_e32 v29, v29, v12
	v_pk_mov_b32 v[2:3], s[88:89], s[88:89] op_sel:[0,1]
	v_pk_mov_b32 v[4:5], s[76:77], s[76:77] op_sel:[0,1]
	;; [unrolled: 1-line block ×3, first 2 shown]
	s_or_b64 s[56:57], vcc, s[56:57]
	v_pk_mov_b32 v[8:9], s[2:3], s[2:3] op_sel:[0,1]
	s_andn2_b64 exec, exec, s[56:57]
	s_cbranch_execnz .LBB37_68
; %bb.69:                               ;   in Loop: Header=BB37_17 Depth=1
	s_or_b64 exec, exec, s[56:57]
	v_readlane_b32 s46, v50, 42
	v_readlane_b32 s48, v50, 44
	;; [unrolled: 1-line block ×4, first 2 shown]
.LBB37_70:                              ;   in Loop: Header=BB37_17 Depth=1
	s_or_b64 exec, exec, s[0:1]
	v_add_u32_e32 v12, s80, v0
	v_cmp_gt_u32_e32 vcc, s94, v12
	s_and_saveexec_b64 s[0:1], vcc
	s_cbranch_execz .LBB37_74
; %bb.71:                               ;   in Loop: Header=BB37_17 Depth=1
	s_and_b32 s80, s94, 0x7fffffff
	s_and_b32 s8, s86, 0xfe
	v_lshlrev_b32_e32 v29, 1, v12
	v_lshlrev_b32_e32 v30, 1, v28
	s_mov_b64 s[2:3], 0
	v_pk_mov_b32 v[26:27], v[12:13], v[12:13] op_sel:[0,1]
.LBB37_72:                              ;   Parent Loop BB37_17 Depth=1
                                        ; =>  This Inner Loop Header: Depth=2
	ds_read_i16 v12, v29
	v_add_co_u32_e32 v26, vcc, v26, v28
	v_addc_co_u32_e32 v27, vcc, 0, v27, vcc
	s_waitcnt lgkmcnt(0)
	v_add_u32_e32 v12, 0x8000, v12
	v_and_b32_e32 v31, s92, v12
	v_bfe_u32 v12, v12, s8, 2
	v_cmp_eq_u32_e64 s[6:7], s93, v31
	v_cmp_eq_u32_e64 s[10:11], 0, v12
	;; [unrolled: 1-line block ×3, first 2 shown]
	s_and_b64 s[10:11], s[6:7], s[10:11]
	v_cmp_eq_u32_e64 s[14:15], 2, v12
	v_cmp_eq_u32_e64 s[16:17], 3, v12
	v_cndmask_b32_e64 v12, 0, 1, s[10:11]
	s_and_b64 s[10:11], s[6:7], s[12:13]
	v_cndmask_b32_e64 v31, 0, 1, s[10:11]
	s_and_b64 s[10:11], s[6:7], s[14:15]
	s_and_b64 s[6:7], s[6:7], s[16:17]
	v_cndmask_b32_e64 v32, 0, 1, s[10:11]
	v_cndmask_b32_e64 v33, 0, 1, s[6:7]
	v_cmp_ne_u32_e64 s[6:7], 0, v12
	v_cmp_ne_u32_e64 s[10:11], 0, v31
	v_cmp_ne_u32_e64 s[12:13], 0, v32
	v_cmp_ne_u32_e64 s[14:15], 0, v33
	v_cmp_le_u64_e32 vcc, s[80:81], v[26:27]
	s_bcnt1_i32_b64 s6, s[6:7]
	s_bcnt1_i32_b64 s7, s[10:11]
	;; [unrolled: 1-line block ×4, first 2 shown]
	s_or_b64 s[2:3], vcc, s[2:3]
	v_add_co_u32_e32 v2, vcc, s6, v2
	v_addc_co_u32_e32 v3, vcc, 0, v3, vcc
	v_add_co_u32_e32 v4, vcc, s7, v4
	v_addc_co_u32_e32 v5, vcc, 0, v5, vcc
	;; [unrolled: 2-line block ×3, first 2 shown]
	v_add_co_u32_e32 v8, vcc, s10, v8
	v_add_u32_e32 v29, v29, v30
	v_addc_co_u32_e32 v9, vcc, 0, v9, vcc
	s_andn2_b64 exec, exec, s[2:3]
	s_cbranch_execnz .LBB37_72
; %bb.73:                               ;   in Loop: Header=BB37_17 Depth=1
	s_or_b64 exec, exec, s[2:3]
.LBB37_74:                              ;   in Loop: Header=BB37_17 Depth=1
	s_or_b64 exec, exec, s[0:1]
.LBB37_75:                              ;   in Loop: Header=BB37_17 Depth=1
	s_lshl_b32 s2, s87, 6
	s_and_saveexec_b64 s[0:1], s[4:5]
	s_cbranch_execz .LBB37_77
; %bb.76:                               ;   in Loop: Header=BB37_17 Depth=1
	v_or_b32_e32 v12, s2, v37
	v_lshlrev_b32_e32 v12, 3, v12
	ds_write_b128 v12, v[2:5] offset:3072
	s_waitcnt vmcnt(0)
	ds_write_b128 v12, v[6:9] offset:3088
.LBB37_77:                              ;   in Loop: Header=BB37_17 Depth=1
	s_or_b64 exec, exec, s[0:1]
	s_waitcnt lgkmcnt(0)
	s_barrier
	s_and_saveexec_b64 s[0:1], s[46:47]
	s_cbranch_execz .LBB37_89
; %bb.78:                               ;   in Loop: Header=BB37_17 Depth=1
	v_readlane_b32 s6, v50, 30
	v_readlane_b32 s7, v50, 31
	s_andn2_b64 vcc, exec, s[6:7]
	v_pk_mov_b32 v[2:3], 0, 0
	s_cbranch_vccnz .LBB37_88
; %bb.79:                               ;   in Loop: Header=BB37_17 Depth=1
	v_readlane_b32 s6, v50, 35
	v_readlane_b32 s7, v50, 36
	s_andn2_b64 vcc, exec, s[6:7]
	s_cbranch_vccnz .LBB37_84
; %bb.80:                               ;   in Loop: Header=BB37_17 Depth=1
	v_lshl_add_u32 v4, s87, 9, v42
	s_mov_b32 s3, 0
	v_pk_mov_b32 v[2:3], 0, 0
.LBB37_81:                              ;   Parent Loop BB37_17 Depth=1
                                        ; =>  This Inner Loop Header: Depth=2
	s_waitcnt vmcnt(0)
	ds_read2_b64 v[6:9], v4 offset1:4
	ds_read2_b64 v[26:29], v4 offset0:8 offset1:12
	ds_read2_b64 v[30:33], v4 offset0:16 offset1:20
	ds_read2_b64 v[46:49], v4 offset0:24 offset1:28
	s_add_i32 s3, s3, 8
	s_waitcnt lgkmcnt(3)
	v_add_co_u32_e32 v2, vcc, v6, v2
	v_addc_co_u32_e32 v3, vcc, v7, v3, vcc
	v_add_co_u32_e32 v2, vcc, v8, v2
	v_addc_co_u32_e32 v3, vcc, v9, v3, vcc
	s_waitcnt lgkmcnt(2)
	v_add_co_u32_e32 v2, vcc, v26, v2
	v_addc_co_u32_e32 v3, vcc, v27, v3, vcc
	v_add_co_u32_e32 v2, vcc, v28, v2
	v_addc_co_u32_e32 v3, vcc, v29, v3, vcc
	;; [unrolled: 5-line block ×3, first 2 shown]
	s_waitcnt lgkmcnt(0)
	v_add_co_u32_e32 v2, vcc, v46, v2
	v_addc_co_u32_e32 v3, vcc, v47, v3, vcc
	v_add_co_u32_e32 v2, vcc, v48, v2
	v_add_u32_e32 v4, 0x100, v4
	s_cmp_eq_u32 s60, s3
	v_addc_co_u32_e32 v3, vcc, v49, v3, vcc
	s_cbranch_scc0 .LBB37_81
; %bb.82:                               ;   in Loop: Header=BB37_17 Depth=1
	s_mov_b32 s3, s60
	s_branch .LBB37_85
.LBB37_83:                              ;   in Loop: Header=BB37_17 Depth=1
                                        ; implicit-def: $vgpr26_vgpr27
	s_branch .LBB37_51
.LBB37_84:                              ;   in Loop: Header=BB37_17 Depth=1
	s_mov_b32 s3, 0
	v_pk_mov_b32 v[2:3], 0, 0
.LBB37_85:                              ;   in Loop: Header=BB37_17 Depth=1
	v_readlane_b32 s6, v50, 38
	v_readlane_b32 s7, v50, 39
	s_andn2_b64 vcc, exec, s[6:7]
	s_cbranch_vccnz .LBB37_88
; %bb.86:                               ;   in Loop: Header=BB37_17 Depth=1
	s_lshl_b32 s6, s87, 9
	s_lshl_b32 s3, s3, 5
	s_add_i32 s6, s6, s3
	v_add_u32_e32 v4, s6, v42
	v_readlane_b32 s3, v50, 37
.LBB37_87:                              ;   Parent Loop BB37_17 Depth=1
                                        ; =>  This Inner Loop Header: Depth=2
	s_waitcnt vmcnt(0)
	ds_read_b64 v[6:7], v4
	s_add_i32 s3, s3, -1
	v_add_u32_e32 v4, 32, v4
	s_cmp_lg_u32 s3, 0
	s_waitcnt lgkmcnt(0)
	v_add_co_u32_e32 v2, vcc, v6, v2
	v_addc_co_u32_e32 v3, vcc, v7, v3, vcc
	s_cbranch_scc1 .LBB37_87
.LBB37_88:                              ;   in Loop: Header=BB37_17 Depth=1
	v_add_lshl_u32 v4, s2, v34, 3
	ds_write_b64 v4, v[2:3] offset:3072
.LBB37_89:                              ;   in Loop: Header=BB37_17 Depth=1
	s_or_b64 exec, exec, s[0:1]
	s_lshl_b32 s0, s2, 3
	s_waitcnt vmcnt(0)
	v_mov_b32_e32 v6, s0
	s_waitcnt lgkmcnt(0)
	s_barrier
	ds_read_b128 v[2:5], v6 offset:3072
	ds_read_b128 v[6:9], v6 offset:3088
	s_and_b32 s40, s86, 0xfe
	s_lshl_b32 s44, 3, s40
	s_not_b32 s41, s44
	s_waitcnt lgkmcnt(1)
	v_readfirstlane_b32 s15, v3
	v_readfirstlane_b32 s14, v2
	s_cmp_eq_u64 s[14:15], 1
	s_cselect_b64 s[0:1], -1, 0
	s_cmp_eq_u64 s[54:55], 1
	s_cselect_b64 s[2:3], -1, 0
	s_and_b64 s[20:21], s[0:1], s[2:3]
	v_readfirstlane_b32 s28, v4
	v_readfirstlane_b32 s29, v5
	s_waitcnt lgkmcnt(0)
	v_readfirstlane_b32 s16, v6
	v_readfirstlane_b32 s17, v7
	;; [unrolled: 1-line block ×4, first 2 shown]
	s_mov_b64 s[18:19], -1
	s_and_b64 vcc, exec, s[20:21]
	s_cbranch_vccz .LBB37_104
; %bb.90:                               ;   in Loop: Header=BB37_17 Depth=1
	ds_read_b64 v[2:3], v13 offset:5120
	s_waitcnt lgkmcnt(0)
	s_barrier
	v_readfirstlane_b32 s12, v2
	v_readfirstlane_b32 s13, v3
	s_mov_b64 s[0:1], exec
	v_readlane_b32 s2, v50, 24
	v_readlane_b32 s3, v50, 25
	s_and_b64 s[2:3], s[0:1], s[2:3]
	s_mov_b64 exec, s[2:3]
	s_cbranch_execz .LBB37_92
; %bb.91:                               ;   in Loop: Header=BB37_17 Depth=1
	ds_write_b16 v36, v13
.LBB37_92:                              ;   in Loop: Header=BB37_17 Depth=1
	s_or_b64 exec, exec, s[0:1]
	v_cmp_lt_i64_e64 s[0:1], s[12:13], 1
	s_and_b32 s93, s93, s41
	s_or_b32 s92, s92, s44
	s_and_b64 vcc, exec, s[0:1]
	s_waitcnt lgkmcnt(0)
	s_barrier
	s_cbranch_vccz .LBB37_105
; %bb.93:                               ;   in Loop: Header=BB37_17 Depth=1
	s_mov_b32 s90, s81
	s_cmp_lg_u64 s[90:91], 0
	s_cbranch_scc0 .LBB37_150
; %bb.94:                               ;   in Loop: Header=BB37_17 Depth=1
	v_cvt_f32_u32_e32 v2, s33
	s_sub_u32 s0, 0, s33
	s_subb_u32 s1, 0, 0
	v_mac_f32_e32 v2, 0x4f800000, v43
	v_rcp_f32_e32 v2, v2
	v_mul_f32_e32 v2, 0x5f7ffffc, v2
	v_mul_f32_e32 v3, 0x2f800000, v2
	v_trunc_f32_e32 v3, v3
	v_mac_f32_e32 v2, 0xcf800000, v3
	v_cvt_u32_f32_e32 v3, v3
	v_cvt_u32_f32_e32 v2, v2
	v_readfirstlane_b32 s2, v3
	v_readfirstlane_b32 s3, v2
	s_mul_i32 s6, s0, s2
	s_mul_hi_u32 s8, s0, s3
	s_mul_i32 s7, s1, s3
	s_add_i32 s6, s8, s6
	s_mul_i32 s9, s0, s3
	s_add_i32 s6, s6, s7
	s_mul_hi_u32 s8, s3, s9
	s_mul_hi_u32 s7, s3, s6
	s_mul_i32 s3, s3, s6
	s_add_u32 s3, s8, s3
	s_addc_u32 s7, 0, s7
	s_mul_hi_u32 s22, s2, s9
	s_mul_i32 s9, s2, s9
	s_add_u32 s3, s3, s9
	s_mul_hi_u32 s8, s2, s6
	s_addc_u32 s3, s7, s22
	s_addc_u32 s7, s8, 0
	s_mul_i32 s6, s2, s6
	s_add_u32 s3, s3, s6
	s_addc_u32 s6, 0, s7
	v_add_co_u32_e32 v2, vcc, s3, v2
	s_cmp_lg_u64 vcc, 0
	s_addc_u32 s2, s2, s6
	v_readfirstlane_b32 s6, v2
	s_mul_i32 s3, s0, s2
	s_mul_hi_u32 s7, s0, s6
	s_add_i32 s3, s7, s3
	s_mul_i32 s1, s1, s6
	s_add_i32 s3, s3, s1
	s_mul_i32 s0, s0, s6
	s_mul_hi_u32 s7, s2, s0
	s_mul_i32 s8, s2, s0
	s_mul_i32 s22, s6, s3
	s_mul_hi_u32 s0, s6, s0
	s_mul_hi_u32 s9, s6, s3
	s_add_u32 s0, s0, s22
	s_addc_u32 s6, 0, s9
	s_add_u32 s0, s0, s8
	s_mul_hi_u32 s1, s2, s3
	s_addc_u32 s0, s6, s7
	s_addc_u32 s1, s1, 0
	s_mul_i32 s3, s2, s3
	s_add_u32 s0, s0, s3
	s_addc_u32 s1, 0, s1
	v_add_co_u32_e32 v2, vcc, s0, v2
	s_cmp_lg_u64 vcc, 0
	s_addc_u32 s6, s2, s1
	s_ashr_i32 s0, s91, 31
	v_readlane_b32 s2, v50, 33
	s_add_u32 s2, s2, s0
	s_mov_b32 s1, s0
	s_addc_u32 s3, s91, s0
	s_xor_b64 s[2:3], s[2:3], s[0:1]
	v_readfirstlane_b32 s8, v2
	s_mul_i32 s7, s2, s6
	s_mul_hi_u32 s9, s2, s8
	s_mul_hi_u32 s1, s2, s6
	s_add_u32 s7, s9, s7
	s_addc_u32 s1, 0, s1
	s_mul_hi_u32 s22, s3, s8
	s_mul_i32 s8, s3, s8
	s_add_u32 s7, s7, s8
	s_mul_hi_u32 s9, s3, s6
	s_addc_u32 s1, s1, s22
	s_addc_u32 s7, s9, 0
	s_mul_i32 s6, s3, s6
	s_add_u32 s1, s1, s6
	s_addc_u32 s6, 0, s7
	s_mul_hi_u32 s7, s33, s1
	s_mul_i32 s1, s33, s1
	s_mul_i32 s6, s33, s6
	v_mov_b32_e32 v2, s1
	s_add_i32 s7, s7, s6
	v_sub_co_u32_e32 v2, vcc, s2, v2
	s_cmp_lg_u64 vcc, 0
	s_subb_u32 s1, s3, s7
	v_subrev_co_u32_e32 v3, vcc, s33, v2
	s_cmp_lg_u64 vcc, 0
	s_subb_u32 s2, s1, 0
	v_subrev_co_u32_e32 v4, vcc, s33, v3
	s_cmp_lg_u64 vcc, 0
	s_subb_u32 s3, s2, 0
	v_cmp_le_u32_e32 vcc, s33, v3
	s_cmp_eq_u32 s2, 0
	v_cndmask_b32_e64 v5, 0, -1, vcc
	s_cselect_b64 vcc, -1, 0
	v_cndmask_b32_e32 v5, -1, v5, vcc
	v_mov_b32_e32 v6, s2
	v_mov_b32_e32 v7, s3
	v_cmp_ne_u32_e32 vcc, 0, v5
	v_cndmask_b32_e32 v5, v6, v7, vcc
	v_cndmask_b32_e32 v3, v3, v4, vcc
	v_cmp_le_u32_e32 vcc, s33, v2
	s_cmp_eq_u32 s1, 0
	v_cndmask_b32_e64 v4, 0, -1, vcc
	s_cselect_b64 vcc, -1, 0
	v_cndmask_b32_e32 v4, -1, v4, vcc
	v_cmp_ne_u32_e32 vcc, 0, v4
	v_mov_b32_e32 v6, s1
	v_cndmask_b32_e32 v2, v2, v3, vcc
	v_cndmask_b32_e32 v4, v6, v5, vcc
	v_xor_b32_e32 v2, s0, v2
	v_xor_b32_e32 v3, s0, v4
	v_mov_b32_e32 v4, s0
	v_subrev_co_u32_e32 v2, vcc, s0, v2
	v_subb_co_u32_e32 v3, vcc, v3, v4, vcc
	s_cbranch_execnz .LBB37_96
.LBB37_95:                              ;   in Loop: Header=BB37_17 Depth=1
	v_cvt_f32_u32_e32 v2, s33
	s_sub_i32 s0, 0, s33
	v_rcp_iflag_f32_e32 v2, v2
	v_mul_f32_e32 v2, 0x4f7ffffe, v2
	v_cvt_u32_f32_e32 v2, v2
	v_mul_lo_u32 v3, s0, v2
	v_mul_hi_u32 v3, v2, v3
	v_add_u32_e32 v2, v2, v3
	v_readlane_b32 s0, v50, 33
	v_mul_hi_u32 v2, s0, v2
	v_mul_lo_u32 v2, v2, s33
	v_sub_u32_e32 v2, s0, v2
	v_subrev_u32_e32 v3, s33, v2
	v_cmp_le_u32_e32 vcc, s33, v2
	v_cndmask_b32_e32 v2, v2, v3, vcc
	v_subrev_u32_e32 v3, s33, v2
	v_cmp_le_u32_e32 vcc, s33, v2
	v_cndmask_b32_e32 v12, v2, v3, vcc
	v_pk_mov_b32 v[2:3], v[12:13], v[12:13] op_sel:[0,1]
.LBB37_96:                              ;   in Loop: Header=BB37_17 Depth=1
	v_readlane_b32 s0, v50, 33
	v_mov_b32_e32 v4, s91
	v_sub_co_u32_e32 v2, vcc, s0, v2
	v_subb_co_u32_e32 v3, vcc, v4, v3, vcc
	v_cmp_gt_i64_e32 vcc, v[2:3], v[0:1]
	s_mov_b64 s[0:1], 0
                                        ; implicit-def: $vgpr45
	s_and_saveexec_b64 s[2:3], vcc
	s_cbranch_execz .LBB37_107
; %bb.97:                               ;   in Loop: Header=BB37_17 Depth=1
	v_pk_mov_b32 v[4:5], v[10:11], v[10:11] op_sel:[0,1]
	v_pk_mov_b32 v[6:7], v[0:1], v[0:1] op_sel:[0,1]
                                        ; implicit-def: $sgpr8_sgpr9
	s_branch .LBB37_99
.LBB37_98:                              ;   in Loop: Header=BB37_99 Depth=2
	s_or_b64 exec, exec, s[6:7]
	s_waitcnt lgkmcnt(0)
	s_barrier
	s_waitcnt vmcnt(0)
	ds_read_b32 v8, v13 offset:3072
	v_mov_b32_e32 v9, s26
	v_add_co_u32_e64 v6, s[6:7], s33, v6
	v_addc_co_u32_e64 v7, s[6:7], v7, v9, s[6:7]
	s_waitcnt lgkmcnt(0)
	v_cmp_ne_u16_e32 vcc, 0, v8
	v_cmp_ge_i64_e64 s[6:7], v[6:7], v[2:3]
	s_or_b64 s[22:23], vcc, s[6:7]
	v_mov_b32_e32 v9, s83
	v_add_co_u32_e64 v4, s[6:7], s82, v4
	v_addc_co_u32_e64 v5, s[6:7], v5, v9, s[6:7]
	s_and_b64 s[6:7], exec, s[22:23]
	s_or_b64 s[0:1], s[6:7], s[0:1]
	s_andn2_b64 s[6:7], s[8:9], exec
	s_and_b64 s[8:9], vcc, exec
	s_or_b64 s[8:9], s[6:7], s[8:9]
	s_barrier
	s_andn2_b64 exec, exec, s[0:1]
	s_cbranch_execz .LBB37_106
.LBB37_99:                              ;   Parent Loop BB37_17 Depth=1
                                        ; =>  This Inner Loop Header: Depth=2
	v_cmp_gt_i64_e32 vcc, s[52:53], v[6:7]
	v_mov_b32_e32 v8, 0
	s_and_saveexec_b64 s[6:7], vcc
	s_cbranch_execz .LBB37_101
; %bb.100:                              ;   in Loop: Header=BB37_99 Depth=2
	global_load_ushort v8, v[4:5], off
.LBB37_101:                             ;   in Loop: Header=BB37_99 Depth=2
	s_or_b64 exec, exec, s[6:7]
	s_and_saveexec_b64 s[6:7], vcc
	s_cbranch_execz .LBB37_98
; %bb.102:                              ;   in Loop: Header=BB37_99 Depth=2
	s_waitcnt vmcnt(0)
	v_add_u32_sdwa v9, sext(v8), s27 dst_sel:DWORD dst_unused:UNUSED_PAD src0_sel:WORD_0 src1_sel:DWORD
	v_and_b32_e32 v9, s92, v9
	v_cmp_eq_u32_e32 vcc, s93, v9
	s_and_b64 exec, exec, vcc
	s_cbranch_execz .LBB37_98
; %bb.103:                              ;   in Loop: Header=BB37_99 Depth=2
	v_perm_b32 v8, v8, 1, v44
	ds_write_b32 v13, v8 offset:3072
	s_branch .LBB37_98
.LBB37_104:                             ;   in Loop: Header=BB37_17 Depth=1
	s_mov_b64 s[0:1], -1
                                        ; implicit-def: $sgpr2_sgpr3
                                        ; implicit-def: $sgpr8_sgpr9
                                        ; implicit-def: $sgpr6_sgpr7
	s_branch .LBB37_121
.LBB37_105:                             ;   in Loop: Header=BB37_17 Depth=1
	s_mov_b64 s[2:3], -1
	s_mov_b64 s[0:1], 0
                                        ; implicit-def: $sgpr6_sgpr7
                                        ; implicit-def: $vgpr45
	s_mov_b64 s[8:9], s[2:3]
	s_cbranch_execnz .LBB37_108
	s_branch .LBB37_121
.LBB37_106:                             ;   in Loop: Header=BB37_17 Depth=1
	s_or_b64 exec, exec, s[0:1]
	v_lshrrev_b32_e32 v45, 16, v8
	s_and_b64 s[0:1], s[8:9], exec
.LBB37_107:                             ;   in Loop: Header=BB37_17 Depth=1
	s_or_b64 exec, exec, s[2:3]
	s_mov_b64 s[6:7], -1
	s_mov_b64 s[2:3], 0
	s_mov_b64 s[8:9], s[2:3]
	s_branch .LBB37_121
.LBB37_108:                             ;   in Loop: Header=BB37_17 Depth=1
	v_readlane_b32 s0, v50, 32
	s_add_u32 s6, s0, s12
	v_readlane_b32 s0, v50, 34
	s_addc_u32 s1, s0, s13
	s_mov_b32 s0, s81
	s_cmp_lg_u64 s[0:1], 0
	s_cbranch_scc0 .LBB37_151
; %bb.109:                              ;   in Loop: Header=BB37_17 Depth=1
	v_cvt_f32_u32_e32 v2, s33
	s_sub_u32 s0, 0, s33
	s_subb_u32 s2, 0, 0
	v_mac_f32_e32 v2, 0x4f800000, v43
	v_rcp_f32_e32 v2, v2
	v_mul_f32_e32 v2, 0x5f7ffffc, v2
	v_mul_f32_e32 v3, 0x2f800000, v2
	v_trunc_f32_e32 v3, v3
	v_mac_f32_e32 v2, 0xcf800000, v3
	v_cvt_u32_f32_e32 v3, v3
	v_cvt_u32_f32_e32 v2, v2
	v_readfirstlane_b32 s3, v3
	v_readfirstlane_b32 s7, v2
	s_mul_i32 s8, s0, s3
	s_mul_hi_u32 s22, s0, s7
	s_mul_i32 s9, s2, s7
	s_add_i32 s8, s22, s8
	s_mul_i32 s23, s0, s7
	s_add_i32 s8, s8, s9
	s_mul_hi_u32 s22, s7, s23
	s_mul_hi_u32 s9, s7, s8
	s_mul_i32 s7, s7, s8
	s_add_u32 s7, s22, s7
	s_addc_u32 s9, 0, s9
	s_mul_hi_u32 s24, s3, s23
	s_mul_i32 s23, s3, s23
	s_add_u32 s7, s7, s23
	s_mul_hi_u32 s22, s3, s8
	s_addc_u32 s7, s9, s24
	s_addc_u32 s9, s22, 0
	s_mul_i32 s8, s3, s8
	s_add_u32 s7, s7, s8
	s_addc_u32 s8, 0, s9
	v_add_co_u32_e32 v2, vcc, s7, v2
	s_cmp_lg_u64 vcc, 0
	s_addc_u32 s3, s3, s8
	v_readfirstlane_b32 s8, v2
	s_mul_i32 s7, s0, s3
	s_mul_hi_u32 s9, s0, s8
	s_add_i32 s7, s9, s7
	s_mul_i32 s2, s2, s8
	s_add_i32 s7, s7, s2
	s_mul_i32 s0, s0, s8
	s_mul_hi_u32 s9, s3, s0
	s_mul_i32 s22, s3, s0
	s_mul_i32 s24, s8, s7
	s_mul_hi_u32 s0, s8, s0
	s_mul_hi_u32 s23, s8, s7
	s_add_u32 s0, s0, s24
	s_addc_u32 s8, 0, s23
	s_add_u32 s0, s0, s22
	s_mul_hi_u32 s2, s3, s7
	s_addc_u32 s0, s8, s9
	s_addc_u32 s2, s2, 0
	s_mul_i32 s7, s3, s7
	s_add_u32 s0, s0, s7
	s_addc_u32 s2, 0, s2
	v_add_co_u32_e32 v2, vcc, s0, v2
	s_cmp_lg_u64 vcc, 0
	s_addc_u32 s0, s3, s2
	s_ashr_i32 s2, s1, 31
	s_add_u32 s8, s6, s2
	s_mov_b32 s3, s2
	s_addc_u32 s9, s1, s2
	s_xor_b64 s[8:9], s[8:9], s[2:3]
	v_readfirstlane_b32 s22, v2
	s_mul_i32 s7, s8, s0
	s_mul_hi_u32 s23, s8, s22
	s_mul_hi_u32 s3, s8, s0
	s_add_u32 s7, s23, s7
	s_addc_u32 s3, 0, s3
	s_mul_hi_u32 s24, s9, s22
	s_mul_i32 s22, s9, s22
	s_add_u32 s7, s7, s22
	s_mul_hi_u32 s23, s9, s0
	s_addc_u32 s3, s3, s24
	s_addc_u32 s7, s23, 0
	s_mul_i32 s0, s9, s0
	s_add_u32 s0, s3, s0
	s_addc_u32 s3, 0, s7
	s_mul_hi_u32 s7, s33, s0
	s_mul_i32 s0, s33, s0
	s_mul_i32 s3, s33, s3
	v_mov_b32_e32 v2, s0
	s_add_i32 s7, s7, s3
	v_sub_co_u32_e32 v2, vcc, s8, v2
	s_cmp_lg_u64 vcc, 0
	s_subb_u32 s0, s9, s7
	v_subrev_co_u32_e32 v3, vcc, s33, v2
	s_cmp_lg_u64 vcc, 0
	s_subb_u32 s3, s0, 0
	v_subrev_co_u32_e32 v4, vcc, s33, v3
	s_cmp_lg_u64 vcc, 0
	s_subb_u32 s7, s3, 0
	v_cmp_le_u32_e32 vcc, s33, v3
	s_cmp_eq_u32 s3, 0
	v_cndmask_b32_e64 v5, 0, -1, vcc
	s_cselect_b64 vcc, -1, 0
	v_cndmask_b32_e32 v5, -1, v5, vcc
	v_mov_b32_e32 v6, s3
	v_mov_b32_e32 v7, s7
	v_cmp_ne_u32_e32 vcc, 0, v5
	v_cndmask_b32_e32 v5, v6, v7, vcc
	v_cndmask_b32_e32 v3, v3, v4, vcc
	v_cmp_le_u32_e32 vcc, s33, v2
	s_cmp_eq_u32 s0, 0
	v_cndmask_b32_e64 v4, 0, -1, vcc
	s_cselect_b64 vcc, -1, 0
	v_cndmask_b32_e32 v4, -1, v4, vcc
	v_cmp_ne_u32_e32 vcc, 0, v4
	v_mov_b32_e32 v6, s0
	v_cndmask_b32_e32 v2, v2, v3, vcc
	v_cndmask_b32_e32 v4, v6, v5, vcc
	v_xor_b32_e32 v2, s2, v2
	v_xor_b32_e32 v3, s2, v4
	v_mov_b32_e32 v4, s2
	v_subrev_co_u32_e32 v2, vcc, s2, v2
	v_subb_co_u32_e32 v3, vcc, v3, v4, vcc
	s_cbranch_execnz .LBB37_111
.LBB37_110:                             ;   in Loop: Header=BB37_17 Depth=1
	v_cvt_f32_u32_e32 v2, s33
	s_sub_i32 s0, 0, s33
	v_rcp_iflag_f32_e32 v2, v2
	v_mul_f32_e32 v2, 0x4f7ffffe, v2
	v_cvt_u32_f32_e32 v2, v2
	v_mul_lo_u32 v3, s0, v2
	v_mul_hi_u32 v3, v2, v3
	v_add_u32_e32 v2, v2, v3
	v_mul_hi_u32 v2, s6, v2
	v_mul_lo_u32 v2, v2, s33
	v_sub_u32_e32 v2, s6, v2
	v_subrev_u32_e32 v3, s33, v2
	v_cmp_le_u32_e32 vcc, s33, v2
	v_cndmask_b32_e32 v2, v2, v3, vcc
	v_subrev_u32_e32 v3, s33, v2
	v_cmp_le_u32_e32 vcc, s33, v2
	v_cndmask_b32_e32 v12, v2, v3, vcc
	v_pk_mov_b32 v[2:3], v[12:13], v[12:13] op_sel:[0,1]
.LBB37_111:                             ;   in Loop: Header=BB37_17 Depth=1
	v_mov_b32_e32 v4, s1
	v_sub_co_u32_e32 v2, vcc, s6, v2
	v_subb_co_u32_e32 v3, vcc, v4, v3, vcc
	v_cmp_gt_i64_e32 vcc, v[2:3], v[0:1]
	s_mov_b64 s[0:1], 0
                                        ; implicit-def: $vgpr45
	s_and_saveexec_b64 s[2:3], vcc
	s_cbranch_execz .LBB37_120
; %bb.112:                              ;   in Loop: Header=BB37_17 Depth=1
	v_mov_b32_e32 v6, v35
	v_pk_mov_b32 v[4:5], v[0:1], v[0:1] op_sel:[0,1]
                                        ; implicit-def: $sgpr8_sgpr9
	s_branch .LBB37_114
.LBB37_113:                             ;   in Loop: Header=BB37_114 Depth=2
	s_or_b64 exec, exec, s[6:7]
	s_waitcnt lgkmcnt(0)
	s_barrier
	ds_read_b32 v7, v13 offset:3072
	v_mov_b32_e32 v8, s26
	v_add_co_u32_e64 v4, s[6:7], s33, v4
	v_addc_co_u32_e64 v5, s[6:7], v5, v8, s[6:7]
	s_waitcnt lgkmcnt(0)
	v_cmp_ne_u16_e32 vcc, 0, v7
	v_cmp_ge_i64_e64 s[6:7], v[4:5], v[2:3]
	s_or_b64 s[6:7], vcc, s[6:7]
	s_and_b64 s[6:7], exec, s[6:7]
	s_or_b64 s[0:1], s[6:7], s[0:1]
	s_andn2_b64 s[6:7], s[8:9], exec
	s_and_b64 s[8:9], vcc, exec
	v_add_u32_e32 v6, s61, v6
	s_or_b64 s[8:9], s[6:7], s[8:9]
	s_barrier
	s_andn2_b64 exec, exec, s[0:1]
	s_cbranch_execz .LBB37_119
.LBB37_114:                             ;   Parent Loop BB37_17 Depth=1
                                        ; =>  This Inner Loop Header: Depth=2
	v_cmp_gt_i64_e32 vcc, s[12:13], v[4:5]
	v_mov_b32_e32 v7, 0
	s_and_saveexec_b64 s[6:7], vcc
	s_cbranch_execz .LBB37_116
; %bb.115:                              ;   in Loop: Header=BB37_114 Depth=2
	ds_read_u16 v7, v6
.LBB37_116:                             ;   in Loop: Header=BB37_114 Depth=2
	s_or_b64 exec, exec, s[6:7]
	s_and_saveexec_b64 s[6:7], vcc
	s_cbranch_execz .LBB37_113
; %bb.117:                              ;   in Loop: Header=BB37_114 Depth=2
	s_waitcnt lgkmcnt(0)
	v_add_u32_sdwa v8, sext(v7), s27 dst_sel:DWORD dst_unused:UNUSED_PAD src0_sel:WORD_0 src1_sel:DWORD
	v_and_b32_e32 v8, s92, v8
	v_cmp_eq_u32_e32 vcc, s93, v8
	s_and_b64 exec, exec, vcc
	s_cbranch_execz .LBB37_113
; %bb.118:                              ;   in Loop: Header=BB37_114 Depth=2
	v_perm_b32 v7, v7, 1, v44
	ds_write_b32 v13, v7 offset:3072
	s_branch .LBB37_113
.LBB37_119:                             ;   in Loop: Header=BB37_17 Depth=1
	s_or_b64 exec, exec, s[0:1]
	v_lshrrev_b32_e32 v45, 16, v7
	s_and_b64 s[0:1], s[8:9], exec
.LBB37_120:                             ;   in Loop: Header=BB37_17 Depth=1
	s_or_b64 exec, exec, s[2:3]
	s_mov_b64 s[8:9], -1
	s_mov_b64 s[2:3], 0
	s_mov_b64 s[6:7], 0
.LBB37_121:                             ;   in Loop: Header=BB37_17 Depth=1
	s_andn2_b64 s[12:13], s[64:65], exec
	s_and_b64 s[2:3], s[2:3], exec
	s_or_b64 s[64:65], s[12:13], s[2:3]
	s_andn2_b64 s[2:3], s[74:75], exec
	s_and_b64 s[8:9], s[8:9], exec
	s_or_b64 s[74:75], s[2:3], s[8:9]
	;; [unrolled: 3-line block ×3, first 2 shown]
	s_and_saveexec_b64 s[12:13], s[0:1]
	s_cbranch_execz .LBB37_16
; %bb.122:                              ;   in Loop: Header=BB37_17 Depth=1
	s_xor_b64 s[0:1], s[20:21], -1
	s_andn2_b64 vcc, exec, s[0:1]
	s_mov_b32 s45, 1
	s_cbranch_vccnz .LBB37_133
; %bb.123:                              ;   in Loop: Header=BB37_17 Depth=1
	v_pk_mov_b32 v[2:3], s[14:15], s[14:15] op_sel:[0,1]
	v_cmp_gt_i64_e32 vcc, s[54:55], v[2:3]
	s_mov_b64 s[0:1], -1
                                        ; implicit-def: $sgpr45
                                        ; implicit-def: $sgpr2
                                        ; implicit-def: $sgpr3
	s_cbranch_vccnz .LBB37_129
; %bb.124:                              ;   in Loop: Header=BB37_17 Depth=1
	ds_read_b64 v[2:3], v13 offset:5120
	s_waitcnt lgkmcnt(0)
	v_cmp_ne_u64_e32 vcc, 0, v[2:3]
	s_cbranch_vccnz .LBB37_128
; %bb.125:                              ;   in Loop: Header=BB37_17 Depth=1
	s_mov_b64 s[0:1], exec
	v_readlane_b32 s2, v50, 12
	v_readlane_b32 s3, v50, 13
	s_and_b64 s[2:3], s[0:1], s[2:3]
	s_mov_b64 exec, s[2:3]
	s_cbranch_execz .LBB37_127
; %bb.126:                              ;   in Loop: Header=BB37_17 Depth=1
	v_pk_mov_b32 v[2:3], s[14:15], s[14:15] op_sel:[0,1]
	ds_write_b64 v13, v[2:3] offset:5128
.LBB37_127:                             ;   in Loop: Header=BB37_17 Depth=1
	s_or_b64 exec, exec, s[0:1]
	s_waitcnt lgkmcnt(0)
	s_barrier
.LBB37_128:                             ;   in Loop: Header=BB37_17 Depth=1
	s_and_b32 s2, s93, s41
	s_or_b32 s3, s92, s44
	s_mov_b64 s[0:1], 0
	s_mov_b32 s45, 8
.LBB37_129:                             ;   in Loop: Header=BB37_17 Depth=1
	s_andn2_b64 vcc, exec, s[0:1]
	s_cbranch_vccnz .LBB37_131
; %bb.130:                              ;   in Loop: Header=BB37_17 Depth=1
	s_sub_u32 s54, s54, s14
	s_subb_u32 s55, s55, s15
	s_mov_b64 s[0:1], -1
	s_mov_b32 s45, 0
	s_mov_b32 s2, s93
	;; [unrolled: 1-line block ×3, first 2 shown]
.LBB37_131:                             ;   in Loop: Header=BB37_17 Depth=1
	s_mov_b32 s92, s3
	s_mov_b32 s93, s2
	s_mov_b64 s[14:15], -1
	s_and_b64 vcc, exec, s[0:1]
	s_cbranch_vccnz .LBB37_134
.LBB37_132:                             ;   in Loop: Header=BB37_17 Depth=1
	s_mov_b64 s[2:3], -1
                                        ; implicit-def: $sgpr18_sgpr19
                                        ; implicit-def: $sgpr22_sgpr23
                                        ; implicit-def: $sgpr20_sgpr21
	s_and_saveexec_b64 s[0:1], s[2:3]
	s_xor_b64 s[0:1], exec, s[0:1]
	s_cbranch_execz .LBB37_15
	s_branch .LBB37_280
.LBB37_133:                             ;   in Loop: Header=BB37_17 Depth=1
	s_mov_b64 s[54:55], 1
	s_mov_b64 s[14:15], -1
	s_branch .LBB37_132
.LBB37_134:                             ;   in Loop: Header=BB37_17 Depth=1
	s_cmp_eq_u64 s[28:29], 1
	s_cselect_b64 s[0:1], -1, 0
	s_cmp_eq_u64 s[54:55], 1
	s_cselect_b64 s[2:3], -1, 0
	s_and_b64 s[30:31], s[0:1], s[2:3]
	s_mov_b64 s[0:1], -1
	s_and_b64 vcc, exec, s[30:31]
	s_cbranch_vccz .LBB37_149
; %bb.135:                              ;   in Loop: Header=BB37_17 Depth=1
	ds_read_b64 v[2:3], v13 offset:5120
	s_waitcnt lgkmcnt(0)
	s_barrier
	v_readfirstlane_b32 s24, v2
	v_readfirstlane_b32 s25, v3
	s_mov_b64 s[0:1], exec
	v_readlane_b32 s2, v50, 24
	v_readlane_b32 s3, v50, 25
	s_and_b64 s[2:3], s[0:1], s[2:3]
	s_mov_b64 exec, s[2:3]
	s_cbranch_execz .LBB37_137
; %bb.136:                              ;   in Loop: Header=BB37_17 Depth=1
	ds_write_b16 v36, v13
.LBB37_137:                             ;   in Loop: Header=BB37_17 Depth=1
	s_or_b64 exec, exec, s[0:1]
	s_lshl_b32 s0, 1, s40
	s_and_b32 s1, s93, s41
	s_or_b32 s93, s1, s0
	v_cmp_gt_i64_e64 s[0:1], s[24:25], 0
	s_or_b32 s92, s92, s44
	s_and_b64 vcc, exec, s[0:1]
	s_waitcnt lgkmcnt(0)
	s_barrier
	s_cbranch_vccnz .LBB37_152
; %bb.138:                              ;   in Loop: Header=BB37_17 Depth=1
	s_mov_b32 s90, s81
	s_cmp_lg_u64 s[90:91], 0
	s_cbranch_scc0 .LBB37_197
; %bb.139:                              ;   in Loop: Header=BB37_17 Depth=1
	v_cvt_f32_u32_e32 v2, s33
	s_sub_u32 s0, 0, s33
	s_subb_u32 s1, 0, 0
	v_mac_f32_e32 v2, 0x4f800000, v43
	v_rcp_f32_e32 v2, v2
	v_mul_f32_e32 v2, 0x5f7ffffc, v2
	v_mul_f32_e32 v3, 0x2f800000, v2
	v_trunc_f32_e32 v3, v3
	v_mac_f32_e32 v2, 0xcf800000, v3
	v_cvt_u32_f32_e32 v3, v3
	v_cvt_u32_f32_e32 v2, v2
	v_readfirstlane_b32 s2, v3
	v_readfirstlane_b32 s3, v2
	s_mul_i32 s6, s0, s2
	s_mul_hi_u32 s8, s0, s3
	s_mul_i32 s7, s1, s3
	s_add_i32 s6, s8, s6
	s_mul_i32 s9, s0, s3
	s_add_i32 s6, s6, s7
	s_mul_hi_u32 s8, s3, s9
	s_mul_hi_u32 s7, s3, s6
	s_mul_i32 s3, s3, s6
	s_add_u32 s3, s8, s3
	s_addc_u32 s7, 0, s7
	s_mul_hi_u32 s18, s2, s9
	s_mul_i32 s9, s2, s9
	s_add_u32 s3, s3, s9
	s_mul_hi_u32 s8, s2, s6
	s_addc_u32 s3, s7, s18
	s_addc_u32 s7, s8, 0
	s_mul_i32 s6, s2, s6
	s_add_u32 s3, s3, s6
	s_addc_u32 s6, 0, s7
	v_add_co_u32_e32 v2, vcc, s3, v2
	s_cmp_lg_u64 vcc, 0
	s_addc_u32 s2, s2, s6
	v_readfirstlane_b32 s6, v2
	s_mul_i32 s3, s0, s2
	s_mul_hi_u32 s7, s0, s6
	s_add_i32 s3, s7, s3
	s_mul_i32 s1, s1, s6
	s_add_i32 s3, s3, s1
	s_mul_i32 s0, s0, s6
	s_mul_hi_u32 s7, s2, s0
	s_mul_i32 s8, s2, s0
	s_mul_i32 s18, s6, s3
	s_mul_hi_u32 s0, s6, s0
	s_mul_hi_u32 s9, s6, s3
	s_add_u32 s0, s0, s18
	s_addc_u32 s6, 0, s9
	s_add_u32 s0, s0, s8
	s_mul_hi_u32 s1, s2, s3
	s_addc_u32 s0, s6, s7
	s_addc_u32 s1, s1, 0
	s_mul_i32 s3, s2, s3
	s_add_u32 s0, s0, s3
	s_addc_u32 s1, 0, s1
	v_add_co_u32_e32 v2, vcc, s0, v2
	s_cmp_lg_u64 vcc, 0
	s_addc_u32 s6, s2, s1
	s_ashr_i32 s0, s91, 31
	v_readlane_b32 s2, v50, 33
	s_add_u32 s2, s2, s0
	s_mov_b32 s1, s0
	s_addc_u32 s3, s91, s0
	s_xor_b64 s[2:3], s[2:3], s[0:1]
	v_readfirstlane_b32 s8, v2
	s_mul_i32 s7, s2, s6
	s_mul_hi_u32 s9, s2, s8
	s_mul_hi_u32 s1, s2, s6
	s_add_u32 s7, s9, s7
	s_addc_u32 s1, 0, s1
	s_mul_hi_u32 s18, s3, s8
	s_mul_i32 s8, s3, s8
	s_add_u32 s7, s7, s8
	s_mul_hi_u32 s9, s3, s6
	s_addc_u32 s1, s1, s18
	s_addc_u32 s7, s9, 0
	s_mul_i32 s6, s3, s6
	s_add_u32 s1, s1, s6
	s_addc_u32 s6, 0, s7
	s_mul_hi_u32 s7, s33, s1
	s_mul_i32 s1, s33, s1
	s_mul_i32 s6, s33, s6
	v_mov_b32_e32 v2, s1
	s_add_i32 s7, s7, s6
	v_sub_co_u32_e32 v2, vcc, s2, v2
	s_cmp_lg_u64 vcc, 0
	s_subb_u32 s1, s3, s7
	v_subrev_co_u32_e32 v3, vcc, s33, v2
	s_cmp_lg_u64 vcc, 0
	s_subb_u32 s2, s1, 0
	v_subrev_co_u32_e32 v4, vcc, s33, v3
	s_cmp_lg_u64 vcc, 0
	s_subb_u32 s3, s2, 0
	v_cmp_le_u32_e32 vcc, s33, v3
	s_cmp_eq_u32 s2, 0
	v_cndmask_b32_e64 v5, 0, -1, vcc
	s_cselect_b64 vcc, -1, 0
	v_cndmask_b32_e32 v5, -1, v5, vcc
	v_mov_b32_e32 v6, s2
	v_mov_b32_e32 v7, s3
	v_cmp_ne_u32_e32 vcc, 0, v5
	v_cndmask_b32_e32 v5, v6, v7, vcc
	v_cndmask_b32_e32 v3, v3, v4, vcc
	v_cmp_le_u32_e32 vcc, s33, v2
	s_cmp_eq_u32 s1, 0
	v_cndmask_b32_e64 v4, 0, -1, vcc
	s_cselect_b64 vcc, -1, 0
	v_cndmask_b32_e32 v4, -1, v4, vcc
	v_cmp_ne_u32_e32 vcc, 0, v4
	v_mov_b32_e32 v6, s1
	v_cndmask_b32_e32 v2, v2, v3, vcc
	v_cndmask_b32_e32 v4, v6, v5, vcc
	v_xor_b32_e32 v2, s0, v2
	v_xor_b32_e32 v3, s0, v4
	v_mov_b32_e32 v4, s0
	v_subrev_co_u32_e32 v2, vcc, s0, v2
	v_subb_co_u32_e32 v3, vcc, v3, v4, vcc
	s_cbranch_execnz .LBB37_141
.LBB37_140:                             ;   in Loop: Header=BB37_17 Depth=1
	v_cvt_f32_u32_e32 v2, s33
	s_sub_i32 s0, 0, s33
	v_rcp_iflag_f32_e32 v2, v2
	v_mul_f32_e32 v2, 0x4f7ffffe, v2
	v_cvt_u32_f32_e32 v2, v2
	v_mul_lo_u32 v3, s0, v2
	v_mul_hi_u32 v3, v2, v3
	v_add_u32_e32 v2, v2, v3
	v_readlane_b32 s0, v50, 33
	v_mul_hi_u32 v2, s0, v2
	v_mul_lo_u32 v2, v2, s33
	v_sub_u32_e32 v2, s0, v2
	v_subrev_u32_e32 v3, s33, v2
	v_cmp_le_u32_e32 vcc, s33, v2
	v_cndmask_b32_e32 v2, v2, v3, vcc
	v_subrev_u32_e32 v3, s33, v2
	v_cmp_le_u32_e32 vcc, s33, v2
	v_cndmask_b32_e32 v12, v2, v3, vcc
	v_pk_mov_b32 v[2:3], v[12:13], v[12:13] op_sel:[0,1]
.LBB37_141:                             ;   in Loop: Header=BB37_17 Depth=1
	v_readlane_b32 s0, v50, 33
	v_mov_b32_e32 v4, s91
	v_sub_co_u32_e32 v2, vcc, s0, v2
	v_subb_co_u32_e32 v3, vcc, v4, v3, vcc
	v_cmp_gt_i64_e32 vcc, v[2:3], v[0:1]
	s_mov_b64 s[0:1], 0
                                        ; implicit-def: $vgpr45
	s_and_saveexec_b64 s[2:3], vcc
	s_cbranch_execz .LBB37_154
; %bb.142:                              ;   in Loop: Header=BB37_17 Depth=1
	v_pk_mov_b32 v[4:5], v[10:11], v[10:11] op_sel:[0,1]
	v_pk_mov_b32 v[6:7], v[0:1], v[0:1] op_sel:[0,1]
                                        ; implicit-def: $sgpr8_sgpr9
	s_branch .LBB37_144
.LBB37_143:                             ;   in Loop: Header=BB37_144 Depth=2
	s_or_b64 exec, exec, s[6:7]
	s_waitcnt lgkmcnt(0)
	s_barrier
	s_waitcnt vmcnt(0)
	ds_read_b32 v8, v13 offset:3072
	v_mov_b32_e32 v9, s26
	v_add_co_u32_e64 v6, s[6:7], s33, v6
	v_addc_co_u32_e64 v7, s[6:7], v7, v9, s[6:7]
	s_waitcnt lgkmcnt(0)
	v_cmp_ne_u16_e32 vcc, 0, v8
	v_cmp_ge_i64_e64 s[6:7], v[6:7], v[2:3]
	s_or_b64 s[18:19], vcc, s[6:7]
	v_mov_b32_e32 v9, s83
	v_add_co_u32_e64 v4, s[6:7], s82, v4
	v_addc_co_u32_e64 v5, s[6:7], v5, v9, s[6:7]
	s_and_b64 s[6:7], exec, s[18:19]
	s_or_b64 s[0:1], s[6:7], s[0:1]
	s_andn2_b64 s[6:7], s[8:9], exec
	s_and_b64 s[8:9], vcc, exec
	s_or_b64 s[8:9], s[6:7], s[8:9]
	s_barrier
	s_andn2_b64 exec, exec, s[0:1]
	s_cbranch_execz .LBB37_153
.LBB37_144:                             ;   Parent Loop BB37_17 Depth=1
                                        ; =>  This Inner Loop Header: Depth=2
	v_cmp_gt_i64_e32 vcc, s[52:53], v[6:7]
	v_mov_b32_e32 v8, 0
	s_and_saveexec_b64 s[6:7], vcc
	s_cbranch_execz .LBB37_146
; %bb.145:                              ;   in Loop: Header=BB37_144 Depth=2
	global_load_ushort v8, v[4:5], off
.LBB37_146:                             ;   in Loop: Header=BB37_144 Depth=2
	s_or_b64 exec, exec, s[6:7]
	s_and_saveexec_b64 s[6:7], vcc
	s_cbranch_execz .LBB37_143
; %bb.147:                              ;   in Loop: Header=BB37_144 Depth=2
	s_waitcnt vmcnt(0)
	v_add_u32_sdwa v9, sext(v8), s27 dst_sel:DWORD dst_unused:UNUSED_PAD src0_sel:WORD_0 src1_sel:DWORD
	v_and_b32_e32 v9, s92, v9
	v_cmp_eq_u32_e32 vcc, s93, v9
	s_and_b64 exec, exec, vcc
	s_cbranch_execz .LBB37_143
; %bb.148:                              ;   in Loop: Header=BB37_144 Depth=2
	v_perm_b32 v8, v8, 1, v44
	ds_write_b32 v13, v8 offset:3072
	s_branch .LBB37_143
.LBB37_149:                             ;   in Loop: Header=BB37_17 Depth=1
                                        ; implicit-def: $sgpr20_sgpr21
                                        ; implicit-def: $sgpr22_sgpr23
                                        ; implicit-def: $sgpr18_sgpr19
	s_branch .LBB37_168
.LBB37_150:                             ;   in Loop: Header=BB37_17 Depth=1
                                        ; implicit-def: $vgpr2_vgpr3
	s_branch .LBB37_95
.LBB37_151:                             ;   in Loop: Header=BB37_17 Depth=1
                                        ; implicit-def: $vgpr2_vgpr3
	s_branch .LBB37_110
.LBB37_152:                             ;   in Loop: Header=BB37_17 Depth=1
	s_mov_b64 s[20:21], -1
	s_mov_b64 s[0:1], 0
                                        ; implicit-def: $sgpr18_sgpr19
                                        ; implicit-def: $vgpr45
	s_mov_b64 s[22:23], s[20:21]
	s_cbranch_execnz .LBB37_155
	s_branch .LBB37_168
.LBB37_153:                             ;   in Loop: Header=BB37_17 Depth=1
	s_or_b64 exec, exec, s[0:1]
	v_lshrrev_b32_e32 v45, 16, v8
	s_and_b64 s[0:1], s[8:9], exec
.LBB37_154:                             ;   in Loop: Header=BB37_17 Depth=1
	s_or_b64 exec, exec, s[2:3]
	s_mov_b64 s[18:19], -1
	s_mov_b64 s[20:21], 0
	s_mov_b64 s[22:23], s[20:21]
	s_branch .LBB37_168
.LBB37_155:                             ;   in Loop: Header=BB37_17 Depth=1
	v_readlane_b32 s0, v50, 32
	s_add_u32 s6, s0, s24
	v_readlane_b32 s0, v50, 34
	s_addc_u32 s1, s0, s25
	s_mov_b32 s0, s81
	s_cmp_lg_u64 s[0:1], 0
	s_cbranch_scc0 .LBB37_198
; %bb.156:                              ;   in Loop: Header=BB37_17 Depth=1
	v_cvt_f32_u32_e32 v2, s33
	s_sub_u32 s0, 0, s33
	s_subb_u32 s2, 0, 0
	v_mac_f32_e32 v2, 0x4f800000, v43
	v_rcp_f32_e32 v2, v2
	v_mul_f32_e32 v2, 0x5f7ffffc, v2
	v_mul_f32_e32 v3, 0x2f800000, v2
	v_trunc_f32_e32 v3, v3
	v_mac_f32_e32 v2, 0xcf800000, v3
	v_cvt_u32_f32_e32 v3, v3
	v_cvt_u32_f32_e32 v2, v2
	v_readfirstlane_b32 s3, v3
	v_readfirstlane_b32 s7, v2
	s_mul_i32 s8, s0, s3
	s_mul_hi_u32 s18, s0, s7
	s_mul_i32 s9, s2, s7
	s_add_i32 s8, s18, s8
	s_mul_i32 s19, s0, s7
	s_add_i32 s8, s8, s9
	s_mul_hi_u32 s18, s7, s19
	s_mul_hi_u32 s9, s7, s8
	s_mul_i32 s7, s7, s8
	s_add_u32 s7, s18, s7
	s_addc_u32 s9, 0, s9
	s_mul_hi_u32 s20, s3, s19
	s_mul_i32 s19, s3, s19
	s_add_u32 s7, s7, s19
	s_mul_hi_u32 s18, s3, s8
	s_addc_u32 s7, s9, s20
	s_addc_u32 s9, s18, 0
	s_mul_i32 s8, s3, s8
	s_add_u32 s7, s7, s8
	s_addc_u32 s8, 0, s9
	v_add_co_u32_e32 v2, vcc, s7, v2
	s_cmp_lg_u64 vcc, 0
	s_addc_u32 s3, s3, s8
	v_readfirstlane_b32 s8, v2
	s_mul_i32 s7, s0, s3
	s_mul_hi_u32 s9, s0, s8
	s_add_i32 s7, s9, s7
	s_mul_i32 s2, s2, s8
	s_add_i32 s7, s7, s2
	s_mul_i32 s0, s0, s8
	s_mul_hi_u32 s9, s3, s0
	s_mul_i32 s18, s3, s0
	s_mul_i32 s20, s8, s7
	s_mul_hi_u32 s0, s8, s0
	s_mul_hi_u32 s19, s8, s7
	s_add_u32 s0, s0, s20
	s_addc_u32 s8, 0, s19
	s_add_u32 s0, s0, s18
	s_mul_hi_u32 s2, s3, s7
	s_addc_u32 s0, s8, s9
	s_addc_u32 s2, s2, 0
	s_mul_i32 s7, s3, s7
	s_add_u32 s0, s0, s7
	s_addc_u32 s2, 0, s2
	v_add_co_u32_e32 v2, vcc, s0, v2
	s_cmp_lg_u64 vcc, 0
	s_addc_u32 s0, s3, s2
	s_ashr_i32 s2, s1, 31
	s_add_u32 s8, s6, s2
	s_mov_b32 s3, s2
	s_addc_u32 s9, s1, s2
	s_xor_b64 s[8:9], s[8:9], s[2:3]
	v_readfirstlane_b32 s18, v2
	s_mul_i32 s7, s8, s0
	s_mul_hi_u32 s19, s8, s18
	s_mul_hi_u32 s3, s8, s0
	s_add_u32 s7, s19, s7
	s_addc_u32 s3, 0, s3
	s_mul_hi_u32 s20, s9, s18
	s_mul_i32 s18, s9, s18
	s_add_u32 s7, s7, s18
	s_mul_hi_u32 s19, s9, s0
	s_addc_u32 s3, s3, s20
	s_addc_u32 s7, s19, 0
	s_mul_i32 s0, s9, s0
	s_add_u32 s0, s3, s0
	s_addc_u32 s3, 0, s7
	s_mul_hi_u32 s7, s33, s0
	s_mul_i32 s0, s33, s0
	s_mul_i32 s3, s33, s3
	v_mov_b32_e32 v2, s0
	s_add_i32 s7, s7, s3
	v_sub_co_u32_e32 v2, vcc, s8, v2
	s_cmp_lg_u64 vcc, 0
	s_subb_u32 s0, s9, s7
	v_subrev_co_u32_e32 v3, vcc, s33, v2
	s_cmp_lg_u64 vcc, 0
	s_subb_u32 s3, s0, 0
	v_subrev_co_u32_e32 v4, vcc, s33, v3
	s_cmp_lg_u64 vcc, 0
	s_subb_u32 s7, s3, 0
	v_cmp_le_u32_e32 vcc, s33, v3
	s_cmp_eq_u32 s3, 0
	v_cndmask_b32_e64 v5, 0, -1, vcc
	s_cselect_b64 vcc, -1, 0
	v_cndmask_b32_e32 v5, -1, v5, vcc
	v_mov_b32_e32 v6, s3
	v_mov_b32_e32 v7, s7
	v_cmp_ne_u32_e32 vcc, 0, v5
	v_cndmask_b32_e32 v5, v6, v7, vcc
	v_cndmask_b32_e32 v3, v3, v4, vcc
	v_cmp_le_u32_e32 vcc, s33, v2
	s_cmp_eq_u32 s0, 0
	v_cndmask_b32_e64 v4, 0, -1, vcc
	s_cselect_b64 vcc, -1, 0
	v_cndmask_b32_e32 v4, -1, v4, vcc
	v_cmp_ne_u32_e32 vcc, 0, v4
	v_mov_b32_e32 v6, s0
	v_cndmask_b32_e32 v2, v2, v3, vcc
	v_cndmask_b32_e32 v4, v6, v5, vcc
	v_xor_b32_e32 v2, s2, v2
	v_xor_b32_e32 v3, s2, v4
	v_mov_b32_e32 v4, s2
	v_subrev_co_u32_e32 v2, vcc, s2, v2
	v_subb_co_u32_e32 v3, vcc, v3, v4, vcc
	s_cbranch_execnz .LBB37_158
.LBB37_157:                             ;   in Loop: Header=BB37_17 Depth=1
	v_cvt_f32_u32_e32 v2, s33
	s_sub_i32 s0, 0, s33
	v_rcp_iflag_f32_e32 v2, v2
	v_mul_f32_e32 v2, 0x4f7ffffe, v2
	v_cvt_u32_f32_e32 v2, v2
	v_mul_lo_u32 v3, s0, v2
	v_mul_hi_u32 v3, v2, v3
	v_add_u32_e32 v2, v2, v3
	v_mul_hi_u32 v2, s6, v2
	v_mul_lo_u32 v2, v2, s33
	v_sub_u32_e32 v2, s6, v2
	v_subrev_u32_e32 v3, s33, v2
	v_cmp_le_u32_e32 vcc, s33, v2
	v_cndmask_b32_e32 v2, v2, v3, vcc
	v_subrev_u32_e32 v3, s33, v2
	v_cmp_le_u32_e32 vcc, s33, v2
	v_cndmask_b32_e32 v12, v2, v3, vcc
	v_pk_mov_b32 v[2:3], v[12:13], v[12:13] op_sel:[0,1]
.LBB37_158:                             ;   in Loop: Header=BB37_17 Depth=1
	v_mov_b32_e32 v4, s1
	v_sub_co_u32_e32 v2, vcc, s6, v2
	v_subb_co_u32_e32 v3, vcc, v4, v3, vcc
	v_cmp_gt_i64_e32 vcc, v[2:3], v[0:1]
	s_mov_b64 s[0:1], 0
                                        ; implicit-def: $vgpr45
	s_and_saveexec_b64 s[2:3], vcc
	s_cbranch_execz .LBB37_167
; %bb.159:                              ;   in Loop: Header=BB37_17 Depth=1
	v_mov_b32_e32 v6, v35
	v_pk_mov_b32 v[4:5], v[0:1], v[0:1] op_sel:[0,1]
                                        ; implicit-def: $sgpr8_sgpr9
	s_branch .LBB37_161
.LBB37_160:                             ;   in Loop: Header=BB37_161 Depth=2
	s_or_b64 exec, exec, s[6:7]
	s_waitcnt lgkmcnt(0)
	s_barrier
	ds_read_b32 v7, v13 offset:3072
	v_mov_b32_e32 v8, s26
	v_add_co_u32_e64 v4, s[6:7], s33, v4
	v_addc_co_u32_e64 v5, s[6:7], v5, v8, s[6:7]
	s_waitcnt lgkmcnt(0)
	v_cmp_ne_u16_e32 vcc, 0, v7
	v_cmp_ge_i64_e64 s[6:7], v[4:5], v[2:3]
	s_or_b64 s[6:7], vcc, s[6:7]
	s_and_b64 s[6:7], exec, s[6:7]
	s_or_b64 s[0:1], s[6:7], s[0:1]
	s_andn2_b64 s[6:7], s[8:9], exec
	s_and_b64 s[8:9], vcc, exec
	v_add_u32_e32 v6, s61, v6
	s_or_b64 s[8:9], s[6:7], s[8:9]
	s_barrier
	s_andn2_b64 exec, exec, s[0:1]
	s_cbranch_execz .LBB37_166
.LBB37_161:                             ;   Parent Loop BB37_17 Depth=1
                                        ; =>  This Inner Loop Header: Depth=2
	v_cmp_gt_i64_e32 vcc, s[24:25], v[4:5]
	v_mov_b32_e32 v7, 0
	s_and_saveexec_b64 s[6:7], vcc
	s_cbranch_execz .LBB37_163
; %bb.162:                              ;   in Loop: Header=BB37_161 Depth=2
	ds_read_u16 v7, v6
.LBB37_163:                             ;   in Loop: Header=BB37_161 Depth=2
	s_or_b64 exec, exec, s[6:7]
	s_and_saveexec_b64 s[6:7], vcc
	s_cbranch_execz .LBB37_160
; %bb.164:                              ;   in Loop: Header=BB37_161 Depth=2
	s_waitcnt lgkmcnt(0)
	v_add_u32_sdwa v8, sext(v7), s27 dst_sel:DWORD dst_unused:UNUSED_PAD src0_sel:WORD_0 src1_sel:DWORD
	v_and_b32_e32 v8, s92, v8
	v_cmp_eq_u32_e32 vcc, s93, v8
	s_and_b64 exec, exec, vcc
	s_cbranch_execz .LBB37_160
; %bb.165:                              ;   in Loop: Header=BB37_161 Depth=2
	v_perm_b32 v7, v7, 1, v44
	ds_write_b32 v13, v7 offset:3072
	s_branch .LBB37_160
.LBB37_166:                             ;   in Loop: Header=BB37_17 Depth=1
	s_or_b64 exec, exec, s[0:1]
	v_lshrrev_b32_e32 v45, 16, v7
	s_and_b64 s[0:1], s[8:9], exec
.LBB37_167:                             ;   in Loop: Header=BB37_17 Depth=1
	s_or_b64 exec, exec, s[2:3]
	s_mov_b64 s[22:23], -1
	s_mov_b64 s[20:21], 0
	s_mov_b64 s[18:19], 0
.LBB37_168:                             ;   in Loop: Header=BB37_17 Depth=1
	s_mov_b64 s[2:3], 0
                                        ; implicit-def: $sgpr45
	s_and_saveexec_b64 s[24:25], s[0:1]
	s_cbranch_execz .LBB37_279
; %bb.169:                              ;   in Loop: Header=BB37_17 Depth=1
	s_xor_b64 s[0:1], s[30:31], -1
	s_andn2_b64 vcc, exec, s[0:1]
	s_mov_b32 s45, 1
	s_cbranch_vccnz .LBB37_180
; %bb.170:                              ;   in Loop: Header=BB37_17 Depth=1
	v_pk_mov_b32 v[2:3], s[28:29], s[28:29] op_sel:[0,1]
	v_cmp_gt_i64_e32 vcc, s[54:55], v[2:3]
	s_mov_b64 s[0:1], -1
                                        ; implicit-def: $sgpr45
                                        ; implicit-def: $sgpr2
                                        ; implicit-def: $sgpr3
	s_cbranch_vccnz .LBB37_176
; %bb.171:                              ;   in Loop: Header=BB37_17 Depth=1
	ds_read_b64 v[2:3], v13 offset:5120
	s_waitcnt lgkmcnt(0)
	v_cmp_ne_u64_e32 vcc, 0, v[2:3]
	s_cbranch_vccnz .LBB37_175
; %bb.172:                              ;   in Loop: Header=BB37_17 Depth=1
	s_mov_b64 s[0:1], exec
	v_readlane_b32 s2, v50, 12
	v_readlane_b32 s3, v50, 13
	s_and_b64 s[2:3], s[0:1], s[2:3]
	s_mov_b64 exec, s[2:3]
	s_cbranch_execz .LBB37_174
; %bb.173:                              ;   in Loop: Header=BB37_17 Depth=1
	v_pk_mov_b32 v[2:3], s[28:29], s[28:29] op_sel:[0,1]
	ds_write_b64 v13, v[2:3] offset:5128
.LBB37_174:                             ;   in Loop: Header=BB37_17 Depth=1
	s_or_b64 exec, exec, s[0:1]
	s_waitcnt lgkmcnt(0)
	s_barrier
.LBB37_175:                             ;   in Loop: Header=BB37_17 Depth=1
	s_lshl_b32 s0, 1, s40
	s_and_b32 s1, s93, s41
	s_or_b32 s2, s1, s0
	s_or_b32 s3, s92, s44
	s_mov_b64 s[0:1], 0
	s_mov_b32 s45, 8
.LBB37_176:                             ;   in Loop: Header=BB37_17 Depth=1
	s_andn2_b64 vcc, exec, s[0:1]
	s_cbranch_vccnz .LBB37_178
; %bb.177:                              ;   in Loop: Header=BB37_17 Depth=1
	s_sub_u32 s54, s54, s28
	s_subb_u32 s55, s55, s29
	s_mov_b64 s[0:1], -1
	s_mov_b32 s45, 0
	s_mov_b32 s2, s93
	;; [unrolled: 1-line block ×3, first 2 shown]
.LBB37_178:                             ;   in Loop: Header=BB37_17 Depth=1
	s_mov_b32 s92, s3
	s_mov_b32 s93, s2
	s_andn2_b64 vcc, exec, s[0:1]
	s_mov_b64 s[2:3], -1
	s_cbranch_vccz .LBB37_181
.LBB37_179:                             ;   in Loop: Header=BB37_17 Depth=1
                                        ; implicit-def: $sgpr30_sgpr31
                                        ; implicit-def: $sgpr34_sgpr35
                                        ; implicit-def: $sgpr28_sgpr29
	s_branch .LBB37_278
.LBB37_180:                             ;   in Loop: Header=BB37_17 Depth=1
	s_mov_b64 s[54:55], 1
	s_mov_b64 s[2:3], -1
	s_cbranch_execnz .LBB37_179
.LBB37_181:                             ;   in Loop: Header=BB37_17 Depth=1
	s_cmp_eq_u64 s[16:17], 1
	s_cselect_b64 s[0:1], -1, 0
	s_cmp_eq_u64 s[54:55], 1
	s_cselect_b64 s[2:3], -1, 0
	s_and_b64 s[38:39], s[0:1], s[2:3]
	s_mov_b64 s[0:1], -1
	s_and_b64 vcc, exec, s[38:39]
	s_cbranch_vccz .LBB37_196
; %bb.182:                              ;   in Loop: Header=BB37_17 Depth=1
	ds_read_b64 v[2:3], v13 offset:5120
	s_waitcnt lgkmcnt(0)
	s_barrier
	v_readfirstlane_b32 s36, v2
	v_readfirstlane_b32 s37, v3
	s_mov_b64 s[0:1], exec
	v_readlane_b32 s2, v50, 24
	v_readlane_b32 s3, v50, 25
	s_and_b64 s[2:3], s[0:1], s[2:3]
	s_mov_b64 exec, s[2:3]
	s_cbranch_execz .LBB37_184
; %bb.183:                              ;   in Loop: Header=BB37_17 Depth=1
	ds_write_b16 v36, v13
.LBB37_184:                             ;   in Loop: Header=BB37_17 Depth=1
	s_or_b64 exec, exec, s[0:1]
	s_lshl_b32 s0, 2, s40
	s_and_b32 s1, s93, s41
	s_or_b32 s93, s1, s0
	v_cmp_gt_i64_e64 s[0:1], s[36:37], 0
	s_or_b32 s92, s92, s44
	s_and_b64 vcc, exec, s[0:1]
	s_waitcnt lgkmcnt(0)
	s_barrier
	s_cbranch_vccnz .LBB37_199
; %bb.185:                              ;   in Loop: Header=BB37_17 Depth=1
	s_mov_b32 s90, s81
	s_cmp_lg_u64 s[90:91], 0
	s_cbranch_scc0 .LBB37_244
; %bb.186:                              ;   in Loop: Header=BB37_17 Depth=1
	v_cvt_f32_u32_e32 v2, s33
	s_sub_u32 s0, 0, s33
	s_subb_u32 s1, 0, 0
	v_mac_f32_e32 v2, 0x4f800000, v43
	v_rcp_f32_e32 v2, v2
	v_mul_f32_e32 v2, 0x5f7ffffc, v2
	v_mul_f32_e32 v3, 0x2f800000, v2
	v_trunc_f32_e32 v3, v3
	v_mac_f32_e32 v2, 0xcf800000, v3
	v_cvt_u32_f32_e32 v3, v3
	v_cvt_u32_f32_e32 v2, v2
	v_readfirstlane_b32 s2, v3
	v_readfirstlane_b32 s3, v2
	s_mul_i32 s6, s0, s2
	s_mul_hi_u32 s8, s0, s3
	s_mul_i32 s7, s1, s3
	s_add_i32 s6, s8, s6
	s_mul_i32 s9, s0, s3
	s_add_i32 s6, s6, s7
	s_mul_hi_u32 s8, s3, s9
	s_mul_hi_u32 s7, s3, s6
	s_mul_i32 s3, s3, s6
	s_add_u32 s3, s8, s3
	s_addc_u32 s7, 0, s7
	s_mul_hi_u32 s28, s2, s9
	s_mul_i32 s9, s2, s9
	s_add_u32 s3, s3, s9
	s_mul_hi_u32 s8, s2, s6
	s_addc_u32 s3, s7, s28
	s_addc_u32 s7, s8, 0
	s_mul_i32 s6, s2, s6
	s_add_u32 s3, s3, s6
	s_addc_u32 s6, 0, s7
	v_add_co_u32_e32 v2, vcc, s3, v2
	s_cmp_lg_u64 vcc, 0
	s_addc_u32 s2, s2, s6
	v_readfirstlane_b32 s6, v2
	s_mul_i32 s3, s0, s2
	s_mul_hi_u32 s7, s0, s6
	s_add_i32 s3, s7, s3
	s_mul_i32 s1, s1, s6
	s_add_i32 s3, s3, s1
	s_mul_i32 s0, s0, s6
	s_mul_hi_u32 s7, s2, s0
	s_mul_i32 s8, s2, s0
	s_mul_i32 s28, s6, s3
	s_mul_hi_u32 s0, s6, s0
	s_mul_hi_u32 s9, s6, s3
	s_add_u32 s0, s0, s28
	s_addc_u32 s6, 0, s9
	s_add_u32 s0, s0, s8
	s_mul_hi_u32 s1, s2, s3
	s_addc_u32 s0, s6, s7
	s_addc_u32 s1, s1, 0
	s_mul_i32 s3, s2, s3
	s_add_u32 s0, s0, s3
	s_addc_u32 s1, 0, s1
	v_add_co_u32_e32 v2, vcc, s0, v2
	s_cmp_lg_u64 vcc, 0
	s_addc_u32 s6, s2, s1
	s_ashr_i32 s0, s91, 31
	v_readlane_b32 s2, v50, 33
	s_add_u32 s2, s2, s0
	s_mov_b32 s1, s0
	s_addc_u32 s3, s91, s0
	s_xor_b64 s[2:3], s[2:3], s[0:1]
	v_readfirstlane_b32 s8, v2
	s_mul_i32 s7, s2, s6
	s_mul_hi_u32 s9, s2, s8
	s_mul_hi_u32 s1, s2, s6
	s_add_u32 s7, s9, s7
	s_addc_u32 s1, 0, s1
	s_mul_hi_u32 s28, s3, s8
	s_mul_i32 s8, s3, s8
	s_add_u32 s7, s7, s8
	s_mul_hi_u32 s9, s3, s6
	s_addc_u32 s1, s1, s28
	s_addc_u32 s7, s9, 0
	s_mul_i32 s6, s3, s6
	s_add_u32 s1, s1, s6
	s_addc_u32 s6, 0, s7
	s_mul_hi_u32 s7, s33, s1
	s_mul_i32 s1, s33, s1
	s_mul_i32 s6, s33, s6
	v_mov_b32_e32 v2, s1
	s_add_i32 s7, s7, s6
	v_sub_co_u32_e32 v2, vcc, s2, v2
	s_cmp_lg_u64 vcc, 0
	s_subb_u32 s1, s3, s7
	v_subrev_co_u32_e32 v3, vcc, s33, v2
	s_cmp_lg_u64 vcc, 0
	s_subb_u32 s2, s1, 0
	v_subrev_co_u32_e32 v4, vcc, s33, v3
	s_cmp_lg_u64 vcc, 0
	s_subb_u32 s3, s2, 0
	v_cmp_le_u32_e32 vcc, s33, v3
	s_cmp_eq_u32 s2, 0
	v_cndmask_b32_e64 v5, 0, -1, vcc
	s_cselect_b64 vcc, -1, 0
	v_cndmask_b32_e32 v5, -1, v5, vcc
	v_mov_b32_e32 v6, s2
	v_mov_b32_e32 v7, s3
	v_cmp_ne_u32_e32 vcc, 0, v5
	v_cndmask_b32_e32 v5, v6, v7, vcc
	v_cndmask_b32_e32 v3, v3, v4, vcc
	v_cmp_le_u32_e32 vcc, s33, v2
	s_cmp_eq_u32 s1, 0
	v_cndmask_b32_e64 v4, 0, -1, vcc
	s_cselect_b64 vcc, -1, 0
	v_cndmask_b32_e32 v4, -1, v4, vcc
	v_cmp_ne_u32_e32 vcc, 0, v4
	v_mov_b32_e32 v6, s1
	v_cndmask_b32_e32 v2, v2, v3, vcc
	v_cndmask_b32_e32 v4, v6, v5, vcc
	v_xor_b32_e32 v2, s0, v2
	v_xor_b32_e32 v3, s0, v4
	v_mov_b32_e32 v4, s0
	v_subrev_co_u32_e32 v2, vcc, s0, v2
	v_subb_co_u32_e32 v3, vcc, v3, v4, vcc
	s_cbranch_execnz .LBB37_188
.LBB37_187:                             ;   in Loop: Header=BB37_17 Depth=1
	v_cvt_f32_u32_e32 v2, s33
	s_sub_i32 s0, 0, s33
	v_rcp_iflag_f32_e32 v2, v2
	v_mul_f32_e32 v2, 0x4f7ffffe, v2
	v_cvt_u32_f32_e32 v2, v2
	v_mul_lo_u32 v3, s0, v2
	v_mul_hi_u32 v3, v2, v3
	v_add_u32_e32 v2, v2, v3
	v_readlane_b32 s0, v50, 33
	v_mul_hi_u32 v2, s0, v2
	v_mul_lo_u32 v2, v2, s33
	v_sub_u32_e32 v2, s0, v2
	v_subrev_u32_e32 v3, s33, v2
	v_cmp_le_u32_e32 vcc, s33, v2
	v_cndmask_b32_e32 v2, v2, v3, vcc
	v_subrev_u32_e32 v3, s33, v2
	v_cmp_le_u32_e32 vcc, s33, v2
	v_cndmask_b32_e32 v12, v2, v3, vcc
	v_pk_mov_b32 v[2:3], v[12:13], v[12:13] op_sel:[0,1]
.LBB37_188:                             ;   in Loop: Header=BB37_17 Depth=1
	v_readlane_b32 s0, v50, 33
	v_mov_b32_e32 v4, s91
	v_sub_co_u32_e32 v2, vcc, s0, v2
	v_subb_co_u32_e32 v3, vcc, v4, v3, vcc
	v_cmp_gt_i64_e32 vcc, v[2:3], v[0:1]
	s_mov_b64 s[0:1], 0
                                        ; implicit-def: $vgpr45
	s_and_saveexec_b64 s[2:3], vcc
	s_cbranch_execz .LBB37_201
; %bb.189:                              ;   in Loop: Header=BB37_17 Depth=1
	v_pk_mov_b32 v[4:5], v[10:11], v[10:11] op_sel:[0,1]
	v_pk_mov_b32 v[6:7], v[0:1], v[0:1] op_sel:[0,1]
                                        ; implicit-def: $sgpr8_sgpr9
	s_branch .LBB37_191
.LBB37_190:                             ;   in Loop: Header=BB37_191 Depth=2
	s_or_b64 exec, exec, s[6:7]
	s_waitcnt lgkmcnt(0)
	s_barrier
	s_waitcnt vmcnt(0)
	ds_read_b32 v8, v13 offset:3072
	v_mov_b32_e32 v9, s26
	v_add_co_u32_e64 v6, s[6:7], s33, v6
	v_addc_co_u32_e64 v7, s[6:7], v7, v9, s[6:7]
	s_waitcnt lgkmcnt(0)
	v_cmp_ne_u16_e32 vcc, 0, v8
	v_cmp_ge_i64_e64 s[6:7], v[6:7], v[2:3]
	s_or_b64 s[28:29], vcc, s[6:7]
	v_mov_b32_e32 v9, s83
	v_add_co_u32_e64 v4, s[6:7], s82, v4
	v_addc_co_u32_e64 v5, s[6:7], v5, v9, s[6:7]
	s_and_b64 s[6:7], exec, s[28:29]
	s_or_b64 s[0:1], s[6:7], s[0:1]
	s_andn2_b64 s[6:7], s[8:9], exec
	s_and_b64 s[8:9], vcc, exec
	s_or_b64 s[8:9], s[6:7], s[8:9]
	s_barrier
	s_andn2_b64 exec, exec, s[0:1]
	s_cbranch_execz .LBB37_200
.LBB37_191:                             ;   Parent Loop BB37_17 Depth=1
                                        ; =>  This Inner Loop Header: Depth=2
	v_cmp_gt_i64_e32 vcc, s[52:53], v[6:7]
	v_mov_b32_e32 v8, 0
	s_and_saveexec_b64 s[6:7], vcc
	s_cbranch_execz .LBB37_193
; %bb.192:                              ;   in Loop: Header=BB37_191 Depth=2
	global_load_ushort v8, v[4:5], off
.LBB37_193:                             ;   in Loop: Header=BB37_191 Depth=2
	s_or_b64 exec, exec, s[6:7]
	s_and_saveexec_b64 s[6:7], vcc
	s_cbranch_execz .LBB37_190
; %bb.194:                              ;   in Loop: Header=BB37_191 Depth=2
	s_waitcnt vmcnt(0)
	v_add_u32_sdwa v9, sext(v8), s27 dst_sel:DWORD dst_unused:UNUSED_PAD src0_sel:WORD_0 src1_sel:DWORD
	v_and_b32_e32 v9, s92, v9
	v_cmp_eq_u32_e32 vcc, s93, v9
	s_and_b64 exec, exec, vcc
	s_cbranch_execz .LBB37_190
; %bb.195:                              ;   in Loop: Header=BB37_191 Depth=2
	v_perm_b32 v8, v8, 1, v44
	ds_write_b32 v13, v8 offset:3072
	s_branch .LBB37_190
.LBB37_196:                             ;   in Loop: Header=BB37_17 Depth=1
                                        ; implicit-def: $sgpr28_sgpr29
                                        ; implicit-def: $sgpr34_sgpr35
                                        ; implicit-def: $sgpr30_sgpr31
	s_branch .LBB37_215
.LBB37_197:                             ;   in Loop: Header=BB37_17 Depth=1
                                        ; implicit-def: $vgpr2_vgpr3
	s_branch .LBB37_140
.LBB37_198:                             ;   in Loop: Header=BB37_17 Depth=1
                                        ; implicit-def: $vgpr2_vgpr3
	s_branch .LBB37_157
.LBB37_199:                             ;   in Loop: Header=BB37_17 Depth=1
	s_mov_b64 s[28:29], -1
	s_mov_b64 s[0:1], 0
                                        ; implicit-def: $sgpr30_sgpr31
                                        ; implicit-def: $vgpr45
	s_mov_b64 s[34:35], s[28:29]
	s_cbranch_execnz .LBB37_202
	s_branch .LBB37_215
.LBB37_200:                             ;   in Loop: Header=BB37_17 Depth=1
	s_or_b64 exec, exec, s[0:1]
	v_lshrrev_b32_e32 v45, 16, v8
	s_and_b64 s[0:1], s[8:9], exec
.LBB37_201:                             ;   in Loop: Header=BB37_17 Depth=1
	s_or_b64 exec, exec, s[2:3]
	s_mov_b64 s[30:31], -1
	s_mov_b64 s[28:29], 0
	s_mov_b64 s[34:35], s[28:29]
	s_branch .LBB37_215
.LBB37_202:                             ;   in Loop: Header=BB37_17 Depth=1
	v_readlane_b32 s0, v50, 32
	s_add_u32 s6, s0, s36
	v_readlane_b32 s0, v50, 34
	s_addc_u32 s1, s0, s37
	s_mov_b32 s0, s81
	s_cmp_lg_u64 s[0:1], 0
	s_cbranch_scc0 .LBB37_245
; %bb.203:                              ;   in Loop: Header=BB37_17 Depth=1
	v_cvt_f32_u32_e32 v2, s33
	s_sub_u32 s0, 0, s33
	s_subb_u32 s2, 0, 0
	v_mac_f32_e32 v2, 0x4f800000, v43
	v_rcp_f32_e32 v2, v2
	v_mul_f32_e32 v2, 0x5f7ffffc, v2
	v_mul_f32_e32 v3, 0x2f800000, v2
	v_trunc_f32_e32 v3, v3
	v_mac_f32_e32 v2, 0xcf800000, v3
	v_cvt_u32_f32_e32 v3, v3
	v_cvt_u32_f32_e32 v2, v2
	v_readfirstlane_b32 s3, v3
	v_readfirstlane_b32 s7, v2
	s_mul_i32 s8, s0, s3
	s_mul_hi_u32 s28, s0, s7
	s_mul_i32 s9, s2, s7
	s_add_i32 s8, s28, s8
	s_mul_i32 s29, s0, s7
	s_add_i32 s8, s8, s9
	s_mul_hi_u32 s28, s7, s29
	s_mul_hi_u32 s9, s7, s8
	s_mul_i32 s7, s7, s8
	s_add_u32 s7, s28, s7
	s_addc_u32 s9, 0, s9
	s_mul_hi_u32 s30, s3, s29
	s_mul_i32 s29, s3, s29
	s_add_u32 s7, s7, s29
	s_mul_hi_u32 s28, s3, s8
	s_addc_u32 s7, s9, s30
	s_addc_u32 s9, s28, 0
	s_mul_i32 s8, s3, s8
	s_add_u32 s7, s7, s8
	s_addc_u32 s8, 0, s9
	v_add_co_u32_e32 v2, vcc, s7, v2
	s_cmp_lg_u64 vcc, 0
	s_addc_u32 s3, s3, s8
	v_readfirstlane_b32 s8, v2
	s_mul_i32 s7, s0, s3
	s_mul_hi_u32 s9, s0, s8
	s_add_i32 s7, s9, s7
	s_mul_i32 s2, s2, s8
	s_add_i32 s7, s7, s2
	s_mul_i32 s0, s0, s8
	s_mul_hi_u32 s9, s3, s0
	s_mul_i32 s28, s3, s0
	s_mul_i32 s30, s8, s7
	s_mul_hi_u32 s0, s8, s0
	s_mul_hi_u32 s29, s8, s7
	s_add_u32 s0, s0, s30
	s_addc_u32 s8, 0, s29
	s_add_u32 s0, s0, s28
	s_mul_hi_u32 s2, s3, s7
	s_addc_u32 s0, s8, s9
	s_addc_u32 s2, s2, 0
	s_mul_i32 s7, s3, s7
	s_add_u32 s0, s0, s7
	s_addc_u32 s2, 0, s2
	v_add_co_u32_e32 v2, vcc, s0, v2
	s_cmp_lg_u64 vcc, 0
	s_addc_u32 s0, s3, s2
	s_ashr_i32 s2, s1, 31
	s_add_u32 s8, s6, s2
	s_mov_b32 s3, s2
	s_addc_u32 s9, s1, s2
	s_xor_b64 s[8:9], s[8:9], s[2:3]
	v_readfirstlane_b32 s28, v2
	s_mul_i32 s7, s8, s0
	s_mul_hi_u32 s29, s8, s28
	s_mul_hi_u32 s3, s8, s0
	s_add_u32 s7, s29, s7
	s_addc_u32 s3, 0, s3
	s_mul_hi_u32 s30, s9, s28
	s_mul_i32 s28, s9, s28
	s_add_u32 s7, s7, s28
	s_mul_hi_u32 s29, s9, s0
	s_addc_u32 s3, s3, s30
	s_addc_u32 s7, s29, 0
	s_mul_i32 s0, s9, s0
	s_add_u32 s0, s3, s0
	s_addc_u32 s3, 0, s7
	s_mul_hi_u32 s7, s33, s0
	s_mul_i32 s0, s33, s0
	s_mul_i32 s3, s33, s3
	v_mov_b32_e32 v2, s0
	s_add_i32 s7, s7, s3
	v_sub_co_u32_e32 v2, vcc, s8, v2
	s_cmp_lg_u64 vcc, 0
	s_subb_u32 s0, s9, s7
	v_subrev_co_u32_e32 v3, vcc, s33, v2
	s_cmp_lg_u64 vcc, 0
	s_subb_u32 s3, s0, 0
	v_subrev_co_u32_e32 v4, vcc, s33, v3
	s_cmp_lg_u64 vcc, 0
	s_subb_u32 s7, s3, 0
	v_cmp_le_u32_e32 vcc, s33, v3
	s_cmp_eq_u32 s3, 0
	v_cndmask_b32_e64 v5, 0, -1, vcc
	s_cselect_b64 vcc, -1, 0
	v_cndmask_b32_e32 v5, -1, v5, vcc
	v_mov_b32_e32 v6, s3
	v_mov_b32_e32 v7, s7
	v_cmp_ne_u32_e32 vcc, 0, v5
	v_cndmask_b32_e32 v5, v6, v7, vcc
	v_cndmask_b32_e32 v3, v3, v4, vcc
	v_cmp_le_u32_e32 vcc, s33, v2
	s_cmp_eq_u32 s0, 0
	v_cndmask_b32_e64 v4, 0, -1, vcc
	s_cselect_b64 vcc, -1, 0
	v_cndmask_b32_e32 v4, -1, v4, vcc
	v_cmp_ne_u32_e32 vcc, 0, v4
	v_mov_b32_e32 v6, s0
	v_cndmask_b32_e32 v2, v2, v3, vcc
	v_cndmask_b32_e32 v4, v6, v5, vcc
	v_xor_b32_e32 v2, s2, v2
	v_xor_b32_e32 v3, s2, v4
	v_mov_b32_e32 v4, s2
	v_subrev_co_u32_e32 v2, vcc, s2, v2
	v_subb_co_u32_e32 v3, vcc, v3, v4, vcc
	s_cbranch_execnz .LBB37_205
.LBB37_204:                             ;   in Loop: Header=BB37_17 Depth=1
	v_cvt_f32_u32_e32 v2, s33
	s_sub_i32 s0, 0, s33
	v_rcp_iflag_f32_e32 v2, v2
	v_mul_f32_e32 v2, 0x4f7ffffe, v2
	v_cvt_u32_f32_e32 v2, v2
	v_mul_lo_u32 v3, s0, v2
	v_mul_hi_u32 v3, v2, v3
	v_add_u32_e32 v2, v2, v3
	v_mul_hi_u32 v2, s6, v2
	v_mul_lo_u32 v2, v2, s33
	v_sub_u32_e32 v2, s6, v2
	v_subrev_u32_e32 v3, s33, v2
	v_cmp_le_u32_e32 vcc, s33, v2
	v_cndmask_b32_e32 v2, v2, v3, vcc
	v_subrev_u32_e32 v3, s33, v2
	v_cmp_le_u32_e32 vcc, s33, v2
	v_cndmask_b32_e32 v12, v2, v3, vcc
	v_pk_mov_b32 v[2:3], v[12:13], v[12:13] op_sel:[0,1]
.LBB37_205:                             ;   in Loop: Header=BB37_17 Depth=1
	v_mov_b32_e32 v4, s1
	v_sub_co_u32_e32 v2, vcc, s6, v2
	v_subb_co_u32_e32 v3, vcc, v4, v3, vcc
	v_cmp_gt_i64_e32 vcc, v[2:3], v[0:1]
	s_mov_b64 s[0:1], 0
                                        ; implicit-def: $vgpr45
	s_and_saveexec_b64 s[2:3], vcc
	s_cbranch_execz .LBB37_214
; %bb.206:                              ;   in Loop: Header=BB37_17 Depth=1
	v_mov_b32_e32 v6, v35
	v_pk_mov_b32 v[4:5], v[0:1], v[0:1] op_sel:[0,1]
                                        ; implicit-def: $sgpr8_sgpr9
	s_branch .LBB37_208
.LBB37_207:                             ;   in Loop: Header=BB37_208 Depth=2
	s_or_b64 exec, exec, s[6:7]
	s_waitcnt lgkmcnt(0)
	s_barrier
	ds_read_b32 v7, v13 offset:3072
	v_mov_b32_e32 v8, s26
	v_add_co_u32_e64 v4, s[6:7], s33, v4
	v_addc_co_u32_e64 v5, s[6:7], v5, v8, s[6:7]
	s_waitcnt lgkmcnt(0)
	v_cmp_ne_u16_e32 vcc, 0, v7
	v_cmp_ge_i64_e64 s[6:7], v[4:5], v[2:3]
	s_or_b64 s[6:7], vcc, s[6:7]
	s_and_b64 s[6:7], exec, s[6:7]
	s_or_b64 s[0:1], s[6:7], s[0:1]
	s_andn2_b64 s[6:7], s[8:9], exec
	s_and_b64 s[8:9], vcc, exec
	v_add_u32_e32 v6, s61, v6
	s_or_b64 s[8:9], s[6:7], s[8:9]
	s_barrier
	s_andn2_b64 exec, exec, s[0:1]
	s_cbranch_execz .LBB37_213
.LBB37_208:                             ;   Parent Loop BB37_17 Depth=1
                                        ; =>  This Inner Loop Header: Depth=2
	v_cmp_gt_i64_e32 vcc, s[36:37], v[4:5]
	v_mov_b32_e32 v7, 0
	s_and_saveexec_b64 s[6:7], vcc
	s_cbranch_execz .LBB37_210
; %bb.209:                              ;   in Loop: Header=BB37_208 Depth=2
	ds_read_u16 v7, v6
.LBB37_210:                             ;   in Loop: Header=BB37_208 Depth=2
	s_or_b64 exec, exec, s[6:7]
	s_and_saveexec_b64 s[6:7], vcc
	s_cbranch_execz .LBB37_207
; %bb.211:                              ;   in Loop: Header=BB37_208 Depth=2
	s_waitcnt lgkmcnt(0)
	v_add_u32_sdwa v8, sext(v7), s27 dst_sel:DWORD dst_unused:UNUSED_PAD src0_sel:WORD_0 src1_sel:DWORD
	v_and_b32_e32 v8, s92, v8
	v_cmp_eq_u32_e32 vcc, s93, v8
	s_and_b64 exec, exec, vcc
	s_cbranch_execz .LBB37_207
; %bb.212:                              ;   in Loop: Header=BB37_208 Depth=2
	v_perm_b32 v7, v7, 1, v44
	ds_write_b32 v13, v7 offset:3072
	s_branch .LBB37_207
.LBB37_213:                             ;   in Loop: Header=BB37_17 Depth=1
	s_or_b64 exec, exec, s[0:1]
	v_lshrrev_b32_e32 v45, 16, v7
	s_and_b64 s[0:1], s[8:9], exec
.LBB37_214:                             ;   in Loop: Header=BB37_17 Depth=1
	s_or_b64 exec, exec, s[2:3]
	s_mov_b64 s[34:35], -1
	s_mov_b64 s[28:29], 0
	s_mov_b64 s[30:31], 0
.LBB37_215:                             ;   in Loop: Header=BB37_17 Depth=1
	s_mov_b64 s[2:3], 0
                                        ; implicit-def: $sgpr45
	s_and_saveexec_b64 s[36:37], s[0:1]
	s_cbranch_execz .LBB37_277
; %bb.216:                              ;   in Loop: Header=BB37_17 Depth=1
	s_xor_b64 s[0:1], s[38:39], -1
	s_andn2_b64 vcc, exec, s[0:1]
	s_mov_b32 s45, 1
	s_cbranch_vccnz .LBB37_227
; %bb.217:                              ;   in Loop: Header=BB37_17 Depth=1
	v_pk_mov_b32 v[2:3], s[16:17], s[16:17] op_sel:[0,1]
	v_cmp_gt_i64_e32 vcc, s[54:55], v[2:3]
	s_mov_b64 s[0:1], -1
                                        ; implicit-def: $sgpr45
                                        ; implicit-def: $sgpr2
                                        ; implicit-def: $sgpr3
	s_cbranch_vccnz .LBB37_223
; %bb.218:                              ;   in Loop: Header=BB37_17 Depth=1
	ds_read_b64 v[2:3], v13 offset:5120
	s_waitcnt lgkmcnt(0)
	v_cmp_ne_u64_e32 vcc, 0, v[2:3]
	s_cbranch_vccnz .LBB37_222
; %bb.219:                              ;   in Loop: Header=BB37_17 Depth=1
	s_mov_b64 s[0:1], exec
	v_readlane_b32 s2, v50, 12
	v_readlane_b32 s3, v50, 13
	s_and_b64 s[2:3], s[0:1], s[2:3]
	s_mov_b64 exec, s[2:3]
	s_cbranch_execz .LBB37_221
; %bb.220:                              ;   in Loop: Header=BB37_17 Depth=1
	v_pk_mov_b32 v[2:3], s[16:17], s[16:17] op_sel:[0,1]
	ds_write_b64 v13, v[2:3] offset:5128
.LBB37_221:                             ;   in Loop: Header=BB37_17 Depth=1
	s_or_b64 exec, exec, s[0:1]
	s_waitcnt lgkmcnt(0)
	s_barrier
.LBB37_222:                             ;   in Loop: Header=BB37_17 Depth=1
	s_lshl_b32 s0, 2, s40
	s_and_b32 s1, s93, s41
	s_or_b32 s2, s1, s0
	s_or_b32 s3, s92, s44
	s_mov_b64 s[0:1], 0
	s_mov_b32 s45, 8
.LBB37_223:                             ;   in Loop: Header=BB37_17 Depth=1
	s_andn2_b64 vcc, exec, s[0:1]
	s_cbranch_vccnz .LBB37_225
; %bb.224:                              ;   in Loop: Header=BB37_17 Depth=1
	s_sub_u32 s54, s54, s16
	s_subb_u32 s55, s55, s17
	s_mov_b64 s[0:1], -1
	s_mov_b32 s45, 0
	s_mov_b32 s2, s93
	;; [unrolled: 1-line block ×3, first 2 shown]
.LBB37_225:                             ;   in Loop: Header=BB37_17 Depth=1
	s_mov_b32 s92, s3
	s_mov_b32 s93, s2
	s_andn2_b64 vcc, exec, s[0:1]
	s_mov_b64 s[40:41], -1
	s_cbranch_vccz .LBB37_228
.LBB37_226:                             ;   in Loop: Header=BB37_17 Depth=1
                                        ; implicit-def: $sgpr0_sgpr1
                                        ; implicit-def: $sgpr6_sgpr7
                                        ; implicit-def: $sgpr2_sgpr3
	s_branch .LBB37_276
.LBB37_227:                             ;   in Loop: Header=BB37_17 Depth=1
	s_mov_b64 s[54:55], 1
	s_mov_b64 s[40:41], -1
	s_cbranch_execnz .LBB37_226
.LBB37_228:                             ;   in Loop: Header=BB37_17 Depth=1
	s_cmp_eq_u64 s[10:11], 1
	s_cselect_b64 s[0:1], -1, 0
	s_cmp_eq_u64 s[54:55], 1
	s_cselect_b64 s[2:3], -1, 0
	s_and_b64 s[16:17], s[0:1], s[2:3]
	s_mov_b64 s[8:9], -1
	s_and_b64 vcc, exec, s[16:17]
	s_cbranch_vccz .LBB37_243
; %bb.229:                              ;   in Loop: Header=BB37_17 Depth=1
	ds_read_b64 v[2:3], v13 offset:5120
	s_waitcnt lgkmcnt(0)
	s_barrier
	v_readfirstlane_b32 s38, v2
	v_readfirstlane_b32 s39, v3
	s_mov_b64 s[0:1], exec
	v_readlane_b32 s2, v50, 24
	v_readlane_b32 s3, v50, 25
	s_and_b64 s[2:3], s[0:1], s[2:3]
	s_mov_b64 exec, s[2:3]
	s_cbranch_execz .LBB37_231
; %bb.230:                              ;   in Loop: Header=BB37_17 Depth=1
	ds_write_b16 v36, v13
.LBB37_231:                             ;   in Loop: Header=BB37_17 Depth=1
	s_or_b64 exec, exec, s[0:1]
	v_cmp_gt_i64_e64 s[0:1], s[38:39], 0
	s_or_b32 s93, s93, s44
	s_or_b32 s92, s92, s44
	s_and_b64 vcc, exec, s[0:1]
	s_waitcnt lgkmcnt(0)
	s_barrier
	s_cbranch_vccnz .LBB37_246
; %bb.232:                              ;   in Loop: Header=BB37_17 Depth=1
	s_mov_b32 s90, s81
	s_cmp_lg_u64 s[90:91], 0
	s_cbranch_scc0 .LBB37_282
; %bb.233:                              ;   in Loop: Header=BB37_17 Depth=1
	v_cvt_f32_u32_e32 v2, s33
	s_sub_u32 s0, 0, s33
	s_subb_u32 s1, 0, 0
	v_mac_f32_e32 v2, 0x4f800000, v43
	v_rcp_f32_e32 v2, v2
	v_mul_f32_e32 v2, 0x5f7ffffc, v2
	v_mul_f32_e32 v3, 0x2f800000, v2
	v_trunc_f32_e32 v3, v3
	v_mac_f32_e32 v2, 0xcf800000, v3
	v_cvt_u32_f32_e32 v3, v3
	v_cvt_u32_f32_e32 v2, v2
	v_readfirstlane_b32 s2, v3
	v_readfirstlane_b32 s3, v2
	s_mul_i32 s6, s0, s2
	s_mul_hi_u32 s8, s0, s3
	s_mul_i32 s7, s1, s3
	s_add_i32 s6, s8, s6
	s_mul_i32 s9, s0, s3
	s_add_i32 s6, s6, s7
	s_mul_hi_u32 s8, s3, s9
	s_mul_hi_u32 s7, s3, s6
	s_mul_i32 s3, s3, s6
	s_add_u32 s3, s8, s3
	s_addc_u32 s7, 0, s7
	s_mul_hi_u32 s40, s2, s9
	s_mul_i32 s9, s2, s9
	s_add_u32 s3, s3, s9
	s_mul_hi_u32 s8, s2, s6
	s_addc_u32 s3, s7, s40
	s_addc_u32 s7, s8, 0
	s_mul_i32 s6, s2, s6
	s_add_u32 s3, s3, s6
	s_addc_u32 s6, 0, s7
	v_add_co_u32_e32 v2, vcc, s3, v2
	s_cmp_lg_u64 vcc, 0
	s_addc_u32 s2, s2, s6
	v_readfirstlane_b32 s6, v2
	s_mul_i32 s3, s0, s2
	s_mul_hi_u32 s7, s0, s6
	s_add_i32 s3, s7, s3
	s_mul_i32 s1, s1, s6
	s_add_i32 s3, s3, s1
	s_mul_i32 s0, s0, s6
	s_mul_hi_u32 s7, s2, s0
	s_mul_i32 s8, s2, s0
	s_mul_i32 s40, s6, s3
	s_mul_hi_u32 s0, s6, s0
	s_mul_hi_u32 s9, s6, s3
	s_add_u32 s0, s0, s40
	s_addc_u32 s6, 0, s9
	s_add_u32 s0, s0, s8
	s_mul_hi_u32 s1, s2, s3
	s_addc_u32 s0, s6, s7
	s_addc_u32 s1, s1, 0
	s_mul_i32 s3, s2, s3
	s_add_u32 s0, s0, s3
	s_addc_u32 s1, 0, s1
	v_add_co_u32_e32 v2, vcc, s0, v2
	s_cmp_lg_u64 vcc, 0
	s_addc_u32 s6, s2, s1
	s_ashr_i32 s0, s91, 31
	v_readlane_b32 s2, v50, 33
	s_add_u32 s2, s2, s0
	s_mov_b32 s1, s0
	s_addc_u32 s3, s91, s0
	s_xor_b64 s[2:3], s[2:3], s[0:1]
	v_readfirstlane_b32 s8, v2
	s_mul_i32 s7, s2, s6
	s_mul_hi_u32 s9, s2, s8
	s_mul_hi_u32 s1, s2, s6
	s_add_u32 s7, s9, s7
	s_addc_u32 s1, 0, s1
	s_mul_hi_u32 s40, s3, s8
	s_mul_i32 s8, s3, s8
	s_add_u32 s7, s7, s8
	s_mul_hi_u32 s9, s3, s6
	s_addc_u32 s1, s1, s40
	s_addc_u32 s7, s9, 0
	s_mul_i32 s6, s3, s6
	s_add_u32 s1, s1, s6
	s_addc_u32 s6, 0, s7
	s_mul_hi_u32 s7, s33, s1
	s_mul_i32 s1, s33, s1
	s_mul_i32 s6, s33, s6
	v_mov_b32_e32 v2, s1
	s_add_i32 s7, s7, s6
	v_sub_co_u32_e32 v2, vcc, s2, v2
	s_cmp_lg_u64 vcc, 0
	s_subb_u32 s1, s3, s7
	v_subrev_co_u32_e32 v3, vcc, s33, v2
	s_cmp_lg_u64 vcc, 0
	s_subb_u32 s2, s1, 0
	v_subrev_co_u32_e32 v4, vcc, s33, v3
	s_cmp_lg_u64 vcc, 0
	s_subb_u32 s3, s2, 0
	v_cmp_le_u32_e32 vcc, s33, v3
	s_cmp_eq_u32 s2, 0
	v_cndmask_b32_e64 v5, 0, -1, vcc
	s_cselect_b64 vcc, -1, 0
	v_cndmask_b32_e32 v5, -1, v5, vcc
	v_mov_b32_e32 v6, s2
	v_mov_b32_e32 v7, s3
	v_cmp_ne_u32_e32 vcc, 0, v5
	v_cndmask_b32_e32 v5, v6, v7, vcc
	v_cndmask_b32_e32 v3, v3, v4, vcc
	v_cmp_le_u32_e32 vcc, s33, v2
	s_cmp_eq_u32 s1, 0
	v_cndmask_b32_e64 v4, 0, -1, vcc
	s_cselect_b64 vcc, -1, 0
	v_cndmask_b32_e32 v4, -1, v4, vcc
	v_cmp_ne_u32_e32 vcc, 0, v4
	v_mov_b32_e32 v6, s1
	v_cndmask_b32_e32 v2, v2, v3, vcc
	v_cndmask_b32_e32 v4, v6, v5, vcc
	v_xor_b32_e32 v2, s0, v2
	v_xor_b32_e32 v3, s0, v4
	v_mov_b32_e32 v4, s0
	v_subrev_co_u32_e32 v2, vcc, s0, v2
	v_subb_co_u32_e32 v3, vcc, v3, v4, vcc
	s_cbranch_execnz .LBB37_235
.LBB37_234:                             ;   in Loop: Header=BB37_17 Depth=1
	v_cvt_f32_u32_e32 v2, s33
	s_sub_i32 s0, 0, s33
	v_rcp_iflag_f32_e32 v2, v2
	v_mul_f32_e32 v2, 0x4f7ffffe, v2
	v_cvt_u32_f32_e32 v2, v2
	v_mul_lo_u32 v3, s0, v2
	v_mul_hi_u32 v3, v2, v3
	v_add_u32_e32 v2, v2, v3
	v_readlane_b32 s0, v50, 33
	v_mul_hi_u32 v2, s0, v2
	v_mul_lo_u32 v2, v2, s33
	v_sub_u32_e32 v2, s0, v2
	v_subrev_u32_e32 v3, s33, v2
	v_cmp_le_u32_e32 vcc, s33, v2
	v_cndmask_b32_e32 v2, v2, v3, vcc
	v_subrev_u32_e32 v3, s33, v2
	v_cmp_le_u32_e32 vcc, s33, v2
	v_cndmask_b32_e32 v12, v2, v3, vcc
	v_pk_mov_b32 v[2:3], v[12:13], v[12:13] op_sel:[0,1]
.LBB37_235:                             ;   in Loop: Header=BB37_17 Depth=1
	v_readlane_b32 s0, v50, 33
	v_mov_b32_e32 v4, s91
	v_sub_co_u32_e32 v2, vcc, s0, v2
	v_subb_co_u32_e32 v3, vcc, v4, v3, vcc
	v_cmp_gt_i64_e32 vcc, v[2:3], v[0:1]
	s_mov_b64 s[8:9], 0
                                        ; implicit-def: $vgpr45
	s_and_saveexec_b64 s[0:1], vcc
	s_cbranch_execz .LBB37_248
; %bb.236:                              ;   in Loop: Header=BB37_17 Depth=1
	s_mov_b64 s[2:3], 0
	v_pk_mov_b32 v[4:5], v[10:11], v[10:11] op_sel:[0,1]
	v_pk_mov_b32 v[6:7], v[0:1], v[0:1] op_sel:[0,1]
                                        ; implicit-def: $sgpr8_sgpr9
	s_branch .LBB37_238
.LBB37_237:                             ;   in Loop: Header=BB37_238 Depth=2
	s_or_b64 exec, exec, s[6:7]
	s_waitcnt lgkmcnt(0)
	s_barrier
	s_waitcnt vmcnt(0)
	ds_read_b32 v8, v13 offset:3072
	v_mov_b32_e32 v9, s26
	v_add_co_u32_e64 v6, s[6:7], s33, v6
	v_addc_co_u32_e64 v7, s[6:7], v7, v9, s[6:7]
	s_waitcnt lgkmcnt(0)
	v_cmp_ne_u16_e32 vcc, 0, v8
	v_cmp_ge_i64_e64 s[6:7], v[6:7], v[2:3]
	s_or_b64 s[40:41], vcc, s[6:7]
	v_mov_b32_e32 v9, s83
	v_add_co_u32_e64 v4, s[6:7], s82, v4
	v_addc_co_u32_e64 v5, s[6:7], v5, v9, s[6:7]
	s_and_b64 s[6:7], exec, s[40:41]
	s_or_b64 s[2:3], s[6:7], s[2:3]
	s_andn2_b64 s[6:7], s[8:9], exec
	s_and_b64 s[8:9], vcc, exec
	s_or_b64 s[8:9], s[6:7], s[8:9]
	s_barrier
	s_andn2_b64 exec, exec, s[2:3]
	s_cbranch_execz .LBB37_247
.LBB37_238:                             ;   Parent Loop BB37_17 Depth=1
                                        ; =>  This Inner Loop Header: Depth=2
	v_cmp_gt_i64_e32 vcc, s[52:53], v[6:7]
	v_mov_b32_e32 v8, 0
	s_and_saveexec_b64 s[6:7], vcc
	s_cbranch_execz .LBB37_240
; %bb.239:                              ;   in Loop: Header=BB37_238 Depth=2
	global_load_ushort v8, v[4:5], off
.LBB37_240:                             ;   in Loop: Header=BB37_238 Depth=2
	s_or_b64 exec, exec, s[6:7]
	s_and_saveexec_b64 s[6:7], vcc
	s_cbranch_execz .LBB37_237
; %bb.241:                              ;   in Loop: Header=BB37_238 Depth=2
	s_waitcnt vmcnt(0)
	v_add_u32_sdwa v9, sext(v8), s27 dst_sel:DWORD dst_unused:UNUSED_PAD src0_sel:WORD_0 src1_sel:DWORD
	v_and_b32_e32 v9, s92, v9
	v_cmp_eq_u32_e32 vcc, s93, v9
	s_and_b64 exec, exec, vcc
	s_cbranch_execz .LBB37_237
; %bb.242:                              ;   in Loop: Header=BB37_238 Depth=2
	v_perm_b32 v8, v8, 1, v44
	ds_write_b32 v13, v8 offset:3072
	s_branch .LBB37_237
.LBB37_243:                             ;   in Loop: Header=BB37_17 Depth=1
                                        ; implicit-def: $sgpr0_sgpr1
                                        ; implicit-def: $sgpr6_sgpr7
                                        ; implicit-def: $sgpr2_sgpr3
	s_branch .LBB37_262
.LBB37_244:                             ;   in Loop: Header=BB37_17 Depth=1
                                        ; implicit-def: $vgpr2_vgpr3
	s_branch .LBB37_187
.LBB37_245:                             ;   in Loop: Header=BB37_17 Depth=1
                                        ; implicit-def: $vgpr2_vgpr3
	s_branch .LBB37_204
.LBB37_246:                             ;   in Loop: Header=BB37_17 Depth=1
	s_mov_b64 s[0:1], -1
	s_mov_b64 s[8:9], 0
                                        ; implicit-def: $sgpr2_sgpr3
                                        ; implicit-def: $vgpr45
	s_mov_b64 s[6:7], s[0:1]
	s_cbranch_execnz .LBB37_249
	s_branch .LBB37_262
.LBB37_247:                             ;   in Loop: Header=BB37_17 Depth=1
	s_or_b64 exec, exec, s[2:3]
	v_lshrrev_b32_e32 v45, 16, v8
	s_and_b64 s[8:9], s[8:9], exec
.LBB37_248:                             ;   in Loop: Header=BB37_17 Depth=1
	s_or_b64 exec, exec, s[0:1]
	s_mov_b64 s[2:3], -1
	s_mov_b64 s[0:1], 0
	s_mov_b64 s[6:7], s[0:1]
	s_branch .LBB37_262
.LBB37_249:                             ;   in Loop: Header=BB37_17 Depth=1
	v_readlane_b32 s0, v50, 32
	s_add_u32 s6, s0, s38
	v_readlane_b32 s0, v50, 34
	s_addc_u32 s1, s0, s39
	s_mov_b32 s0, s81
	s_cmp_lg_u64 s[0:1], 0
	s_cbranch_scc0 .LBB37_283
; %bb.250:                              ;   in Loop: Header=BB37_17 Depth=1
	v_cvt_f32_u32_e32 v2, s33
	s_sub_u32 s0, 0, s33
	s_subb_u32 s2, 0, 0
	v_mac_f32_e32 v2, 0x4f800000, v43
	v_rcp_f32_e32 v2, v2
	v_mul_f32_e32 v2, 0x5f7ffffc, v2
	v_mul_f32_e32 v3, 0x2f800000, v2
	v_trunc_f32_e32 v3, v3
	v_mac_f32_e32 v2, 0xcf800000, v3
	v_cvt_u32_f32_e32 v3, v3
	v_cvt_u32_f32_e32 v2, v2
	v_readfirstlane_b32 s3, v3
	v_readfirstlane_b32 s7, v2
	s_mul_i32 s8, s0, s3
	s_mul_hi_u32 s40, s0, s7
	s_mul_i32 s9, s2, s7
	s_add_i32 s8, s40, s8
	s_mul_i32 s41, s0, s7
	s_add_i32 s8, s8, s9
	s_mul_hi_u32 s40, s7, s41
	s_mul_hi_u32 s9, s7, s8
	s_mul_i32 s7, s7, s8
	s_add_u32 s7, s40, s7
	s_addc_u32 s9, 0, s9
	s_mul_hi_u32 s42, s3, s41
	s_mul_i32 s41, s3, s41
	s_add_u32 s7, s7, s41
	s_mul_hi_u32 s40, s3, s8
	s_addc_u32 s7, s9, s42
	s_addc_u32 s9, s40, 0
	s_mul_i32 s8, s3, s8
	s_add_u32 s7, s7, s8
	s_addc_u32 s8, 0, s9
	v_add_co_u32_e32 v2, vcc, s7, v2
	s_cmp_lg_u64 vcc, 0
	s_addc_u32 s3, s3, s8
	v_readfirstlane_b32 s8, v2
	s_mul_i32 s7, s0, s3
	s_mul_hi_u32 s9, s0, s8
	s_add_i32 s7, s9, s7
	s_mul_i32 s2, s2, s8
	s_add_i32 s7, s7, s2
	s_mul_i32 s0, s0, s8
	s_mul_hi_u32 s9, s3, s0
	s_mul_i32 s40, s3, s0
	s_mul_i32 s42, s8, s7
	s_mul_hi_u32 s0, s8, s0
	s_mul_hi_u32 s41, s8, s7
	s_add_u32 s0, s0, s42
	s_addc_u32 s8, 0, s41
	s_add_u32 s0, s0, s40
	s_mul_hi_u32 s2, s3, s7
	s_addc_u32 s0, s8, s9
	s_addc_u32 s2, s2, 0
	s_mul_i32 s7, s3, s7
	s_add_u32 s0, s0, s7
	s_addc_u32 s2, 0, s2
	v_add_co_u32_e32 v2, vcc, s0, v2
	s_cmp_lg_u64 vcc, 0
	s_addc_u32 s0, s3, s2
	s_ashr_i32 s2, s1, 31
	s_add_u32 s8, s6, s2
	s_mov_b32 s3, s2
	s_addc_u32 s9, s1, s2
	s_xor_b64 s[8:9], s[8:9], s[2:3]
	v_readfirstlane_b32 s40, v2
	s_mul_i32 s7, s8, s0
	s_mul_hi_u32 s41, s8, s40
	s_mul_hi_u32 s3, s8, s0
	s_add_u32 s7, s41, s7
	s_addc_u32 s3, 0, s3
	s_mul_hi_u32 s42, s9, s40
	s_mul_i32 s40, s9, s40
	s_add_u32 s7, s7, s40
	s_mul_hi_u32 s41, s9, s0
	s_addc_u32 s3, s3, s42
	s_addc_u32 s7, s41, 0
	s_mul_i32 s0, s9, s0
	s_add_u32 s0, s3, s0
	s_addc_u32 s3, 0, s7
	s_mul_hi_u32 s7, s33, s0
	s_mul_i32 s0, s33, s0
	s_mul_i32 s3, s33, s3
	v_mov_b32_e32 v2, s0
	s_add_i32 s7, s7, s3
	v_sub_co_u32_e32 v2, vcc, s8, v2
	s_cmp_lg_u64 vcc, 0
	s_subb_u32 s0, s9, s7
	v_subrev_co_u32_e32 v3, vcc, s33, v2
	s_cmp_lg_u64 vcc, 0
	s_subb_u32 s3, s0, 0
	v_subrev_co_u32_e32 v4, vcc, s33, v3
	s_cmp_lg_u64 vcc, 0
	s_subb_u32 s7, s3, 0
	v_cmp_le_u32_e32 vcc, s33, v3
	s_cmp_eq_u32 s3, 0
	v_cndmask_b32_e64 v5, 0, -1, vcc
	s_cselect_b64 vcc, -1, 0
	v_cndmask_b32_e32 v5, -1, v5, vcc
	v_mov_b32_e32 v6, s3
	v_mov_b32_e32 v7, s7
	v_cmp_ne_u32_e32 vcc, 0, v5
	v_cndmask_b32_e32 v5, v6, v7, vcc
	v_cndmask_b32_e32 v3, v3, v4, vcc
	v_cmp_le_u32_e32 vcc, s33, v2
	s_cmp_eq_u32 s0, 0
	v_cndmask_b32_e64 v4, 0, -1, vcc
	s_cselect_b64 vcc, -1, 0
	v_cndmask_b32_e32 v4, -1, v4, vcc
	v_cmp_ne_u32_e32 vcc, 0, v4
	v_mov_b32_e32 v6, s0
	v_cndmask_b32_e32 v2, v2, v3, vcc
	v_cndmask_b32_e32 v4, v6, v5, vcc
	v_xor_b32_e32 v2, s2, v2
	v_xor_b32_e32 v3, s2, v4
	v_mov_b32_e32 v4, s2
	v_subrev_co_u32_e32 v2, vcc, s2, v2
	v_subb_co_u32_e32 v3, vcc, v3, v4, vcc
	s_cbranch_execnz .LBB37_252
.LBB37_251:                             ;   in Loop: Header=BB37_17 Depth=1
	v_cvt_f32_u32_e32 v2, s33
	s_sub_i32 s0, 0, s33
	v_rcp_iflag_f32_e32 v2, v2
	v_mul_f32_e32 v2, 0x4f7ffffe, v2
	v_cvt_u32_f32_e32 v2, v2
	v_mul_lo_u32 v3, s0, v2
	v_mul_hi_u32 v3, v2, v3
	v_add_u32_e32 v2, v2, v3
	v_mul_hi_u32 v2, s6, v2
	v_mul_lo_u32 v2, v2, s33
	v_sub_u32_e32 v2, s6, v2
	v_subrev_u32_e32 v3, s33, v2
	v_cmp_le_u32_e32 vcc, s33, v2
	v_cndmask_b32_e32 v2, v2, v3, vcc
	v_subrev_u32_e32 v3, s33, v2
	v_cmp_le_u32_e32 vcc, s33, v2
	v_cndmask_b32_e32 v12, v2, v3, vcc
	v_pk_mov_b32 v[2:3], v[12:13], v[12:13] op_sel:[0,1]
.LBB37_252:                             ;   in Loop: Header=BB37_17 Depth=1
	v_mov_b32_e32 v4, s1
	v_sub_co_u32_e32 v2, vcc, s6, v2
	v_subb_co_u32_e32 v3, vcc, v4, v3, vcc
	v_cmp_gt_i64_e32 vcc, v[2:3], v[0:1]
	s_mov_b64 s[8:9], 0
                                        ; implicit-def: $vgpr45
	s_and_saveexec_b64 s[0:1], vcc
	s_cbranch_execz .LBB37_261
; %bb.253:                              ;   in Loop: Header=BB37_17 Depth=1
	s_mov_b64 s[2:3], 0
	v_mov_b32_e32 v6, v35
	v_pk_mov_b32 v[4:5], v[0:1], v[0:1] op_sel:[0,1]
                                        ; implicit-def: $sgpr8_sgpr9
	s_branch .LBB37_255
.LBB37_254:                             ;   in Loop: Header=BB37_255 Depth=2
	s_or_b64 exec, exec, s[6:7]
	s_waitcnt lgkmcnt(0)
	s_barrier
	ds_read_b32 v7, v13 offset:3072
	v_mov_b32_e32 v8, s26
	v_add_co_u32_e64 v4, s[6:7], s33, v4
	v_addc_co_u32_e64 v5, s[6:7], v5, v8, s[6:7]
	s_waitcnt lgkmcnt(0)
	v_cmp_ne_u16_e32 vcc, 0, v7
	v_cmp_ge_i64_e64 s[6:7], v[4:5], v[2:3]
	s_or_b64 s[6:7], vcc, s[6:7]
	s_and_b64 s[6:7], exec, s[6:7]
	s_or_b64 s[2:3], s[6:7], s[2:3]
	s_andn2_b64 s[6:7], s[8:9], exec
	s_and_b64 s[8:9], vcc, exec
	v_add_u32_e32 v6, s61, v6
	s_or_b64 s[8:9], s[6:7], s[8:9]
	s_barrier
	s_andn2_b64 exec, exec, s[2:3]
	s_cbranch_execz .LBB37_260
.LBB37_255:                             ;   Parent Loop BB37_17 Depth=1
                                        ; =>  This Inner Loop Header: Depth=2
	v_cmp_gt_i64_e32 vcc, s[38:39], v[4:5]
	v_mov_b32_e32 v7, 0
	s_and_saveexec_b64 s[6:7], vcc
	s_cbranch_execz .LBB37_257
; %bb.256:                              ;   in Loop: Header=BB37_255 Depth=2
	ds_read_u16 v7, v6
.LBB37_257:                             ;   in Loop: Header=BB37_255 Depth=2
	s_or_b64 exec, exec, s[6:7]
	s_and_saveexec_b64 s[6:7], vcc
	s_cbranch_execz .LBB37_254
; %bb.258:                              ;   in Loop: Header=BB37_255 Depth=2
	s_waitcnt lgkmcnt(0)
	v_add_u32_sdwa v8, sext(v7), s27 dst_sel:DWORD dst_unused:UNUSED_PAD src0_sel:WORD_0 src1_sel:DWORD
	v_and_b32_e32 v8, s92, v8
	v_cmp_eq_u32_e32 vcc, s93, v8
	s_and_b64 exec, exec, vcc
	s_cbranch_execz .LBB37_254
; %bb.259:                              ;   in Loop: Header=BB37_255 Depth=2
	v_perm_b32 v7, v7, 1, v44
	ds_write_b32 v13, v7 offset:3072
	s_branch .LBB37_254
.LBB37_260:                             ;   in Loop: Header=BB37_17 Depth=1
	s_or_b64 exec, exec, s[2:3]
	v_lshrrev_b32_e32 v45, 16, v7
	s_and_b64 s[8:9], s[8:9], exec
.LBB37_261:                             ;   in Loop: Header=BB37_17 Depth=1
	s_or_b64 exec, exec, s[0:1]
	s_mov_b64 s[6:7], -1
	s_mov_b64 s[0:1], 0
	s_mov_b64 s[2:3], 0
.LBB37_262:                             ;   in Loop: Header=BB37_17 Depth=1
	s_mov_b64 s[40:41], 0
                                        ; implicit-def: $sgpr45
                                        ; implicit-def: $sgpr42_sgpr43
	s_and_saveexec_b64 s[38:39], s[8:9]
	s_cbranch_execz .LBB37_275
; %bb.263:                              ;   in Loop: Header=BB37_17 Depth=1
	s_xor_b64 s[8:9], s[16:17], -1
	s_mov_b64 s[42:43], 1
	s_andn2_b64 vcc, exec, s[8:9]
	s_mov_b32 s45, 1
	s_cbranch_vccnz .LBB37_274
; %bb.264:                              ;   in Loop: Header=BB37_17 Depth=1
	v_pk_mov_b32 v[2:3], s[10:11], s[10:11] op_sel:[0,1]
	v_cmp_gt_i64_e32 vcc, s[54:55], v[2:3]
	s_cbranch_vccnz .LBB37_270
; %bb.265:                              ;   in Loop: Header=BB37_17 Depth=1
	ds_read_b64 v[2:3], v13 offset:5120
	s_waitcnt lgkmcnt(0)
	v_cmp_ne_u64_e32 vcc, 0, v[2:3]
	s_cbranch_vccnz .LBB37_269
; %bb.266:                              ;   in Loop: Header=BB37_17 Depth=1
	s_mov_b64 s[8:9], exec
	v_readlane_b32 s16, v50, 12
	v_readlane_b32 s17, v50, 13
	s_and_b64 s[16:17], s[8:9], s[16:17]
	s_mov_b64 exec, s[16:17]
	s_cbranch_execz .LBB37_268
; %bb.267:                              ;   in Loop: Header=BB37_17 Depth=1
	v_pk_mov_b32 v[2:3], s[10:11], s[10:11] op_sel:[0,1]
	ds_write_b64 v13, v[2:3] offset:5128
.LBB37_268:                             ;   in Loop: Header=BB37_17 Depth=1
	s_or_b64 exec, exec, s[8:9]
	s_waitcnt lgkmcnt(0)
	s_barrier
.LBB37_269:                             ;   in Loop: Header=BB37_17 Depth=1
	s_or_b32 s16, s93, s44
	s_or_b32 s17, s92, s44
	s_mov_b64 s[8:9], 0
	s_mov_b32 s45, 8
	s_branch .LBB37_271
.LBB37_270:                             ;   in Loop: Header=BB37_17 Depth=1
	s_mov_b64 s[8:9], -1
                                        ; implicit-def: $sgpr45
                                        ; implicit-def: $sgpr16
                                        ; implicit-def: $sgpr17
.LBB37_271:                             ;   in Loop: Header=BB37_17 Depth=1
	s_andn2_b64 vcc, exec, s[8:9]
	s_cbranch_vccnz .LBB37_273
; %bb.272:                              ;   in Loop: Header=BB37_17 Depth=1
	s_sub_u32 s54, s54, s10
	s_subb_u32 s55, s55, s11
	s_mov_b32 s45, 8
	s_mov_b32 s16, s93
	;; [unrolled: 1-line block ×3, first 2 shown]
.LBB37_273:                             ;   in Loop: Header=BB37_17 Depth=1
	s_mov_b64 s[42:43], s[54:55]
	s_mov_b32 s93, s16
	s_mov_b32 s92, s17
.LBB37_274:                             ;   in Loop: Header=BB37_17 Depth=1
	s_mov_b64 s[40:41], exec
.LBB37_275:                             ;   in Loop: Header=BB37_17 Depth=1
	s_or_b64 exec, exec, s[38:39]
	s_mov_b64 s[54:55], s[42:43]
.LBB37_276:                             ;   in Loop: Header=BB37_17 Depth=1
	s_andn2_b64 s[8:9], s[28:29], exec
	s_and_b64 s[0:1], s[0:1], exec
	s_or_b64 s[28:29], s[8:9], s[0:1]
	s_andn2_b64 s[0:1], s[34:35], exec
	s_and_b64 s[6:7], s[6:7], exec
	s_or_b64 s[34:35], s[0:1], s[6:7]
	;; [unrolled: 3-line block ×3, first 2 shown]
	s_and_b64 s[2:3], s[40:41], exec
.LBB37_277:                             ;   in Loop: Header=BB37_17 Depth=1
	s_or_b64 exec, exec, s[36:37]
.LBB37_278:                             ;   in Loop: Header=BB37_17 Depth=1
	s_andn2_b64 s[0:1], s[20:21], exec
	s_and_b64 s[6:7], s[28:29], exec
	s_or_b64 s[20:21], s[0:1], s[6:7]
	s_andn2_b64 s[0:1], s[22:23], exec
	s_and_b64 s[6:7], s[34:35], exec
	s_or_b64 s[22:23], s[0:1], s[6:7]
	;; [unrolled: 3-line block ×3, first 2 shown]
	s_and_b64 s[2:3], s[2:3], exec
.LBB37_279:                             ;   in Loop: Header=BB37_17 Depth=1
	s_or_b64 exec, exec, s[24:25]
	s_and_saveexec_b64 s[0:1], s[2:3]
	s_xor_b64 s[0:1], exec, s[0:1]
	s_cbranch_execz .LBB37_15
.LBB37_280:                             ;   in Loop: Header=BB37_17 Depth=1
	s_and_b32 s2, s45, -9
	s_cmp_eq_u32 s2, 0
	s_cbranch_scc1 .LBB37_13
; %bb.281:                              ;   in Loop: Header=BB37_17 Depth=1
	s_mov_b64 s[2:3], -1
                                        ; implicit-def: $sgpr92
                                        ; implicit-def: $sgpr86
                                        ; implicit-def: $sgpr87
	s_mov_b64 s[6:7], -1
	s_branch .LBB37_14
.LBB37_282:                             ;   in Loop: Header=BB37_17 Depth=1
                                        ; implicit-def: $vgpr2_vgpr3
	s_branch .LBB37_234
.LBB37_283:                             ;   in Loop: Header=BB37_17 Depth=1
                                        ; implicit-def: $vgpr2_vgpr3
	s_branch .LBB37_251
.LBB37_284:
	s_or_b64 exec, exec, s[62:63]
	s_xor_b64 s[6:7], s[70:71], -1
	s_xor_b64 s[0:1], s[66:67], -1
	;; [unrolled: 1-line block ×3, first 2 shown]
	s_mov_b64 s[2:3], 0
	s_and_saveexec_b64 s[8:9], s[0:1]
	s_xor_b64 s[0:1], exec, s[8:9]
	s_cbranch_execnz .LBB37_289
; %bb.285:
	s_andn2_saveexec_b64 s[0:1], s[0:1]
	s_cbranch_execnz .LBB37_314
.LBB37_286:
	s_or_b64 exec, exec, s[0:1]
	s_and_saveexec_b64 s[0:1], s[2:3]
.LBB37_287:
	; divergent unreachable
.LBB37_288:
	s_endpgm
.LBB37_289:
	s_and_saveexec_b64 s[2:3], s[6:7]
	s_xor_b64 s[2:3], exec, s[2:3]
	s_cbranch_execz .LBB37_312
; %bb.290:
	s_and_saveexec_b64 s[6:7], s[4:5]
	s_xor_b64 s[4:5], exec, s[6:7]
; %bb.291:
	v_xor_b32_e32 v45, 0xffff8000, v2
; %bb.292:
	s_or_b64 exec, exec, s[4:5]
	s_mov_b64 s[4:5], exec
	v_readlane_b32 s6, v50, 12
	v_readlane_b32 s7, v50, 13
	;; [unrolled: 1-line block ×3, first 2 shown]
	s_and_b64 s[6:7], s[4:5], s[6:7]
	v_readlane_b32 s24, v50, 22
	v_readlane_b32 s29, v50, 7
	;; [unrolled: 1-line block ×3, first 2 shown]
	s_mov_b64 exec, s[6:7]
	s_cbranch_execz .LBB37_294
; %bb.293:
	v_mov_b32_e32 v2, 0
	v_mov_b32_e32 v3, s52
	ds_write_b32 v2, v3 offset:5140
.LBB37_294:
	s_or_b64 exec, exec, s[4:5]
	s_waitcnt lgkmcnt(0)
	s_barrier
	s_mov_b64 s[4:5], exec
	v_readlane_b32 s6, v50, 28
	v_readlane_b32 s7, v50, 29
	s_and_b64 s[6:7], s[4:5], s[6:7]
	s_mov_b64 exec, s[6:7]
	s_cbranch_execz .LBB37_309
; %bb.295:
	v_mov_b32_e32 v2, 0
	ds_read_b32 v4, v2 offset:5140
	s_mov_b64 s[6:7], 0
                                        ; implicit-def: $sgpr8_sgpr9
                                        ; implicit-def: $sgpr10_sgpr11
                                        ; implicit-def: $sgpr12_sgpr13
	s_waitcnt lgkmcnt(0)
	v_ashrrev_i32_e32 v5, 31, v4
	s_branch .LBB37_298
.LBB37_296:                             ;   in Loop: Header=BB37_298 Depth=1
	s_or_b64 exec, exec, s[18:19]
	s_andn2_b64 s[12:13], s[12:13], exec
	s_and_b64 s[16:17], s[16:17], exec
	s_or_b64 s[12:13], s[12:13], s[16:17]
	s_andn2_b64 s[10:11], s[10:11], exec
	s_and_b64 s[16:17], s[20:21], exec
	s_or_b64 s[10:11], s[10:11], s[16:17]
.LBB37_297:                             ;   in Loop: Header=BB37_298 Depth=1
	s_or_b64 exec, exec, s[14:15]
	s_and_b64 s[14:15], exec, s[10:11]
	s_or_b64 s[6:7], s[14:15], s[6:7]
	s_andn2_b64 s[8:9], s[8:9], exec
	s_and_b64 s[14:15], s[12:13], exec
	s_or_b64 s[8:9], s[8:9], s[14:15]
	s_andn2_b64 exec, exec, s[6:7]
	s_cbranch_execz .LBB37_304
.LBB37_298:                             ; =>This Inner Loop Header: Depth=1
	v_pk_mov_b32 v[2:3], v[0:1], v[0:1] op_sel:[0,1]
	v_cmp_lt_i64_e32 vcc, v[2:3], v[4:5]
	s_or_b64 s[12:13], s[12:13], exec
	s_or_b64 s[10:11], s[10:11], exec
                                        ; implicit-def: $vgpr0_vgpr1
	s_and_saveexec_b64 s[14:15], vcc
	s_cbranch_execz .LBB37_297
; %bb.299:                              ;   in Loop: Header=BB37_298 Depth=1
	global_load_ushort v0, v[10:11], off
	s_mov_b64 s[20:21], -1
	s_mov_b64 s[16:17], 0
	s_waitcnt vmcnt(0)
	v_cmp_ne_u16_e32 vcc, v0, v45
                                        ; implicit-def: $vgpr0_vgpr1
	s_and_saveexec_b64 s[18:19], vcc
	s_cbranch_execz .LBB37_296
; %bb.300:                              ;   in Loop: Header=BB37_298 Depth=1
	v_mov_b32_e32 v1, s26
	v_add_co_u32_e32 v0, vcc, s33, v2
	v_addc_co_u32_e32 v1, vcc, v3, v1, vcc
	v_mov_b32_e32 v3, s83
	v_add_co_u32_e32 v10, vcc, s82, v10
	v_addc_co_u32_e32 v11, vcc, v11, v3, vcc
	v_cmp_le_i64_e32 vcc, s[52:53], v[0:1]
	s_mov_b64 s[16:17], exec
	s_orn2_b64 s[20:21], vcc, exec
	s_branch .LBB37_296
.LBB37_301:
                                        ; implicit-def: $sgpr16_sgpr17
	s_branch .LBB37_3
.LBB37_302:
                                        ; implicit-def: $sgpr0_sgpr1
                                        ; kill: killed $sgpr0_sgpr1
	s_branch .LBB37_6
.LBB37_303:
                                        ; implicit-def: $sgpr0_sgpr1
                                        ; kill: killed $sgpr0_sgpr1
	s_load_dwordx2 s[0:1], s[4:5], 0x0
	s_branch .LBB37_9
.LBB37_304:
	s_or_b64 exec, exec, s[6:7]
	s_xor_b64 s[6:7], s[8:9], -1
	s_and_saveexec_b64 s[8:9], s[6:7]
	s_xor_b64 s[8:9], exec, s[8:9]
	s_cbranch_execz .LBB37_309
; %bb.305:
	s_mov_b64 s[6:7], exec
	s_brev_b32 s8, -2
.LBB37_306:                             ; =>This Inner Loop Header: Depth=1
	s_ff1_i32_b64 s9, s[6:7]
	v_readlane_b32 s12, v2, s9
	s_lshl_b64 s[10:11], 1, s9
	s_min_i32 s8, s8, s12
	s_andn2_b64 s[6:7], s[6:7], s[10:11]
	s_cmp_lg_u64 s[6:7], 0
	s_cbranch_scc1 .LBB37_306
; %bb.307:
	v_mbcnt_lo_u32_b32 v0, exec_lo, 0
	v_mbcnt_hi_u32_b32 v0, exec_hi, v0
	v_cmp_eq_u32_e32 vcc, 0, v0
	s_and_saveexec_b64 s[6:7], vcc
	s_xor_b64 s[6:7], exec, s[6:7]
	s_cbranch_execz .LBB37_309
; %bb.308:
	v_mov_b32_e32 v0, 0
	v_mov_b32_e32 v1, s8
	ds_min_i32 v0, v1 offset:5140
.LBB37_309:
	s_or_b64 exec, exec, s[4:5]
	s_waitcnt lgkmcnt(0)
	s_barrier
	s_mov_b64 s[4:5], exec
	v_readlane_b32 s6, v50, 12
	v_readlane_b32 s7, v50, 13
	s_and_b64 s[6:7], s[4:5], s[6:7]
	s_mov_b64 exec, s[6:7]
	s_cbranch_execz .LBB37_311
; %bb.310:
	v_readlane_b32 s8, v50, 0
	v_readlane_b32 s9, v50, 1
	v_readlane_b32 s10, v50, 2
	v_readlane_b32 s11, v50, 3
	s_mul_i32 s6, s10, s9
	s_mul_hi_u32 s7, s10, s8
	s_add_i32 s6, s7, s6
	s_mul_i32 s7, s11, s8
	s_add_i32 s6, s6, s7
	s_mul_i32 s7, s10, s8
	v_readlane_b32 s12, v50, 18
	s_sub_u32 s8, s24, s7
	v_readlane_b32 s14, v50, 20
	v_readlane_b32 s15, v50, 21
	s_subb_u32 s6, 0, s6
	s_mul_i32 s7, s8, s15
	s_mul_hi_u32 s9, s8, s14
	v_readlane_b32 s13, v50, 19
	s_add_i32 s7, s9, s7
	s_mul_i32 s6, s6, s14
	s_add_i32 s7, s7, s6
	s_mul_i32 s6, s8, s14
	s_mul_i32 s8, s10, s13
	s_mul_hi_u32 s9, s10, s12
	s_add_i32 s8, s9, s8
	s_mul_i32 s9, s11, s12
	v_readlane_b32 s14, v50, 4
	s_add_i32 s9, s8, s9
	s_mul_i32 s8, s10, s12
	v_readlane_b32 s15, v50, 5
	s_mul_i32 s10, s14, s29
	s_mul_hi_u32 s11, s14, s28
	s_add_i32 s10, s11, s10
	s_mul_i32 s11, s15, s28
	s_add_i32 s10, s10, s11
	s_mul_i32 s11, s14, s28
	v_readlane_b32 s16, v50, 14
	s_sub_u32 s12, s24, s11
	v_readlane_b32 s18, v50, 16
	v_readlane_b32 s19, v50, 17
	s_subb_u32 s10, 0, s10
	s_mul_i32 s11, s12, s19
	s_mul_hi_u32 s13, s12, s18
	v_readlane_b32 s17, v50, 15
	s_add_i32 s11, s13, s11
	s_mul_i32 s10, s10, s18
	s_add_i32 s11, s11, s10
	s_mul_i32 s10, s12, s18
	s_mul_i32 s12, s14, s17
	s_mul_hi_u32 s13, s14, s16
	s_add_i32 s12, s13, s12
	s_mul_i32 s13, s15, s16
	s_add_i32 s13, s12, s13
	s_mul_i32 s12, s14, s16
	s_lshl_b64 s[8:9], s[8:9], 1
	v_readlane_b32 s14, v50, 10
	v_readlane_b32 s15, v50, 11
	s_add_u32 s8, s14, s8
	s_addc_u32 s9, s15, s9
	s_lshl_b64 s[6:7], s[6:7], 1
	v_mov_b32_e32 v2, 0
	s_add_u32 s6, s8, s6
	ds_read_b32 v0, v2 offset:5140
	s_addc_u32 s7, s9, s7
	s_lshl_b64 s[8:9], s[12:13], 3
	v_readlane_b32 s12, v50, 8
	v_readlane_b32 s13, v50, 9
	s_add_u32 s12, s12, s8
	s_addc_u32 s13, s13, s9
	s_lshl_b64 s[8:9], s[10:11], 3
	s_add_u32 s8, s12, s8
	s_addc_u32 s9, s13, s9
	s_waitcnt lgkmcnt(0)
	v_ashrrev_i32_e32 v1, 31, v0
	global_store_dwordx2 v2, v[0:1], s[8:9]
	global_store_short v2, v45, s[6:7]
.LBB37_311:
	s_or_b64 exec, exec, s[4:5]
.LBB37_312:
	s_or_saveexec_b64 s[2:3], s[2:3]
	s_mov_b64 s[4:5], 0
	s_xor_b64 exec, exec, s[2:3]
	s_cbranch_execnz .LBB37_315
.LBB37_313:
	s_or_b64 exec, exec, s[2:3]
	s_and_b64 s[2:3], s[4:5], exec
	s_andn2_saveexec_b64 s[0:1], s[0:1]
	s_cbranch_execz .LBB37_286
.LBB37_314:
	s_or_b64 s[2:3], s[2:3], exec
	s_trap 2
	s_or_b64 exec, exec, s[0:1]
	s_and_saveexec_b64 s[0:1], s[2:3]
	s_cbranch_execnz .LBB37_287
	s_branch .LBB37_288
.LBB37_315:
	s_mov_b64 s[4:5], exec
	s_trap 2
	s_branch .LBB37_313
	.section	.rodata,"a",@progbits
	.p2align	6, 0x0
	.amdhsa_kernel _ZN2at6native12_GLOBAL__N_114gatherKthValueIslLi2EEEvNS_4cuda6detail10TensorInfoIKT_T0_EES8_S8_S8_S8_NS5_IS6_S8_EENS5_IlS8_EE
		.amdhsa_group_segment_fixed_size 5144
		.amdhsa_private_segment_fixed_size 0
		.amdhsa_kernarg_size 1536
		.amdhsa_user_sgpr_count 6
		.amdhsa_user_sgpr_private_segment_buffer 1
		.amdhsa_user_sgpr_dispatch_ptr 0
		.amdhsa_user_sgpr_queue_ptr 0
		.amdhsa_user_sgpr_kernarg_segment_ptr 1
		.amdhsa_user_sgpr_dispatch_id 0
		.amdhsa_user_sgpr_flat_scratch_init 0
		.amdhsa_user_sgpr_kernarg_preload_length 0
		.amdhsa_user_sgpr_kernarg_preload_offset 0
		.amdhsa_user_sgpr_private_segment_size 0
		.amdhsa_uses_dynamic_stack 0
		.amdhsa_system_sgpr_private_segment_wavefront_offset 0
		.amdhsa_system_sgpr_workgroup_id_x 1
		.amdhsa_system_sgpr_workgroup_id_y 1
		.amdhsa_system_sgpr_workgroup_id_z 1
		.amdhsa_system_sgpr_workgroup_info 0
		.amdhsa_system_vgpr_workitem_id 0
		.amdhsa_next_free_vgpr 51
		.amdhsa_next_free_sgpr 96
		.amdhsa_accum_offset 52
		.amdhsa_reserve_vcc 1
		.amdhsa_reserve_flat_scratch 0
		.amdhsa_float_round_mode_32 0
		.amdhsa_float_round_mode_16_64 0
		.amdhsa_float_denorm_mode_32 3
		.amdhsa_float_denorm_mode_16_64 3
		.amdhsa_dx10_clamp 1
		.amdhsa_ieee_mode 1
		.amdhsa_fp16_overflow 0
		.amdhsa_tg_split 0
		.amdhsa_exception_fp_ieee_invalid_op 0
		.amdhsa_exception_fp_denorm_src 0
		.amdhsa_exception_fp_ieee_div_zero 0
		.amdhsa_exception_fp_ieee_overflow 0
		.amdhsa_exception_fp_ieee_underflow 0
		.amdhsa_exception_fp_ieee_inexact 0
		.amdhsa_exception_int_div_zero 0
	.end_amdhsa_kernel
	.section	.text._ZN2at6native12_GLOBAL__N_114gatherKthValueIslLi2EEEvNS_4cuda6detail10TensorInfoIKT_T0_EES8_S8_S8_S8_NS5_IS6_S8_EENS5_IlS8_EE,"axG",@progbits,_ZN2at6native12_GLOBAL__N_114gatherKthValueIslLi2EEEvNS_4cuda6detail10TensorInfoIKT_T0_EES8_S8_S8_S8_NS5_IS6_S8_EENS5_IlS8_EE,comdat
.Lfunc_end37:
	.size	_ZN2at6native12_GLOBAL__N_114gatherKthValueIslLi2EEEvNS_4cuda6detail10TensorInfoIKT_T0_EES8_S8_S8_S8_NS5_IS6_S8_EENS5_IlS8_EE, .Lfunc_end37-_ZN2at6native12_GLOBAL__N_114gatherKthValueIslLi2EEEvNS_4cuda6detail10TensorInfoIKT_T0_EES8_S8_S8_S8_NS5_IS6_S8_EENS5_IlS8_EE
                                        ; -- End function
	.section	.AMDGPU.csdata,"",@progbits
; Kernel info:
; codeLenInByte = 18364
; NumSgprs: 100
; NumVgprs: 51
; NumAgprs: 0
; TotalNumVgprs: 51
; ScratchSize: 0
; MemoryBound: 0
; FloatMode: 240
; IeeeMode: 1
; LDSByteSize: 5144 bytes/workgroup (compile time only)
; SGPRBlocks: 12
; VGPRBlocks: 6
; NumSGPRsForWavesPerEU: 100
; NumVGPRsForWavesPerEU: 51
; AccumOffset: 52
; Occupancy: 8
; WaveLimiterHint : 1
; COMPUTE_PGM_RSRC2:SCRATCH_EN: 0
; COMPUTE_PGM_RSRC2:USER_SGPR: 6
; COMPUTE_PGM_RSRC2:TRAP_HANDLER: 0
; COMPUTE_PGM_RSRC2:TGID_X_EN: 1
; COMPUTE_PGM_RSRC2:TGID_Y_EN: 1
; COMPUTE_PGM_RSRC2:TGID_Z_EN: 1
; COMPUTE_PGM_RSRC2:TIDIG_COMP_CNT: 0
; COMPUTE_PGM_RSRC3_GFX90A:ACCUM_OFFSET: 12
; COMPUTE_PGM_RSRC3_GFX90A:TG_SPLIT: 0
	.section	.text._ZN2at6native12_GLOBAL__N_114gatherKthValueIslLi3EEEvNS_4cuda6detail10TensorInfoIKT_T0_EES8_S8_S8_S8_NS5_IS6_S8_EENS5_IlS8_EE,"axG",@progbits,_ZN2at6native12_GLOBAL__N_114gatherKthValueIslLi3EEEvNS_4cuda6detail10TensorInfoIKT_T0_EES8_S8_S8_S8_NS5_IS6_S8_EENS5_IlS8_EE,comdat
	.globl	_ZN2at6native12_GLOBAL__N_114gatherKthValueIslLi3EEEvNS_4cuda6detail10TensorInfoIKT_T0_EES8_S8_S8_S8_NS5_IS6_S8_EENS5_IlS8_EE ; -- Begin function _ZN2at6native12_GLOBAL__N_114gatherKthValueIslLi3EEEvNS_4cuda6detail10TensorInfoIKT_T0_EES8_S8_S8_S8_NS5_IS6_S8_EENS5_IlS8_EE
	.p2align	8
	.type	_ZN2at6native12_GLOBAL__N_114gatherKthValueIslLi3EEEvNS_4cuda6detail10TensorInfoIKT_T0_EES8_S8_S8_S8_NS5_IS6_S8_EENS5_IlS8_EE,@function
_ZN2at6native12_GLOBAL__N_114gatherKthValueIslLi3EEEvNS_4cuda6detail10TensorInfoIKT_T0_EES8_S8_S8_S8_NS5_IS6_S8_EENS5_IlS8_EE: ; @_ZN2at6native12_GLOBAL__N_114gatherKthValueIslLi3EEEvNS_4cuda6detail10TensorInfoIKT_T0_EES8_S8_S8_S8_NS5_IS6_S8_EENS5_IlS8_EE
; %bb.0:
	s_load_dwordx8 s[52:59], s[4:5], 0x1a0
	s_load_dwordx2 s[18:19], s[4:5], 0x500
	s_add_u32 s16, s4, 0x500
	s_addc_u32 s17, s5, 0
	s_mov_b32 s39, 0
	s_waitcnt lgkmcnt(0)
	v_mov_b32_e32 v2, s56
	s_mul_i32 s0, s19, s8
	s_add_i32 s0, s0, s7
	s_mul_i32 s0, s0, s18
	v_mov_b32_e32 v3, s57
	s_add_i32 s38, s0, s6
	v_cmp_ge_i64_e32 vcc, s[38:39], v[2:3]
	s_cbranch_vccnz .LBB38_304
; %bb.1:
	s_load_dwordx4 s[8:11], s[4:5], 0x10
	s_mov_b32 s0, s39
	s_waitcnt lgkmcnt(0)
	s_mov_b32 s1, s11
	s_cmp_lg_u64 s[0:1], 0
	s_cbranch_scc0 .LBB38_18
; %bb.2:
	s_ashr_i32 s2, s11, 31
	s_add_u32 s0, s10, s2
	s_mov_b32 s3, s2
	s_addc_u32 s1, s11, s2
	s_xor_b64 s[14:15], s[0:1], s[2:3]
	v_cvt_f32_u32_e32 v1, s14
	v_cvt_f32_u32_e32 v2, s15
	s_sub_u32 s0, 0, s14
	s_subb_u32 s1, 0, s15
	v_madmk_f32 v1, v2, 0x4f800000, v1
	v_rcp_f32_e32 v1, v1
	v_mul_f32_e32 v1, 0x5f7ffffc, v1
	v_mul_f32_e32 v2, 0x2f800000, v1
	v_trunc_f32_e32 v2, v2
	v_madmk_f32 v1, v2, 0xcf800000, v1
	v_cvt_u32_f32_e32 v2, v2
	v_cvt_u32_f32_e32 v1, v1
	v_readfirstlane_b32 s7, v2
	v_readfirstlane_b32 s19, v1
	s_mul_i32 s20, s0, s7
	s_mul_hi_u32 s22, s0, s19
	s_mul_i32 s21, s1, s19
	s_add_i32 s20, s22, s20
	s_add_i32 s20, s20, s21
	s_mul_i32 s23, s0, s19
	s_mul_hi_u32 s21, s19, s20
	s_mul_i32 s22, s19, s20
	s_mul_hi_u32 s19, s19, s23
	s_add_u32 s19, s19, s22
	s_addc_u32 s21, 0, s21
	s_mul_hi_u32 s24, s7, s23
	s_mul_i32 s23, s7, s23
	s_add_u32 s19, s19, s23
	s_mul_hi_u32 s22, s7, s20
	s_addc_u32 s19, s21, s24
	s_addc_u32 s21, s22, 0
	s_mul_i32 s20, s7, s20
	s_add_u32 s19, s19, s20
	s_addc_u32 s20, 0, s21
	v_add_co_u32_e32 v1, vcc, s19, v1
	s_cmp_lg_u64 vcc, 0
	s_addc_u32 s7, s7, s20
	v_readfirstlane_b32 s20, v1
	s_mul_i32 s19, s0, s7
	s_mul_hi_u32 s21, s0, s20
	s_add_i32 s19, s21, s19
	s_mul_i32 s1, s1, s20
	s_add_i32 s19, s19, s1
	s_mul_i32 s0, s0, s20
	s_mul_hi_u32 s21, s7, s0
	s_mul_i32 s22, s7, s0
	s_mul_i32 s24, s20, s19
	s_mul_hi_u32 s0, s20, s0
	s_mul_hi_u32 s23, s20, s19
	s_add_u32 s0, s0, s24
	s_addc_u32 s20, 0, s23
	s_add_u32 s0, s0, s22
	s_mul_hi_u32 s1, s7, s19
	s_addc_u32 s0, s20, s21
	s_addc_u32 s1, s1, 0
	s_mul_i32 s19, s7, s19
	s_add_u32 s0, s0, s19
	s_addc_u32 s1, 0, s1
	v_add_co_u32_e32 v1, vcc, s0, v1
	s_cmp_lg_u64 vcc, 0
	s_addc_u32 s7, s7, s1
	s_ashr_i32 s20, 0, 31
	s_add_u32 s0, s38, s20
	s_mov_b32 s21, s20
	s_addc_u32 s1, 0, s20
	s_xor_b64 s[22:23], s[0:1], s[20:21]
	v_readfirstlane_b32 s19, v1
	s_mul_i32 s1, s22, s7
	s_mul_hi_u32 s24, s22, s19
	s_mul_hi_u32 s0, s22, s7
	s_add_u32 s1, s24, s1
	s_addc_u32 s0, 0, s0
	s_mul_hi_u32 s25, s23, s19
	s_mul_i32 s19, s23, s19
	s_add_u32 s1, s1, s19
	s_mul_hi_u32 s24, s23, s7
	s_addc_u32 s0, s0, s25
	s_addc_u32 s1, s24, 0
	s_mul_i32 s7, s23, s7
	s_add_u32 s7, s0, s7
	s_addc_u32 s19, 0, s1
	s_mul_i32 s0, s14, s19
	s_mul_hi_u32 s1, s14, s7
	s_add_i32 s0, s1, s0
	s_mul_i32 s1, s15, s7
	s_add_i32 s24, s0, s1
	s_mul_i32 s1, s14, s7
	v_mov_b32_e32 v1, s1
	s_sub_i32 s0, s23, s24
	v_sub_co_u32_e32 v1, vcc, s22, v1
	s_cmp_lg_u64 vcc, 0
	s_subb_u32 s22, s0, s15
	v_subrev_co_u32_e64 v2, s[0:1], s14, v1
	s_cmp_lg_u64 s[0:1], 0
	s_subb_u32 s0, s22, 0
	s_cmp_ge_u32 s0, s15
	v_readfirstlane_b32 s22, v2
	s_cselect_b32 s1, -1, 0
	s_cmp_ge_u32 s22, s14
	s_cselect_b32 s22, -1, 0
	s_cmp_eq_u32 s0, s15
	s_cselect_b32 s0, s22, s1
	s_add_u32 s1, s7, 1
	s_addc_u32 s22, s19, 0
	s_add_u32 s25, s7, 2
	s_addc_u32 s26, s19, 0
	s_cmp_lg_u32 s0, 0
	s_cselect_b32 s0, s25, s1
	s_cselect_b32 s1, s26, s22
	s_cmp_lg_u64 vcc, 0
	s_subb_u32 s22, s23, s24
	s_cmp_ge_u32 s22, s15
	v_readfirstlane_b32 s24, v1
	s_cselect_b32 s23, -1, 0
	s_cmp_ge_u32 s24, s14
	s_cselect_b32 s14, -1, 0
	s_cmp_eq_u32 s22, s15
	s_cselect_b32 s14, s14, s23
	s_cmp_lg_u32 s14, 0
	s_cselect_b32 s1, s1, s19
	s_cselect_b32 s0, s0, s7
	s_xor_b64 s[2:3], s[20:21], s[2:3]
	s_xor_b64 s[0:1], s[0:1], s[2:3]
	s_sub_u32 s2, s0, s2
	s_subb_u32 s3, s1, s3
	s_cbranch_execnz .LBB38_4
.LBB38_3:
	v_cvt_f32_u32_e32 v1, s10
	s_sub_i32 s0, 0, s10
	s_mov_b32 s3, 0
	v_rcp_iflag_f32_e32 v1, v1
	v_mul_f32_e32 v1, 0x4f7ffffe, v1
	v_cvt_u32_f32_e32 v1, v1
	v_readfirstlane_b32 s1, v1
	s_mul_i32 s0, s0, s1
	s_mul_hi_u32 s0, s1, s0
	s_add_i32 s1, s1, s0
	s_mul_hi_u32 s0, s38, s1
	s_mul_i32 s2, s0, s10
	s_sub_i32 s2, s38, s2
	s_add_i32 s1, s0, 1
	s_sub_i32 s7, s2, s10
	s_cmp_ge_u32 s2, s10
	s_cselect_b32 s0, s1, s0
	s_cselect_b32 s2, s7, s2
	s_add_i32 s1, s0, 1
	s_cmp_ge_u32 s2, s10
	s_cselect_b32 s2, s1, s0
.LBB38_4:
	s_or_b64 s[0:1], s[2:3], s[8:9]
	s_mov_b32 s0, 0
	s_cmp_lg_u64 s[0:1], 0
	s_cbranch_scc0 .LBB38_19
; %bb.5:
	s_ashr_i32 s14, s9, 31
	s_add_u32 s0, s8, s14
	s_mov_b32 s15, s14
	s_addc_u32 s1, s9, s14
	s_xor_b64 s[20:21], s[0:1], s[14:15]
	v_cvt_f32_u32_e32 v1, s20
	v_cvt_f32_u32_e32 v2, s21
	s_sub_u32 s0, 0, s20
	s_subb_u32 s1, 0, s21
	v_madmk_f32 v1, v2, 0x4f800000, v1
	v_rcp_f32_e32 v1, v1
	v_mul_f32_e32 v1, 0x5f7ffffc, v1
	v_mul_f32_e32 v2, 0x2f800000, v1
	v_trunc_f32_e32 v2, v2
	v_madmk_f32 v1, v2, 0xcf800000, v1
	v_cvt_u32_f32_e32 v2, v2
	v_cvt_u32_f32_e32 v1, v1
	v_readfirstlane_b32 s7, v2
	v_readfirstlane_b32 s19, v1
	s_mul_i32 s22, s0, s7
	s_mul_hi_u32 s24, s0, s19
	s_mul_i32 s23, s1, s19
	s_add_i32 s22, s24, s22
	s_add_i32 s22, s22, s23
	s_mul_i32 s25, s0, s19
	s_mul_hi_u32 s23, s19, s22
	s_mul_i32 s24, s19, s22
	s_mul_hi_u32 s19, s19, s25
	s_add_u32 s19, s19, s24
	s_addc_u32 s23, 0, s23
	s_mul_hi_u32 s26, s7, s25
	s_mul_i32 s25, s7, s25
	s_add_u32 s19, s19, s25
	s_mul_hi_u32 s24, s7, s22
	s_addc_u32 s19, s23, s26
	s_addc_u32 s23, s24, 0
	s_mul_i32 s22, s7, s22
	s_add_u32 s19, s19, s22
	s_addc_u32 s22, 0, s23
	v_add_co_u32_e32 v1, vcc, s19, v1
	s_cmp_lg_u64 vcc, 0
	s_addc_u32 s7, s7, s22
	v_readfirstlane_b32 s22, v1
	s_mul_i32 s19, s0, s7
	s_mul_hi_u32 s23, s0, s22
	s_add_i32 s19, s23, s19
	s_mul_i32 s1, s1, s22
	s_add_i32 s19, s19, s1
	s_mul_i32 s0, s0, s22
	s_mul_hi_u32 s23, s7, s0
	s_mul_i32 s24, s7, s0
	s_mul_i32 s26, s22, s19
	s_mul_hi_u32 s0, s22, s0
	s_mul_hi_u32 s25, s22, s19
	s_add_u32 s0, s0, s26
	s_addc_u32 s22, 0, s25
	s_add_u32 s0, s0, s24
	s_mul_hi_u32 s1, s7, s19
	s_addc_u32 s0, s22, s23
	s_addc_u32 s1, s1, 0
	s_mul_i32 s19, s7, s19
	s_add_u32 s0, s0, s19
	s_addc_u32 s1, 0, s1
	v_add_co_u32_e32 v1, vcc, s0, v1
	s_cmp_lg_u64 vcc, 0
	s_addc_u32 s7, s7, s1
	s_ashr_i32 s22, s3, 31
	s_add_u32 s0, s2, s22
	s_mov_b32 s23, s22
	s_addc_u32 s1, s3, s22
	s_xor_b64 s[24:25], s[0:1], s[22:23]
	v_readfirstlane_b32 s19, v1
	s_mul_i32 s1, s24, s7
	s_mul_hi_u32 s26, s24, s19
	s_mul_hi_u32 s0, s24, s7
	s_add_u32 s1, s26, s1
	s_addc_u32 s0, 0, s0
	s_mul_hi_u32 s27, s25, s19
	s_mul_i32 s19, s25, s19
	s_add_u32 s1, s1, s19
	s_mul_hi_u32 s26, s25, s7
	s_addc_u32 s0, s0, s27
	s_addc_u32 s1, s26, 0
	s_mul_i32 s7, s25, s7
	s_add_u32 s7, s0, s7
	s_addc_u32 s19, 0, s1
	s_mul_i32 s0, s20, s19
	s_mul_hi_u32 s1, s20, s7
	s_add_i32 s0, s1, s0
	s_mul_i32 s1, s21, s7
	s_add_i32 s26, s0, s1
	s_mul_i32 s1, s20, s7
	v_mov_b32_e32 v1, s1
	s_sub_i32 s0, s25, s26
	v_sub_co_u32_e32 v1, vcc, s24, v1
	s_cmp_lg_u64 vcc, 0
	s_subb_u32 s24, s0, s21
	v_subrev_co_u32_e64 v2, s[0:1], s20, v1
	s_cmp_lg_u64 s[0:1], 0
	s_subb_u32 s0, s24, 0
	s_cmp_ge_u32 s0, s21
	v_readfirstlane_b32 s24, v2
	s_cselect_b32 s1, -1, 0
	s_cmp_ge_u32 s24, s20
	s_cselect_b32 s24, -1, 0
	s_cmp_eq_u32 s0, s21
	s_cselect_b32 s0, s24, s1
	s_add_u32 s1, s7, 1
	s_addc_u32 s24, s19, 0
	s_add_u32 s27, s7, 2
	s_addc_u32 s28, s19, 0
	s_cmp_lg_u32 s0, 0
	s_cselect_b32 s0, s27, s1
	s_cselect_b32 s1, s28, s24
	s_cmp_lg_u64 vcc, 0
	s_subb_u32 s24, s25, s26
	s_cmp_ge_u32 s24, s21
	v_readfirstlane_b32 s26, v1
	s_cselect_b32 s25, -1, 0
	s_cmp_ge_u32 s26, s20
	s_cselect_b32 s20, -1, 0
	s_cmp_eq_u32 s24, s21
	s_cselect_b32 s20, s20, s25
	s_cmp_lg_u32 s20, 0
	s_cselect_b32 s1, s1, s19
	s_cselect_b32 s0, s0, s7
	s_xor_b64 s[14:15], s[22:23], s[14:15]
	s_xor_b64 s[0:1], s[0:1], s[14:15]
	s_sub_u32 s20, s0, s14
	s_subb_u32 s21, s1, s15
	s_load_dwordx4 s[24:27], s[4:5], 0x1d0
	s_cbranch_execnz .LBB38_7
.LBB38_6:
	v_cvt_f32_u32_e32 v1, s8
	s_sub_i32 s0, 0, s8
	s_mov_b32 s21, 0
	v_rcp_iflag_f32_e32 v1, v1
	v_mul_f32_e32 v1, 0x4f7ffffe, v1
	v_cvt_u32_f32_e32 v1, v1
	v_readfirstlane_b32 s1, v1
	s_mul_i32 s0, s0, s1
	s_mul_hi_u32 s0, s1, s0
	s_add_i32 s1, s1, s0
	s_mul_hi_u32 s0, s2, s1
	s_mul_i32 s7, s0, s8
	s_sub_i32 s7, s2, s7
	s_add_i32 s1, s0, 1
	s_sub_i32 s12, s7, s8
	s_cmp_ge_u32 s7, s8
	s_cselect_b32 s0, s1, s0
	s_cselect_b32 s7, s12, s7
	s_add_i32 s1, s0, 1
	s_cmp_ge_u32 s7, s8
	s_cselect_b32 s20, s1, s0
.LBB38_7:
                                        ; implicit-def: $vgpr52 : SGPR spill to VGPR lane
	s_waitcnt lgkmcnt(0)
	s_mov_b32 s1, s27
	v_writelane_b32 v52, s24, 0
	s_mov_b32 s0, 0
	v_writelane_b32 v52, s25, 1
	s_cmp_lg_u64 s[0:1], 0
	v_writelane_b32 v52, s26, 2
	v_writelane_b32 v52, s27, 3
	s_cbranch_scc0 .LBB38_20
; %bb.8:
	s_ashr_i32 s12, s27, 31
	s_add_u32 s0, s26, s12
	s_mov_b32 s13, s12
	s_addc_u32 s1, s27, s12
	s_xor_b64 s[22:23], s[0:1], s[12:13]
	v_cvt_f32_u32_e32 v1, s22
	v_cvt_f32_u32_e32 v2, s23
	s_sub_u32 s0, 0, s22
	s_subb_u32 s1, 0, s23
	v_madmk_f32 v1, v2, 0x4f800000, v1
	v_rcp_f32_e32 v1, v1
	v_mul_f32_e32 v1, 0x5f7ffffc, v1
	v_mul_f32_e32 v2, 0x2f800000, v1
	v_trunc_f32_e32 v2, v2
	v_madmk_f32 v1, v2, 0xcf800000, v1
	v_cvt_u32_f32_e32 v2, v2
	v_cvt_u32_f32_e32 v1, v1
	v_readfirstlane_b32 s7, v2
	v_readfirstlane_b32 s19, v1
	s_mul_i32 s24, s0, s7
	s_mul_hi_u32 s26, s0, s19
	s_mul_i32 s25, s1, s19
	s_add_i32 s24, s26, s24
	s_add_i32 s24, s24, s25
	s_mul_i32 s27, s0, s19
	s_mul_hi_u32 s25, s19, s24
	s_mul_i32 s26, s19, s24
	s_mul_hi_u32 s19, s19, s27
	s_add_u32 s19, s19, s26
	s_addc_u32 s25, 0, s25
	s_mul_hi_u32 s28, s7, s27
	s_mul_i32 s27, s7, s27
	s_add_u32 s19, s19, s27
	s_mul_hi_u32 s26, s7, s24
	s_addc_u32 s19, s25, s28
	s_addc_u32 s25, s26, 0
	s_mul_i32 s24, s7, s24
	s_add_u32 s19, s19, s24
	s_addc_u32 s24, 0, s25
	v_add_co_u32_e32 v1, vcc, s19, v1
	s_cmp_lg_u64 vcc, 0
	s_addc_u32 s7, s7, s24
	v_readfirstlane_b32 s24, v1
	s_mul_i32 s19, s0, s7
	s_mul_hi_u32 s25, s0, s24
	s_add_i32 s19, s25, s19
	s_mul_i32 s1, s1, s24
	s_add_i32 s19, s19, s1
	s_mul_i32 s0, s0, s24
	s_mul_hi_u32 s25, s7, s0
	s_mul_i32 s26, s7, s0
	s_mul_i32 s28, s24, s19
	s_mul_hi_u32 s0, s24, s0
	s_mul_hi_u32 s27, s24, s19
	s_add_u32 s0, s0, s28
	s_addc_u32 s24, 0, s27
	s_add_u32 s0, s0, s26
	s_mul_hi_u32 s1, s7, s19
	s_addc_u32 s0, s24, s25
	s_addc_u32 s1, s1, 0
	s_mul_i32 s19, s7, s19
	s_add_u32 s0, s0, s19
	s_addc_u32 s1, 0, s1
	v_add_co_u32_e32 v1, vcc, s0, v1
	s_cmp_lg_u64 vcc, 0
	s_addc_u32 s7, s7, s1
	s_ashr_i32 s24, 0, 31
	s_add_u32 s0, s38, s24
	s_mov_b32 s25, s24
	s_addc_u32 s1, 0, s24
	s_xor_b64 s[26:27], s[0:1], s[24:25]
	v_readfirstlane_b32 s19, v1
	s_mul_i32 s1, s26, s7
	s_mul_hi_u32 s28, s26, s19
	s_mul_hi_u32 s0, s26, s7
	s_add_u32 s1, s28, s1
	s_addc_u32 s0, 0, s0
	s_mul_hi_u32 s29, s27, s19
	s_mul_i32 s19, s27, s19
	s_add_u32 s1, s1, s19
	s_mul_hi_u32 s28, s27, s7
	s_addc_u32 s0, s0, s29
	s_addc_u32 s1, s28, 0
	s_mul_i32 s7, s27, s7
	s_add_u32 s7, s0, s7
	s_addc_u32 s19, 0, s1
	s_mul_i32 s0, s22, s19
	s_mul_hi_u32 s1, s22, s7
	s_add_i32 s0, s1, s0
	s_mul_i32 s1, s23, s7
	s_add_i32 s28, s0, s1
	s_mul_i32 s1, s22, s7
	v_mov_b32_e32 v1, s1
	s_sub_i32 s0, s27, s28
	v_sub_co_u32_e32 v1, vcc, s26, v1
	s_cmp_lg_u64 vcc, 0
	s_subb_u32 s26, s0, s23
	v_subrev_co_u32_e64 v2, s[0:1], s22, v1
	s_cmp_lg_u64 s[0:1], 0
	s_subb_u32 s0, s26, 0
	s_cmp_ge_u32 s0, s23
	v_readfirstlane_b32 s26, v2
	s_cselect_b32 s1, -1, 0
	s_cmp_ge_u32 s26, s22
	s_cselect_b32 s26, -1, 0
	s_cmp_eq_u32 s0, s23
	s_cselect_b32 s0, s26, s1
	s_add_u32 s1, s7, 1
	s_addc_u32 s26, s19, 0
	s_add_u32 s29, s7, 2
	s_addc_u32 s30, s19, 0
	s_cmp_lg_u32 s0, 0
	s_cselect_b32 s0, s29, s1
	s_cselect_b32 s1, s30, s26
	s_cmp_lg_u64 vcc, 0
	s_subb_u32 s26, s27, s28
	s_cmp_ge_u32 s26, s23
	v_readfirstlane_b32 s28, v1
	s_cselect_b32 s27, -1, 0
	s_cmp_ge_u32 s28, s22
	s_cselect_b32 s22, -1, 0
	s_cmp_eq_u32 s26, s23
	s_cselect_b32 s22, s22, s27
	s_cmp_lg_u32 s22, 0
	s_cselect_b32 s1, s1, s19
	s_cselect_b32 s0, s0, s7
	s_xor_b64 s[12:13], s[24:25], s[12:13]
	s_load_dwordx4 s[24:27], s[4:5], 0x1d0
	s_xor_b64 s[0:1], s[0:1], s[12:13]
	s_sub_u32 s30, s0, s12
	s_subb_u32 s31, s1, s13
	s_cbranch_execnz .LBB38_10
.LBB38_9:
	s_waitcnt lgkmcnt(0)
	v_cvt_f32_u32_e32 v1, s26
	s_sub_i32 s0, 0, s26
	s_mov_b32 s31, 0
	v_rcp_iflag_f32_e32 v1, v1
	v_mul_f32_e32 v1, 0x4f7ffffe, v1
	v_cvt_u32_f32_e32 v1, v1
	v_readfirstlane_b32 s1, v1
	s_mul_i32 s0, s0, s1
	s_mul_hi_u32 s0, s1, s0
	s_add_i32 s1, s1, s0
	s_mul_hi_u32 s0, s38, s1
	s_mul_i32 s7, s0, s26
	s_sub_i32 s7, s38, s7
	s_add_i32 s1, s0, 1
	s_sub_i32 s12, s7, s26
	s_cmp_ge_u32 s7, s26
	s_cselect_b32 s0, s1, s0
	s_cselect_b32 s7, s12, s7
	s_add_i32 s1, s0, 1
	s_cmp_ge_u32 s7, s26
	s_cselect_b32 s30, s1, s0
.LBB38_10:
	s_waitcnt lgkmcnt(0)
	s_or_b64 s[0:1], s[30:31], s[24:25]
	s_mov_b32 s0, 0
	s_cmp_lg_u64 s[0:1], 0
	v_writelane_b32 v52, s30, 4
	v_writelane_b32 v52, s31, 5
	s_cbranch_scc0 .LBB38_21
; %bb.11:
	s_ashr_i32 s14, s25, 31
	s_add_u32 s0, s24, s14
	s_mov_b32 s15, s14
	s_addc_u32 s1, s25, s14
	s_xor_b64 s[22:23], s[0:1], s[14:15]
	v_cvt_f32_u32_e32 v1, s22
	v_cvt_f32_u32_e32 v2, s23
	s_sub_u32 s0, 0, s22
	s_subb_u32 s1, 0, s23
	v_madmk_f32 v1, v2, 0x4f800000, v1
	v_rcp_f32_e32 v1, v1
	v_mul_f32_e32 v1, 0x5f7ffffc, v1
	v_mul_f32_e32 v2, 0x2f800000, v1
	v_trunc_f32_e32 v2, v2
	v_madmk_f32 v1, v2, 0xcf800000, v1
	v_cvt_u32_f32_e32 v2, v2
	v_cvt_u32_f32_e32 v1, v1
	v_readfirstlane_b32 s7, v2
	v_readfirstlane_b32 s19, v1
	s_mul_i32 s24, s0, s7
	s_mul_hi_u32 s26, s0, s19
	s_mul_i32 s25, s1, s19
	s_add_i32 s24, s26, s24
	s_add_i32 s24, s24, s25
	s_mul_i32 s27, s0, s19
	s_mul_hi_u32 s25, s19, s24
	s_mul_i32 s26, s19, s24
	s_mul_hi_u32 s19, s19, s27
	s_add_u32 s19, s19, s26
	s_addc_u32 s25, 0, s25
	s_mul_hi_u32 s28, s7, s27
	s_mul_i32 s27, s7, s27
	s_add_u32 s19, s19, s27
	s_mul_hi_u32 s26, s7, s24
	s_addc_u32 s19, s25, s28
	s_addc_u32 s25, s26, 0
	s_mul_i32 s24, s7, s24
	s_add_u32 s19, s19, s24
	s_addc_u32 s24, 0, s25
	v_add_co_u32_e32 v1, vcc, s19, v1
	s_cmp_lg_u64 vcc, 0
	s_addc_u32 s7, s7, s24
	v_readfirstlane_b32 s24, v1
	s_mul_i32 s19, s0, s7
	s_mul_hi_u32 s25, s0, s24
	s_add_i32 s19, s25, s19
	s_mul_i32 s1, s1, s24
	s_add_i32 s19, s19, s1
	s_mul_i32 s0, s0, s24
	s_mul_hi_u32 s25, s7, s0
	s_mul_i32 s26, s7, s0
	s_mul_i32 s28, s24, s19
	s_mul_hi_u32 s0, s24, s0
	s_mul_hi_u32 s27, s24, s19
	s_add_u32 s0, s0, s28
	s_addc_u32 s24, 0, s27
	s_add_u32 s0, s0, s26
	s_mul_hi_u32 s1, s7, s19
	s_addc_u32 s0, s24, s25
	s_addc_u32 s1, s1, 0
	s_mul_i32 s19, s7, s19
	s_add_u32 s0, s0, s19
	s_addc_u32 s1, 0, s1
	v_add_co_u32_e32 v1, vcc, s0, v1
	s_cmp_lg_u64 vcc, 0
	s_addc_u32 s7, s7, s1
	s_ashr_i32 s24, s31, 31
	s_add_u32 s0, s30, s24
	s_mov_b32 s25, s24
	s_addc_u32 s1, s31, s24
	s_xor_b64 s[26:27], s[0:1], s[24:25]
	v_readfirstlane_b32 s19, v1
	s_mul_i32 s1, s26, s7
	s_mul_hi_u32 s28, s26, s19
	s_mul_hi_u32 s0, s26, s7
	s_add_u32 s1, s28, s1
	s_addc_u32 s0, 0, s0
	s_mul_hi_u32 s29, s27, s19
	s_mul_i32 s19, s27, s19
	s_add_u32 s1, s1, s19
	s_mul_hi_u32 s28, s27, s7
	s_addc_u32 s0, s0, s29
	s_addc_u32 s1, s28, 0
	s_mul_i32 s7, s27, s7
	s_add_u32 s7, s0, s7
	s_addc_u32 s19, 0, s1
	s_mul_i32 s0, s22, s19
	s_mul_hi_u32 s1, s22, s7
	s_add_i32 s0, s1, s0
	s_mul_i32 s1, s23, s7
	s_add_i32 s28, s0, s1
	s_mul_i32 s1, s22, s7
	v_mov_b32_e32 v1, s1
	s_sub_i32 s0, s27, s28
	v_sub_co_u32_e32 v1, vcc, s26, v1
	s_cmp_lg_u64 vcc, 0
	s_subb_u32 s26, s0, s23
	v_subrev_co_u32_e64 v2, s[0:1], s22, v1
	s_cmp_lg_u64 s[0:1], 0
	s_subb_u32 s0, s26, 0
	s_cmp_ge_u32 s0, s23
	v_readfirstlane_b32 s26, v2
	s_cselect_b32 s1, -1, 0
	s_cmp_ge_u32 s26, s22
	s_cselect_b32 s26, -1, 0
	s_cmp_eq_u32 s0, s23
	s_cselect_b32 s0, s26, s1
	s_add_u32 s1, s7, 1
	s_addc_u32 s26, s19, 0
	s_add_u32 s29, s7, 2
	s_addc_u32 s30, s19, 0
	s_cmp_lg_u32 s0, 0
	s_cselect_b32 s0, s29, s1
	s_cselect_b32 s1, s30, s26
	s_cmp_lg_u64 vcc, 0
	s_subb_u32 s26, s27, s28
	s_cmp_ge_u32 s26, s23
	v_readfirstlane_b32 s28, v1
	s_cselect_b32 s27, -1, 0
	s_cmp_ge_u32 s28, s22
	s_cselect_b32 s22, -1, 0
	s_cmp_eq_u32 s26, s23
	s_cselect_b32 s22, s22, s27
	s_cmp_lg_u32 s22, 0
	s_cselect_b32 s1, s1, s19
	s_cselect_b32 s0, s0, s7
	s_xor_b64 s[14:15], s[24:25], s[14:15]
	s_load_dwordx4 s[24:27], s[4:5], 0x1d0
	s_xor_b64 s[0:1], s[0:1], s[14:15]
	s_sub_u32 s14, s0, s14
	s_subb_u32 s15, s1, s15
	s_load_dwordx4 s[40:43], s[4:5], 0x370
	s_cbranch_execnz .LBB38_13
.LBB38_12:
	s_waitcnt lgkmcnt(0)
	v_cvt_f32_u32_e32 v1, s24
	s_sub_i32 s0, 0, s24
	v_readlane_b32 s12, v52, 4
	s_mov_b32 s15, 0
	v_rcp_iflag_f32_e32 v1, v1
	v_readlane_b32 s13, v52, 5
	v_mul_f32_e32 v1, 0x4f7ffffe, v1
	v_cvt_u32_f32_e32 v1, v1
	v_readfirstlane_b32 s1, v1
	s_mul_i32 s0, s0, s1
	s_mul_hi_u32 s0, s1, s0
	s_add_i32 s1, s1, s0
	s_mul_hi_u32 s0, s12, s1
	s_mul_i32 s7, s0, s24
	s_sub_i32 s7, s12, s7
	s_add_i32 s1, s0, 1
	s_sub_i32 s12, s7, s24
	s_cmp_ge_u32 s7, s24
	s_cselect_b32 s0, s1, s0
	s_cselect_b32 s7, s12, s7
	s_add_i32 s1, s0, 1
	s_cmp_ge_u32 s7, s24
	s_cselect_b32 s14, s1, s0
.LBB38_13:
	s_mov_b32 s0, 0
	s_waitcnt lgkmcnt(0)
	s_mov_b32 s1, s43
	v_writelane_b32 v52, s14, 6
	s_cmp_lg_u64 s[0:1], 0
	v_writelane_b32 v52, s15, 7
	s_cbranch_scc0 .LBB38_22
; %bb.14:
	s_ashr_i32 s12, s43, 31
	s_add_u32 s0, s42, s12
	s_mov_b32 s13, s12
	s_addc_u32 s1, s43, s12
	s_xor_b64 s[22:23], s[0:1], s[12:13]
	v_cvt_f32_u32_e32 v1, s22
	v_cvt_f32_u32_e32 v2, s23
	s_sub_u32 s0, 0, s22
	s_subb_u32 s1, 0, s23
	v_madmk_f32 v1, v2, 0x4f800000, v1
	v_rcp_f32_e32 v1, v1
	v_mul_f32_e32 v1, 0x5f7ffffc, v1
	v_mul_f32_e32 v2, 0x2f800000, v1
	v_trunc_f32_e32 v2, v2
	v_madmk_f32 v1, v2, 0xcf800000, v1
	v_cvt_u32_f32_e32 v2, v2
	v_cvt_u32_f32_e32 v1, v1
	v_readfirstlane_b32 s7, v2
	v_readfirstlane_b32 s19, v1
	s_mul_i32 s24, s0, s7
	s_mul_hi_u32 s26, s0, s19
	s_mul_i32 s25, s1, s19
	s_add_i32 s24, s26, s24
	s_add_i32 s24, s24, s25
	s_mul_i32 s27, s0, s19
	s_mul_hi_u32 s25, s19, s24
	s_mul_i32 s26, s19, s24
	s_mul_hi_u32 s19, s19, s27
	s_add_u32 s19, s19, s26
	s_addc_u32 s25, 0, s25
	s_mul_hi_u32 s28, s7, s27
	s_mul_i32 s27, s7, s27
	s_add_u32 s19, s19, s27
	s_mul_hi_u32 s26, s7, s24
	s_addc_u32 s19, s25, s28
	s_addc_u32 s25, s26, 0
	s_mul_i32 s24, s7, s24
	s_add_u32 s19, s19, s24
	s_addc_u32 s24, 0, s25
	v_add_co_u32_e32 v1, vcc, s19, v1
	s_cmp_lg_u64 vcc, 0
	s_addc_u32 s7, s7, s24
	v_readfirstlane_b32 s24, v1
	s_mul_i32 s19, s0, s7
	s_mul_hi_u32 s25, s0, s24
	s_add_i32 s19, s25, s19
	s_mul_i32 s1, s1, s24
	s_add_i32 s19, s19, s1
	s_mul_i32 s0, s0, s24
	s_mul_hi_u32 s25, s7, s0
	s_mul_i32 s26, s7, s0
	s_mul_i32 s28, s24, s19
	s_mul_hi_u32 s0, s24, s0
	s_mul_hi_u32 s27, s24, s19
	s_add_u32 s0, s0, s28
	s_addc_u32 s24, 0, s27
	s_add_u32 s0, s0, s26
	s_mul_hi_u32 s1, s7, s19
	s_addc_u32 s0, s24, s25
	s_addc_u32 s1, s1, 0
	s_mul_i32 s19, s7, s19
	s_add_u32 s0, s0, s19
	s_addc_u32 s1, 0, s1
	v_add_co_u32_e32 v1, vcc, s0, v1
	s_cmp_lg_u64 vcc, 0
	s_addc_u32 s7, s7, s1
	s_ashr_i32 s24, 0, 31
	s_add_u32 s0, s38, s24
	s_mov_b32 s25, s24
	s_addc_u32 s1, 0, s24
	s_xor_b64 s[26:27], s[0:1], s[24:25]
	v_readfirstlane_b32 s19, v1
	s_mul_i32 s1, s26, s7
	s_mul_hi_u32 s28, s26, s19
	s_mul_hi_u32 s0, s26, s7
	s_add_u32 s1, s28, s1
	s_addc_u32 s0, 0, s0
	s_mul_hi_u32 s29, s27, s19
	s_mul_i32 s19, s27, s19
	s_add_u32 s1, s1, s19
	s_mul_hi_u32 s28, s27, s7
	s_addc_u32 s0, s0, s29
	s_addc_u32 s1, s28, 0
	s_mul_i32 s7, s27, s7
	s_add_u32 s7, s0, s7
	s_addc_u32 s19, 0, s1
	s_mul_i32 s0, s22, s19
	s_mul_hi_u32 s1, s22, s7
	s_add_i32 s0, s1, s0
	s_mul_i32 s1, s23, s7
	s_add_i32 s28, s0, s1
	s_mul_i32 s1, s22, s7
	v_mov_b32_e32 v1, s1
	s_sub_i32 s0, s27, s28
	v_sub_co_u32_e32 v1, vcc, s26, v1
	s_cmp_lg_u64 vcc, 0
	s_subb_u32 s26, s0, s23
	v_subrev_co_u32_e64 v2, s[0:1], s22, v1
	s_cmp_lg_u64 s[0:1], 0
	s_subb_u32 s0, s26, 0
	s_cmp_ge_u32 s0, s23
	v_readfirstlane_b32 s26, v2
	s_cselect_b32 s1, -1, 0
	s_cmp_ge_u32 s26, s22
	s_cselect_b32 s26, -1, 0
	s_cmp_eq_u32 s0, s23
	s_cselect_b32 s0, s26, s1
	s_add_u32 s1, s7, 1
	s_addc_u32 s26, s19, 0
	s_add_u32 s29, s7, 2
	s_addc_u32 s30, s19, 0
	s_cmp_lg_u32 s0, 0
	s_cselect_b32 s0, s29, s1
	s_cselect_b32 s1, s30, s26
	s_cmp_lg_u64 vcc, 0
	s_subb_u32 s26, s27, s28
	s_cmp_ge_u32 s26, s23
	v_readfirstlane_b32 s28, v1
	s_cselect_b32 s27, -1, 0
	s_cmp_ge_u32 s28, s22
	s_cselect_b32 s22, -1, 0
	s_cmp_eq_u32 s26, s23
	s_cselect_b32 s22, s22, s27
	s_cmp_lg_u32 s22, 0
	s_cselect_b32 s1, s1, s19
	s_cselect_b32 s0, s0, s7
	s_xor_b64 s[12:13], s[24:25], s[12:13]
	s_xor_b64 s[0:1], s[0:1], s[12:13]
	s_sub_u32 s44, s0, s12
	s_subb_u32 s45, s1, s13
	s_cbranch_execnz .LBB38_16
.LBB38_15:
	v_cvt_f32_u32_e32 v1, s42
	s_sub_i32 s0, 0, s42
	s_mov_b32 s45, 0
	v_rcp_iflag_f32_e32 v1, v1
	v_mul_f32_e32 v1, 0x4f7ffffe, v1
	v_cvt_u32_f32_e32 v1, v1
	v_readfirstlane_b32 s1, v1
	s_mul_i32 s0, s0, s1
	s_mul_hi_u32 s0, s1, s0
	s_add_i32 s1, s1, s0
	s_mul_hi_u32 s0, s38, s1
	s_mul_i32 s7, s0, s42
	s_sub_i32 s7, s38, s7
	s_add_i32 s1, s0, 1
	s_sub_i32 s12, s7, s42
	s_cmp_ge_u32 s7, s42
	s_cselect_b32 s0, s1, s0
	s_cselect_b32 s7, s12, s7
	s_add_i32 s1, s0, 1
	s_cmp_ge_u32 s7, s42
	s_cselect_b32 s44, s1, s0
.LBB38_16:
	s_load_dwordx2 s[22:23], s[4:5], 0xe0
	s_load_dwordx4 s[12:15], s[4:5], 0xd0
	s_or_b64 s[0:1], s[44:45], s[40:41]
	s_mov_b32 s0, 0
	s_cmp_lg_u64 s[0:1], 0
	s_cbranch_scc0 .LBB38_23
; %bb.17:
	s_ashr_i32 s26, s41, 31
	s_add_u32 s0, s40, s26
	s_mov_b32 s27, s26
	s_addc_u32 s1, s41, s26
	s_xor_b64 s[28:29], s[0:1], s[26:27]
	v_cvt_f32_u32_e32 v1, s28
	v_cvt_f32_u32_e32 v2, s29
	s_sub_u32 s0, 0, s28
	s_subb_u32 s1, 0, s29
	s_mov_b64 s[24:25], 0
	v_madmk_f32 v1, v2, 0x4f800000, v1
	v_rcp_f32_e32 v1, v1
	v_mul_f32_e32 v1, 0x5f7ffffc, v1
	v_mul_f32_e32 v2, 0x2f800000, v1
	v_trunc_f32_e32 v2, v2
	v_madmk_f32 v1, v2, 0xcf800000, v1
	v_cvt_u32_f32_e32 v2, v2
	v_cvt_u32_f32_e32 v1, v1
	v_readfirstlane_b32 s7, v2
	v_readfirstlane_b32 s19, v1
	s_mul_i32 s30, s0, s7
	s_mul_hi_u32 s33, s0, s19
	s_mul_i32 s31, s1, s19
	s_add_i32 s30, s33, s30
	s_add_i32 s30, s30, s31
	s_mul_i32 s34, s0, s19
	s_mul_hi_u32 s31, s19, s30
	s_mul_i32 s33, s19, s30
	s_mul_hi_u32 s19, s19, s34
	s_add_u32 s19, s19, s33
	s_addc_u32 s31, 0, s31
	s_mul_hi_u32 s35, s7, s34
	s_mul_i32 s34, s7, s34
	s_add_u32 s19, s19, s34
	s_mul_hi_u32 s33, s7, s30
	s_addc_u32 s19, s31, s35
	s_addc_u32 s31, s33, 0
	s_mul_i32 s30, s7, s30
	s_add_u32 s19, s19, s30
	s_addc_u32 s30, 0, s31
	v_add_co_u32_e32 v1, vcc, s19, v1
	s_cmp_lg_u64 vcc, 0
	s_addc_u32 s7, s7, s30
	v_readfirstlane_b32 s30, v1
	s_mul_i32 s19, s0, s7
	s_mul_hi_u32 s31, s0, s30
	s_add_i32 s19, s31, s19
	s_mul_i32 s1, s1, s30
	s_add_i32 s19, s19, s1
	s_mul_i32 s0, s0, s30
	s_mul_hi_u32 s31, s7, s0
	s_mul_i32 s33, s7, s0
	s_mul_i32 s35, s30, s19
	s_mul_hi_u32 s0, s30, s0
	s_mul_hi_u32 s34, s30, s19
	s_add_u32 s0, s0, s35
	s_addc_u32 s30, 0, s34
	s_add_u32 s0, s0, s33
	s_mul_hi_u32 s1, s7, s19
	s_addc_u32 s0, s30, s31
	s_addc_u32 s1, s1, 0
	s_mul_i32 s19, s7, s19
	s_add_u32 s0, s0, s19
	s_addc_u32 s1, 0, s1
	v_add_co_u32_e32 v1, vcc, s0, v1
	s_cmp_lg_u64 vcc, 0
	s_addc_u32 s7, s7, s1
	s_ashr_i32 s30, s45, 31
	s_add_u32 s0, s44, s30
	s_mov_b32 s31, s30
	s_addc_u32 s1, s45, s30
	s_xor_b64 s[34:35], s[0:1], s[30:31]
	v_readfirstlane_b32 s19, v1
	s_mul_i32 s1, s34, s7
	s_mul_hi_u32 s33, s34, s19
	s_mul_hi_u32 s0, s34, s7
	s_add_u32 s1, s33, s1
	s_addc_u32 s0, 0, s0
	s_mul_hi_u32 s36, s35, s19
	s_mul_i32 s19, s35, s19
	s_add_u32 s1, s1, s19
	s_mul_hi_u32 s33, s35, s7
	s_addc_u32 s0, s0, s36
	s_addc_u32 s1, s33, 0
	s_mul_i32 s7, s35, s7
	s_add_u32 s7, s0, s7
	s_addc_u32 s19, 0, s1
	s_mul_i32 s0, s28, s19
	s_mul_hi_u32 s1, s28, s7
	s_add_i32 s0, s1, s0
	s_mul_i32 s1, s29, s7
	s_add_i32 s33, s0, s1
	s_mul_i32 s1, s28, s7
	v_mov_b32_e32 v1, s1
	s_sub_i32 s0, s35, s33
	v_sub_co_u32_e32 v1, vcc, s34, v1
	s_cmp_lg_u64 vcc, 0
	s_subb_u32 s34, s0, s29
	v_subrev_co_u32_e64 v2, s[0:1], s28, v1
	s_cmp_lg_u64 s[0:1], 0
	s_subb_u32 s0, s34, 0
	s_cmp_ge_u32 s0, s29
	v_readfirstlane_b32 s34, v2
	s_cselect_b32 s1, -1, 0
	s_cmp_ge_u32 s34, s28
	s_cselect_b32 s34, -1, 0
	s_cmp_eq_u32 s0, s29
	s_cselect_b32 s0, s34, s1
	s_add_u32 s1, s7, 1
	s_addc_u32 s34, s19, 0
	s_add_u32 s36, s7, 2
	s_addc_u32 s37, s19, 0
	s_cmp_lg_u32 s0, 0
	s_cselect_b32 s0, s36, s1
	s_cselect_b32 s1, s37, s34
	s_cmp_lg_u64 vcc, 0
	s_subb_u32 s33, s35, s33
	s_cmp_ge_u32 s33, s29
	v_readfirstlane_b32 s35, v1
	s_cselect_b32 s34, -1, 0
	s_cmp_ge_u32 s35, s28
	s_cselect_b32 s28, -1, 0
	s_cmp_eq_u32 s33, s29
	s_cselect_b32 s28, s28, s34
	s_cmp_lg_u32 s28, 0
	s_cselect_b32 s1, s1, s19
	s_cselect_b32 s0, s0, s7
	s_xor_b64 s[26:27], s[30:31], s[26:27]
	s_xor_b64 s[0:1], s[0:1], s[26:27]
	s_sub_u32 s0, s0, s26
	s_subb_u32 s1, s1, s27
	v_writelane_b32 v52, s0, 20
	v_writelane_b32 v52, s1, 21
	s_branch .LBB38_24
.LBB38_18:
                                        ; implicit-def: $sgpr2_sgpr3
	s_branch .LBB38_3
.LBB38_19:
                                        ; implicit-def: $sgpr20_sgpr21
	s_load_dwordx4 s[24:27], s[4:5], 0x1d0
	s_branch .LBB38_6
.LBB38_20:
                                        ; implicit-def: $sgpr30_sgpr31
	s_branch .LBB38_9
.LBB38_21:
                                        ; implicit-def: $sgpr14_sgpr15
	s_load_dwordx4 s[40:43], s[4:5], 0x370
	s_branch .LBB38_12
.LBB38_22:
                                        ; implicit-def: $sgpr44_sgpr45
	s_branch .LBB38_15
.LBB38_23:
	s_mov_b64 s[24:25], -1
                                        ; implicit-def: $sgpr0_sgpr1
                                        ; kill: killed $sgpr0_sgpr1
.LBB38_24:
	s_load_dwordx2 s[0:1], s[4:5], 0x440
	s_load_dwordx4 s[28:31], s[4:5], 0x430
	s_andn2_b64 vcc, exec, s[24:25]
	s_waitcnt lgkmcnt(0)
	v_writelane_b32 v52, s0, 8
	v_writelane_b32 v52, s1, 9
	s_load_dwordx2 s[0:1], s[4:5], 0x2a0
	v_writelane_b32 v52, s28, 10
	v_writelane_b32 v52, s29, 11
	v_writelane_b32 v52, s30, 12
	v_writelane_b32 v52, s31, 13
	s_load_dwordx4 s[28:31], s[4:5], 0x290
	s_waitcnt lgkmcnt(0)
	v_writelane_b32 v52, s0, 14
	v_writelane_b32 v52, s1, 15
	s_load_dwordx2 s[0:1], s[4:5], 0x0
	v_writelane_b32 v52, s28, 16
	v_writelane_b32 v52, s29, 17
	;; [unrolled: 1-line block ×4, first 2 shown]
	s_cbranch_vccnz .LBB38_26
; %bb.25:
	v_cvt_f32_u32_e32 v1, s40
	s_sub_i32 s7, 0, s40
	s_mov_b32 s27, 0
	v_rcp_iflag_f32_e32 v1, v1
	v_mul_f32_e32 v1, 0x4f7ffffe, v1
	v_cvt_u32_f32_e32 v1, v1
	v_readfirstlane_b32 s19, v1
	s_mul_i32 s7, s7, s19
	s_mul_hi_u32 s7, s19, s7
	s_add_i32 s19, s19, s7
	s_mul_hi_u32 s7, s44, s19
	s_mul_i32 s24, s7, s40
	s_sub_i32 s24, s44, s24
	s_add_i32 s19, s7, 1
	s_sub_i32 s25, s24, s40
	s_cmp_ge_u32 s24, s40
	s_cselect_b32 s7, s19, s7
	s_cselect_b32 s24, s25, s24
	s_add_i32 s19, s7, 1
	s_cmp_ge_u32 s24, s40
	s_cselect_b32 s26, s19, s7
	v_writelane_b32 v52, s26, 20
	v_writelane_b32 v52, s27, 21
.LBB38_26:
	v_writelane_b32 v52, s44, 22
	v_writelane_b32 v52, s45, 23
	s_load_dwordx2 s[24:25], s[4:5], 0x360
	v_writelane_b32 v52, s40, 24
	v_writelane_b32 v52, s41, 25
	s_load_dwordx2 s[4:5], s[4:5], 0x1c0
	v_writelane_b32 v52, s42, 26
	v_writelane_b32 v52, s43, 27
	s_waitcnt lgkmcnt(0)
	v_writelane_b32 v52, s24, 28
	v_writelane_b32 v52, s25, 29
	;; [unrolled: 1-line block ×3, first 2 shown]
	s_mov_b32 s93, 0
	v_writelane_b32 v52, s5, 31
	v_cmp_eq_u32_e64 s[24:25], 0, v0
	s_mov_b64 s[4:5], exec
	v_writelane_b32 v52, s24, 32
	v_writelane_b32 v52, s25, 33
	s_and_b64 s[24:25], s[4:5], s[24:25]
	s_mov_b64 exec, s[24:25]
	s_cbranch_execz .LBB38_28
; %bb.27:
	v_mov_b32_e32 v2, 0
	v_mov_b32_e32 v4, s52
	;; [unrolled: 1-line block ×4, first 2 shown]
	ds_write_b32 v2, v2 offset:5136
	ds_write_b128 v2, v[2:5] offset:5120
.LBB38_28:
	s_or_b64 exec, exec, s[4:5]
	s_mul_i32 s4, s20, s9
	s_mul_hi_u32 s5, s20, s8
	s_add_i32 s4, s5, s4
	s_mul_i32 s5, s21, s8
	s_add_i32 s4, s4, s5
	s_mul_i32 s5, s20, s8
	s_sub_u32 s7, s2, s5
	s_subb_u32 s4, s3, s4
	s_mul_i32 s5, s7, s15
	s_mul_hi_u32 s8, s7, s14
	s_add_i32 s5, s8, s5
	s_mul_i32 s4, s4, s14
	s_add_i32 s5, s5, s4
	s_mul_i32 s4, s7, s14
	s_mul_i32 s7, s20, s13
	s_mul_hi_u32 s8, s20, s12
	s_add_i32 s7, s8, s7
	s_mul_i32 s8, s21, s12
	s_add_i32 s9, s7, s8
	s_mul_i32 s7, s2, s11
	s_mul_hi_u32 s11, s2, s10
	s_add_i32 s7, s11, s7
	s_mul_i32 s3, s3, s10
	s_add_i32 s7, s7, s3
	s_mul_i32 s2, s2, s10
	s_mov_b32 s10, s38
	v_writelane_b32 v52, s10, 34
	s_sub_u32 s2, s38, s2
	v_writelane_b32 v52, s11, 35
	s_subb_u32 s3, 0, s7
	s_mul_i32 s7, s2, s23
	s_mul_hi_u32 s10, s2, s22
	s_mul_i32 s8, s20, s12
	s_add_i32 s7, s10, s7
	s_mul_i32 s3, s3, s22
	s_add_i32 s3, s7, s3
	s_lshl_b64 s[8:9], s[8:9], 1
	s_add_u32 s7, s0, s8
	s_addc_u32 s12, s1, s9
	s_lshl_b64 s[10:11], s[4:5], 1
	s_mul_i32 s2, s2, s22
	s_add_u32 s4, s7, s10
	v_mbcnt_lo_u32_b32 v1, -1, 0
	s_addc_u32 s5, s12, s11
	s_lshl_b64 s[12:13], s[2:3], 1
	v_mbcnt_hi_u32_b32 v36, -1, v1
	s_add_u32 s14, s4, s12
	v_cmp_gt_u32_e32 vcc, 64, v0
	v_cmp_gt_i32_e64 s[2:3], 4, v36
	s_addc_u32 s15, s5, s13
	s_and_b64 s[46:47], vcc, s[2:3]
	v_cmp_gt_u32_e64 s[2:3], 2, v0
	v_mov_b32_e32 v2, 0x600
	v_writelane_b32 v52, s2, 36
	v_mov_b32_e32 v3, 0
	v_writelane_b32 v52, s3, 37
	v_cmp_gt_i64_e64 s[2:3], s[52:53], v[2:3]
	v_writelane_b32 v52, s2, 38
	v_writelane_b32 v52, s3, 39
	v_mad_u64_u32 v[2:3], s[2:3], v0, s58, 0
	v_mov_b32_e32 v13, 0
	v_mov_b32_e32 v4, v3
	;; [unrolled: 1-line block ×3, first 2 shown]
	v_mad_u64_u32 v[4:5], s[2:3], v0, s59, v[4:5]
	v_mov_b32_e32 v6, s15
	v_writelane_b32 v52, s14, 40
	v_writelane_b32 v52, s15, 41
	v_cmp_gt_i64_e64 s[2:3], s[52:53], v[0:1]
	v_writelane_b32 v52, s2, 42
	s_waitcnt lgkmcnt(0)
	s_barrier
	v_writelane_b32 v52, s3, 43
	s_load_dword s2, s[16:17], 0xc
	v_mov_b32_e32 v3, v4
	v_lshlrev_b64 v[4:5], 1, v[2:3]
	v_add_co_u32_e32 v14, vcc, s14, v4
	s_waitcnt lgkmcnt(0)
	s_and_b32 s33, s2, 0xffff
	s_bfe_u32 s3, s2, 0xa0006
	v_cmp_gt_u16_e64 s[14:15], s2, 63
	v_writelane_b32 v52, s14, 44
	s_add_u32 s2, s33, -1
	v_writelane_b32 v52, s15, 45
	s_addc_u32 s7, 0, -1
	v_writelane_b32 v52, s2, 46
	s_add_u32 s2, s2, s52
	s_addc_u32 s91, s7, s53
	s_cmp_lt_u32 s6, s18
	v_writelane_b32 v52, s2, 47
	s_cselect_b32 s2, 12, 18
	s_add_u32 s68, s16, s2
	s_addc_u32 s69, s17, 0
	s_add_i32 s2, s3, -1
	s_bfe_u32 s6, s33, 0x30006
	s_cmp_gt_u32 s2, 6
	v_writelane_b32 v52, s7, 48
	s_cselect_b64 s[14:15], -1, 0
	v_writelane_b32 v52, s14, 49
	s_and_b32 s82, s3, 0x3f8
	v_writelane_b32 v52, s15, 50
	s_cmp_lg_u32 s6, 0
	v_writelane_b32 v52, s6, 51
	s_cselect_b64 s[2:3], -1, 0
	v_writelane_b32 v52, s2, 52
	v_writelane_b32 v52, s3, 53
	s_add_u32 s2, s8, s12
	v_addc_co_u32_e32 v15, vcc, v6, v5, vcc
	v_lshrrev_b32_e32 v6, 4, v0
	s_addc_u32 s3, s9, s13
	v_and_b32_e32 v39, 60, v6
	v_lshlrev_b32_e32 v6, 2, v36
	s_add_u32 s2, s2, s10
	v_and_b32_e32 v40, 0x100, v6
	v_lshlrev_b64 v[6:7], v36, -1
	s_addc_u32 s3, s3, s11
	v_lshlrev_b32_e32 v41, 3, v0
	v_not_b32_e32 v19, v7
	s_add_u32 s2, s0, s2
	v_or_b32_e32 v7, 6, v41
	s_addc_u32 s3, s1, s3
	v_mad_u64_u32 v[20:21], s[0:1], s58, v7, 0
	v_not_b32_e32 v18, v6
	v_mov_b32_e32 v6, v21
	v_mad_u64_u32 v[6:7], s[0:1], s59, v7, v[6:7]
	s_lshl_b64 s[0:1], s[58:59], 3
	v_writelane_b32 v52, s0, 54
	v_or_b32_e32 v7, 4, v41
	v_writelane_b32 v52, s1, 55
	v_mad_u64_u32 v[22:23], s[0:1], s58, v7, 0
	v_mov_b32_e32 v21, v6
	v_mov_b32_e32 v6, v23
	v_mad_u64_u32 v[6:7], s[0:1], s59, v7, v[6:7]
	v_or_b32_e32 v7, 2, v41
	v_mad_u64_u32 v[24:25], s[0:1], s58, v7, 0
	v_mov_b32_e32 v23, v6
	v_mov_b32_e32 v6, v25
	v_lshlrev_b64 v[26:27], 3, v[2:3]
	v_mov_b32_e32 v2, s53
	v_add_co_u32_e32 v42, vcc, s52, v0
	v_mad_u64_u32 v[6:7], s[0:1], s59, v7, v[6:7]
	v_addc_co_u32_e32 v43, vcc, 0, v2, vcc
	v_mov_b32_e32 v2, 0xc00
	v_lshl_or_b32 v44, v36, 3, v2
	v_mov_b32_e32 v2, s3
	v_writelane_b32 v52, s2, 56
	s_mul_i32 s0, s59, s33
	s_mul_hi_u32 s1, s58, s33
	v_lshlrev_b32_e32 v37, 1, v0
	v_writelane_b32 v52, s3, 57
	v_add_co_u32_e32 v10, vcc, s2, v4
	s_add_i32 s1, s1, s0
	s_mul_i32 s0, s58, s33
	v_cmp_eq_u32_e64 s[4:5], 0, v36
	v_add_u32_e32 v38, 0xc00, v37
	v_lshlrev_b32_e32 v16, 2, v0
	v_mov_b32_e32 v17, v13
	s_mov_b32 s26, s93
	s_lshl_b64 s[78:79], s[58:59], 1
	v_mov_b32_e32 v25, v6
	v_addc_co_u32_e32 v11, vcc, v2, v5, vcc
	s_lshl_b64 s[94:95], s[0:1], 1
	s_lshl_b32 s83, s33, 1
	s_mov_b32 s86, 14
	s_mov_b64 s[60:61], 0
	s_mov_b32 s27, 0x8000
	v_cvt_f32_ubyte0_e32 v45, 0
	v_mov_b32_e32 v46, 0x5040100
	v_mov_b32_e32 v47, 0
	s_mov_b32 s87, 0
	s_mov_b32 s89, 0
	;; [unrolled: 1-line block ×3, first 2 shown]
	v_writelane_b32 v52, s46, 58
                                        ; implicit-def: $sgpr62_sgpr63
                                        ; implicit-def: $sgpr66_sgpr67
                                        ; implicit-def: $sgpr64_sgpr65
                                        ; implicit-def: $sgpr76_sgpr77
                                        ; implicit-def: $sgpr80_sgpr81
                                        ; implicit-def: $sgpr70_sgpr71
	v_writelane_b32 v52, s47, 59
	s_branch .LBB38_33
.LBB38_29:                              ;   in Loop: Header=BB38_33 Depth=1
	s_xor_b32 s87, s87, 1
	s_add_i32 s8, s86, -2
	s_cmp_eq_u32 s86, 0
	s_mov_b64 s[2:3], 0
	s_cselect_b64 s[6:7], -1, 0
	s_mov_b32 s86, s8
.LBB38_30:                              ;   in Loop: Header=BB38_33 Depth=1
	s_andn2_b64 s[8:9], s[20:21], exec
	s_and_b64 s[2:3], s[2:3], exec
	s_or_b64 s[20:21], s[8:9], s[2:3]
	s_andn2_b64 s[22:23], s[22:23], exec
	s_andn2_b64 s[18:19], s[18:19], exec
	s_orn2_b64 s[14:15], s[6:7], exec
.LBB38_31:                              ;   in Loop: Header=BB38_33 Depth=1
	s_or_b64 exec, exec, s[0:1]
	s_andn2_b64 s[0:1], s[70:71], exec
	s_and_b64 s[2:3], s[20:21], exec
	s_or_b64 s[70:71], s[0:1], s[2:3]
	s_andn2_b64 s[0:1], s[80:81], exec
	s_and_b64 s[2:3], s[22:23], exec
	s_or_b64 s[80:81], s[0:1], s[2:3]
	;; [unrolled: 3-line block ×3, first 2 shown]
	s_orn2_b64 s[18:19], s[14:15], exec
.LBB38_32:                              ;   in Loop: Header=BB38_33 Depth=1
	s_or_b64 exec, exec, s[12:13]
	s_and_b64 s[0:1], exec, s[18:19]
	s_or_b64 s[60:61], s[0:1], s[60:61]
	s_andn2_b64 s[0:1], s[64:65], exec
	s_and_b64 s[2:3], s[70:71], exec
	s_or_b64 s[64:65], s[0:1], s[2:3]
	s_andn2_b64 s[0:1], s[66:67], exec
	s_and_b64 s[2:3], s[80:81], exec
	;; [unrolled: 3-line block ×3, first 2 shown]
	v_mov_b32_e32 v2, s89
	s_or_b64 s[62:63], s[0:1], s[2:3]
	s_andn2_b64 exec, exec, s[60:61]
	s_cbranch_execz .LBB38_300
.LBB38_33:                              ; =>This Loop Header: Depth=1
                                        ;     Child Loop BB38_38 Depth 2
                                        ;     Child Loop BB38_57 Depth 2
	;; [unrolled: 1-line block ×16, first 2 shown]
	ds_read_b128 v[2:5], v13 offset:5120
	s_waitcnt lgkmcnt(0)
	v_readfirstlane_b32 s73, v3
	v_readfirstlane_b32 s72, v2
	v_cmp_gt_i64_e64 s[0:1], s[72:73], 0
	s_and_b64 vcc, exec, s[0:1]
	s_cbranch_vccnz .LBB38_64
; %bb.34:                               ;   in Loop: Header=BB38_33 Depth=1
	v_readlane_b32 s0, v52, 38
	v_readlane_b32 s1, v52, 39
	s_and_b64 vcc, exec, s[0:1]
	s_cbranch_vccz .LBB38_46
; %bb.35:                               ;   in Loop: Header=BB38_33 Depth=1
	s_mov_b64 s[0:1], 0x601
	v_cmp_gt_i64_e32 vcc, s[0:1], v[4:5]
	s_mov_b64 s[0:1], 0
	s_mov_b64 s[2:3], 0
	s_cbranch_vccz .LBB38_51
; %bb.36:                               ;   in Loop: Header=BB38_33 Depth=1
	global_load_ushort v6, v13, s[68:69]
	global_load_ushort v7, v[14:15], off
	v_readlane_b32 s2, v52, 56
	v_readlane_b32 s3, v52, 57
	v_pk_mov_b32 v[2:3], s[2:3], s[2:3] op_sel:[0,1]
	s_mov_b64 s[2:3], 0
	s_waitcnt vmcnt(1)
	v_readfirstlane_b32 s6, v6
	s_and_b32 s6, 0xffff, s6
	v_add_u32_e32 v5, s6, v0
	s_mul_i32 s8, s79, s6
	s_mul_hi_u32 s9, s78, s6
	s_mul_i32 s16, s78, s6
	v_mad_u64_u32 v[2:3], s[6:7], s78, v5, v[2:3]
	v_mov_b32_e32 v4, v3
	v_mad_u64_u32 v[4:5], s[6:7], s79, v5, v[4:5]
	s_add_i32 s17, s9, s8
	v_mov_b32_e32 v3, v4
	v_pk_mov_b32 v[4:5], v[0:1], v[0:1] op_sel:[0,1]
	s_branch .LBB38_38
.LBB38_37:                              ;   in Loop: Header=BB38_38 Depth=2
	s_or_b64 exec, exec, s[6:7]
	v_mov_b32_e32 v7, s17
	v_add_co_u32_e32 v2, vcc, s16, v2
	v_addc_co_u32_e32 v3, vcc, v3, v7, vcc
	v_mov_b32_e32 v7, v8
	s_andn2_b64 exec, exec, s[2:3]
	s_cbranch_execz .LBB38_47
.LBB38_38:                              ;   Parent Loop BB38_33 Depth=1
                                        ; =>  This Inner Loop Header: Depth=2
	v_add_co_u32_sdwa v4, vcc, v4, v6 dst_sel:DWORD dst_unused:UNUSED_PAD src0_sel:DWORD src1_sel:WORD_0
	v_addc_co_u32_e32 v5, vcc, 0, v5, vcc
	v_cmp_gt_i64_e64 s[6:7], s[52:53], v[4:5]
	v_cmp_le_i64_e32 vcc, s[52:53], v[4:5]
	s_waitcnt lgkmcnt(0)
	v_mov_b32_e32 v9, 0
	v_mov_b32_e32 v8, 0
	s_and_saveexec_b64 s[8:9], s[6:7]
	s_cbranch_execz .LBB38_40
; %bb.39:                               ;   in Loop: Header=BB38_38 Depth=2
	global_load_ushort v8, v[2:3], off
.LBB38_40:                              ;   in Loop: Header=BB38_38 Depth=2
	s_or_b64 exec, exec, s[8:9]
	s_waitcnt vmcnt(0)
	v_add_u32_sdwa v12, sext(v7), s27 dst_sel:DWORD dst_unused:UNUSED_PAD src0_sel:WORD_0 src1_sel:DWORD
	v_and_b32_e32 v12, s88, v12
	v_cmp_eq_u32_e64 s[10:11], s89, v12
	s_cmp_lg_u64 s[10:11], 0
	s_cselect_b64 s[6:7], -1, 0
	s_and_b64 s[6:7], s[4:5], s[6:7]
	s_and_saveexec_b64 s[8:9], s[6:7]
	s_cbranch_execz .LBB38_44
; %bb.41:                               ;   in Loop: Header=BB38_38 Depth=2
	s_mov_b64 s[14:15], exec
	v_mbcnt_lo_u32_b32 v9, s14, 0
	v_mbcnt_hi_u32_b32 v9, s15, v9
	s_bcnt1_i32_b64 s18, s[10:11]
	v_cmp_eq_u32_e64 s[6:7], 0, v9
                                        ; implicit-def: $vgpr12
	s_and_saveexec_b64 s[12:13], s[6:7]
	s_cbranch_execz .LBB38_43
; %bb.42:                               ;   in Loop: Header=BB38_38 Depth=2
	s_bcnt1_i32_b64 s6, s[14:15]
	s_mul_i32 s6, s18, s6
	v_mov_b32_e32 v12, s6
	ds_add_rtn_u32 v12, v13, v12 offset:5136
.LBB38_43:                              ;   in Loop: Header=BB38_38 Depth=2
	s_or_b64 exec, exec, s[12:13]
	s_waitcnt lgkmcnt(0)
	v_readfirstlane_b32 s6, v12
	v_mov_b32_e32 v12, s6
	v_mad_u32_u24 v9, s18, v9, v12
.LBB38_44:                              ;   in Loop: Header=BB38_38 Depth=2
	s_or_b64 exec, exec, s[8:9]
	ds_bpermute_b32 v9, v40, v9
	s_and_b64 s[6:7], exec, vcc
	s_or_b64 s[2:3], s[6:7], s[2:3]
	s_and_saveexec_b64 s[6:7], s[10:11]
	s_cbranch_execz .LBB38_37
; %bb.45:                               ;   in Loop: Header=BB38_38 Depth=2
	v_and_b32_e32 v28, s10, v18
	v_and_b32_e32 v12, s11, v19
	v_bcnt_u32_b32 v28, v28, 0
	v_bcnt_u32_b32 v12, v12, v28
	v_lshlrev_b32_e32 v12, 1, v12
	s_waitcnt lgkmcnt(0)
	v_lshl_add_u32 v9, v9, 1, v12
	ds_write_b16 v9, v7
	s_branch .LBB38_37
.LBB38_46:                              ;   in Loop: Header=BB38_33 Depth=1
	s_mov_b64 s[0:1], -1
	s_mov_b64 s[2:3], 0
	s_branch .LBB38_50
.LBB38_47:                              ;   in Loop: Header=BB38_33 Depth=1
	s_or_b64 exec, exec, s[2:3]
	s_waitcnt lgkmcnt(0)
	s_barrier
	s_mov_b64 s[2:3], exec
	v_readlane_b32 s6, v52, 32
	v_readlane_b32 s7, v52, 33
	s_and_b64 s[6:7], s[2:3], s[6:7]
	s_mov_b64 exec, s[6:7]
	s_cbranch_execz .LBB38_49
; %bb.48:                               ;   in Loop: Header=BB38_33 Depth=1
	ds_read_b32 v2, v13 offset:5136
	s_waitcnt lgkmcnt(0)
	v_ashrrev_i32_e32 v3, 31, v2
	ds_write_b64 v13, v[2:3] offset:5120
.LBB38_49:                              ;   in Loop: Header=BB38_33 Depth=1
	s_or_b64 exec, exec, s[2:3]
	s_waitcnt lgkmcnt(0)
	s_barrier
	s_mov_b64 s[2:3], -1
.LBB38_50:                              ;   in Loop: Header=BB38_33 Depth=1
                                        ; implicit-def: $sgpr72_sgpr73
.LBB38_51:                              ;   in Loop: Header=BB38_33 Depth=1
	s_and_b64 vcc, exec, s[0:1]
	s_cbranch_vccz .LBB38_62
; %bb.52:                               ;   in Loop: Header=BB38_33 Depth=1
	v_mov_b32_e32 v6, 0
	s_mov_b64 s[0:1], exec
	v_readlane_b32 s2, v52, 42
	v_readlane_b32 s3, v52, 43
	s_and_b64 s[2:3], s[0:1], s[2:3]
	s_mov_b64 exec, s[2:3]
	s_cbranch_execz .LBB38_54
; %bb.53:                               ;   in Loop: Header=BB38_33 Depth=1
	global_load_ushort v6, v[14:15], off
.LBB38_54:                              ;   in Loop: Header=BB38_33 Depth=1
	s_or_b64 exec, exec, s[0:1]
	s_mov_b64 s[0:1], exec
	v_readlane_b32 s2, v52, 42
	v_readlane_b32 s3, v52, 43
	s_and_b64 s[2:3], s[0:1], s[2:3]
	s_mov_b64 exec, s[2:3]
	s_cbranch_execz .LBB38_59
; %bb.55:                               ;   in Loop: Header=BB38_33 Depth=1
	global_load_ushort v7, v13, s[68:69]
	v_readlane_b32 s2, v52, 56
	v_readlane_b32 s3, v52, 57
	v_pk_mov_b32 v[2:3], s[2:3], s[2:3] op_sel:[0,1]
	s_mov_b64 s[2:3], 0
	v_mov_b32_e32 v8, v37
	s_waitcnt vmcnt(0)
	v_readfirstlane_b32 s6, v7
	s_and_b32 s6, 0xffff, s6
	v_add_u32_e32 v5, s6, v0
	s_lshl_b32 s10, s6, 1
	s_mul_i32 s8, s79, s6
	s_mul_hi_u32 s9, s78, s6
	s_mul_i32 s11, s78, s6
	v_mad_u64_u32 v[2:3], s[6:7], s78, v5, v[2:3]
	v_mov_b32_e32 v4, v3
	v_mad_u64_u32 v[4:5], s[6:7], s79, v5, v[4:5]
	s_add_i32 s12, s9, s8
	v_mov_b32_e32 v3, v4
	v_pk_mov_b32 v[4:5], v[0:1], v[0:1] op_sel:[0,1]
	s_branch .LBB38_57
.LBB38_56:                              ;   in Loop: Header=BB38_57 Depth=2
	s_or_b64 exec, exec, s[8:9]
	s_and_b64 s[6:7], exec, vcc
	ds_write_b16 v8, v6
	v_mov_b32_e32 v6, s12
	v_add_co_u32_e32 v2, vcc, s11, v2
	s_or_b64 s[2:3], s[6:7], s[2:3]
	v_add_u32_e32 v8, s10, v8
	v_addc_co_u32_e32 v3, vcc, v3, v6, vcc
	s_waitcnt vmcnt(0)
	v_mov_b32_e32 v6, v9
	s_andn2_b64 exec, exec, s[2:3]
	s_cbranch_execz .LBB38_59
.LBB38_57:                              ;   Parent Loop BB38_33 Depth=1
                                        ; =>  This Inner Loop Header: Depth=2
	v_add_co_u32_sdwa v4, vcc, v4, v7 dst_sel:DWORD dst_unused:UNUSED_PAD src0_sel:DWORD src1_sel:WORD_0
	v_addc_co_u32_e32 v5, vcc, 0, v5, vcc
	v_cmp_gt_i64_e64 s[6:7], s[52:53], v[4:5]
	v_cmp_le_i64_e32 vcc, s[52:53], v[4:5]
	v_mov_b32_e32 v9, 0
	s_and_saveexec_b64 s[8:9], s[6:7]
	s_cbranch_execz .LBB38_56
; %bb.58:                               ;   in Loop: Header=BB38_57 Depth=2
	global_load_ushort v9, v[2:3], off
	s_branch .LBB38_56
.LBB38_59:                              ;   in Loop: Header=BB38_33 Depth=1
	s_or_b64 exec, exec, s[0:1]
	s_waitcnt lgkmcnt(0)
	s_barrier
	s_mov_b64 s[0:1], exec
	v_readlane_b32 s2, v52, 32
	v_readlane_b32 s3, v52, 33
	s_and_b64 s[2:3], s[0:1], s[2:3]
	s_mov_b64 exec, s[2:3]
	s_cbranch_execz .LBB38_61
; %bb.60:                               ;   in Loop: Header=BB38_33 Depth=1
	v_pk_mov_b32 v[2:3], s[52:53], s[52:53] op_sel:[0,1]
	ds_write_b64 v13, v[2:3] offset:5120
.LBB38_61:                              ;   in Loop: Header=BB38_33 Depth=1
	s_or_b64 exec, exec, s[0:1]
	s_mov_b64 s[2:3], -1
	s_waitcnt lgkmcnt(0)
	s_barrier
                                        ; implicit-def: $sgpr72_sgpr73
.LBB38_62:                              ;   in Loop: Header=BB38_33 Depth=1
	s_and_b64 vcc, exec, s[2:3]
	s_cbranch_vccz .LBB38_64
; %bb.63:                               ;   in Loop: Header=BB38_33 Depth=1
	ds_read_b64 v[2:3], v13 offset:5120
	s_waitcnt lgkmcnt(0)
	v_readfirstlane_b32 s72, v2
.LBB38_64:                              ;   in Loop: Header=BB38_33 Depth=1
	s_cmp_lt_i32 s72, 1
	s_cbranch_scc0 .LBB38_79
; %bb.65:                               ;   in Loop: Header=BB38_33 Depth=1
	global_load_ushort v2, v13, s[68:69]
	s_mov_b32 s0, s93
	s_waitcnt vmcnt(0)
	v_readfirstlane_b32 s1, v2
	s_and_b32 s1, 0xffff, s1
	s_lshl_b32 s73, s1, 2
	s_mov_b32 s1, s53
	s_cmp_lg_u64 s[0:1], 0
	s_cbranch_scc0 .LBB38_99
; %bb.66:                               ;   in Loop: Header=BB38_33 Depth=1
	v_cvt_f32_u32_e32 v3, s73
	s_sub_u32 s0, 0, s73
	s_subb_u32 s1, 0, 0
	v_mac_f32_e32 v3, 0x4f800000, v45
	v_rcp_f32_e32 v3, v3
	v_mul_f32_e32 v3, 0x5f7ffffc, v3
	v_mul_f32_e32 v4, 0x2f800000, v3
	v_trunc_f32_e32 v4, v4
	v_mac_f32_e32 v3, 0xcf800000, v4
	v_cvt_u32_f32_e32 v4, v4
	v_cvt_u32_f32_e32 v3, v3
	v_readfirstlane_b32 s2, v4
	v_readfirstlane_b32 s3, v3
	s_mul_i32 s6, s0, s2
	s_mul_hi_u32 s8, s0, s3
	s_mul_i32 s7, s1, s3
	s_add_i32 s6, s8, s6
	s_mul_i32 s9, s0, s3
	s_add_i32 s6, s6, s7
	s_mul_hi_u32 s8, s3, s9
	s_mul_hi_u32 s7, s3, s6
	s_mul_i32 s3, s3, s6
	s_add_u32 s3, s8, s3
	s_addc_u32 s7, 0, s7
	s_mul_hi_u32 s10, s2, s9
	s_mul_i32 s9, s2, s9
	s_add_u32 s3, s3, s9
	s_mul_hi_u32 s8, s2, s6
	s_addc_u32 s3, s7, s10
	s_addc_u32 s7, s8, 0
	s_mul_i32 s6, s2, s6
	s_add_u32 s3, s3, s6
	s_addc_u32 s6, 0, s7
	v_add_co_u32_e32 v3, vcc, s3, v3
	s_cmp_lg_u64 vcc, 0
	s_addc_u32 s2, s2, s6
	v_readfirstlane_b32 s6, v3
	s_mul_i32 s3, s0, s2
	s_mul_hi_u32 s7, s0, s6
	s_add_i32 s3, s7, s3
	s_mul_i32 s1, s1, s6
	s_add_i32 s3, s3, s1
	s_mul_i32 s0, s0, s6
	s_mul_hi_u32 s7, s2, s0
	s_mul_i32 s8, s2, s0
	s_mul_i32 s10, s6, s3
	s_mul_hi_u32 s0, s6, s0
	s_mul_hi_u32 s9, s6, s3
	s_add_u32 s0, s0, s10
	s_addc_u32 s6, 0, s9
	s_add_u32 s0, s0, s8
	s_mul_hi_u32 s1, s2, s3
	s_addc_u32 s0, s6, s7
	s_addc_u32 s1, s1, 0
	s_mul_i32 s3, s2, s3
	s_add_u32 s0, s0, s3
	s_addc_u32 s1, 0, s1
	v_add_co_u32_e32 v3, vcc, s0, v3
	s_cmp_lg_u64 vcc, 0
	s_addc_u32 s6, s2, s1
	s_ashr_i32 s0, s53, 31
	s_add_u32 s2, s52, s0
	s_mov_b32 s1, s0
	s_addc_u32 s3, s53, s0
	s_xor_b64 s[2:3], s[2:3], s[0:1]
	v_readfirstlane_b32 s8, v3
	s_mul_i32 s7, s2, s6
	s_mul_hi_u32 s9, s2, s8
	s_mul_hi_u32 s1, s2, s6
	s_add_u32 s7, s9, s7
	s_addc_u32 s1, 0, s1
	s_mul_hi_u32 s10, s3, s8
	s_mul_i32 s8, s3, s8
	s_add_u32 s7, s7, s8
	s_mul_hi_u32 s9, s3, s6
	s_addc_u32 s1, s1, s10
	s_addc_u32 s7, s9, 0
	s_mul_i32 s6, s3, s6
	s_add_u32 s1, s1, s6
	s_addc_u32 s6, 0, s7
	s_mul_hi_u32 s7, s73, s1
	s_mul_i32 s1, s73, s1
	s_mul_i32 s6, s73, s6
	v_mov_b32_e32 v3, s1
	s_add_i32 s7, s7, s6
	v_sub_co_u32_e32 v3, vcc, s2, v3
	s_cmp_lg_u64 vcc, 0
	s_subb_u32 s1, s3, s7
	v_subrev_co_u32_e32 v4, vcc, s73, v3
	s_cmp_lg_u64 vcc, 0
	s_subb_u32 s2, s1, 0
	v_subrev_co_u32_e32 v5, vcc, s73, v4
	s_cmp_lg_u64 vcc, 0
	s_subb_u32 s3, s2, 0
	v_cmp_le_u32_e32 vcc, s73, v4
	s_cmp_eq_u32 s2, 0
	v_cndmask_b32_e64 v6, 0, -1, vcc
	s_cselect_b64 vcc, -1, 0
	v_cndmask_b32_e32 v6, -1, v6, vcc
	v_mov_b32_e32 v7, s2
	v_mov_b32_e32 v8, s3
	v_cmp_ne_u32_e32 vcc, 0, v6
	v_cndmask_b32_e32 v6, v7, v8, vcc
	v_cndmask_b32_e32 v4, v4, v5, vcc
	v_cmp_le_u32_e32 vcc, s73, v3
	s_cmp_eq_u32 s1, 0
	v_cndmask_b32_e64 v5, 0, -1, vcc
	s_cselect_b64 vcc, -1, 0
	v_cndmask_b32_e32 v5, -1, v5, vcc
	v_cmp_ne_u32_e32 vcc, 0, v5
	v_mov_b32_e32 v7, s1
	v_cndmask_b32_e32 v3, v3, v4, vcc
	v_cndmask_b32_e32 v5, v7, v6, vcc
	v_xor_b32_e32 v3, s0, v3
	v_xor_b32_e32 v4, s0, v5
	v_mov_b32_e32 v5, s0
	v_subrev_co_u32_e32 v28, vcc, s0, v3
	v_subb_co_u32_e32 v29, vcc, v4, v5, vcc
	s_cbranch_execnz .LBB38_68
.LBB38_67:                              ;   in Loop: Header=BB38_33 Depth=1
	v_cvt_f32_u32_e32 v3, s73
	s_sub_i32 s0, 0, s73
	v_rcp_iflag_f32_e32 v3, v3
	v_mul_f32_e32 v3, 0x4f7ffffe, v3
	v_cvt_u32_f32_e32 v3, v3
	v_mul_lo_u32 v4, s0, v3
	v_mul_hi_u32 v4, v3, v4
	v_add_u32_e32 v3, v3, v4
	v_mul_hi_u32 v3, s52, v3
	v_mul_lo_u32 v3, v3, s73
	v_sub_u32_e32 v3, s52, v3
	v_subrev_u32_e32 v4, s73, v3
	v_cmp_le_u32_e32 vcc, s73, v3
	v_cndmask_b32_e32 v3, v3, v4, vcc
	v_subrev_u32_e32 v4, s73, v3
	v_cmp_le_u32_e32 vcc, s73, v3
	v_cndmask_b32_e32 v12, v3, v4, vcc
	v_pk_mov_b32 v[28:29], v[12:13], v[12:13] op_sel:[0,1]
.LBB38_68:                              ;   in Loop: Header=BB38_33 Depth=1
	v_and_b32_e32 v12, 0xffff, v2
	v_mov_b32_e32 v2, s53
	v_sub_co_u32_e32 v30, vcc, s52, v28
	v_subb_co_u32_e32 v31, vcc, v2, v29, vcc
	v_pk_mov_b32 v[2:3], 0, 0
	v_cmp_gt_i64_e32 vcc, v[30:31], v[16:17]
	s_mov_b64 s[0:1], 0
	v_pk_mov_b32 v[4:5], v[2:3], v[2:3] op_sel:[0,1]
	v_pk_mov_b32 v[6:7], v[2:3], v[2:3] op_sel:[0,1]
	v_pk_mov_b32 v[8:9], v[2:3], v[2:3] op_sel:[0,1]
	s_and_saveexec_b64 s[56:57], vcc
	s_cbranch_execz .LBB38_72
; %bb.69:                               ;   in Loop: Header=BB38_33 Depth=1
	v_readlane_b32 s2, v52, 54
	v_readlane_b32 s3, v52, 55
	v_mul_lo_u32 v2, s3, v12
	v_mul_hi_u32 v3, s2, v12
	v_mul_lo_u32 v49, s2, v12
	v_readlane_b32 s2, v52, 40
	v_readlane_b32 s3, v52, 41
	s_and_b32 s90, s86, 0xfe
	v_add_u32_e32 v48, v3, v2
	v_pk_mov_b32 v[32:33], s[2:3], s[2:3] op_sel:[0,1]
	s_mov_b64 s[8:9], 0
	s_mov_b64 s[84:85], 0
	;; [unrolled: 1-line block ×4, first 2 shown]
	v_pk_mov_b32 v[34:35], v[16:17], v[16:17] op_sel:[0,1]
.LBB38_70:                              ;   Parent Loop BB38_33 Depth=1
                                        ; =>  This Inner Loop Header: Depth=2
	v_add_co_u32_e32 v2, vcc, v32, v26
	v_addc_co_u32_e32 v3, vcc, v33, v27, vcc
	v_add_co_u32_e32 v4, vcc, v32, v24
	v_addc_co_u32_e32 v5, vcc, v33, v25, vcc
	;; [unrolled: 2-line block ×4, first 2 shown]
	global_load_sshort v2, v[2:3], off
	s_nop 0
	global_load_sshort v3, v[4:5], off
	s_nop 0
	global_load_sshort v4, v[6:7], off
	global_load_sshort v5, v[8:9], off
	v_add_co_u32_e32 v34, vcc, s73, v34
	v_addc_co_u32_e32 v35, vcc, 0, v35, vcc
	v_add_co_u32_e32 v32, vcc, v32, v49
	v_addc_co_u32_e32 v33, vcc, v33, v48, vcc
	v_cmp_ge_i64_e32 vcc, v[34:35], v[30:31]
	s_waitcnt vmcnt(3)
	v_add_u32_e32 v2, 0x8000, v2
	s_waitcnt vmcnt(2)
	v_add_u32_e32 v3, 0x8000, v3
	v_and_b32_e32 v6, s88, v2
	v_bfe_u32 v2, v2, s90, 2
	s_waitcnt vmcnt(1)
	v_add_u32_e32 v4, 0x8000, v4
	v_and_b32_e32 v7, s88, v3
	v_bfe_u32 v3, v3, s90, 2
	v_cmp_eq_u32_e64 s[16:17], s89, v6
	v_cmp_eq_u32_e64 s[6:7], 0, v2
	s_waitcnt vmcnt(0)
	v_add_u32_e32 v5, 0x8000, v5
	v_and_b32_e32 v8, s88, v4
	v_bfe_u32 v4, v4, s90, 2
	v_cmp_eq_u32_e64 s[14:15], s89, v7
	v_cmp_eq_u32_e64 s[28:29], 0, v3
	s_and_b64 s[6:7], s[16:17], s[6:7]
	v_and_b32_e32 v9, s88, v5
	v_bfe_u32 v5, v5, s90, 2
	v_cmp_eq_u32_e64 s[12:13], s89, v8
	v_cmp_eq_u32_e64 s[30:31], 0, v4
	;; [unrolled: 1-line block ×5, first 2 shown]
	v_cndmask_b32_e64 v2, 0, 1, s[6:7]
	s_and_b64 s[6:7], s[14:15], s[28:29]
	v_cmp_eq_u32_e64 s[10:11], s89, v9
	v_cmp_eq_u32_e64 s[34:35], 0, v5
	;; [unrolled: 1-line block ×5, first 2 shown]
	v_cndmask_b32_e64 v3, 0, 1, s[6:7]
	s_and_b64 s[6:7], s[12:13], s[30:31]
	v_cmp_eq_u32_e64 s[40:41], 1, v4
	v_cmp_eq_u32_e64 s[48:49], 2, v4
	;; [unrolled: 1-line block ×3, first 2 shown]
	v_cndmask_b32_e64 v4, 0, 1, s[6:7]
	s_and_b64 s[6:7], s[10:11], s[34:35]
	v_cmp_eq_u32_e64 s[42:43], 1, v5
	v_cmp_eq_u32_e64 s[50:51], 2, v5
	;; [unrolled: 1-line block ×3, first 2 shown]
	v_cndmask_b32_e64 v5, 0, 1, s[6:7]
	v_cmp_ne_u32_e64 s[6:7], 0, v2
	v_cmp_ne_u32_e64 s[28:29], 0, v3
	v_cmp_ne_u32_e64 s[30:31], 0, v4
	v_cmp_ne_u32_e64 s[34:35], 0, v5
	s_bcnt1_i32_b64 s6, s[6:7]
	s_bcnt1_i32_b64 s7, s[28:29]
	s_bcnt1_i32_b64 s28, s[30:31]
	s_bcnt1_i32_b64 s29, s[34:35]
	s_add_u32 s6, s6, s74
	s_addc_u32 s30, 0, s75
	s_add_u32 s6, s6, s7
	s_addc_u32 s7, s30, 0
	s_add_u32 s6, s6, s28
	s_addc_u32 s7, s7, 0
	s_add_u32 s74, s6, s29
	s_addc_u32 s75, s7, 0
	s_and_b64 s[6:7], s[16:17], s[36:37]
	v_cndmask_b32_e64 v4, 0, 1, s[6:7]
	s_and_b64 s[6:7], s[14:15], s[38:39]
	v_cndmask_b32_e64 v5, 0, 1, s[6:7]
	s_and_b64 s[6:7], s[12:13], s[40:41]
	v_cndmask_b32_e64 v6, 0, 1, s[6:7]
	s_and_b64 s[6:7], s[10:11], s[42:43]
	v_cndmask_b32_e64 v7, 0, 1, s[6:7]
	v_cmp_ne_u32_e64 s[6:7], 0, v4
	v_cmp_ne_u32_e64 s[28:29], 0, v5
	v_cmp_ne_u32_e64 s[30:31], 0, v6
	v_cmp_ne_u32_e64 s[34:35], 0, v7
	s_bcnt1_i32_b64 s6, s[6:7]
	s_bcnt1_i32_b64 s7, s[28:29]
	s_bcnt1_i32_b64 s28, s[30:31]
	s_bcnt1_i32_b64 s29, s[34:35]
	s_add_u32 s2, s6, s2
	s_addc_u32 s3, 0, s3
	s_add_u32 s2, s2, s7
	s_addc_u32 s3, s3, 0
	s_add_u32 s2, s2, s28
	s_addc_u32 s3, s3, 0
	s_add_u32 s2, s2, s29
	s_addc_u32 s3, s3, 0
	s_and_b64 s[6:7], s[16:17], s[44:45]
	v_cndmask_b32_e64 v6, 0, 1, s[6:7]
	s_and_b64 s[6:7], s[14:15], s[46:47]
	v_cndmask_b32_e64 v7, 0, 1, s[6:7]
	s_and_b64 s[6:7], s[12:13], s[48:49]
	v_cndmask_b32_e64 v8, 0, 1, s[6:7]
	s_and_b64 s[6:7], s[10:11], s[50:51]
	;; [unrolled: 24-line block ×3, first 2 shown]
	v_cndmask_b32_e64 v51, 0, 1, s[6:7]
	v_cmp_ne_u32_e64 s[6:7], 0, v8
	v_cmp_ne_u32_e64 s[10:11], 0, v9
	v_cmp_ne_u32_e64 s[12:13], 0, v50
	v_cmp_ne_u32_e64 s[14:15], 0, v51
	s_bcnt1_i32_b64 s6, s[6:7]
	s_bcnt1_i32_b64 s7, s[10:11]
	;; [unrolled: 1-line block ×4, first 2 shown]
	s_add_u32 s6, s6, s8
	s_addc_u32 s8, 0, s9
	s_add_u32 s6, s6, s7
	s_addc_u32 s7, s8, 0
	;; [unrolled: 2-line block ×4, first 2 shown]
	v_pk_mov_b32 v[2:3], s[74:75], s[74:75] op_sel:[0,1]
	v_pk_mov_b32 v[4:5], s[2:3], s[2:3] op_sel:[0,1]
	;; [unrolled: 1-line block ×3, first 2 shown]
	s_or_b64 s[0:1], vcc, s[0:1]
	v_pk_mov_b32 v[8:9], s[8:9], s[8:9] op_sel:[0,1]
	s_andn2_b64 exec, exec, s[0:1]
	s_cbranch_execnz .LBB38_70
; %bb.71:                               ;   in Loop: Header=BB38_33 Depth=1
	s_or_b64 exec, exec, s[0:1]
	v_readlane_b32 s46, v52, 58
	v_readlane_b32 s47, v52, 59
.LBB38_72:                              ;   in Loop: Header=BB38_33 Depth=1
	s_or_b64 exec, exec, s[56:57]
	v_add_co_u32_e32 v30, vcc, v30, v0
	v_addc_co_u32_e32 v31, vcc, 0, v31, vcc
	v_cmp_gt_i64_e32 vcc, s[52:53], v[30:31]
	v_mov_b32_e32 v34, 0
	s_and_saveexec_b64 s[0:1], vcc
	s_cbranch_execz .LBB38_74
; %bb.73:                               ;   in Loop: Header=BB38_33 Depth=1
	v_mul_lo_u32 v34, v31, s58
	v_mul_lo_u32 v35, v30, s59
	v_mad_u64_u32 v[32:33], s[2:3], v30, s58, 0
	v_add3_u32 v33, v33, v35, v34
	v_readlane_b32 s2, v52, 40
	v_lshlrev_b64 v[32:33], 1, v[32:33]
	v_readlane_b32 s3, v52, 41
	v_mov_b32_e32 v34, s3
	v_add_co_u32_e64 v32, s[6:7], s2, v32
	v_addc_co_u32_e64 v33, s[6:7], v34, v33, s[6:7]
	global_load_ushort v34, v[32:33], off
.LBB38_74:                              ;   in Loop: Header=BB38_33 Depth=1
	s_or_b64 exec, exec, s[0:1]
	s_and_saveexec_b64 s[0:1], vcc
	s_cbranch_execz .LBB38_81
; %bb.75:                               ;   in Loop: Header=BB38_33 Depth=1
	v_add_co_u32_e32 v32, vcc, v42, v12
	v_addc_co_u32_e32 v33, vcc, 0, v43, vcc
	v_sub_co_u32_e32 v32, vcc, v32, v28
	v_readlane_b32 s2, v52, 56
	v_subb_co_u32_e32 v28, vcc, v33, v29, vcc
	v_readlane_b32 s3, v52, 57
	v_mul_lo_u32 v33, s78, v28
	v_pk_mov_b32 v[28:29], s[2:3], s[2:3] op_sel:[0,1]
	v_mul_lo_u32 v35, s79, v32
	v_mad_u64_u32 v[28:29], s[2:3], s78, v32, v[28:29]
	v_add3_u32 v29, v35, v29, v33
	v_mul_lo_u32 v32, s79, v12
	v_mul_hi_u32 v33, s78, v12
	s_and_b32 s10, s86, 0xfe
	v_add_u32_e32 v32, v33, v32
	v_mul_lo_u32 v33, s78, v12
	s_mov_b64 s[2:3], 0
	s_branch .LBB38_77
.LBB38_76:                              ;   in Loop: Header=BB38_77 Depth=2
	s_or_b64 exec, exec, s[8:9]
	s_waitcnt vmcnt(0)
	v_add_u32_sdwa v34, sext(v34), s27 dst_sel:DWORD dst_unused:UNUSED_PAD src0_sel:WORD_0 src1_sel:DWORD
	s_and_b64 s[6:7], exec, vcc
	v_and_b32_e32 v48, s88, v34
	v_bfe_u32 v34, v34, s10, 2
	s_or_b64 s[2:3], s[6:7], s[2:3]
	v_cmp_eq_u32_e32 vcc, s89, v48
	v_cmp_eq_u32_e64 s[6:7], 0, v34
	s_and_b64 s[6:7], vcc, s[6:7]
	v_cndmask_b32_e64 v48, 0, 1, s[6:7]
	v_cmp_ne_u32_e64 s[6:7], 0, v48
	s_bcnt1_i32_b64 s6, s[6:7]
	v_add_co_u32_e64 v2, s[6:7], s6, v2
	v_addc_co_u32_e64 v3, s[6:7], 0, v3, s[6:7]
	v_cmp_eq_u32_e64 s[6:7], 1, v34
	s_and_b64 s[6:7], vcc, s[6:7]
	v_cndmask_b32_e64 v48, 0, 1, s[6:7]
	v_cmp_ne_u32_e64 s[6:7], 0, v48
	s_bcnt1_i32_b64 s6, s[6:7]
	v_add_co_u32_e64 v4, s[6:7], s6, v4
	v_addc_co_u32_e64 v5, s[6:7], 0, v5, s[6:7]
	;; [unrolled: 7-line block ×3, first 2 shown]
	v_cmp_eq_u32_e64 s[6:7], 3, v34
	s_and_b64 s[6:7], vcc, s[6:7]
	v_cndmask_b32_e64 v34, 0, 1, s[6:7]
	v_cmp_ne_u32_e32 vcc, 0, v34
	s_bcnt1_i32_b64 s6, vcc
	v_add_co_u32_e32 v8, vcc, s6, v8
	v_addc_co_u32_e32 v9, vcc, 0, v9, vcc
	v_add_co_u32_e32 v28, vcc, v28, v33
	v_addc_co_u32_e32 v29, vcc, v29, v32, vcc
	v_mov_b32_e32 v34, v35
	s_andn2_b64 exec, exec, s[2:3]
	s_cbranch_execz .LBB38_80
.LBB38_77:                              ;   Parent Loop BB38_33 Depth=1
                                        ; =>  This Inner Loop Header: Depth=2
	v_add_co_u32_e32 v30, vcc, v30, v12
	v_addc_co_u32_e32 v31, vcc, 0, v31, vcc
	v_cmp_gt_i64_e64 s[6:7], s[52:53], v[30:31]
	v_cmp_le_i64_e32 vcc, s[52:53], v[30:31]
	v_mov_b32_e32 v35, 0
	s_and_saveexec_b64 s[8:9], s[6:7]
	s_cbranch_execz .LBB38_76
; %bb.78:                               ;   in Loop: Header=BB38_77 Depth=2
	global_load_ushort v35, v[28:29], off
	s_branch .LBB38_76
.LBB38_79:                              ;   in Loop: Header=BB38_33 Depth=1
                                        ; implicit-def: $vgpr8_vgpr9
                                        ; implicit-def: $vgpr4_vgpr5
	s_cbranch_execnz .LBB38_82
	s_branch .LBB38_91
.LBB38_80:                              ;   in Loop: Header=BB38_33 Depth=1
	s_or_b64 exec, exec, s[2:3]
.LBB38_81:                              ;   in Loop: Header=BB38_33 Depth=1
	s_or_b64 exec, exec, s[0:1]
	s_branch .LBB38_91
.LBB38_82:                              ;   in Loop: Header=BB38_33 Depth=1
	global_load_ushort v8, v13, s[68:69]
	s_waitcnt vmcnt(0)
	v_readfirstlane_b32 s0, v8
	s_and_b32 s0, 0xffff, s0
	s_lshl_b32 s73, s0, 2
	v_cvt_f32_u32_e32 v2, s73
	s_sub_i32 s2, 0, s73
	s_mov_b64 s[0:1], 0
	v_and_b32_e32 v30, 0xffff, v8
	v_rcp_iflag_f32_e32 v6, v2
	v_pk_mov_b32 v[2:3], 0, 0
	v_pk_mov_b32 v[4:5], v[2:3], v[2:3] op_sel:[0,1]
	v_mul_f32_e32 v6, 0x4f7ffffe, v6
	v_cvt_u32_f32_e32 v9, v6
	v_pk_mov_b32 v[6:7], v[2:3], v[2:3] op_sel:[0,1]
	v_readfirstlane_b32 s3, v9
	s_mul_i32 s2, s2, s3
	s_mul_hi_u32 s2, s3, s2
	s_add_i32 s3, s3, s2
	s_mul_hi_u32 s2, s72, s3
	s_mul_i32 s2, s2, s73
	s_sub_i32 s2, s72, s2
	s_sub_i32 s3, s2, s73
	s_cmp_ge_u32 s2, s73
	s_cselect_b32 s2, s3, s2
	s_sub_i32 s3, s2, s73
	s_cmp_ge_u32 s2, s73
	s_cselect_b32 s2, s3, s2
	s_sub_i32 s92, s72, s2
	v_cmp_gt_u32_e32 vcc, s92, v16
	v_pk_mov_b32 v[8:9], v[2:3], v[2:3] op_sel:[0,1]
	s_and_saveexec_b64 s[2:3], vcc
	s_cbranch_execz .LBB38_86
; %bb.83:                               ;   in Loop: Header=BB38_33 Depth=1
	s_and_b32 s90, s86, 0xfe
	v_lshlrev_b32_e32 v12, 3, v30
	v_mov_b32_e32 v31, v41
	s_mov_b64 s[8:9], 0
	s_mov_b64 s[56:57], 0
	;; [unrolled: 1-line block ×4, first 2 shown]
	v_pk_mov_b32 v[28:29], v[16:17], v[16:17] op_sel:[0,1]
.LBB38_84:                              ;   Parent Loop BB38_33 Depth=1
                                        ; =>  This Inner Loop Header: Depth=2
	ds_read_b64 v[2:3], v31
	v_add_co_u32_e32 v28, vcc, s73, v28
	v_addc_co_u32_e32 v29, vcc, 0, v29, vcc
	s_waitcnt lgkmcnt(0)
	v_add_u32_sdwa v4, sext(v2), s27 dst_sel:DWORD dst_unused:UNUSED_PAD src0_sel:WORD_0 src1_sel:DWORD
	v_add_u32_sdwa v2, sext(v2), s27 dst_sel:DWORD dst_unused:UNUSED_PAD src0_sel:WORD_1 src1_sel:DWORD
	v_and_b32_e32 v6, s88, v4
	v_bfe_u32 v4, v4, s90, 2
	v_add_u32_sdwa v5, sext(v3), s27 dst_sel:DWORD dst_unused:UNUSED_PAD src0_sel:WORD_0 src1_sel:DWORD
	v_and_b32_e32 v7, s88, v2
	v_bfe_u32 v2, v2, s90, 2
	v_cmp_eq_u32_e64 s[16:17], s89, v6
	v_cmp_eq_u32_e64 s[6:7], 0, v4
	v_add_u32_sdwa v3, sext(v3), s27 dst_sel:DWORD dst_unused:UNUSED_PAD src0_sel:WORD_1 src1_sel:DWORD
	v_and_b32_e32 v8, s88, v5
	v_bfe_u32 v5, v5, s90, 2
	v_cmp_eq_u32_e64 s[14:15], s89, v7
	v_cmp_eq_u32_e64 s[28:29], 0, v2
	s_and_b64 s[6:7], s[16:17], s[6:7]
	v_and_b32_e32 v9, s88, v3
	v_bfe_u32 v3, v3, s90, 2
	v_cmp_eq_u32_e64 s[12:13], s89, v8
	v_cmp_eq_u32_e64 s[30:31], 0, v5
	;; [unrolled: 1-line block ×5, first 2 shown]
	v_cndmask_b32_e64 v2, 0, 1, s[6:7]
	s_and_b64 s[6:7], s[14:15], s[28:29]
	v_cmp_eq_u32_e64 s[10:11], s89, v9
	v_cmp_eq_u32_e64 s[34:35], 0, v3
	;; [unrolled: 1-line block ×5, first 2 shown]
	v_cndmask_b32_e64 v3, 0, 1, s[6:7]
	s_and_b64 s[6:7], s[12:13], s[30:31]
	v_cmp_eq_u32_e64 s[36:37], 1, v4
	v_cmp_eq_u32_e64 s[44:45], 2, v4
	v_cmp_eq_u32_e64 s[24:25], 3, v4
	v_cndmask_b32_e64 v4, 0, 1, s[6:7]
	s_and_b64 s[6:7], s[10:11], s[34:35]
	v_cmp_eq_u32_e64 s[40:41], 1, v5
	v_cmp_eq_u32_e64 s[48:49], 2, v5
	;; [unrolled: 1-line block ×3, first 2 shown]
	v_cndmask_b32_e64 v5, 0, 1, s[6:7]
	v_cmp_ne_u32_e64 s[6:7], 0, v2
	v_cmp_ne_u32_e64 s[28:29], 0, v3
	v_cmp_ne_u32_e64 s[30:31], 0, v4
	v_cmp_ne_u32_e64 s[34:35], 0, v5
	s_bcnt1_i32_b64 s6, s[6:7]
	s_bcnt1_i32_b64 s7, s[28:29]
	s_bcnt1_i32_b64 s28, s[30:31]
	s_bcnt1_i32_b64 s29, s[34:35]
	s_add_u32 s6, s6, s84
	s_addc_u32 s30, 0, s85
	s_add_u32 s6, s6, s7
	s_addc_u32 s7, s30, 0
	s_add_u32 s6, s6, s28
	s_addc_u32 s7, s7, 0
	s_add_u32 s84, s6, s29
	s_addc_u32 s85, s7, 0
	s_and_b64 s[6:7], s[16:17], s[36:37]
	v_cndmask_b32_e64 v4, 0, 1, s[6:7]
	s_and_b64 s[6:7], s[14:15], s[38:39]
	v_cndmask_b32_e64 v5, 0, 1, s[6:7]
	s_and_b64 s[6:7], s[12:13], s[40:41]
	v_cndmask_b32_e64 v6, 0, 1, s[6:7]
	s_and_b64 s[6:7], s[10:11], s[42:43]
	v_cndmask_b32_e64 v7, 0, 1, s[6:7]
	v_cmp_ne_u32_e64 s[6:7], 0, v4
	v_cmp_ne_u32_e64 s[28:29], 0, v5
	v_cmp_ne_u32_e64 s[30:31], 0, v6
	v_cmp_ne_u32_e64 s[34:35], 0, v7
	s_bcnt1_i32_b64 s6, s[6:7]
	s_bcnt1_i32_b64 s7, s[28:29]
	s_bcnt1_i32_b64 s28, s[30:31]
	s_bcnt1_i32_b64 s29, s[34:35]
	s_add_u32 s6, s6, s74
	s_addc_u32 s30, 0, s75
	s_add_u32 s6, s6, s7
	s_addc_u32 s7, s30, 0
	s_add_u32 s6, s6, s28
	s_addc_u32 s7, s7, 0
	s_add_u32 s74, s6, s29
	s_addc_u32 s75, s7, 0
	s_and_b64 s[6:7], s[16:17], s[44:45]
	v_cndmask_b32_e64 v6, 0, 1, s[6:7]
	s_and_b64 s[6:7], s[14:15], s[46:47]
	v_cndmask_b32_e64 v7, 0, 1, s[6:7]
	s_and_b64 s[6:7], s[12:13], s[48:49]
	v_cndmask_b32_e64 v8, 0, 1, s[6:7]
	s_and_b64 s[6:7], s[10:11], s[50:51]
	;; [unrolled: 24-line block ×3, first 2 shown]
	v_cndmask_b32_e64 v33, 0, 1, s[6:7]
	v_cmp_ne_u32_e64 s[6:7], 0, v8
	v_cmp_ne_u32_e64 s[10:11], 0, v9
	;; [unrolled: 1-line block ×4, first 2 shown]
	s_bcnt1_i32_b64 s6, s[6:7]
	s_bcnt1_i32_b64 s7, s[10:11]
	;; [unrolled: 1-line block ×4, first 2 shown]
	s_add_u32 s6, s6, s8
	s_addc_u32 s8, 0, s9
	s_add_u32 s6, s6, s7
	s_addc_u32 s7, s8, 0
	;; [unrolled: 2-line block ×3, first 2 shown]
	s_add_u32 s8, s6, s11
	v_cmp_le_u64_e32 vcc, s[92:93], v[28:29]
	s_addc_u32 s9, s7, 0
	v_add_u32_e32 v31, v31, v12
	v_pk_mov_b32 v[2:3], s[84:85], s[84:85] op_sel:[0,1]
	v_pk_mov_b32 v[4:5], s[74:75], s[74:75] op_sel:[0,1]
	;; [unrolled: 1-line block ×3, first 2 shown]
	s_or_b64 s[0:1], vcc, s[0:1]
	v_pk_mov_b32 v[8:9], s[8:9], s[8:9] op_sel:[0,1]
	s_andn2_b64 exec, exec, s[0:1]
	s_cbranch_execnz .LBB38_84
; %bb.85:                               ;   in Loop: Header=BB38_33 Depth=1
	s_or_b64 exec, exec, s[0:1]
	v_readlane_b32 s46, v52, 58
	v_readlane_b32 s47, v52, 59
.LBB38_86:                              ;   in Loop: Header=BB38_33 Depth=1
	s_or_b64 exec, exec, s[2:3]
	v_add_u32_e32 v12, s92, v0
	v_cmp_gt_u32_e32 vcc, s72, v12
	s_and_saveexec_b64 s[0:1], vcc
	s_cbranch_execz .LBB38_90
; %bb.87:                               ;   in Loop: Header=BB38_33 Depth=1
	s_and_b32 s92, s72, 0x7fffffff
	s_and_b32 s8, s86, 0xfe
	v_lshlrev_b32_e32 v31, 1, v12
	v_lshlrev_b32_e32 v32, 1, v30
	s_mov_b64 s[2:3], 0
	v_pk_mov_b32 v[28:29], v[12:13], v[12:13] op_sel:[0,1]
.LBB38_88:                              ;   Parent Loop BB38_33 Depth=1
                                        ; =>  This Inner Loop Header: Depth=2
	ds_read_i16 v12, v31
	v_add_co_u32_e32 v28, vcc, v28, v30
	v_addc_co_u32_e32 v29, vcc, 0, v29, vcc
	s_waitcnt lgkmcnt(0)
	v_add_u32_e32 v12, 0x8000, v12
	v_and_b32_e32 v33, s88, v12
	v_bfe_u32 v12, v12, s8, 2
	v_cmp_eq_u32_e64 s[6:7], s89, v33
	v_cmp_eq_u32_e64 s[10:11], 0, v12
	;; [unrolled: 1-line block ×3, first 2 shown]
	s_and_b64 s[10:11], s[6:7], s[10:11]
	v_cmp_eq_u32_e64 s[14:15], 2, v12
	v_cmp_eq_u32_e64 s[16:17], 3, v12
	v_cndmask_b32_e64 v12, 0, 1, s[10:11]
	s_and_b64 s[10:11], s[6:7], s[12:13]
	v_cndmask_b32_e64 v33, 0, 1, s[10:11]
	s_and_b64 s[10:11], s[6:7], s[14:15]
	s_and_b64 s[6:7], s[6:7], s[16:17]
	v_cndmask_b32_e64 v34, 0, 1, s[10:11]
	v_cndmask_b32_e64 v35, 0, 1, s[6:7]
	v_cmp_ne_u32_e64 s[6:7], 0, v12
	v_cmp_ne_u32_e64 s[10:11], 0, v33
	;; [unrolled: 1-line block ×4, first 2 shown]
	v_cmp_le_u64_e32 vcc, s[92:93], v[28:29]
	s_bcnt1_i32_b64 s6, s[6:7]
	s_bcnt1_i32_b64 s7, s[10:11]
	s_bcnt1_i32_b64 s9, s[12:13]
	s_bcnt1_i32_b64 s10, s[14:15]
	s_or_b64 s[2:3], vcc, s[2:3]
	v_add_co_u32_e32 v2, vcc, s6, v2
	v_addc_co_u32_e32 v3, vcc, 0, v3, vcc
	v_add_co_u32_e32 v4, vcc, s7, v4
	v_addc_co_u32_e32 v5, vcc, 0, v5, vcc
	;; [unrolled: 2-line block ×3, first 2 shown]
	v_add_co_u32_e32 v8, vcc, s10, v8
	v_add_u32_e32 v31, v31, v32
	v_addc_co_u32_e32 v9, vcc, 0, v9, vcc
	s_andn2_b64 exec, exec, s[2:3]
	s_cbranch_execnz .LBB38_88
; %bb.89:                               ;   in Loop: Header=BB38_33 Depth=1
	s_or_b64 exec, exec, s[2:3]
.LBB38_90:                              ;   in Loop: Header=BB38_33 Depth=1
	s_or_b64 exec, exec, s[0:1]
.LBB38_91:                              ;   in Loop: Header=BB38_33 Depth=1
	s_lshl_b32 s2, s87, 6
	s_and_saveexec_b64 s[0:1], s[4:5]
	s_cbranch_execz .LBB38_93
; %bb.92:                               ;   in Loop: Header=BB38_33 Depth=1
	v_or_b32_e32 v12, s2, v39
	v_lshlrev_b32_e32 v12, 3, v12
	ds_write_b128 v12, v[2:5] offset:3072
	s_waitcnt vmcnt(0)
	ds_write_b128 v12, v[6:9] offset:3088
.LBB38_93:                              ;   in Loop: Header=BB38_33 Depth=1
	s_or_b64 exec, exec, s[0:1]
	s_waitcnt lgkmcnt(0)
	s_barrier
	s_and_saveexec_b64 s[0:1], s[46:47]
	s_cbranch_execz .LBB38_105
; %bb.94:                               ;   in Loop: Header=BB38_33 Depth=1
	v_readlane_b32 s6, v52, 44
	v_readlane_b32 s7, v52, 45
	s_andn2_b64 vcc, exec, s[6:7]
	v_pk_mov_b32 v[2:3], 0, 0
	s_cbranch_vccnz .LBB38_104
; %bb.95:                               ;   in Loop: Header=BB38_33 Depth=1
	v_readlane_b32 s6, v52, 49
	v_readlane_b32 s7, v52, 50
	s_andn2_b64 vcc, exec, s[6:7]
	s_cbranch_vccnz .LBB38_100
; %bb.96:                               ;   in Loop: Header=BB38_33 Depth=1
	v_lshl_add_u32 v4, s87, 9, v44
	s_mov_b32 s3, 0
	v_pk_mov_b32 v[2:3], 0, 0
.LBB38_97:                              ;   Parent Loop BB38_33 Depth=1
                                        ; =>  This Inner Loop Header: Depth=2
	s_waitcnt vmcnt(0)
	ds_read2_b64 v[6:9], v4 offset1:4
	ds_read2_b64 v[28:31], v4 offset0:8 offset1:12
	ds_read2_b64 v[32:35], v4 offset0:16 offset1:20
	;; [unrolled: 1-line block ×3, first 2 shown]
	s_add_i32 s3, s3, 8
	s_waitcnt lgkmcnt(3)
	v_add_co_u32_e32 v2, vcc, v6, v2
	v_addc_co_u32_e32 v3, vcc, v7, v3, vcc
	v_add_co_u32_e32 v2, vcc, v8, v2
	v_addc_co_u32_e32 v3, vcc, v9, v3, vcc
	s_waitcnt lgkmcnt(2)
	v_add_co_u32_e32 v2, vcc, v28, v2
	v_addc_co_u32_e32 v3, vcc, v29, v3, vcc
	v_add_co_u32_e32 v2, vcc, v30, v2
	v_addc_co_u32_e32 v3, vcc, v31, v3, vcc
	;; [unrolled: 5-line block ×3, first 2 shown]
	s_waitcnt lgkmcnt(0)
	v_add_co_u32_e32 v2, vcc, v48, v2
	v_addc_co_u32_e32 v3, vcc, v49, v3, vcc
	v_add_co_u32_e32 v2, vcc, v50, v2
	v_add_u32_e32 v4, 0x100, v4
	s_cmp_eq_u32 s82, s3
	v_addc_co_u32_e32 v3, vcc, v51, v3, vcc
	s_cbranch_scc0 .LBB38_97
; %bb.98:                               ;   in Loop: Header=BB38_33 Depth=1
	s_mov_b32 s3, s82
	s_branch .LBB38_101
.LBB38_99:                              ;   in Loop: Header=BB38_33 Depth=1
                                        ; implicit-def: $vgpr28_vgpr29
	s_branch .LBB38_67
.LBB38_100:                             ;   in Loop: Header=BB38_33 Depth=1
	s_mov_b32 s3, 0
	v_pk_mov_b32 v[2:3], 0, 0
.LBB38_101:                             ;   in Loop: Header=BB38_33 Depth=1
	v_readlane_b32 s6, v52, 52
	v_readlane_b32 s7, v52, 53
	s_andn2_b64 vcc, exec, s[6:7]
	s_cbranch_vccnz .LBB38_104
; %bb.102:                              ;   in Loop: Header=BB38_33 Depth=1
	s_lshl_b32 s6, s87, 9
	s_lshl_b32 s3, s3, 5
	s_add_i32 s6, s6, s3
	v_add_u32_e32 v4, s6, v44
	v_readlane_b32 s3, v52, 51
.LBB38_103:                             ;   Parent Loop BB38_33 Depth=1
                                        ; =>  This Inner Loop Header: Depth=2
	s_waitcnt vmcnt(0)
	ds_read_b64 v[6:7], v4
	s_add_i32 s3, s3, -1
	v_add_u32_e32 v4, 32, v4
	s_cmp_lg_u32 s3, 0
	s_waitcnt lgkmcnt(0)
	v_add_co_u32_e32 v2, vcc, v6, v2
	v_addc_co_u32_e32 v3, vcc, v7, v3, vcc
	s_cbranch_scc1 .LBB38_103
.LBB38_104:                             ;   in Loop: Header=BB38_33 Depth=1
	v_add_lshl_u32 v4, s2, v36, 3
	ds_write_b64 v4, v[2:3] offset:3072
.LBB38_105:                             ;   in Loop: Header=BB38_33 Depth=1
	s_or_b64 exec, exec, s[0:1]
	s_lshl_b32 s0, s2, 3
	s_waitcnt vmcnt(0)
	v_mov_b32_e32 v6, s0
	s_waitcnt lgkmcnt(0)
	s_barrier
	ds_read_b128 v[2:5], v6 offset:3072
	ds_read_b128 v[6:9], v6 offset:3088
	s_and_b32 s40, s86, 0xfe
	s_lshl_b32 s44, 3, s40
	s_not_b32 s41, s44
	s_waitcnt lgkmcnt(1)
	v_readfirstlane_b32 s15, v3
	v_readfirstlane_b32 s14, v2
	s_cmp_eq_u64 s[14:15], 1
	s_cselect_b64 s[0:1], -1, 0
	s_cmp_eq_u64 s[54:55], 1
	s_cselect_b64 s[2:3], -1, 0
	s_and_b64 s[20:21], s[0:1], s[2:3]
	v_readfirstlane_b32 s28, v4
	v_readfirstlane_b32 s29, v5
	s_waitcnt lgkmcnt(0)
	v_readfirstlane_b32 s16, v6
	v_readfirstlane_b32 s17, v7
	v_readfirstlane_b32 s10, v8
	v_readfirstlane_b32 s11, v9
	s_mov_b64 s[18:19], -1
	s_and_b64 vcc, exec, s[20:21]
	s_cbranch_vccz .LBB38_120
; %bb.106:                              ;   in Loop: Header=BB38_33 Depth=1
	ds_read_b64 v[2:3], v13 offset:5120
	s_waitcnt lgkmcnt(0)
	s_barrier
	v_readfirstlane_b32 s12, v2
	v_readfirstlane_b32 s13, v3
	s_mov_b64 s[0:1], exec
	v_readlane_b32 s2, v52, 36
	v_readlane_b32 s3, v52, 37
	s_and_b64 s[2:3], s[0:1], s[2:3]
	s_mov_b64 exec, s[2:3]
	s_cbranch_execz .LBB38_108
; %bb.107:                              ;   in Loop: Header=BB38_33 Depth=1
	ds_write_b16 v38, v13
.LBB38_108:                             ;   in Loop: Header=BB38_33 Depth=1
	s_or_b64 exec, exec, s[0:1]
	v_cmp_lt_i64_e64 s[0:1], s[12:13], 1
	s_and_b32 s89, s89, s41
	s_or_b32 s88, s88, s44
	s_and_b64 vcc, exec, s[0:1]
	s_waitcnt lgkmcnt(0)
	s_barrier
	s_cbranch_vccz .LBB38_121
; %bb.109:                              ;   in Loop: Header=BB38_33 Depth=1
	s_mov_b32 s90, s93
	s_cmp_lg_u64 s[90:91], 0
	s_cbranch_scc0 .LBB38_166
; %bb.110:                              ;   in Loop: Header=BB38_33 Depth=1
	v_cvt_f32_u32_e32 v2, s33
	s_sub_u32 s0, 0, s33
	s_subb_u32 s1, 0, 0
	v_mac_f32_e32 v2, 0x4f800000, v45
	v_rcp_f32_e32 v2, v2
	v_mul_f32_e32 v2, 0x5f7ffffc, v2
	v_mul_f32_e32 v3, 0x2f800000, v2
	v_trunc_f32_e32 v3, v3
	v_mac_f32_e32 v2, 0xcf800000, v3
	v_cvt_u32_f32_e32 v3, v3
	v_cvt_u32_f32_e32 v2, v2
	v_readfirstlane_b32 s2, v3
	v_readfirstlane_b32 s3, v2
	s_mul_i32 s6, s0, s2
	s_mul_hi_u32 s8, s0, s3
	s_mul_i32 s7, s1, s3
	s_add_i32 s6, s8, s6
	s_mul_i32 s9, s0, s3
	s_add_i32 s6, s6, s7
	s_mul_hi_u32 s8, s3, s9
	s_mul_hi_u32 s7, s3, s6
	s_mul_i32 s3, s3, s6
	s_add_u32 s3, s8, s3
	s_addc_u32 s7, 0, s7
	s_mul_hi_u32 s22, s2, s9
	s_mul_i32 s9, s2, s9
	s_add_u32 s3, s3, s9
	s_mul_hi_u32 s8, s2, s6
	s_addc_u32 s3, s7, s22
	s_addc_u32 s7, s8, 0
	s_mul_i32 s6, s2, s6
	s_add_u32 s3, s3, s6
	s_addc_u32 s6, 0, s7
	v_add_co_u32_e32 v2, vcc, s3, v2
	s_cmp_lg_u64 vcc, 0
	s_addc_u32 s2, s2, s6
	v_readfirstlane_b32 s6, v2
	s_mul_i32 s3, s0, s2
	s_mul_hi_u32 s7, s0, s6
	s_add_i32 s3, s7, s3
	s_mul_i32 s1, s1, s6
	s_add_i32 s3, s3, s1
	s_mul_i32 s0, s0, s6
	s_mul_hi_u32 s7, s2, s0
	s_mul_i32 s8, s2, s0
	s_mul_i32 s22, s6, s3
	s_mul_hi_u32 s0, s6, s0
	s_mul_hi_u32 s9, s6, s3
	s_add_u32 s0, s0, s22
	s_addc_u32 s6, 0, s9
	s_add_u32 s0, s0, s8
	s_mul_hi_u32 s1, s2, s3
	s_addc_u32 s0, s6, s7
	s_addc_u32 s1, s1, 0
	s_mul_i32 s3, s2, s3
	s_add_u32 s0, s0, s3
	s_addc_u32 s1, 0, s1
	v_add_co_u32_e32 v2, vcc, s0, v2
	s_cmp_lg_u64 vcc, 0
	s_addc_u32 s6, s2, s1
	s_ashr_i32 s0, s91, 31
	v_readlane_b32 s2, v52, 47
	s_add_u32 s2, s2, s0
	s_mov_b32 s1, s0
	s_addc_u32 s3, s91, s0
	s_xor_b64 s[2:3], s[2:3], s[0:1]
	v_readfirstlane_b32 s8, v2
	s_mul_i32 s7, s2, s6
	s_mul_hi_u32 s9, s2, s8
	s_mul_hi_u32 s1, s2, s6
	s_add_u32 s7, s9, s7
	s_addc_u32 s1, 0, s1
	s_mul_hi_u32 s22, s3, s8
	s_mul_i32 s8, s3, s8
	s_add_u32 s7, s7, s8
	s_mul_hi_u32 s9, s3, s6
	s_addc_u32 s1, s1, s22
	s_addc_u32 s7, s9, 0
	s_mul_i32 s6, s3, s6
	s_add_u32 s1, s1, s6
	s_addc_u32 s6, 0, s7
	s_mul_hi_u32 s7, s33, s1
	s_mul_i32 s1, s33, s1
	s_mul_i32 s6, s33, s6
	v_mov_b32_e32 v2, s1
	s_add_i32 s7, s7, s6
	v_sub_co_u32_e32 v2, vcc, s2, v2
	s_cmp_lg_u64 vcc, 0
	s_subb_u32 s1, s3, s7
	v_subrev_co_u32_e32 v3, vcc, s33, v2
	s_cmp_lg_u64 vcc, 0
	s_subb_u32 s2, s1, 0
	v_subrev_co_u32_e32 v4, vcc, s33, v3
	s_cmp_lg_u64 vcc, 0
	s_subb_u32 s3, s2, 0
	v_cmp_le_u32_e32 vcc, s33, v3
	s_cmp_eq_u32 s2, 0
	v_cndmask_b32_e64 v5, 0, -1, vcc
	s_cselect_b64 vcc, -1, 0
	v_cndmask_b32_e32 v5, -1, v5, vcc
	v_mov_b32_e32 v6, s2
	v_mov_b32_e32 v7, s3
	v_cmp_ne_u32_e32 vcc, 0, v5
	v_cndmask_b32_e32 v5, v6, v7, vcc
	v_cndmask_b32_e32 v3, v3, v4, vcc
	v_cmp_le_u32_e32 vcc, s33, v2
	s_cmp_eq_u32 s1, 0
	v_cndmask_b32_e64 v4, 0, -1, vcc
	s_cselect_b64 vcc, -1, 0
	v_cndmask_b32_e32 v4, -1, v4, vcc
	v_cmp_ne_u32_e32 vcc, 0, v4
	v_mov_b32_e32 v6, s1
	v_cndmask_b32_e32 v2, v2, v3, vcc
	v_cndmask_b32_e32 v4, v6, v5, vcc
	v_xor_b32_e32 v2, s0, v2
	v_xor_b32_e32 v3, s0, v4
	v_mov_b32_e32 v4, s0
	v_subrev_co_u32_e32 v2, vcc, s0, v2
	v_subb_co_u32_e32 v3, vcc, v3, v4, vcc
	s_cbranch_execnz .LBB38_112
.LBB38_111:                             ;   in Loop: Header=BB38_33 Depth=1
	v_cvt_f32_u32_e32 v2, s33
	s_sub_i32 s0, 0, s33
	v_rcp_iflag_f32_e32 v2, v2
	v_mul_f32_e32 v2, 0x4f7ffffe, v2
	v_cvt_u32_f32_e32 v2, v2
	v_mul_lo_u32 v3, s0, v2
	v_mul_hi_u32 v3, v2, v3
	v_add_u32_e32 v2, v2, v3
	v_readlane_b32 s0, v52, 47
	v_mul_hi_u32 v2, s0, v2
	v_mul_lo_u32 v2, v2, s33
	v_sub_u32_e32 v2, s0, v2
	v_subrev_u32_e32 v3, s33, v2
	v_cmp_le_u32_e32 vcc, s33, v2
	v_cndmask_b32_e32 v2, v2, v3, vcc
	v_subrev_u32_e32 v3, s33, v2
	v_cmp_le_u32_e32 vcc, s33, v2
	v_cndmask_b32_e32 v12, v2, v3, vcc
	v_pk_mov_b32 v[2:3], v[12:13], v[12:13] op_sel:[0,1]
.LBB38_112:                             ;   in Loop: Header=BB38_33 Depth=1
	v_readlane_b32 s0, v52, 47
	v_mov_b32_e32 v4, s91
	v_sub_co_u32_e32 v2, vcc, s0, v2
	v_subb_co_u32_e32 v3, vcc, v4, v3, vcc
	v_cmp_gt_i64_e32 vcc, v[2:3], v[0:1]
	s_mov_b64 s[0:1], 0
                                        ; implicit-def: $vgpr47
	s_and_saveexec_b64 s[2:3], vcc
	s_cbranch_execz .LBB38_123
; %bb.113:                              ;   in Loop: Header=BB38_33 Depth=1
	v_pk_mov_b32 v[4:5], v[10:11], v[10:11] op_sel:[0,1]
	v_pk_mov_b32 v[6:7], v[0:1], v[0:1] op_sel:[0,1]
                                        ; implicit-def: $sgpr8_sgpr9
	s_branch .LBB38_115
.LBB38_114:                             ;   in Loop: Header=BB38_115 Depth=2
	s_or_b64 exec, exec, s[6:7]
	s_waitcnt lgkmcnt(0)
	s_barrier
	s_waitcnt vmcnt(0)
	ds_read_b32 v8, v13 offset:3072
	v_mov_b32_e32 v9, s26
	v_add_co_u32_e64 v6, s[6:7], s33, v6
	v_addc_co_u32_e64 v7, s[6:7], v7, v9, s[6:7]
	s_waitcnt lgkmcnt(0)
	v_cmp_ne_u16_e32 vcc, 0, v8
	v_cmp_ge_i64_e64 s[6:7], v[6:7], v[2:3]
	s_or_b64 s[22:23], vcc, s[6:7]
	v_mov_b32_e32 v9, s95
	v_add_co_u32_e64 v4, s[6:7], s94, v4
	v_addc_co_u32_e64 v5, s[6:7], v5, v9, s[6:7]
	s_and_b64 s[6:7], exec, s[22:23]
	s_or_b64 s[0:1], s[6:7], s[0:1]
	s_andn2_b64 s[6:7], s[8:9], exec
	s_and_b64 s[8:9], vcc, exec
	s_or_b64 s[8:9], s[6:7], s[8:9]
	s_barrier
	s_andn2_b64 exec, exec, s[0:1]
	s_cbranch_execz .LBB38_122
.LBB38_115:                             ;   Parent Loop BB38_33 Depth=1
                                        ; =>  This Inner Loop Header: Depth=2
	v_cmp_gt_i64_e32 vcc, s[52:53], v[6:7]
	v_mov_b32_e32 v8, 0
	s_and_saveexec_b64 s[6:7], vcc
	s_cbranch_execz .LBB38_117
; %bb.116:                              ;   in Loop: Header=BB38_115 Depth=2
	global_load_ushort v8, v[4:5], off
.LBB38_117:                             ;   in Loop: Header=BB38_115 Depth=2
	s_or_b64 exec, exec, s[6:7]
	s_and_saveexec_b64 s[6:7], vcc
	s_cbranch_execz .LBB38_114
; %bb.118:                              ;   in Loop: Header=BB38_115 Depth=2
	s_waitcnt vmcnt(0)
	v_add_u32_sdwa v9, sext(v8), s27 dst_sel:DWORD dst_unused:UNUSED_PAD src0_sel:WORD_0 src1_sel:DWORD
	v_and_b32_e32 v9, s88, v9
	v_cmp_eq_u32_e32 vcc, s89, v9
	s_and_b64 exec, exec, vcc
	s_cbranch_execz .LBB38_114
; %bb.119:                              ;   in Loop: Header=BB38_115 Depth=2
	v_perm_b32 v8, v8, 1, v46
	ds_write_b32 v13, v8 offset:3072
	s_branch .LBB38_114
.LBB38_120:                             ;   in Loop: Header=BB38_33 Depth=1
	s_mov_b64 s[0:1], -1
                                        ; implicit-def: $sgpr2_sgpr3
                                        ; implicit-def: $sgpr8_sgpr9
                                        ; implicit-def: $sgpr6_sgpr7
	s_branch .LBB38_137
.LBB38_121:                             ;   in Loop: Header=BB38_33 Depth=1
	s_mov_b64 s[2:3], -1
	s_mov_b64 s[0:1], 0
                                        ; implicit-def: $sgpr6_sgpr7
                                        ; implicit-def: $vgpr47
	s_mov_b64 s[8:9], s[2:3]
	s_cbranch_execnz .LBB38_124
	s_branch .LBB38_137
.LBB38_122:                             ;   in Loop: Header=BB38_33 Depth=1
	s_or_b64 exec, exec, s[0:1]
	v_lshrrev_b32_e32 v47, 16, v8
	s_and_b64 s[0:1], s[8:9], exec
.LBB38_123:                             ;   in Loop: Header=BB38_33 Depth=1
	s_or_b64 exec, exec, s[2:3]
	s_mov_b64 s[6:7], -1
	s_mov_b64 s[2:3], 0
	s_mov_b64 s[8:9], s[2:3]
	s_branch .LBB38_137
.LBB38_124:                             ;   in Loop: Header=BB38_33 Depth=1
	v_readlane_b32 s0, v52, 46
	s_add_u32 s6, s0, s12
	v_readlane_b32 s0, v52, 48
	s_addc_u32 s1, s0, s13
	s_mov_b32 s0, s93
	s_cmp_lg_u64 s[0:1], 0
	s_cbranch_scc0 .LBB38_167
; %bb.125:                              ;   in Loop: Header=BB38_33 Depth=1
	v_cvt_f32_u32_e32 v2, s33
	s_sub_u32 s0, 0, s33
	s_subb_u32 s2, 0, 0
	v_mac_f32_e32 v2, 0x4f800000, v45
	v_rcp_f32_e32 v2, v2
	v_mul_f32_e32 v2, 0x5f7ffffc, v2
	v_mul_f32_e32 v3, 0x2f800000, v2
	v_trunc_f32_e32 v3, v3
	v_mac_f32_e32 v2, 0xcf800000, v3
	v_cvt_u32_f32_e32 v3, v3
	v_cvt_u32_f32_e32 v2, v2
	v_readfirstlane_b32 s3, v3
	v_readfirstlane_b32 s7, v2
	s_mul_i32 s8, s0, s3
	s_mul_hi_u32 s22, s0, s7
	s_mul_i32 s9, s2, s7
	s_add_i32 s8, s22, s8
	s_mul_i32 s23, s0, s7
	s_add_i32 s8, s8, s9
	s_mul_hi_u32 s22, s7, s23
	s_mul_hi_u32 s9, s7, s8
	s_mul_i32 s7, s7, s8
	s_add_u32 s7, s22, s7
	s_addc_u32 s9, 0, s9
	s_mul_hi_u32 s24, s3, s23
	s_mul_i32 s23, s3, s23
	s_add_u32 s7, s7, s23
	s_mul_hi_u32 s22, s3, s8
	s_addc_u32 s7, s9, s24
	s_addc_u32 s9, s22, 0
	s_mul_i32 s8, s3, s8
	s_add_u32 s7, s7, s8
	s_addc_u32 s8, 0, s9
	v_add_co_u32_e32 v2, vcc, s7, v2
	s_cmp_lg_u64 vcc, 0
	s_addc_u32 s3, s3, s8
	v_readfirstlane_b32 s8, v2
	s_mul_i32 s7, s0, s3
	s_mul_hi_u32 s9, s0, s8
	s_add_i32 s7, s9, s7
	s_mul_i32 s2, s2, s8
	s_add_i32 s7, s7, s2
	s_mul_i32 s0, s0, s8
	s_mul_hi_u32 s9, s3, s0
	s_mul_i32 s22, s3, s0
	s_mul_i32 s24, s8, s7
	s_mul_hi_u32 s0, s8, s0
	s_mul_hi_u32 s23, s8, s7
	s_add_u32 s0, s0, s24
	s_addc_u32 s8, 0, s23
	s_add_u32 s0, s0, s22
	s_mul_hi_u32 s2, s3, s7
	s_addc_u32 s0, s8, s9
	s_addc_u32 s2, s2, 0
	s_mul_i32 s7, s3, s7
	s_add_u32 s0, s0, s7
	s_addc_u32 s2, 0, s2
	v_add_co_u32_e32 v2, vcc, s0, v2
	s_cmp_lg_u64 vcc, 0
	s_addc_u32 s0, s3, s2
	s_ashr_i32 s2, s1, 31
	s_add_u32 s8, s6, s2
	s_mov_b32 s3, s2
	s_addc_u32 s9, s1, s2
	s_xor_b64 s[8:9], s[8:9], s[2:3]
	v_readfirstlane_b32 s22, v2
	s_mul_i32 s7, s8, s0
	s_mul_hi_u32 s23, s8, s22
	s_mul_hi_u32 s3, s8, s0
	s_add_u32 s7, s23, s7
	s_addc_u32 s3, 0, s3
	s_mul_hi_u32 s24, s9, s22
	s_mul_i32 s22, s9, s22
	s_add_u32 s7, s7, s22
	s_mul_hi_u32 s23, s9, s0
	s_addc_u32 s3, s3, s24
	s_addc_u32 s7, s23, 0
	s_mul_i32 s0, s9, s0
	s_add_u32 s0, s3, s0
	s_addc_u32 s3, 0, s7
	s_mul_hi_u32 s7, s33, s0
	s_mul_i32 s0, s33, s0
	s_mul_i32 s3, s33, s3
	v_mov_b32_e32 v2, s0
	s_add_i32 s7, s7, s3
	v_sub_co_u32_e32 v2, vcc, s8, v2
	s_cmp_lg_u64 vcc, 0
	s_subb_u32 s0, s9, s7
	v_subrev_co_u32_e32 v3, vcc, s33, v2
	s_cmp_lg_u64 vcc, 0
	s_subb_u32 s3, s0, 0
	v_subrev_co_u32_e32 v4, vcc, s33, v3
	s_cmp_lg_u64 vcc, 0
	s_subb_u32 s7, s3, 0
	v_cmp_le_u32_e32 vcc, s33, v3
	s_cmp_eq_u32 s3, 0
	v_cndmask_b32_e64 v5, 0, -1, vcc
	s_cselect_b64 vcc, -1, 0
	v_cndmask_b32_e32 v5, -1, v5, vcc
	v_mov_b32_e32 v6, s3
	v_mov_b32_e32 v7, s7
	v_cmp_ne_u32_e32 vcc, 0, v5
	v_cndmask_b32_e32 v5, v6, v7, vcc
	v_cndmask_b32_e32 v3, v3, v4, vcc
	v_cmp_le_u32_e32 vcc, s33, v2
	s_cmp_eq_u32 s0, 0
	v_cndmask_b32_e64 v4, 0, -1, vcc
	s_cselect_b64 vcc, -1, 0
	v_cndmask_b32_e32 v4, -1, v4, vcc
	v_cmp_ne_u32_e32 vcc, 0, v4
	v_mov_b32_e32 v6, s0
	v_cndmask_b32_e32 v2, v2, v3, vcc
	v_cndmask_b32_e32 v4, v6, v5, vcc
	v_xor_b32_e32 v2, s2, v2
	v_xor_b32_e32 v3, s2, v4
	v_mov_b32_e32 v4, s2
	v_subrev_co_u32_e32 v2, vcc, s2, v2
	v_subb_co_u32_e32 v3, vcc, v3, v4, vcc
	s_cbranch_execnz .LBB38_127
.LBB38_126:                             ;   in Loop: Header=BB38_33 Depth=1
	v_cvt_f32_u32_e32 v2, s33
	s_sub_i32 s0, 0, s33
	v_rcp_iflag_f32_e32 v2, v2
	v_mul_f32_e32 v2, 0x4f7ffffe, v2
	v_cvt_u32_f32_e32 v2, v2
	v_mul_lo_u32 v3, s0, v2
	v_mul_hi_u32 v3, v2, v3
	v_add_u32_e32 v2, v2, v3
	v_mul_hi_u32 v2, s6, v2
	v_mul_lo_u32 v2, v2, s33
	v_sub_u32_e32 v2, s6, v2
	v_subrev_u32_e32 v3, s33, v2
	v_cmp_le_u32_e32 vcc, s33, v2
	v_cndmask_b32_e32 v2, v2, v3, vcc
	v_subrev_u32_e32 v3, s33, v2
	v_cmp_le_u32_e32 vcc, s33, v2
	v_cndmask_b32_e32 v12, v2, v3, vcc
	v_pk_mov_b32 v[2:3], v[12:13], v[12:13] op_sel:[0,1]
.LBB38_127:                             ;   in Loop: Header=BB38_33 Depth=1
	v_mov_b32_e32 v4, s1
	v_sub_co_u32_e32 v2, vcc, s6, v2
	v_subb_co_u32_e32 v3, vcc, v4, v3, vcc
	v_cmp_gt_i64_e32 vcc, v[2:3], v[0:1]
	s_mov_b64 s[0:1], 0
                                        ; implicit-def: $vgpr47
	s_and_saveexec_b64 s[2:3], vcc
	s_cbranch_execz .LBB38_136
; %bb.128:                              ;   in Loop: Header=BB38_33 Depth=1
	v_mov_b32_e32 v6, v37
	v_pk_mov_b32 v[4:5], v[0:1], v[0:1] op_sel:[0,1]
                                        ; implicit-def: $sgpr8_sgpr9
	s_branch .LBB38_130
.LBB38_129:                             ;   in Loop: Header=BB38_130 Depth=2
	s_or_b64 exec, exec, s[6:7]
	s_waitcnt lgkmcnt(0)
	s_barrier
	ds_read_b32 v7, v13 offset:3072
	v_mov_b32_e32 v8, s26
	v_add_co_u32_e64 v4, s[6:7], s33, v4
	v_addc_co_u32_e64 v5, s[6:7], v5, v8, s[6:7]
	s_waitcnt lgkmcnt(0)
	v_cmp_ne_u16_e32 vcc, 0, v7
	v_cmp_ge_i64_e64 s[6:7], v[4:5], v[2:3]
	s_or_b64 s[6:7], vcc, s[6:7]
	s_and_b64 s[6:7], exec, s[6:7]
	s_or_b64 s[0:1], s[6:7], s[0:1]
	s_andn2_b64 s[6:7], s[8:9], exec
	s_and_b64 s[8:9], vcc, exec
	v_add_u32_e32 v6, s83, v6
	s_or_b64 s[8:9], s[6:7], s[8:9]
	s_barrier
	s_andn2_b64 exec, exec, s[0:1]
	s_cbranch_execz .LBB38_135
.LBB38_130:                             ;   Parent Loop BB38_33 Depth=1
                                        ; =>  This Inner Loop Header: Depth=2
	v_cmp_gt_i64_e32 vcc, s[12:13], v[4:5]
	v_mov_b32_e32 v7, 0
	s_and_saveexec_b64 s[6:7], vcc
	s_cbranch_execz .LBB38_132
; %bb.131:                              ;   in Loop: Header=BB38_130 Depth=2
	ds_read_u16 v7, v6
.LBB38_132:                             ;   in Loop: Header=BB38_130 Depth=2
	s_or_b64 exec, exec, s[6:7]
	s_and_saveexec_b64 s[6:7], vcc
	s_cbranch_execz .LBB38_129
; %bb.133:                              ;   in Loop: Header=BB38_130 Depth=2
	s_waitcnt lgkmcnt(0)
	v_add_u32_sdwa v8, sext(v7), s27 dst_sel:DWORD dst_unused:UNUSED_PAD src0_sel:WORD_0 src1_sel:DWORD
	v_and_b32_e32 v8, s88, v8
	v_cmp_eq_u32_e32 vcc, s89, v8
	s_and_b64 exec, exec, vcc
	s_cbranch_execz .LBB38_129
; %bb.134:                              ;   in Loop: Header=BB38_130 Depth=2
	v_perm_b32 v7, v7, 1, v46
	ds_write_b32 v13, v7 offset:3072
	s_branch .LBB38_129
.LBB38_135:                             ;   in Loop: Header=BB38_33 Depth=1
	s_or_b64 exec, exec, s[0:1]
	v_lshrrev_b32_e32 v47, 16, v7
	s_and_b64 s[0:1], s[8:9], exec
.LBB38_136:                             ;   in Loop: Header=BB38_33 Depth=1
	s_or_b64 exec, exec, s[2:3]
	s_mov_b64 s[8:9], -1
	s_mov_b64 s[2:3], 0
	s_mov_b64 s[6:7], 0
.LBB38_137:                             ;   in Loop: Header=BB38_33 Depth=1
	s_andn2_b64 s[12:13], s[70:71], exec
	s_and_b64 s[2:3], s[2:3], exec
	s_or_b64 s[70:71], s[12:13], s[2:3]
	s_andn2_b64 s[2:3], s[80:81], exec
	s_and_b64 s[8:9], s[8:9], exec
	s_or_b64 s[80:81], s[2:3], s[8:9]
	;; [unrolled: 3-line block ×3, first 2 shown]
	s_and_saveexec_b64 s[12:13], s[0:1]
	s_cbranch_execz .LBB38_32
; %bb.138:                              ;   in Loop: Header=BB38_33 Depth=1
	s_xor_b64 s[0:1], s[20:21], -1
	s_andn2_b64 vcc, exec, s[0:1]
	s_mov_b32 s45, 1
	s_cbranch_vccnz .LBB38_149
; %bb.139:                              ;   in Loop: Header=BB38_33 Depth=1
	v_pk_mov_b32 v[2:3], s[14:15], s[14:15] op_sel:[0,1]
	v_cmp_gt_i64_e32 vcc, s[54:55], v[2:3]
	s_mov_b64 s[0:1], -1
                                        ; implicit-def: $sgpr45
                                        ; implicit-def: $sgpr2
                                        ; implicit-def: $sgpr3
	s_cbranch_vccnz .LBB38_145
; %bb.140:                              ;   in Loop: Header=BB38_33 Depth=1
	ds_read_b64 v[2:3], v13 offset:5120
	s_waitcnt lgkmcnt(0)
	v_cmp_ne_u64_e32 vcc, 0, v[2:3]
	s_cbranch_vccnz .LBB38_144
; %bb.141:                              ;   in Loop: Header=BB38_33 Depth=1
	s_mov_b64 s[0:1], exec
	v_readlane_b32 s2, v52, 32
	v_readlane_b32 s3, v52, 33
	s_and_b64 s[2:3], s[0:1], s[2:3]
	s_mov_b64 exec, s[2:3]
	s_cbranch_execz .LBB38_143
; %bb.142:                              ;   in Loop: Header=BB38_33 Depth=1
	v_pk_mov_b32 v[2:3], s[14:15], s[14:15] op_sel:[0,1]
	ds_write_b64 v13, v[2:3] offset:5128
.LBB38_143:                             ;   in Loop: Header=BB38_33 Depth=1
	s_or_b64 exec, exec, s[0:1]
	s_waitcnt lgkmcnt(0)
	s_barrier
.LBB38_144:                             ;   in Loop: Header=BB38_33 Depth=1
	s_and_b32 s2, s89, s41
	s_or_b32 s3, s88, s44
	s_mov_b64 s[0:1], 0
	s_mov_b32 s45, 8
.LBB38_145:                             ;   in Loop: Header=BB38_33 Depth=1
	s_andn2_b64 vcc, exec, s[0:1]
	s_cbranch_vccnz .LBB38_147
; %bb.146:                              ;   in Loop: Header=BB38_33 Depth=1
	s_sub_u32 s54, s54, s14
	s_subb_u32 s55, s55, s15
	s_mov_b64 s[0:1], -1
	s_mov_b32 s45, 0
	s_mov_b32 s2, s89
	;; [unrolled: 1-line block ×3, first 2 shown]
.LBB38_147:                             ;   in Loop: Header=BB38_33 Depth=1
	s_mov_b32 s88, s3
	s_mov_b32 s89, s2
	s_mov_b64 s[14:15], -1
	s_and_b64 vcc, exec, s[0:1]
	s_cbranch_vccnz .LBB38_150
.LBB38_148:                             ;   in Loop: Header=BB38_33 Depth=1
	s_mov_b64 s[2:3], -1
                                        ; implicit-def: $sgpr18_sgpr19
                                        ; implicit-def: $sgpr22_sgpr23
                                        ; implicit-def: $sgpr20_sgpr21
	s_and_saveexec_b64 s[0:1], s[2:3]
	s_xor_b64 s[0:1], exec, s[0:1]
	s_cbranch_execz .LBB38_31
	s_branch .LBB38_296
.LBB38_149:                             ;   in Loop: Header=BB38_33 Depth=1
	s_mov_b64 s[54:55], 1
	s_mov_b64 s[14:15], -1
	s_branch .LBB38_148
.LBB38_150:                             ;   in Loop: Header=BB38_33 Depth=1
	s_cmp_eq_u64 s[28:29], 1
	s_cselect_b64 s[0:1], -1, 0
	s_cmp_eq_u64 s[54:55], 1
	s_cselect_b64 s[2:3], -1, 0
	s_and_b64 s[30:31], s[0:1], s[2:3]
	s_mov_b64 s[0:1], -1
	s_and_b64 vcc, exec, s[30:31]
	s_cbranch_vccz .LBB38_165
; %bb.151:                              ;   in Loop: Header=BB38_33 Depth=1
	ds_read_b64 v[2:3], v13 offset:5120
	s_waitcnt lgkmcnt(0)
	s_barrier
	v_readfirstlane_b32 s24, v2
	v_readfirstlane_b32 s25, v3
	s_mov_b64 s[0:1], exec
	v_readlane_b32 s2, v52, 36
	v_readlane_b32 s3, v52, 37
	s_and_b64 s[2:3], s[0:1], s[2:3]
	s_mov_b64 exec, s[2:3]
	s_cbranch_execz .LBB38_153
; %bb.152:                              ;   in Loop: Header=BB38_33 Depth=1
	ds_write_b16 v38, v13
.LBB38_153:                             ;   in Loop: Header=BB38_33 Depth=1
	s_or_b64 exec, exec, s[0:1]
	s_lshl_b32 s0, 1, s40
	s_and_b32 s1, s89, s41
	s_or_b32 s89, s1, s0
	v_cmp_gt_i64_e64 s[0:1], s[24:25], 0
	s_or_b32 s88, s88, s44
	s_and_b64 vcc, exec, s[0:1]
	s_waitcnt lgkmcnt(0)
	s_barrier
	s_cbranch_vccnz .LBB38_168
; %bb.154:                              ;   in Loop: Header=BB38_33 Depth=1
	s_mov_b32 s90, s93
	s_cmp_lg_u64 s[90:91], 0
	s_cbranch_scc0 .LBB38_213
; %bb.155:                              ;   in Loop: Header=BB38_33 Depth=1
	v_cvt_f32_u32_e32 v2, s33
	s_sub_u32 s0, 0, s33
	s_subb_u32 s1, 0, 0
	v_mac_f32_e32 v2, 0x4f800000, v45
	v_rcp_f32_e32 v2, v2
	v_mul_f32_e32 v2, 0x5f7ffffc, v2
	v_mul_f32_e32 v3, 0x2f800000, v2
	v_trunc_f32_e32 v3, v3
	v_mac_f32_e32 v2, 0xcf800000, v3
	v_cvt_u32_f32_e32 v3, v3
	v_cvt_u32_f32_e32 v2, v2
	v_readfirstlane_b32 s2, v3
	v_readfirstlane_b32 s3, v2
	s_mul_i32 s6, s0, s2
	s_mul_hi_u32 s8, s0, s3
	s_mul_i32 s7, s1, s3
	s_add_i32 s6, s8, s6
	s_mul_i32 s9, s0, s3
	s_add_i32 s6, s6, s7
	s_mul_hi_u32 s8, s3, s9
	s_mul_hi_u32 s7, s3, s6
	s_mul_i32 s3, s3, s6
	s_add_u32 s3, s8, s3
	s_addc_u32 s7, 0, s7
	s_mul_hi_u32 s18, s2, s9
	s_mul_i32 s9, s2, s9
	s_add_u32 s3, s3, s9
	s_mul_hi_u32 s8, s2, s6
	s_addc_u32 s3, s7, s18
	s_addc_u32 s7, s8, 0
	s_mul_i32 s6, s2, s6
	s_add_u32 s3, s3, s6
	s_addc_u32 s6, 0, s7
	v_add_co_u32_e32 v2, vcc, s3, v2
	s_cmp_lg_u64 vcc, 0
	s_addc_u32 s2, s2, s6
	v_readfirstlane_b32 s6, v2
	s_mul_i32 s3, s0, s2
	s_mul_hi_u32 s7, s0, s6
	s_add_i32 s3, s7, s3
	s_mul_i32 s1, s1, s6
	s_add_i32 s3, s3, s1
	s_mul_i32 s0, s0, s6
	s_mul_hi_u32 s7, s2, s0
	s_mul_i32 s8, s2, s0
	s_mul_i32 s18, s6, s3
	s_mul_hi_u32 s0, s6, s0
	s_mul_hi_u32 s9, s6, s3
	s_add_u32 s0, s0, s18
	s_addc_u32 s6, 0, s9
	s_add_u32 s0, s0, s8
	s_mul_hi_u32 s1, s2, s3
	s_addc_u32 s0, s6, s7
	s_addc_u32 s1, s1, 0
	s_mul_i32 s3, s2, s3
	s_add_u32 s0, s0, s3
	s_addc_u32 s1, 0, s1
	v_add_co_u32_e32 v2, vcc, s0, v2
	s_cmp_lg_u64 vcc, 0
	s_addc_u32 s6, s2, s1
	s_ashr_i32 s0, s91, 31
	v_readlane_b32 s2, v52, 47
	s_add_u32 s2, s2, s0
	s_mov_b32 s1, s0
	s_addc_u32 s3, s91, s0
	s_xor_b64 s[2:3], s[2:3], s[0:1]
	v_readfirstlane_b32 s8, v2
	s_mul_i32 s7, s2, s6
	s_mul_hi_u32 s9, s2, s8
	s_mul_hi_u32 s1, s2, s6
	s_add_u32 s7, s9, s7
	s_addc_u32 s1, 0, s1
	s_mul_hi_u32 s18, s3, s8
	s_mul_i32 s8, s3, s8
	s_add_u32 s7, s7, s8
	s_mul_hi_u32 s9, s3, s6
	s_addc_u32 s1, s1, s18
	s_addc_u32 s7, s9, 0
	s_mul_i32 s6, s3, s6
	s_add_u32 s1, s1, s6
	s_addc_u32 s6, 0, s7
	s_mul_hi_u32 s7, s33, s1
	s_mul_i32 s1, s33, s1
	s_mul_i32 s6, s33, s6
	v_mov_b32_e32 v2, s1
	s_add_i32 s7, s7, s6
	v_sub_co_u32_e32 v2, vcc, s2, v2
	s_cmp_lg_u64 vcc, 0
	s_subb_u32 s1, s3, s7
	v_subrev_co_u32_e32 v3, vcc, s33, v2
	s_cmp_lg_u64 vcc, 0
	s_subb_u32 s2, s1, 0
	v_subrev_co_u32_e32 v4, vcc, s33, v3
	s_cmp_lg_u64 vcc, 0
	s_subb_u32 s3, s2, 0
	v_cmp_le_u32_e32 vcc, s33, v3
	s_cmp_eq_u32 s2, 0
	v_cndmask_b32_e64 v5, 0, -1, vcc
	s_cselect_b64 vcc, -1, 0
	v_cndmask_b32_e32 v5, -1, v5, vcc
	v_mov_b32_e32 v6, s2
	v_mov_b32_e32 v7, s3
	v_cmp_ne_u32_e32 vcc, 0, v5
	v_cndmask_b32_e32 v5, v6, v7, vcc
	v_cndmask_b32_e32 v3, v3, v4, vcc
	v_cmp_le_u32_e32 vcc, s33, v2
	s_cmp_eq_u32 s1, 0
	v_cndmask_b32_e64 v4, 0, -1, vcc
	s_cselect_b64 vcc, -1, 0
	v_cndmask_b32_e32 v4, -1, v4, vcc
	v_cmp_ne_u32_e32 vcc, 0, v4
	v_mov_b32_e32 v6, s1
	v_cndmask_b32_e32 v2, v2, v3, vcc
	v_cndmask_b32_e32 v4, v6, v5, vcc
	v_xor_b32_e32 v2, s0, v2
	v_xor_b32_e32 v3, s0, v4
	v_mov_b32_e32 v4, s0
	v_subrev_co_u32_e32 v2, vcc, s0, v2
	v_subb_co_u32_e32 v3, vcc, v3, v4, vcc
	s_cbranch_execnz .LBB38_157
.LBB38_156:                             ;   in Loop: Header=BB38_33 Depth=1
	v_cvt_f32_u32_e32 v2, s33
	s_sub_i32 s0, 0, s33
	v_rcp_iflag_f32_e32 v2, v2
	v_mul_f32_e32 v2, 0x4f7ffffe, v2
	v_cvt_u32_f32_e32 v2, v2
	v_mul_lo_u32 v3, s0, v2
	v_mul_hi_u32 v3, v2, v3
	v_add_u32_e32 v2, v2, v3
	v_readlane_b32 s0, v52, 47
	v_mul_hi_u32 v2, s0, v2
	v_mul_lo_u32 v2, v2, s33
	v_sub_u32_e32 v2, s0, v2
	v_subrev_u32_e32 v3, s33, v2
	v_cmp_le_u32_e32 vcc, s33, v2
	v_cndmask_b32_e32 v2, v2, v3, vcc
	v_subrev_u32_e32 v3, s33, v2
	v_cmp_le_u32_e32 vcc, s33, v2
	v_cndmask_b32_e32 v12, v2, v3, vcc
	v_pk_mov_b32 v[2:3], v[12:13], v[12:13] op_sel:[0,1]
.LBB38_157:                             ;   in Loop: Header=BB38_33 Depth=1
	v_readlane_b32 s0, v52, 47
	v_mov_b32_e32 v4, s91
	v_sub_co_u32_e32 v2, vcc, s0, v2
	v_subb_co_u32_e32 v3, vcc, v4, v3, vcc
	v_cmp_gt_i64_e32 vcc, v[2:3], v[0:1]
	s_mov_b64 s[0:1], 0
                                        ; implicit-def: $vgpr47
	s_and_saveexec_b64 s[2:3], vcc
	s_cbranch_execz .LBB38_170
; %bb.158:                              ;   in Loop: Header=BB38_33 Depth=1
	v_pk_mov_b32 v[4:5], v[10:11], v[10:11] op_sel:[0,1]
	v_pk_mov_b32 v[6:7], v[0:1], v[0:1] op_sel:[0,1]
                                        ; implicit-def: $sgpr8_sgpr9
	s_branch .LBB38_160
.LBB38_159:                             ;   in Loop: Header=BB38_160 Depth=2
	s_or_b64 exec, exec, s[6:7]
	s_waitcnt lgkmcnt(0)
	s_barrier
	s_waitcnt vmcnt(0)
	ds_read_b32 v8, v13 offset:3072
	v_mov_b32_e32 v9, s26
	v_add_co_u32_e64 v6, s[6:7], s33, v6
	v_addc_co_u32_e64 v7, s[6:7], v7, v9, s[6:7]
	s_waitcnt lgkmcnt(0)
	v_cmp_ne_u16_e32 vcc, 0, v8
	v_cmp_ge_i64_e64 s[6:7], v[6:7], v[2:3]
	s_or_b64 s[18:19], vcc, s[6:7]
	v_mov_b32_e32 v9, s95
	v_add_co_u32_e64 v4, s[6:7], s94, v4
	v_addc_co_u32_e64 v5, s[6:7], v5, v9, s[6:7]
	s_and_b64 s[6:7], exec, s[18:19]
	s_or_b64 s[0:1], s[6:7], s[0:1]
	s_andn2_b64 s[6:7], s[8:9], exec
	s_and_b64 s[8:9], vcc, exec
	s_or_b64 s[8:9], s[6:7], s[8:9]
	s_barrier
	s_andn2_b64 exec, exec, s[0:1]
	s_cbranch_execz .LBB38_169
.LBB38_160:                             ;   Parent Loop BB38_33 Depth=1
                                        ; =>  This Inner Loop Header: Depth=2
	v_cmp_gt_i64_e32 vcc, s[52:53], v[6:7]
	v_mov_b32_e32 v8, 0
	s_and_saveexec_b64 s[6:7], vcc
	s_cbranch_execz .LBB38_162
; %bb.161:                              ;   in Loop: Header=BB38_160 Depth=2
	global_load_ushort v8, v[4:5], off
.LBB38_162:                             ;   in Loop: Header=BB38_160 Depth=2
	s_or_b64 exec, exec, s[6:7]
	s_and_saveexec_b64 s[6:7], vcc
	s_cbranch_execz .LBB38_159
; %bb.163:                              ;   in Loop: Header=BB38_160 Depth=2
	s_waitcnt vmcnt(0)
	v_add_u32_sdwa v9, sext(v8), s27 dst_sel:DWORD dst_unused:UNUSED_PAD src0_sel:WORD_0 src1_sel:DWORD
	v_and_b32_e32 v9, s88, v9
	v_cmp_eq_u32_e32 vcc, s89, v9
	s_and_b64 exec, exec, vcc
	s_cbranch_execz .LBB38_159
; %bb.164:                              ;   in Loop: Header=BB38_160 Depth=2
	v_perm_b32 v8, v8, 1, v46
	ds_write_b32 v13, v8 offset:3072
	s_branch .LBB38_159
.LBB38_165:                             ;   in Loop: Header=BB38_33 Depth=1
                                        ; implicit-def: $sgpr20_sgpr21
                                        ; implicit-def: $sgpr22_sgpr23
                                        ; implicit-def: $sgpr18_sgpr19
	s_branch .LBB38_184
.LBB38_166:                             ;   in Loop: Header=BB38_33 Depth=1
                                        ; implicit-def: $vgpr2_vgpr3
	s_branch .LBB38_111
.LBB38_167:                             ;   in Loop: Header=BB38_33 Depth=1
                                        ; implicit-def: $vgpr2_vgpr3
	s_branch .LBB38_126
.LBB38_168:                             ;   in Loop: Header=BB38_33 Depth=1
	s_mov_b64 s[20:21], -1
	s_mov_b64 s[0:1], 0
                                        ; implicit-def: $sgpr18_sgpr19
                                        ; implicit-def: $vgpr47
	s_mov_b64 s[22:23], s[20:21]
	s_cbranch_execnz .LBB38_171
	s_branch .LBB38_184
.LBB38_169:                             ;   in Loop: Header=BB38_33 Depth=1
	s_or_b64 exec, exec, s[0:1]
	v_lshrrev_b32_e32 v47, 16, v8
	s_and_b64 s[0:1], s[8:9], exec
.LBB38_170:                             ;   in Loop: Header=BB38_33 Depth=1
	s_or_b64 exec, exec, s[2:3]
	s_mov_b64 s[18:19], -1
	s_mov_b64 s[20:21], 0
	s_mov_b64 s[22:23], s[20:21]
	s_branch .LBB38_184
.LBB38_171:                             ;   in Loop: Header=BB38_33 Depth=1
	v_readlane_b32 s0, v52, 46
	s_add_u32 s6, s0, s24
	v_readlane_b32 s0, v52, 48
	s_addc_u32 s1, s0, s25
	s_mov_b32 s0, s93
	s_cmp_lg_u64 s[0:1], 0
	s_cbranch_scc0 .LBB38_214
; %bb.172:                              ;   in Loop: Header=BB38_33 Depth=1
	v_cvt_f32_u32_e32 v2, s33
	s_sub_u32 s0, 0, s33
	s_subb_u32 s2, 0, 0
	v_mac_f32_e32 v2, 0x4f800000, v45
	v_rcp_f32_e32 v2, v2
	v_mul_f32_e32 v2, 0x5f7ffffc, v2
	v_mul_f32_e32 v3, 0x2f800000, v2
	v_trunc_f32_e32 v3, v3
	v_mac_f32_e32 v2, 0xcf800000, v3
	v_cvt_u32_f32_e32 v3, v3
	v_cvt_u32_f32_e32 v2, v2
	v_readfirstlane_b32 s3, v3
	v_readfirstlane_b32 s7, v2
	s_mul_i32 s8, s0, s3
	s_mul_hi_u32 s18, s0, s7
	s_mul_i32 s9, s2, s7
	s_add_i32 s8, s18, s8
	s_mul_i32 s19, s0, s7
	s_add_i32 s8, s8, s9
	s_mul_hi_u32 s18, s7, s19
	s_mul_hi_u32 s9, s7, s8
	s_mul_i32 s7, s7, s8
	s_add_u32 s7, s18, s7
	s_addc_u32 s9, 0, s9
	s_mul_hi_u32 s20, s3, s19
	s_mul_i32 s19, s3, s19
	s_add_u32 s7, s7, s19
	s_mul_hi_u32 s18, s3, s8
	s_addc_u32 s7, s9, s20
	s_addc_u32 s9, s18, 0
	s_mul_i32 s8, s3, s8
	s_add_u32 s7, s7, s8
	s_addc_u32 s8, 0, s9
	v_add_co_u32_e32 v2, vcc, s7, v2
	s_cmp_lg_u64 vcc, 0
	s_addc_u32 s3, s3, s8
	v_readfirstlane_b32 s8, v2
	s_mul_i32 s7, s0, s3
	s_mul_hi_u32 s9, s0, s8
	s_add_i32 s7, s9, s7
	s_mul_i32 s2, s2, s8
	s_add_i32 s7, s7, s2
	s_mul_i32 s0, s0, s8
	s_mul_hi_u32 s9, s3, s0
	s_mul_i32 s18, s3, s0
	s_mul_i32 s20, s8, s7
	s_mul_hi_u32 s0, s8, s0
	s_mul_hi_u32 s19, s8, s7
	s_add_u32 s0, s0, s20
	s_addc_u32 s8, 0, s19
	s_add_u32 s0, s0, s18
	s_mul_hi_u32 s2, s3, s7
	s_addc_u32 s0, s8, s9
	s_addc_u32 s2, s2, 0
	s_mul_i32 s7, s3, s7
	s_add_u32 s0, s0, s7
	s_addc_u32 s2, 0, s2
	v_add_co_u32_e32 v2, vcc, s0, v2
	s_cmp_lg_u64 vcc, 0
	s_addc_u32 s0, s3, s2
	s_ashr_i32 s2, s1, 31
	s_add_u32 s8, s6, s2
	s_mov_b32 s3, s2
	s_addc_u32 s9, s1, s2
	s_xor_b64 s[8:9], s[8:9], s[2:3]
	v_readfirstlane_b32 s18, v2
	s_mul_i32 s7, s8, s0
	s_mul_hi_u32 s19, s8, s18
	s_mul_hi_u32 s3, s8, s0
	s_add_u32 s7, s19, s7
	s_addc_u32 s3, 0, s3
	s_mul_hi_u32 s20, s9, s18
	s_mul_i32 s18, s9, s18
	s_add_u32 s7, s7, s18
	s_mul_hi_u32 s19, s9, s0
	s_addc_u32 s3, s3, s20
	s_addc_u32 s7, s19, 0
	s_mul_i32 s0, s9, s0
	s_add_u32 s0, s3, s0
	s_addc_u32 s3, 0, s7
	s_mul_hi_u32 s7, s33, s0
	s_mul_i32 s0, s33, s0
	s_mul_i32 s3, s33, s3
	v_mov_b32_e32 v2, s0
	s_add_i32 s7, s7, s3
	v_sub_co_u32_e32 v2, vcc, s8, v2
	s_cmp_lg_u64 vcc, 0
	s_subb_u32 s0, s9, s7
	v_subrev_co_u32_e32 v3, vcc, s33, v2
	s_cmp_lg_u64 vcc, 0
	s_subb_u32 s3, s0, 0
	v_subrev_co_u32_e32 v4, vcc, s33, v3
	s_cmp_lg_u64 vcc, 0
	s_subb_u32 s7, s3, 0
	v_cmp_le_u32_e32 vcc, s33, v3
	s_cmp_eq_u32 s3, 0
	v_cndmask_b32_e64 v5, 0, -1, vcc
	s_cselect_b64 vcc, -1, 0
	v_cndmask_b32_e32 v5, -1, v5, vcc
	v_mov_b32_e32 v6, s3
	v_mov_b32_e32 v7, s7
	v_cmp_ne_u32_e32 vcc, 0, v5
	v_cndmask_b32_e32 v5, v6, v7, vcc
	v_cndmask_b32_e32 v3, v3, v4, vcc
	v_cmp_le_u32_e32 vcc, s33, v2
	s_cmp_eq_u32 s0, 0
	v_cndmask_b32_e64 v4, 0, -1, vcc
	s_cselect_b64 vcc, -1, 0
	v_cndmask_b32_e32 v4, -1, v4, vcc
	v_cmp_ne_u32_e32 vcc, 0, v4
	v_mov_b32_e32 v6, s0
	v_cndmask_b32_e32 v2, v2, v3, vcc
	v_cndmask_b32_e32 v4, v6, v5, vcc
	v_xor_b32_e32 v2, s2, v2
	v_xor_b32_e32 v3, s2, v4
	v_mov_b32_e32 v4, s2
	v_subrev_co_u32_e32 v2, vcc, s2, v2
	v_subb_co_u32_e32 v3, vcc, v3, v4, vcc
	s_cbranch_execnz .LBB38_174
.LBB38_173:                             ;   in Loop: Header=BB38_33 Depth=1
	v_cvt_f32_u32_e32 v2, s33
	s_sub_i32 s0, 0, s33
	v_rcp_iflag_f32_e32 v2, v2
	v_mul_f32_e32 v2, 0x4f7ffffe, v2
	v_cvt_u32_f32_e32 v2, v2
	v_mul_lo_u32 v3, s0, v2
	v_mul_hi_u32 v3, v2, v3
	v_add_u32_e32 v2, v2, v3
	v_mul_hi_u32 v2, s6, v2
	v_mul_lo_u32 v2, v2, s33
	v_sub_u32_e32 v2, s6, v2
	v_subrev_u32_e32 v3, s33, v2
	v_cmp_le_u32_e32 vcc, s33, v2
	v_cndmask_b32_e32 v2, v2, v3, vcc
	v_subrev_u32_e32 v3, s33, v2
	v_cmp_le_u32_e32 vcc, s33, v2
	v_cndmask_b32_e32 v12, v2, v3, vcc
	v_pk_mov_b32 v[2:3], v[12:13], v[12:13] op_sel:[0,1]
.LBB38_174:                             ;   in Loop: Header=BB38_33 Depth=1
	v_mov_b32_e32 v4, s1
	v_sub_co_u32_e32 v2, vcc, s6, v2
	v_subb_co_u32_e32 v3, vcc, v4, v3, vcc
	v_cmp_gt_i64_e32 vcc, v[2:3], v[0:1]
	s_mov_b64 s[0:1], 0
                                        ; implicit-def: $vgpr47
	s_and_saveexec_b64 s[2:3], vcc
	s_cbranch_execz .LBB38_183
; %bb.175:                              ;   in Loop: Header=BB38_33 Depth=1
	v_mov_b32_e32 v6, v37
	v_pk_mov_b32 v[4:5], v[0:1], v[0:1] op_sel:[0,1]
                                        ; implicit-def: $sgpr8_sgpr9
	s_branch .LBB38_177
.LBB38_176:                             ;   in Loop: Header=BB38_177 Depth=2
	s_or_b64 exec, exec, s[6:7]
	s_waitcnt lgkmcnt(0)
	s_barrier
	ds_read_b32 v7, v13 offset:3072
	v_mov_b32_e32 v8, s26
	v_add_co_u32_e64 v4, s[6:7], s33, v4
	v_addc_co_u32_e64 v5, s[6:7], v5, v8, s[6:7]
	s_waitcnt lgkmcnt(0)
	v_cmp_ne_u16_e32 vcc, 0, v7
	v_cmp_ge_i64_e64 s[6:7], v[4:5], v[2:3]
	s_or_b64 s[6:7], vcc, s[6:7]
	s_and_b64 s[6:7], exec, s[6:7]
	s_or_b64 s[0:1], s[6:7], s[0:1]
	s_andn2_b64 s[6:7], s[8:9], exec
	s_and_b64 s[8:9], vcc, exec
	v_add_u32_e32 v6, s83, v6
	s_or_b64 s[8:9], s[6:7], s[8:9]
	s_barrier
	s_andn2_b64 exec, exec, s[0:1]
	s_cbranch_execz .LBB38_182
.LBB38_177:                             ;   Parent Loop BB38_33 Depth=1
                                        ; =>  This Inner Loop Header: Depth=2
	v_cmp_gt_i64_e32 vcc, s[24:25], v[4:5]
	v_mov_b32_e32 v7, 0
	s_and_saveexec_b64 s[6:7], vcc
	s_cbranch_execz .LBB38_179
; %bb.178:                              ;   in Loop: Header=BB38_177 Depth=2
	ds_read_u16 v7, v6
.LBB38_179:                             ;   in Loop: Header=BB38_177 Depth=2
	s_or_b64 exec, exec, s[6:7]
	s_and_saveexec_b64 s[6:7], vcc
	s_cbranch_execz .LBB38_176
; %bb.180:                              ;   in Loop: Header=BB38_177 Depth=2
	s_waitcnt lgkmcnt(0)
	v_add_u32_sdwa v8, sext(v7), s27 dst_sel:DWORD dst_unused:UNUSED_PAD src0_sel:WORD_0 src1_sel:DWORD
	v_and_b32_e32 v8, s88, v8
	v_cmp_eq_u32_e32 vcc, s89, v8
	s_and_b64 exec, exec, vcc
	s_cbranch_execz .LBB38_176
; %bb.181:                              ;   in Loop: Header=BB38_177 Depth=2
	v_perm_b32 v7, v7, 1, v46
	ds_write_b32 v13, v7 offset:3072
	s_branch .LBB38_176
.LBB38_182:                             ;   in Loop: Header=BB38_33 Depth=1
	s_or_b64 exec, exec, s[0:1]
	v_lshrrev_b32_e32 v47, 16, v7
	s_and_b64 s[0:1], s[8:9], exec
.LBB38_183:                             ;   in Loop: Header=BB38_33 Depth=1
	s_or_b64 exec, exec, s[2:3]
	s_mov_b64 s[22:23], -1
	s_mov_b64 s[20:21], 0
	s_mov_b64 s[18:19], 0
.LBB38_184:                             ;   in Loop: Header=BB38_33 Depth=1
	s_mov_b64 s[2:3], 0
                                        ; implicit-def: $sgpr45
	s_and_saveexec_b64 s[24:25], s[0:1]
	s_cbranch_execz .LBB38_295
; %bb.185:                              ;   in Loop: Header=BB38_33 Depth=1
	s_xor_b64 s[0:1], s[30:31], -1
	s_andn2_b64 vcc, exec, s[0:1]
	s_mov_b32 s45, 1
	s_cbranch_vccnz .LBB38_196
; %bb.186:                              ;   in Loop: Header=BB38_33 Depth=1
	v_pk_mov_b32 v[2:3], s[28:29], s[28:29] op_sel:[0,1]
	v_cmp_gt_i64_e32 vcc, s[54:55], v[2:3]
	s_mov_b64 s[0:1], -1
                                        ; implicit-def: $sgpr45
                                        ; implicit-def: $sgpr2
                                        ; implicit-def: $sgpr3
	s_cbranch_vccnz .LBB38_192
; %bb.187:                              ;   in Loop: Header=BB38_33 Depth=1
	ds_read_b64 v[2:3], v13 offset:5120
	s_waitcnt lgkmcnt(0)
	v_cmp_ne_u64_e32 vcc, 0, v[2:3]
	s_cbranch_vccnz .LBB38_191
; %bb.188:                              ;   in Loop: Header=BB38_33 Depth=1
	s_mov_b64 s[0:1], exec
	v_readlane_b32 s2, v52, 32
	v_readlane_b32 s3, v52, 33
	s_and_b64 s[2:3], s[0:1], s[2:3]
	s_mov_b64 exec, s[2:3]
	s_cbranch_execz .LBB38_190
; %bb.189:                              ;   in Loop: Header=BB38_33 Depth=1
	v_pk_mov_b32 v[2:3], s[28:29], s[28:29] op_sel:[0,1]
	ds_write_b64 v13, v[2:3] offset:5128
.LBB38_190:                             ;   in Loop: Header=BB38_33 Depth=1
	s_or_b64 exec, exec, s[0:1]
	s_waitcnt lgkmcnt(0)
	s_barrier
.LBB38_191:                             ;   in Loop: Header=BB38_33 Depth=1
	s_lshl_b32 s0, 1, s40
	s_and_b32 s1, s89, s41
	s_or_b32 s2, s1, s0
	s_or_b32 s3, s88, s44
	s_mov_b64 s[0:1], 0
	s_mov_b32 s45, 8
.LBB38_192:                             ;   in Loop: Header=BB38_33 Depth=1
	s_andn2_b64 vcc, exec, s[0:1]
	s_cbranch_vccnz .LBB38_194
; %bb.193:                              ;   in Loop: Header=BB38_33 Depth=1
	s_sub_u32 s54, s54, s28
	s_subb_u32 s55, s55, s29
	s_mov_b64 s[0:1], -1
	s_mov_b32 s45, 0
	s_mov_b32 s2, s89
	;; [unrolled: 1-line block ×3, first 2 shown]
.LBB38_194:                             ;   in Loop: Header=BB38_33 Depth=1
	s_mov_b32 s88, s3
	s_mov_b32 s89, s2
	s_andn2_b64 vcc, exec, s[0:1]
	s_mov_b64 s[2:3], -1
	s_cbranch_vccz .LBB38_197
.LBB38_195:                             ;   in Loop: Header=BB38_33 Depth=1
                                        ; implicit-def: $sgpr30_sgpr31
                                        ; implicit-def: $sgpr34_sgpr35
                                        ; implicit-def: $sgpr28_sgpr29
	s_branch .LBB38_294
.LBB38_196:                             ;   in Loop: Header=BB38_33 Depth=1
	s_mov_b64 s[54:55], 1
	s_mov_b64 s[2:3], -1
	s_cbranch_execnz .LBB38_195
.LBB38_197:                             ;   in Loop: Header=BB38_33 Depth=1
	s_cmp_eq_u64 s[16:17], 1
	s_cselect_b64 s[0:1], -1, 0
	s_cmp_eq_u64 s[54:55], 1
	s_cselect_b64 s[2:3], -1, 0
	s_and_b64 s[38:39], s[0:1], s[2:3]
	s_mov_b64 s[0:1], -1
	s_and_b64 vcc, exec, s[38:39]
	s_cbranch_vccz .LBB38_212
; %bb.198:                              ;   in Loop: Header=BB38_33 Depth=1
	ds_read_b64 v[2:3], v13 offset:5120
	s_waitcnt lgkmcnt(0)
	s_barrier
	v_readfirstlane_b32 s36, v2
	v_readfirstlane_b32 s37, v3
	s_mov_b64 s[0:1], exec
	v_readlane_b32 s2, v52, 36
	v_readlane_b32 s3, v52, 37
	s_and_b64 s[2:3], s[0:1], s[2:3]
	s_mov_b64 exec, s[2:3]
	s_cbranch_execz .LBB38_200
; %bb.199:                              ;   in Loop: Header=BB38_33 Depth=1
	ds_write_b16 v38, v13
.LBB38_200:                             ;   in Loop: Header=BB38_33 Depth=1
	s_or_b64 exec, exec, s[0:1]
	s_lshl_b32 s0, 2, s40
	s_and_b32 s1, s89, s41
	s_or_b32 s89, s1, s0
	v_cmp_gt_i64_e64 s[0:1], s[36:37], 0
	s_or_b32 s88, s88, s44
	s_and_b64 vcc, exec, s[0:1]
	s_waitcnt lgkmcnt(0)
	s_barrier
	s_cbranch_vccnz .LBB38_215
; %bb.201:                              ;   in Loop: Header=BB38_33 Depth=1
	s_mov_b32 s90, s93
	s_cmp_lg_u64 s[90:91], 0
	s_cbranch_scc0 .LBB38_260
; %bb.202:                              ;   in Loop: Header=BB38_33 Depth=1
	v_cvt_f32_u32_e32 v2, s33
	s_sub_u32 s0, 0, s33
	s_subb_u32 s1, 0, 0
	v_mac_f32_e32 v2, 0x4f800000, v45
	v_rcp_f32_e32 v2, v2
	v_mul_f32_e32 v2, 0x5f7ffffc, v2
	v_mul_f32_e32 v3, 0x2f800000, v2
	v_trunc_f32_e32 v3, v3
	v_mac_f32_e32 v2, 0xcf800000, v3
	v_cvt_u32_f32_e32 v3, v3
	v_cvt_u32_f32_e32 v2, v2
	v_readfirstlane_b32 s2, v3
	v_readfirstlane_b32 s3, v2
	s_mul_i32 s6, s0, s2
	s_mul_hi_u32 s8, s0, s3
	s_mul_i32 s7, s1, s3
	s_add_i32 s6, s8, s6
	s_mul_i32 s9, s0, s3
	s_add_i32 s6, s6, s7
	s_mul_hi_u32 s8, s3, s9
	s_mul_hi_u32 s7, s3, s6
	s_mul_i32 s3, s3, s6
	s_add_u32 s3, s8, s3
	s_addc_u32 s7, 0, s7
	s_mul_hi_u32 s28, s2, s9
	s_mul_i32 s9, s2, s9
	s_add_u32 s3, s3, s9
	s_mul_hi_u32 s8, s2, s6
	s_addc_u32 s3, s7, s28
	s_addc_u32 s7, s8, 0
	s_mul_i32 s6, s2, s6
	s_add_u32 s3, s3, s6
	s_addc_u32 s6, 0, s7
	v_add_co_u32_e32 v2, vcc, s3, v2
	s_cmp_lg_u64 vcc, 0
	s_addc_u32 s2, s2, s6
	v_readfirstlane_b32 s6, v2
	s_mul_i32 s3, s0, s2
	s_mul_hi_u32 s7, s0, s6
	s_add_i32 s3, s7, s3
	s_mul_i32 s1, s1, s6
	s_add_i32 s3, s3, s1
	s_mul_i32 s0, s0, s6
	s_mul_hi_u32 s7, s2, s0
	s_mul_i32 s8, s2, s0
	s_mul_i32 s28, s6, s3
	s_mul_hi_u32 s0, s6, s0
	s_mul_hi_u32 s9, s6, s3
	s_add_u32 s0, s0, s28
	s_addc_u32 s6, 0, s9
	s_add_u32 s0, s0, s8
	s_mul_hi_u32 s1, s2, s3
	s_addc_u32 s0, s6, s7
	s_addc_u32 s1, s1, 0
	s_mul_i32 s3, s2, s3
	s_add_u32 s0, s0, s3
	s_addc_u32 s1, 0, s1
	v_add_co_u32_e32 v2, vcc, s0, v2
	s_cmp_lg_u64 vcc, 0
	s_addc_u32 s6, s2, s1
	s_ashr_i32 s0, s91, 31
	v_readlane_b32 s2, v52, 47
	s_add_u32 s2, s2, s0
	s_mov_b32 s1, s0
	s_addc_u32 s3, s91, s0
	s_xor_b64 s[2:3], s[2:3], s[0:1]
	v_readfirstlane_b32 s8, v2
	s_mul_i32 s7, s2, s6
	s_mul_hi_u32 s9, s2, s8
	s_mul_hi_u32 s1, s2, s6
	s_add_u32 s7, s9, s7
	s_addc_u32 s1, 0, s1
	s_mul_hi_u32 s28, s3, s8
	s_mul_i32 s8, s3, s8
	s_add_u32 s7, s7, s8
	s_mul_hi_u32 s9, s3, s6
	s_addc_u32 s1, s1, s28
	s_addc_u32 s7, s9, 0
	s_mul_i32 s6, s3, s6
	s_add_u32 s1, s1, s6
	s_addc_u32 s6, 0, s7
	s_mul_hi_u32 s7, s33, s1
	s_mul_i32 s1, s33, s1
	s_mul_i32 s6, s33, s6
	v_mov_b32_e32 v2, s1
	s_add_i32 s7, s7, s6
	v_sub_co_u32_e32 v2, vcc, s2, v2
	s_cmp_lg_u64 vcc, 0
	s_subb_u32 s1, s3, s7
	v_subrev_co_u32_e32 v3, vcc, s33, v2
	s_cmp_lg_u64 vcc, 0
	s_subb_u32 s2, s1, 0
	v_subrev_co_u32_e32 v4, vcc, s33, v3
	s_cmp_lg_u64 vcc, 0
	s_subb_u32 s3, s2, 0
	v_cmp_le_u32_e32 vcc, s33, v3
	s_cmp_eq_u32 s2, 0
	v_cndmask_b32_e64 v5, 0, -1, vcc
	s_cselect_b64 vcc, -1, 0
	v_cndmask_b32_e32 v5, -1, v5, vcc
	v_mov_b32_e32 v6, s2
	v_mov_b32_e32 v7, s3
	v_cmp_ne_u32_e32 vcc, 0, v5
	v_cndmask_b32_e32 v5, v6, v7, vcc
	v_cndmask_b32_e32 v3, v3, v4, vcc
	v_cmp_le_u32_e32 vcc, s33, v2
	s_cmp_eq_u32 s1, 0
	v_cndmask_b32_e64 v4, 0, -1, vcc
	s_cselect_b64 vcc, -1, 0
	v_cndmask_b32_e32 v4, -1, v4, vcc
	v_cmp_ne_u32_e32 vcc, 0, v4
	v_mov_b32_e32 v6, s1
	v_cndmask_b32_e32 v2, v2, v3, vcc
	v_cndmask_b32_e32 v4, v6, v5, vcc
	v_xor_b32_e32 v2, s0, v2
	v_xor_b32_e32 v3, s0, v4
	v_mov_b32_e32 v4, s0
	v_subrev_co_u32_e32 v2, vcc, s0, v2
	v_subb_co_u32_e32 v3, vcc, v3, v4, vcc
	s_cbranch_execnz .LBB38_204
.LBB38_203:                             ;   in Loop: Header=BB38_33 Depth=1
	v_cvt_f32_u32_e32 v2, s33
	s_sub_i32 s0, 0, s33
	v_rcp_iflag_f32_e32 v2, v2
	v_mul_f32_e32 v2, 0x4f7ffffe, v2
	v_cvt_u32_f32_e32 v2, v2
	v_mul_lo_u32 v3, s0, v2
	v_mul_hi_u32 v3, v2, v3
	v_add_u32_e32 v2, v2, v3
	v_readlane_b32 s0, v52, 47
	v_mul_hi_u32 v2, s0, v2
	v_mul_lo_u32 v2, v2, s33
	v_sub_u32_e32 v2, s0, v2
	v_subrev_u32_e32 v3, s33, v2
	v_cmp_le_u32_e32 vcc, s33, v2
	v_cndmask_b32_e32 v2, v2, v3, vcc
	v_subrev_u32_e32 v3, s33, v2
	v_cmp_le_u32_e32 vcc, s33, v2
	v_cndmask_b32_e32 v12, v2, v3, vcc
	v_pk_mov_b32 v[2:3], v[12:13], v[12:13] op_sel:[0,1]
.LBB38_204:                             ;   in Loop: Header=BB38_33 Depth=1
	v_readlane_b32 s0, v52, 47
	v_mov_b32_e32 v4, s91
	v_sub_co_u32_e32 v2, vcc, s0, v2
	v_subb_co_u32_e32 v3, vcc, v4, v3, vcc
	v_cmp_gt_i64_e32 vcc, v[2:3], v[0:1]
	s_mov_b64 s[0:1], 0
                                        ; implicit-def: $vgpr47
	s_and_saveexec_b64 s[2:3], vcc
	s_cbranch_execz .LBB38_217
; %bb.205:                              ;   in Loop: Header=BB38_33 Depth=1
	v_pk_mov_b32 v[4:5], v[10:11], v[10:11] op_sel:[0,1]
	v_pk_mov_b32 v[6:7], v[0:1], v[0:1] op_sel:[0,1]
                                        ; implicit-def: $sgpr8_sgpr9
	s_branch .LBB38_207
.LBB38_206:                             ;   in Loop: Header=BB38_207 Depth=2
	s_or_b64 exec, exec, s[6:7]
	s_waitcnt lgkmcnt(0)
	s_barrier
	s_waitcnt vmcnt(0)
	ds_read_b32 v8, v13 offset:3072
	v_mov_b32_e32 v9, s26
	v_add_co_u32_e64 v6, s[6:7], s33, v6
	v_addc_co_u32_e64 v7, s[6:7], v7, v9, s[6:7]
	s_waitcnt lgkmcnt(0)
	v_cmp_ne_u16_e32 vcc, 0, v8
	v_cmp_ge_i64_e64 s[6:7], v[6:7], v[2:3]
	s_or_b64 s[28:29], vcc, s[6:7]
	v_mov_b32_e32 v9, s95
	v_add_co_u32_e64 v4, s[6:7], s94, v4
	v_addc_co_u32_e64 v5, s[6:7], v5, v9, s[6:7]
	s_and_b64 s[6:7], exec, s[28:29]
	s_or_b64 s[0:1], s[6:7], s[0:1]
	s_andn2_b64 s[6:7], s[8:9], exec
	s_and_b64 s[8:9], vcc, exec
	s_or_b64 s[8:9], s[6:7], s[8:9]
	s_barrier
	s_andn2_b64 exec, exec, s[0:1]
	s_cbranch_execz .LBB38_216
.LBB38_207:                             ;   Parent Loop BB38_33 Depth=1
                                        ; =>  This Inner Loop Header: Depth=2
	v_cmp_gt_i64_e32 vcc, s[52:53], v[6:7]
	v_mov_b32_e32 v8, 0
	s_and_saveexec_b64 s[6:7], vcc
	s_cbranch_execz .LBB38_209
; %bb.208:                              ;   in Loop: Header=BB38_207 Depth=2
	global_load_ushort v8, v[4:5], off
.LBB38_209:                             ;   in Loop: Header=BB38_207 Depth=2
	s_or_b64 exec, exec, s[6:7]
	s_and_saveexec_b64 s[6:7], vcc
	s_cbranch_execz .LBB38_206
; %bb.210:                              ;   in Loop: Header=BB38_207 Depth=2
	s_waitcnt vmcnt(0)
	v_add_u32_sdwa v9, sext(v8), s27 dst_sel:DWORD dst_unused:UNUSED_PAD src0_sel:WORD_0 src1_sel:DWORD
	v_and_b32_e32 v9, s88, v9
	v_cmp_eq_u32_e32 vcc, s89, v9
	s_and_b64 exec, exec, vcc
	s_cbranch_execz .LBB38_206
; %bb.211:                              ;   in Loop: Header=BB38_207 Depth=2
	v_perm_b32 v8, v8, 1, v46
	ds_write_b32 v13, v8 offset:3072
	s_branch .LBB38_206
.LBB38_212:                             ;   in Loop: Header=BB38_33 Depth=1
                                        ; implicit-def: $sgpr28_sgpr29
                                        ; implicit-def: $sgpr34_sgpr35
                                        ; implicit-def: $sgpr30_sgpr31
	s_branch .LBB38_231
.LBB38_213:                             ;   in Loop: Header=BB38_33 Depth=1
                                        ; implicit-def: $vgpr2_vgpr3
	s_branch .LBB38_156
.LBB38_214:                             ;   in Loop: Header=BB38_33 Depth=1
                                        ; implicit-def: $vgpr2_vgpr3
	s_branch .LBB38_173
.LBB38_215:                             ;   in Loop: Header=BB38_33 Depth=1
	s_mov_b64 s[28:29], -1
	s_mov_b64 s[0:1], 0
                                        ; implicit-def: $sgpr30_sgpr31
                                        ; implicit-def: $vgpr47
	s_mov_b64 s[34:35], s[28:29]
	s_cbranch_execnz .LBB38_218
	s_branch .LBB38_231
.LBB38_216:                             ;   in Loop: Header=BB38_33 Depth=1
	s_or_b64 exec, exec, s[0:1]
	v_lshrrev_b32_e32 v47, 16, v8
	s_and_b64 s[0:1], s[8:9], exec
.LBB38_217:                             ;   in Loop: Header=BB38_33 Depth=1
	s_or_b64 exec, exec, s[2:3]
	s_mov_b64 s[30:31], -1
	s_mov_b64 s[28:29], 0
	s_mov_b64 s[34:35], s[28:29]
	s_branch .LBB38_231
.LBB38_218:                             ;   in Loop: Header=BB38_33 Depth=1
	v_readlane_b32 s0, v52, 46
	s_add_u32 s6, s0, s36
	v_readlane_b32 s0, v52, 48
	s_addc_u32 s1, s0, s37
	s_mov_b32 s0, s93
	s_cmp_lg_u64 s[0:1], 0
	s_cbranch_scc0 .LBB38_261
; %bb.219:                              ;   in Loop: Header=BB38_33 Depth=1
	v_cvt_f32_u32_e32 v2, s33
	s_sub_u32 s0, 0, s33
	s_subb_u32 s2, 0, 0
	v_mac_f32_e32 v2, 0x4f800000, v45
	v_rcp_f32_e32 v2, v2
	v_mul_f32_e32 v2, 0x5f7ffffc, v2
	v_mul_f32_e32 v3, 0x2f800000, v2
	v_trunc_f32_e32 v3, v3
	v_mac_f32_e32 v2, 0xcf800000, v3
	v_cvt_u32_f32_e32 v3, v3
	v_cvt_u32_f32_e32 v2, v2
	v_readfirstlane_b32 s3, v3
	v_readfirstlane_b32 s7, v2
	s_mul_i32 s8, s0, s3
	s_mul_hi_u32 s28, s0, s7
	s_mul_i32 s9, s2, s7
	s_add_i32 s8, s28, s8
	s_mul_i32 s29, s0, s7
	s_add_i32 s8, s8, s9
	s_mul_hi_u32 s28, s7, s29
	s_mul_hi_u32 s9, s7, s8
	s_mul_i32 s7, s7, s8
	s_add_u32 s7, s28, s7
	s_addc_u32 s9, 0, s9
	s_mul_hi_u32 s30, s3, s29
	s_mul_i32 s29, s3, s29
	s_add_u32 s7, s7, s29
	s_mul_hi_u32 s28, s3, s8
	s_addc_u32 s7, s9, s30
	s_addc_u32 s9, s28, 0
	s_mul_i32 s8, s3, s8
	s_add_u32 s7, s7, s8
	s_addc_u32 s8, 0, s9
	v_add_co_u32_e32 v2, vcc, s7, v2
	s_cmp_lg_u64 vcc, 0
	s_addc_u32 s3, s3, s8
	v_readfirstlane_b32 s8, v2
	s_mul_i32 s7, s0, s3
	s_mul_hi_u32 s9, s0, s8
	s_add_i32 s7, s9, s7
	s_mul_i32 s2, s2, s8
	s_add_i32 s7, s7, s2
	s_mul_i32 s0, s0, s8
	s_mul_hi_u32 s9, s3, s0
	s_mul_i32 s28, s3, s0
	s_mul_i32 s30, s8, s7
	s_mul_hi_u32 s0, s8, s0
	s_mul_hi_u32 s29, s8, s7
	s_add_u32 s0, s0, s30
	s_addc_u32 s8, 0, s29
	s_add_u32 s0, s0, s28
	s_mul_hi_u32 s2, s3, s7
	s_addc_u32 s0, s8, s9
	s_addc_u32 s2, s2, 0
	s_mul_i32 s7, s3, s7
	s_add_u32 s0, s0, s7
	s_addc_u32 s2, 0, s2
	v_add_co_u32_e32 v2, vcc, s0, v2
	s_cmp_lg_u64 vcc, 0
	s_addc_u32 s0, s3, s2
	s_ashr_i32 s2, s1, 31
	s_add_u32 s8, s6, s2
	s_mov_b32 s3, s2
	s_addc_u32 s9, s1, s2
	s_xor_b64 s[8:9], s[8:9], s[2:3]
	v_readfirstlane_b32 s28, v2
	s_mul_i32 s7, s8, s0
	s_mul_hi_u32 s29, s8, s28
	s_mul_hi_u32 s3, s8, s0
	s_add_u32 s7, s29, s7
	s_addc_u32 s3, 0, s3
	s_mul_hi_u32 s30, s9, s28
	s_mul_i32 s28, s9, s28
	s_add_u32 s7, s7, s28
	s_mul_hi_u32 s29, s9, s0
	s_addc_u32 s3, s3, s30
	s_addc_u32 s7, s29, 0
	s_mul_i32 s0, s9, s0
	s_add_u32 s0, s3, s0
	s_addc_u32 s3, 0, s7
	s_mul_hi_u32 s7, s33, s0
	s_mul_i32 s0, s33, s0
	s_mul_i32 s3, s33, s3
	v_mov_b32_e32 v2, s0
	s_add_i32 s7, s7, s3
	v_sub_co_u32_e32 v2, vcc, s8, v2
	s_cmp_lg_u64 vcc, 0
	s_subb_u32 s0, s9, s7
	v_subrev_co_u32_e32 v3, vcc, s33, v2
	s_cmp_lg_u64 vcc, 0
	s_subb_u32 s3, s0, 0
	v_subrev_co_u32_e32 v4, vcc, s33, v3
	s_cmp_lg_u64 vcc, 0
	s_subb_u32 s7, s3, 0
	v_cmp_le_u32_e32 vcc, s33, v3
	s_cmp_eq_u32 s3, 0
	v_cndmask_b32_e64 v5, 0, -1, vcc
	s_cselect_b64 vcc, -1, 0
	v_cndmask_b32_e32 v5, -1, v5, vcc
	v_mov_b32_e32 v6, s3
	v_mov_b32_e32 v7, s7
	v_cmp_ne_u32_e32 vcc, 0, v5
	v_cndmask_b32_e32 v5, v6, v7, vcc
	v_cndmask_b32_e32 v3, v3, v4, vcc
	v_cmp_le_u32_e32 vcc, s33, v2
	s_cmp_eq_u32 s0, 0
	v_cndmask_b32_e64 v4, 0, -1, vcc
	s_cselect_b64 vcc, -1, 0
	v_cndmask_b32_e32 v4, -1, v4, vcc
	v_cmp_ne_u32_e32 vcc, 0, v4
	v_mov_b32_e32 v6, s0
	v_cndmask_b32_e32 v2, v2, v3, vcc
	v_cndmask_b32_e32 v4, v6, v5, vcc
	v_xor_b32_e32 v2, s2, v2
	v_xor_b32_e32 v3, s2, v4
	v_mov_b32_e32 v4, s2
	v_subrev_co_u32_e32 v2, vcc, s2, v2
	v_subb_co_u32_e32 v3, vcc, v3, v4, vcc
	s_cbranch_execnz .LBB38_221
.LBB38_220:                             ;   in Loop: Header=BB38_33 Depth=1
	v_cvt_f32_u32_e32 v2, s33
	s_sub_i32 s0, 0, s33
	v_rcp_iflag_f32_e32 v2, v2
	v_mul_f32_e32 v2, 0x4f7ffffe, v2
	v_cvt_u32_f32_e32 v2, v2
	v_mul_lo_u32 v3, s0, v2
	v_mul_hi_u32 v3, v2, v3
	v_add_u32_e32 v2, v2, v3
	v_mul_hi_u32 v2, s6, v2
	v_mul_lo_u32 v2, v2, s33
	v_sub_u32_e32 v2, s6, v2
	v_subrev_u32_e32 v3, s33, v2
	v_cmp_le_u32_e32 vcc, s33, v2
	v_cndmask_b32_e32 v2, v2, v3, vcc
	v_subrev_u32_e32 v3, s33, v2
	v_cmp_le_u32_e32 vcc, s33, v2
	v_cndmask_b32_e32 v12, v2, v3, vcc
	v_pk_mov_b32 v[2:3], v[12:13], v[12:13] op_sel:[0,1]
.LBB38_221:                             ;   in Loop: Header=BB38_33 Depth=1
	v_mov_b32_e32 v4, s1
	v_sub_co_u32_e32 v2, vcc, s6, v2
	v_subb_co_u32_e32 v3, vcc, v4, v3, vcc
	v_cmp_gt_i64_e32 vcc, v[2:3], v[0:1]
	s_mov_b64 s[0:1], 0
                                        ; implicit-def: $vgpr47
	s_and_saveexec_b64 s[2:3], vcc
	s_cbranch_execz .LBB38_230
; %bb.222:                              ;   in Loop: Header=BB38_33 Depth=1
	v_mov_b32_e32 v6, v37
	v_pk_mov_b32 v[4:5], v[0:1], v[0:1] op_sel:[0,1]
                                        ; implicit-def: $sgpr8_sgpr9
	s_branch .LBB38_224
.LBB38_223:                             ;   in Loop: Header=BB38_224 Depth=2
	s_or_b64 exec, exec, s[6:7]
	s_waitcnt lgkmcnt(0)
	s_barrier
	ds_read_b32 v7, v13 offset:3072
	v_mov_b32_e32 v8, s26
	v_add_co_u32_e64 v4, s[6:7], s33, v4
	v_addc_co_u32_e64 v5, s[6:7], v5, v8, s[6:7]
	s_waitcnt lgkmcnt(0)
	v_cmp_ne_u16_e32 vcc, 0, v7
	v_cmp_ge_i64_e64 s[6:7], v[4:5], v[2:3]
	s_or_b64 s[6:7], vcc, s[6:7]
	s_and_b64 s[6:7], exec, s[6:7]
	s_or_b64 s[0:1], s[6:7], s[0:1]
	s_andn2_b64 s[6:7], s[8:9], exec
	s_and_b64 s[8:9], vcc, exec
	v_add_u32_e32 v6, s83, v6
	s_or_b64 s[8:9], s[6:7], s[8:9]
	s_barrier
	s_andn2_b64 exec, exec, s[0:1]
	s_cbranch_execz .LBB38_229
.LBB38_224:                             ;   Parent Loop BB38_33 Depth=1
                                        ; =>  This Inner Loop Header: Depth=2
	v_cmp_gt_i64_e32 vcc, s[36:37], v[4:5]
	v_mov_b32_e32 v7, 0
	s_and_saveexec_b64 s[6:7], vcc
	s_cbranch_execz .LBB38_226
; %bb.225:                              ;   in Loop: Header=BB38_224 Depth=2
	ds_read_u16 v7, v6
.LBB38_226:                             ;   in Loop: Header=BB38_224 Depth=2
	s_or_b64 exec, exec, s[6:7]
	s_and_saveexec_b64 s[6:7], vcc
	s_cbranch_execz .LBB38_223
; %bb.227:                              ;   in Loop: Header=BB38_224 Depth=2
	s_waitcnt lgkmcnt(0)
	v_add_u32_sdwa v8, sext(v7), s27 dst_sel:DWORD dst_unused:UNUSED_PAD src0_sel:WORD_0 src1_sel:DWORD
	v_and_b32_e32 v8, s88, v8
	v_cmp_eq_u32_e32 vcc, s89, v8
	s_and_b64 exec, exec, vcc
	s_cbranch_execz .LBB38_223
; %bb.228:                              ;   in Loop: Header=BB38_224 Depth=2
	v_perm_b32 v7, v7, 1, v46
	ds_write_b32 v13, v7 offset:3072
	s_branch .LBB38_223
.LBB38_229:                             ;   in Loop: Header=BB38_33 Depth=1
	s_or_b64 exec, exec, s[0:1]
	v_lshrrev_b32_e32 v47, 16, v7
	s_and_b64 s[0:1], s[8:9], exec
.LBB38_230:                             ;   in Loop: Header=BB38_33 Depth=1
	s_or_b64 exec, exec, s[2:3]
	s_mov_b64 s[34:35], -1
	s_mov_b64 s[28:29], 0
	s_mov_b64 s[30:31], 0
.LBB38_231:                             ;   in Loop: Header=BB38_33 Depth=1
	s_mov_b64 s[2:3], 0
                                        ; implicit-def: $sgpr45
	s_and_saveexec_b64 s[36:37], s[0:1]
	s_cbranch_execz .LBB38_293
; %bb.232:                              ;   in Loop: Header=BB38_33 Depth=1
	s_xor_b64 s[0:1], s[38:39], -1
	s_andn2_b64 vcc, exec, s[0:1]
	s_mov_b32 s45, 1
	s_cbranch_vccnz .LBB38_243
; %bb.233:                              ;   in Loop: Header=BB38_33 Depth=1
	v_pk_mov_b32 v[2:3], s[16:17], s[16:17] op_sel:[0,1]
	v_cmp_gt_i64_e32 vcc, s[54:55], v[2:3]
	s_mov_b64 s[0:1], -1
                                        ; implicit-def: $sgpr45
                                        ; implicit-def: $sgpr2
                                        ; implicit-def: $sgpr3
	s_cbranch_vccnz .LBB38_239
; %bb.234:                              ;   in Loop: Header=BB38_33 Depth=1
	ds_read_b64 v[2:3], v13 offset:5120
	s_waitcnt lgkmcnt(0)
	v_cmp_ne_u64_e32 vcc, 0, v[2:3]
	s_cbranch_vccnz .LBB38_238
; %bb.235:                              ;   in Loop: Header=BB38_33 Depth=1
	s_mov_b64 s[0:1], exec
	v_readlane_b32 s2, v52, 32
	v_readlane_b32 s3, v52, 33
	s_and_b64 s[2:3], s[0:1], s[2:3]
	s_mov_b64 exec, s[2:3]
	s_cbranch_execz .LBB38_237
; %bb.236:                              ;   in Loop: Header=BB38_33 Depth=1
	v_pk_mov_b32 v[2:3], s[16:17], s[16:17] op_sel:[0,1]
	ds_write_b64 v13, v[2:3] offset:5128
.LBB38_237:                             ;   in Loop: Header=BB38_33 Depth=1
	s_or_b64 exec, exec, s[0:1]
	s_waitcnt lgkmcnt(0)
	s_barrier
.LBB38_238:                             ;   in Loop: Header=BB38_33 Depth=1
	s_lshl_b32 s0, 2, s40
	s_and_b32 s1, s89, s41
	s_or_b32 s2, s1, s0
	s_or_b32 s3, s88, s44
	s_mov_b64 s[0:1], 0
	s_mov_b32 s45, 8
.LBB38_239:                             ;   in Loop: Header=BB38_33 Depth=1
	s_andn2_b64 vcc, exec, s[0:1]
	s_cbranch_vccnz .LBB38_241
; %bb.240:                              ;   in Loop: Header=BB38_33 Depth=1
	s_sub_u32 s54, s54, s16
	s_subb_u32 s55, s55, s17
	s_mov_b64 s[0:1], -1
	s_mov_b32 s45, 0
	s_mov_b32 s2, s89
	;; [unrolled: 1-line block ×3, first 2 shown]
.LBB38_241:                             ;   in Loop: Header=BB38_33 Depth=1
	s_mov_b32 s88, s3
	s_mov_b32 s89, s2
	s_andn2_b64 vcc, exec, s[0:1]
	s_mov_b64 s[40:41], -1
	s_cbranch_vccz .LBB38_244
.LBB38_242:                             ;   in Loop: Header=BB38_33 Depth=1
                                        ; implicit-def: $sgpr0_sgpr1
                                        ; implicit-def: $sgpr6_sgpr7
                                        ; implicit-def: $sgpr2_sgpr3
	s_branch .LBB38_292
.LBB38_243:                             ;   in Loop: Header=BB38_33 Depth=1
	s_mov_b64 s[54:55], 1
	s_mov_b64 s[40:41], -1
	s_cbranch_execnz .LBB38_242
.LBB38_244:                             ;   in Loop: Header=BB38_33 Depth=1
	s_cmp_eq_u64 s[10:11], 1
	s_cselect_b64 s[0:1], -1, 0
	s_cmp_eq_u64 s[54:55], 1
	s_cselect_b64 s[2:3], -1, 0
	s_and_b64 s[16:17], s[0:1], s[2:3]
	s_mov_b64 s[8:9], -1
	s_and_b64 vcc, exec, s[16:17]
	s_cbranch_vccz .LBB38_259
; %bb.245:                              ;   in Loop: Header=BB38_33 Depth=1
	ds_read_b64 v[2:3], v13 offset:5120
	s_waitcnt lgkmcnt(0)
	s_barrier
	v_readfirstlane_b32 s38, v2
	v_readfirstlane_b32 s39, v3
	s_mov_b64 s[0:1], exec
	v_readlane_b32 s2, v52, 36
	v_readlane_b32 s3, v52, 37
	s_and_b64 s[2:3], s[0:1], s[2:3]
	s_mov_b64 exec, s[2:3]
	s_cbranch_execz .LBB38_247
; %bb.246:                              ;   in Loop: Header=BB38_33 Depth=1
	ds_write_b16 v38, v13
.LBB38_247:                             ;   in Loop: Header=BB38_33 Depth=1
	s_or_b64 exec, exec, s[0:1]
	v_cmp_gt_i64_e64 s[0:1], s[38:39], 0
	s_or_b32 s89, s89, s44
	s_or_b32 s88, s88, s44
	s_and_b64 vcc, exec, s[0:1]
	s_waitcnt lgkmcnt(0)
	s_barrier
	s_cbranch_vccnz .LBB38_262
; %bb.248:                              ;   in Loop: Header=BB38_33 Depth=1
	s_mov_b32 s90, s93
	s_cmp_lg_u64 s[90:91], 0
	s_cbranch_scc0 .LBB38_298
; %bb.249:                              ;   in Loop: Header=BB38_33 Depth=1
	v_cvt_f32_u32_e32 v2, s33
	s_sub_u32 s0, 0, s33
	s_subb_u32 s1, 0, 0
	v_mac_f32_e32 v2, 0x4f800000, v45
	v_rcp_f32_e32 v2, v2
	v_mul_f32_e32 v2, 0x5f7ffffc, v2
	v_mul_f32_e32 v3, 0x2f800000, v2
	v_trunc_f32_e32 v3, v3
	v_mac_f32_e32 v2, 0xcf800000, v3
	v_cvt_u32_f32_e32 v3, v3
	v_cvt_u32_f32_e32 v2, v2
	v_readfirstlane_b32 s2, v3
	v_readfirstlane_b32 s3, v2
	s_mul_i32 s6, s0, s2
	s_mul_hi_u32 s8, s0, s3
	s_mul_i32 s7, s1, s3
	s_add_i32 s6, s8, s6
	s_mul_i32 s9, s0, s3
	s_add_i32 s6, s6, s7
	s_mul_hi_u32 s8, s3, s9
	s_mul_hi_u32 s7, s3, s6
	s_mul_i32 s3, s3, s6
	s_add_u32 s3, s8, s3
	s_addc_u32 s7, 0, s7
	s_mul_hi_u32 s40, s2, s9
	s_mul_i32 s9, s2, s9
	s_add_u32 s3, s3, s9
	s_mul_hi_u32 s8, s2, s6
	s_addc_u32 s3, s7, s40
	s_addc_u32 s7, s8, 0
	s_mul_i32 s6, s2, s6
	s_add_u32 s3, s3, s6
	s_addc_u32 s6, 0, s7
	v_add_co_u32_e32 v2, vcc, s3, v2
	s_cmp_lg_u64 vcc, 0
	s_addc_u32 s2, s2, s6
	v_readfirstlane_b32 s6, v2
	s_mul_i32 s3, s0, s2
	s_mul_hi_u32 s7, s0, s6
	s_add_i32 s3, s7, s3
	s_mul_i32 s1, s1, s6
	s_add_i32 s3, s3, s1
	s_mul_i32 s0, s0, s6
	s_mul_hi_u32 s7, s2, s0
	s_mul_i32 s8, s2, s0
	s_mul_i32 s40, s6, s3
	s_mul_hi_u32 s0, s6, s0
	s_mul_hi_u32 s9, s6, s3
	s_add_u32 s0, s0, s40
	s_addc_u32 s6, 0, s9
	s_add_u32 s0, s0, s8
	s_mul_hi_u32 s1, s2, s3
	s_addc_u32 s0, s6, s7
	s_addc_u32 s1, s1, 0
	s_mul_i32 s3, s2, s3
	s_add_u32 s0, s0, s3
	s_addc_u32 s1, 0, s1
	v_add_co_u32_e32 v2, vcc, s0, v2
	s_cmp_lg_u64 vcc, 0
	s_addc_u32 s6, s2, s1
	s_ashr_i32 s0, s91, 31
	v_readlane_b32 s2, v52, 47
	s_add_u32 s2, s2, s0
	s_mov_b32 s1, s0
	s_addc_u32 s3, s91, s0
	s_xor_b64 s[2:3], s[2:3], s[0:1]
	v_readfirstlane_b32 s8, v2
	s_mul_i32 s7, s2, s6
	s_mul_hi_u32 s9, s2, s8
	s_mul_hi_u32 s1, s2, s6
	s_add_u32 s7, s9, s7
	s_addc_u32 s1, 0, s1
	s_mul_hi_u32 s40, s3, s8
	s_mul_i32 s8, s3, s8
	s_add_u32 s7, s7, s8
	s_mul_hi_u32 s9, s3, s6
	s_addc_u32 s1, s1, s40
	s_addc_u32 s7, s9, 0
	s_mul_i32 s6, s3, s6
	s_add_u32 s1, s1, s6
	s_addc_u32 s6, 0, s7
	s_mul_hi_u32 s7, s33, s1
	s_mul_i32 s1, s33, s1
	s_mul_i32 s6, s33, s6
	v_mov_b32_e32 v2, s1
	s_add_i32 s7, s7, s6
	v_sub_co_u32_e32 v2, vcc, s2, v2
	s_cmp_lg_u64 vcc, 0
	s_subb_u32 s1, s3, s7
	v_subrev_co_u32_e32 v3, vcc, s33, v2
	s_cmp_lg_u64 vcc, 0
	s_subb_u32 s2, s1, 0
	v_subrev_co_u32_e32 v4, vcc, s33, v3
	s_cmp_lg_u64 vcc, 0
	s_subb_u32 s3, s2, 0
	v_cmp_le_u32_e32 vcc, s33, v3
	s_cmp_eq_u32 s2, 0
	v_cndmask_b32_e64 v5, 0, -1, vcc
	s_cselect_b64 vcc, -1, 0
	v_cndmask_b32_e32 v5, -1, v5, vcc
	v_mov_b32_e32 v6, s2
	v_mov_b32_e32 v7, s3
	v_cmp_ne_u32_e32 vcc, 0, v5
	v_cndmask_b32_e32 v5, v6, v7, vcc
	v_cndmask_b32_e32 v3, v3, v4, vcc
	v_cmp_le_u32_e32 vcc, s33, v2
	s_cmp_eq_u32 s1, 0
	v_cndmask_b32_e64 v4, 0, -1, vcc
	s_cselect_b64 vcc, -1, 0
	v_cndmask_b32_e32 v4, -1, v4, vcc
	v_cmp_ne_u32_e32 vcc, 0, v4
	v_mov_b32_e32 v6, s1
	v_cndmask_b32_e32 v2, v2, v3, vcc
	v_cndmask_b32_e32 v4, v6, v5, vcc
	v_xor_b32_e32 v2, s0, v2
	v_xor_b32_e32 v3, s0, v4
	v_mov_b32_e32 v4, s0
	v_subrev_co_u32_e32 v2, vcc, s0, v2
	v_subb_co_u32_e32 v3, vcc, v3, v4, vcc
	s_cbranch_execnz .LBB38_251
.LBB38_250:                             ;   in Loop: Header=BB38_33 Depth=1
	v_cvt_f32_u32_e32 v2, s33
	s_sub_i32 s0, 0, s33
	v_rcp_iflag_f32_e32 v2, v2
	v_mul_f32_e32 v2, 0x4f7ffffe, v2
	v_cvt_u32_f32_e32 v2, v2
	v_mul_lo_u32 v3, s0, v2
	v_mul_hi_u32 v3, v2, v3
	v_add_u32_e32 v2, v2, v3
	v_readlane_b32 s0, v52, 47
	v_mul_hi_u32 v2, s0, v2
	v_mul_lo_u32 v2, v2, s33
	v_sub_u32_e32 v2, s0, v2
	v_subrev_u32_e32 v3, s33, v2
	v_cmp_le_u32_e32 vcc, s33, v2
	v_cndmask_b32_e32 v2, v2, v3, vcc
	v_subrev_u32_e32 v3, s33, v2
	v_cmp_le_u32_e32 vcc, s33, v2
	v_cndmask_b32_e32 v12, v2, v3, vcc
	v_pk_mov_b32 v[2:3], v[12:13], v[12:13] op_sel:[0,1]
.LBB38_251:                             ;   in Loop: Header=BB38_33 Depth=1
	v_readlane_b32 s0, v52, 47
	v_mov_b32_e32 v4, s91
	v_sub_co_u32_e32 v2, vcc, s0, v2
	v_subb_co_u32_e32 v3, vcc, v4, v3, vcc
	v_cmp_gt_i64_e32 vcc, v[2:3], v[0:1]
	s_mov_b64 s[8:9], 0
                                        ; implicit-def: $vgpr47
	s_and_saveexec_b64 s[0:1], vcc
	s_cbranch_execz .LBB38_264
; %bb.252:                              ;   in Loop: Header=BB38_33 Depth=1
	s_mov_b64 s[2:3], 0
	v_pk_mov_b32 v[4:5], v[10:11], v[10:11] op_sel:[0,1]
	v_pk_mov_b32 v[6:7], v[0:1], v[0:1] op_sel:[0,1]
                                        ; implicit-def: $sgpr8_sgpr9
	s_branch .LBB38_254
.LBB38_253:                             ;   in Loop: Header=BB38_254 Depth=2
	s_or_b64 exec, exec, s[6:7]
	s_waitcnt lgkmcnt(0)
	s_barrier
	s_waitcnt vmcnt(0)
	ds_read_b32 v8, v13 offset:3072
	v_mov_b32_e32 v9, s26
	v_add_co_u32_e64 v6, s[6:7], s33, v6
	v_addc_co_u32_e64 v7, s[6:7], v7, v9, s[6:7]
	s_waitcnt lgkmcnt(0)
	v_cmp_ne_u16_e32 vcc, 0, v8
	v_cmp_ge_i64_e64 s[6:7], v[6:7], v[2:3]
	s_or_b64 s[40:41], vcc, s[6:7]
	v_mov_b32_e32 v9, s95
	v_add_co_u32_e64 v4, s[6:7], s94, v4
	v_addc_co_u32_e64 v5, s[6:7], v5, v9, s[6:7]
	s_and_b64 s[6:7], exec, s[40:41]
	s_or_b64 s[2:3], s[6:7], s[2:3]
	s_andn2_b64 s[6:7], s[8:9], exec
	s_and_b64 s[8:9], vcc, exec
	s_or_b64 s[8:9], s[6:7], s[8:9]
	s_barrier
	s_andn2_b64 exec, exec, s[2:3]
	s_cbranch_execz .LBB38_263
.LBB38_254:                             ;   Parent Loop BB38_33 Depth=1
                                        ; =>  This Inner Loop Header: Depth=2
	v_cmp_gt_i64_e32 vcc, s[52:53], v[6:7]
	v_mov_b32_e32 v8, 0
	s_and_saveexec_b64 s[6:7], vcc
	s_cbranch_execz .LBB38_256
; %bb.255:                              ;   in Loop: Header=BB38_254 Depth=2
	global_load_ushort v8, v[4:5], off
.LBB38_256:                             ;   in Loop: Header=BB38_254 Depth=2
	s_or_b64 exec, exec, s[6:7]
	s_and_saveexec_b64 s[6:7], vcc
	s_cbranch_execz .LBB38_253
; %bb.257:                              ;   in Loop: Header=BB38_254 Depth=2
	s_waitcnt vmcnt(0)
	v_add_u32_sdwa v9, sext(v8), s27 dst_sel:DWORD dst_unused:UNUSED_PAD src0_sel:WORD_0 src1_sel:DWORD
	v_and_b32_e32 v9, s88, v9
	v_cmp_eq_u32_e32 vcc, s89, v9
	s_and_b64 exec, exec, vcc
	s_cbranch_execz .LBB38_253
; %bb.258:                              ;   in Loop: Header=BB38_254 Depth=2
	v_perm_b32 v8, v8, 1, v46
	ds_write_b32 v13, v8 offset:3072
	s_branch .LBB38_253
.LBB38_259:                             ;   in Loop: Header=BB38_33 Depth=1
                                        ; implicit-def: $sgpr0_sgpr1
                                        ; implicit-def: $sgpr6_sgpr7
                                        ; implicit-def: $sgpr2_sgpr3
	s_branch .LBB38_278
.LBB38_260:                             ;   in Loop: Header=BB38_33 Depth=1
                                        ; implicit-def: $vgpr2_vgpr3
	s_branch .LBB38_203
.LBB38_261:                             ;   in Loop: Header=BB38_33 Depth=1
                                        ; implicit-def: $vgpr2_vgpr3
	s_branch .LBB38_220
.LBB38_262:                             ;   in Loop: Header=BB38_33 Depth=1
	s_mov_b64 s[0:1], -1
	s_mov_b64 s[8:9], 0
                                        ; implicit-def: $sgpr2_sgpr3
                                        ; implicit-def: $vgpr47
	s_mov_b64 s[6:7], s[0:1]
	s_cbranch_execnz .LBB38_265
	s_branch .LBB38_278
.LBB38_263:                             ;   in Loop: Header=BB38_33 Depth=1
	s_or_b64 exec, exec, s[2:3]
	v_lshrrev_b32_e32 v47, 16, v8
	s_and_b64 s[8:9], s[8:9], exec
.LBB38_264:                             ;   in Loop: Header=BB38_33 Depth=1
	s_or_b64 exec, exec, s[0:1]
	s_mov_b64 s[2:3], -1
	s_mov_b64 s[0:1], 0
	s_mov_b64 s[6:7], s[0:1]
	s_branch .LBB38_278
.LBB38_265:                             ;   in Loop: Header=BB38_33 Depth=1
	v_readlane_b32 s0, v52, 46
	s_add_u32 s6, s0, s38
	v_readlane_b32 s0, v52, 48
	s_addc_u32 s1, s0, s39
	s_mov_b32 s0, s93
	s_cmp_lg_u64 s[0:1], 0
	s_cbranch_scc0 .LBB38_299
; %bb.266:                              ;   in Loop: Header=BB38_33 Depth=1
	v_cvt_f32_u32_e32 v2, s33
	s_sub_u32 s0, 0, s33
	s_subb_u32 s2, 0, 0
	v_mac_f32_e32 v2, 0x4f800000, v45
	v_rcp_f32_e32 v2, v2
	v_mul_f32_e32 v2, 0x5f7ffffc, v2
	v_mul_f32_e32 v3, 0x2f800000, v2
	v_trunc_f32_e32 v3, v3
	v_mac_f32_e32 v2, 0xcf800000, v3
	v_cvt_u32_f32_e32 v3, v3
	v_cvt_u32_f32_e32 v2, v2
	v_readfirstlane_b32 s3, v3
	v_readfirstlane_b32 s7, v2
	s_mul_i32 s8, s0, s3
	s_mul_hi_u32 s40, s0, s7
	s_mul_i32 s9, s2, s7
	s_add_i32 s8, s40, s8
	s_mul_i32 s41, s0, s7
	s_add_i32 s8, s8, s9
	s_mul_hi_u32 s40, s7, s41
	s_mul_hi_u32 s9, s7, s8
	s_mul_i32 s7, s7, s8
	s_add_u32 s7, s40, s7
	s_addc_u32 s9, 0, s9
	s_mul_hi_u32 s42, s3, s41
	s_mul_i32 s41, s3, s41
	s_add_u32 s7, s7, s41
	s_mul_hi_u32 s40, s3, s8
	s_addc_u32 s7, s9, s42
	s_addc_u32 s9, s40, 0
	s_mul_i32 s8, s3, s8
	s_add_u32 s7, s7, s8
	s_addc_u32 s8, 0, s9
	v_add_co_u32_e32 v2, vcc, s7, v2
	s_cmp_lg_u64 vcc, 0
	s_addc_u32 s3, s3, s8
	v_readfirstlane_b32 s8, v2
	s_mul_i32 s7, s0, s3
	s_mul_hi_u32 s9, s0, s8
	s_add_i32 s7, s9, s7
	s_mul_i32 s2, s2, s8
	s_add_i32 s7, s7, s2
	s_mul_i32 s0, s0, s8
	s_mul_hi_u32 s9, s3, s0
	s_mul_i32 s40, s3, s0
	s_mul_i32 s42, s8, s7
	s_mul_hi_u32 s0, s8, s0
	s_mul_hi_u32 s41, s8, s7
	s_add_u32 s0, s0, s42
	s_addc_u32 s8, 0, s41
	s_add_u32 s0, s0, s40
	s_mul_hi_u32 s2, s3, s7
	s_addc_u32 s0, s8, s9
	s_addc_u32 s2, s2, 0
	s_mul_i32 s7, s3, s7
	s_add_u32 s0, s0, s7
	s_addc_u32 s2, 0, s2
	v_add_co_u32_e32 v2, vcc, s0, v2
	s_cmp_lg_u64 vcc, 0
	s_addc_u32 s0, s3, s2
	s_ashr_i32 s2, s1, 31
	s_add_u32 s8, s6, s2
	s_mov_b32 s3, s2
	s_addc_u32 s9, s1, s2
	s_xor_b64 s[8:9], s[8:9], s[2:3]
	v_readfirstlane_b32 s40, v2
	s_mul_i32 s7, s8, s0
	s_mul_hi_u32 s41, s8, s40
	s_mul_hi_u32 s3, s8, s0
	s_add_u32 s7, s41, s7
	s_addc_u32 s3, 0, s3
	s_mul_hi_u32 s42, s9, s40
	s_mul_i32 s40, s9, s40
	s_add_u32 s7, s7, s40
	s_mul_hi_u32 s41, s9, s0
	s_addc_u32 s3, s3, s42
	s_addc_u32 s7, s41, 0
	s_mul_i32 s0, s9, s0
	s_add_u32 s0, s3, s0
	s_addc_u32 s3, 0, s7
	s_mul_hi_u32 s7, s33, s0
	s_mul_i32 s0, s33, s0
	s_mul_i32 s3, s33, s3
	v_mov_b32_e32 v2, s0
	s_add_i32 s7, s7, s3
	v_sub_co_u32_e32 v2, vcc, s8, v2
	s_cmp_lg_u64 vcc, 0
	s_subb_u32 s0, s9, s7
	v_subrev_co_u32_e32 v3, vcc, s33, v2
	s_cmp_lg_u64 vcc, 0
	s_subb_u32 s3, s0, 0
	v_subrev_co_u32_e32 v4, vcc, s33, v3
	s_cmp_lg_u64 vcc, 0
	s_subb_u32 s7, s3, 0
	v_cmp_le_u32_e32 vcc, s33, v3
	s_cmp_eq_u32 s3, 0
	v_cndmask_b32_e64 v5, 0, -1, vcc
	s_cselect_b64 vcc, -1, 0
	v_cndmask_b32_e32 v5, -1, v5, vcc
	v_mov_b32_e32 v6, s3
	v_mov_b32_e32 v7, s7
	v_cmp_ne_u32_e32 vcc, 0, v5
	v_cndmask_b32_e32 v5, v6, v7, vcc
	v_cndmask_b32_e32 v3, v3, v4, vcc
	v_cmp_le_u32_e32 vcc, s33, v2
	s_cmp_eq_u32 s0, 0
	v_cndmask_b32_e64 v4, 0, -1, vcc
	s_cselect_b64 vcc, -1, 0
	v_cndmask_b32_e32 v4, -1, v4, vcc
	v_cmp_ne_u32_e32 vcc, 0, v4
	v_mov_b32_e32 v6, s0
	v_cndmask_b32_e32 v2, v2, v3, vcc
	v_cndmask_b32_e32 v4, v6, v5, vcc
	v_xor_b32_e32 v2, s2, v2
	v_xor_b32_e32 v3, s2, v4
	v_mov_b32_e32 v4, s2
	v_subrev_co_u32_e32 v2, vcc, s2, v2
	v_subb_co_u32_e32 v3, vcc, v3, v4, vcc
	s_cbranch_execnz .LBB38_268
.LBB38_267:                             ;   in Loop: Header=BB38_33 Depth=1
	v_cvt_f32_u32_e32 v2, s33
	s_sub_i32 s0, 0, s33
	v_rcp_iflag_f32_e32 v2, v2
	v_mul_f32_e32 v2, 0x4f7ffffe, v2
	v_cvt_u32_f32_e32 v2, v2
	v_mul_lo_u32 v3, s0, v2
	v_mul_hi_u32 v3, v2, v3
	v_add_u32_e32 v2, v2, v3
	v_mul_hi_u32 v2, s6, v2
	v_mul_lo_u32 v2, v2, s33
	v_sub_u32_e32 v2, s6, v2
	v_subrev_u32_e32 v3, s33, v2
	v_cmp_le_u32_e32 vcc, s33, v2
	v_cndmask_b32_e32 v2, v2, v3, vcc
	v_subrev_u32_e32 v3, s33, v2
	v_cmp_le_u32_e32 vcc, s33, v2
	v_cndmask_b32_e32 v12, v2, v3, vcc
	v_pk_mov_b32 v[2:3], v[12:13], v[12:13] op_sel:[0,1]
.LBB38_268:                             ;   in Loop: Header=BB38_33 Depth=1
	v_mov_b32_e32 v4, s1
	v_sub_co_u32_e32 v2, vcc, s6, v2
	v_subb_co_u32_e32 v3, vcc, v4, v3, vcc
	v_cmp_gt_i64_e32 vcc, v[2:3], v[0:1]
	s_mov_b64 s[8:9], 0
                                        ; implicit-def: $vgpr47
	s_and_saveexec_b64 s[0:1], vcc
	s_cbranch_execz .LBB38_277
; %bb.269:                              ;   in Loop: Header=BB38_33 Depth=1
	s_mov_b64 s[2:3], 0
	v_mov_b32_e32 v6, v37
	v_pk_mov_b32 v[4:5], v[0:1], v[0:1] op_sel:[0,1]
                                        ; implicit-def: $sgpr8_sgpr9
	s_branch .LBB38_271
.LBB38_270:                             ;   in Loop: Header=BB38_271 Depth=2
	s_or_b64 exec, exec, s[6:7]
	s_waitcnt lgkmcnt(0)
	s_barrier
	ds_read_b32 v7, v13 offset:3072
	v_mov_b32_e32 v8, s26
	v_add_co_u32_e64 v4, s[6:7], s33, v4
	v_addc_co_u32_e64 v5, s[6:7], v5, v8, s[6:7]
	s_waitcnt lgkmcnt(0)
	v_cmp_ne_u16_e32 vcc, 0, v7
	v_cmp_ge_i64_e64 s[6:7], v[4:5], v[2:3]
	s_or_b64 s[6:7], vcc, s[6:7]
	s_and_b64 s[6:7], exec, s[6:7]
	s_or_b64 s[2:3], s[6:7], s[2:3]
	s_andn2_b64 s[6:7], s[8:9], exec
	s_and_b64 s[8:9], vcc, exec
	v_add_u32_e32 v6, s83, v6
	s_or_b64 s[8:9], s[6:7], s[8:9]
	s_barrier
	s_andn2_b64 exec, exec, s[2:3]
	s_cbranch_execz .LBB38_276
.LBB38_271:                             ;   Parent Loop BB38_33 Depth=1
                                        ; =>  This Inner Loop Header: Depth=2
	v_cmp_gt_i64_e32 vcc, s[38:39], v[4:5]
	v_mov_b32_e32 v7, 0
	s_and_saveexec_b64 s[6:7], vcc
	s_cbranch_execz .LBB38_273
; %bb.272:                              ;   in Loop: Header=BB38_271 Depth=2
	ds_read_u16 v7, v6
.LBB38_273:                             ;   in Loop: Header=BB38_271 Depth=2
	s_or_b64 exec, exec, s[6:7]
	s_and_saveexec_b64 s[6:7], vcc
	s_cbranch_execz .LBB38_270
; %bb.274:                              ;   in Loop: Header=BB38_271 Depth=2
	s_waitcnt lgkmcnt(0)
	v_add_u32_sdwa v8, sext(v7), s27 dst_sel:DWORD dst_unused:UNUSED_PAD src0_sel:WORD_0 src1_sel:DWORD
	v_and_b32_e32 v8, s88, v8
	v_cmp_eq_u32_e32 vcc, s89, v8
	s_and_b64 exec, exec, vcc
	s_cbranch_execz .LBB38_270
; %bb.275:                              ;   in Loop: Header=BB38_271 Depth=2
	v_perm_b32 v7, v7, 1, v46
	ds_write_b32 v13, v7 offset:3072
	s_branch .LBB38_270
.LBB38_276:                             ;   in Loop: Header=BB38_33 Depth=1
	s_or_b64 exec, exec, s[2:3]
	v_lshrrev_b32_e32 v47, 16, v7
	s_and_b64 s[8:9], s[8:9], exec
.LBB38_277:                             ;   in Loop: Header=BB38_33 Depth=1
	s_or_b64 exec, exec, s[0:1]
	s_mov_b64 s[6:7], -1
	s_mov_b64 s[0:1], 0
	s_mov_b64 s[2:3], 0
.LBB38_278:                             ;   in Loop: Header=BB38_33 Depth=1
	s_mov_b64 s[40:41], 0
                                        ; implicit-def: $sgpr45
                                        ; implicit-def: $sgpr42_sgpr43
	s_and_saveexec_b64 s[38:39], s[8:9]
	s_cbranch_execz .LBB38_291
; %bb.279:                              ;   in Loop: Header=BB38_33 Depth=1
	s_xor_b64 s[8:9], s[16:17], -1
	s_mov_b64 s[42:43], 1
	s_andn2_b64 vcc, exec, s[8:9]
	s_mov_b32 s45, 1
	s_cbranch_vccnz .LBB38_290
; %bb.280:                              ;   in Loop: Header=BB38_33 Depth=1
	v_pk_mov_b32 v[2:3], s[10:11], s[10:11] op_sel:[0,1]
	v_cmp_gt_i64_e32 vcc, s[54:55], v[2:3]
	s_cbranch_vccnz .LBB38_286
; %bb.281:                              ;   in Loop: Header=BB38_33 Depth=1
	ds_read_b64 v[2:3], v13 offset:5120
	s_waitcnt lgkmcnt(0)
	v_cmp_ne_u64_e32 vcc, 0, v[2:3]
	s_cbranch_vccnz .LBB38_285
; %bb.282:                              ;   in Loop: Header=BB38_33 Depth=1
	s_mov_b64 s[8:9], exec
	v_readlane_b32 s16, v52, 32
	v_readlane_b32 s17, v52, 33
	s_and_b64 s[16:17], s[8:9], s[16:17]
	s_mov_b64 exec, s[16:17]
	s_cbranch_execz .LBB38_284
; %bb.283:                              ;   in Loop: Header=BB38_33 Depth=1
	v_pk_mov_b32 v[2:3], s[10:11], s[10:11] op_sel:[0,1]
	ds_write_b64 v13, v[2:3] offset:5128
.LBB38_284:                             ;   in Loop: Header=BB38_33 Depth=1
	s_or_b64 exec, exec, s[8:9]
	s_waitcnt lgkmcnt(0)
	s_barrier
.LBB38_285:                             ;   in Loop: Header=BB38_33 Depth=1
	s_or_b32 s16, s89, s44
	s_or_b32 s17, s88, s44
	s_mov_b64 s[8:9], 0
	s_mov_b32 s45, 8
	s_branch .LBB38_287
.LBB38_286:                             ;   in Loop: Header=BB38_33 Depth=1
	s_mov_b64 s[8:9], -1
                                        ; implicit-def: $sgpr45
                                        ; implicit-def: $sgpr16
                                        ; implicit-def: $sgpr17
.LBB38_287:                             ;   in Loop: Header=BB38_33 Depth=1
	s_andn2_b64 vcc, exec, s[8:9]
	s_cbranch_vccnz .LBB38_289
; %bb.288:                              ;   in Loop: Header=BB38_33 Depth=1
	s_sub_u32 s54, s54, s10
	s_subb_u32 s55, s55, s11
	s_mov_b32 s45, 8
	s_mov_b32 s16, s89
	;; [unrolled: 1-line block ×3, first 2 shown]
.LBB38_289:                             ;   in Loop: Header=BB38_33 Depth=1
	s_mov_b64 s[42:43], s[54:55]
	s_mov_b32 s89, s16
	s_mov_b32 s88, s17
.LBB38_290:                             ;   in Loop: Header=BB38_33 Depth=1
	s_mov_b64 s[40:41], exec
.LBB38_291:                             ;   in Loop: Header=BB38_33 Depth=1
	s_or_b64 exec, exec, s[38:39]
	s_mov_b64 s[54:55], s[42:43]
.LBB38_292:                             ;   in Loop: Header=BB38_33 Depth=1
	s_andn2_b64 s[8:9], s[28:29], exec
	s_and_b64 s[0:1], s[0:1], exec
	s_or_b64 s[28:29], s[8:9], s[0:1]
	s_andn2_b64 s[0:1], s[34:35], exec
	s_and_b64 s[6:7], s[6:7], exec
	s_or_b64 s[34:35], s[0:1], s[6:7]
	;; [unrolled: 3-line block ×3, first 2 shown]
	s_and_b64 s[2:3], s[40:41], exec
.LBB38_293:                             ;   in Loop: Header=BB38_33 Depth=1
	s_or_b64 exec, exec, s[36:37]
.LBB38_294:                             ;   in Loop: Header=BB38_33 Depth=1
	s_andn2_b64 s[0:1], s[20:21], exec
	s_and_b64 s[6:7], s[28:29], exec
	s_or_b64 s[20:21], s[0:1], s[6:7]
	s_andn2_b64 s[0:1], s[22:23], exec
	s_and_b64 s[6:7], s[34:35], exec
	s_or_b64 s[22:23], s[0:1], s[6:7]
	;; [unrolled: 3-line block ×3, first 2 shown]
	s_and_b64 s[2:3], s[2:3], exec
.LBB38_295:                             ;   in Loop: Header=BB38_33 Depth=1
	s_or_b64 exec, exec, s[24:25]
	s_and_saveexec_b64 s[0:1], s[2:3]
	s_xor_b64 s[0:1], exec, s[0:1]
	s_cbranch_execz .LBB38_31
.LBB38_296:                             ;   in Loop: Header=BB38_33 Depth=1
	s_and_b32 s2, s45, -9
	s_cmp_eq_u32 s2, 0
	s_cbranch_scc1 .LBB38_29
; %bb.297:                              ;   in Loop: Header=BB38_33 Depth=1
	s_mov_b64 s[2:3], -1
                                        ; implicit-def: $sgpr88
                                        ; implicit-def: $sgpr86
                                        ; implicit-def: $sgpr87
	s_mov_b64 s[6:7], -1
	s_branch .LBB38_30
.LBB38_298:                             ;   in Loop: Header=BB38_33 Depth=1
                                        ; implicit-def: $vgpr2_vgpr3
	s_branch .LBB38_250
.LBB38_299:                             ;   in Loop: Header=BB38_33 Depth=1
                                        ; implicit-def: $vgpr2_vgpr3
	s_branch .LBB38_267
.LBB38_300:
	s_or_b64 exec, exec, s[60:61]
	s_xor_b64 s[6:7], s[66:67], -1
	s_xor_b64 s[0:1], s[62:63], -1
	;; [unrolled: 1-line block ×3, first 2 shown]
	s_mov_b64 s[2:3], 0
	s_and_saveexec_b64 s[8:9], s[0:1]
	s_xor_b64 s[0:1], exec, s[8:9]
	s_cbranch_execnz .LBB38_305
; %bb.301:
	s_andn2_saveexec_b64 s[0:1], s[0:1]
	s_cbranch_execnz .LBB38_327
.LBB38_302:
	s_or_b64 exec, exec, s[0:1]
	s_and_saveexec_b64 s[0:1], s[2:3]
.LBB38_303:
	; divergent unreachable
.LBB38_304:
	s_endpgm
.LBB38_305:
	s_and_saveexec_b64 s[2:3], s[6:7]
	s_xor_b64 s[2:3], exec, s[2:3]
	s_cbranch_execz .LBB38_325
; %bb.306:
	s_and_saveexec_b64 s[6:7], s[4:5]
	s_xor_b64 s[4:5], exec, s[6:7]
; %bb.307:
	v_xor_b32_e32 v47, 0xffff8000, v2
; %bb.308:
	s_or_b64 exec, exec, s[4:5]
	s_mov_b64 s[4:5], exec
	v_readlane_b32 s6, v52, 32
	v_readlane_b32 s7, v52, 33
	;; [unrolled: 1-line block ×4, first 2 shown]
	s_and_b64 s[6:7], s[4:5], s[6:7]
	v_readlane_b32 s24, v52, 34
	v_readlane_b32 s29, v52, 25
	v_readlane_b32 s30, v52, 26
	v_readlane_b32 s31, v52, 27
	v_readlane_b32 s35, v52, 23
	v_readlane_b32 s25, v52, 35
	s_mov_b64 exec, s[6:7]
	s_cbranch_execz .LBB38_310
; %bb.309:
	v_mov_b32_e32 v2, 0
	v_mov_b32_e32 v3, s52
	ds_write_b32 v2, v3 offset:5140
.LBB38_310:
	s_or_b64 exec, exec, s[4:5]
	s_waitcnt lgkmcnt(0)
	s_barrier
	s_mov_b64 s[4:5], exec
	v_readlane_b32 s6, v52, 42
	v_readlane_b32 s7, v52, 43
	s_and_b64 s[6:7], s[4:5], s[6:7]
	s_mov_b64 exec, s[6:7]
	s_cbranch_execz .LBB38_322
; %bb.311:
	v_mov_b32_e32 v2, 0
	ds_read_b32 v4, v2 offset:5140
	s_mov_b64 s[6:7], 0
                                        ; implicit-def: $sgpr8_sgpr9
                                        ; implicit-def: $sgpr10_sgpr11
                                        ; implicit-def: $sgpr12_sgpr13
	s_waitcnt lgkmcnt(0)
	v_ashrrev_i32_e32 v5, 31, v4
	s_branch .LBB38_314
.LBB38_312:                             ;   in Loop: Header=BB38_314 Depth=1
	s_or_b64 exec, exec, s[18:19]
	s_andn2_b64 s[12:13], s[12:13], exec
	s_and_b64 s[16:17], s[16:17], exec
	s_or_b64 s[12:13], s[12:13], s[16:17]
	s_andn2_b64 s[10:11], s[10:11], exec
	s_and_b64 s[16:17], s[20:21], exec
	s_or_b64 s[10:11], s[10:11], s[16:17]
.LBB38_313:                             ;   in Loop: Header=BB38_314 Depth=1
	s_or_b64 exec, exec, s[14:15]
	s_and_b64 s[14:15], exec, s[10:11]
	s_or_b64 s[6:7], s[14:15], s[6:7]
	s_andn2_b64 s[8:9], s[8:9], exec
	s_and_b64 s[14:15], s[12:13], exec
	s_or_b64 s[8:9], s[8:9], s[14:15]
	s_andn2_b64 exec, exec, s[6:7]
	s_cbranch_execz .LBB38_317
.LBB38_314:                             ; =>This Inner Loop Header: Depth=1
	v_pk_mov_b32 v[2:3], v[0:1], v[0:1] op_sel:[0,1]
	v_cmp_lt_i64_e32 vcc, v[2:3], v[4:5]
	s_or_b64 s[12:13], s[12:13], exec
	s_or_b64 s[10:11], s[10:11], exec
                                        ; implicit-def: $vgpr0_vgpr1
	s_and_saveexec_b64 s[14:15], vcc
	s_cbranch_execz .LBB38_313
; %bb.315:                              ;   in Loop: Header=BB38_314 Depth=1
	global_load_ushort v0, v[10:11], off
	s_mov_b64 s[20:21], -1
	s_mov_b64 s[16:17], 0
	s_waitcnt vmcnt(0)
	v_cmp_ne_u16_e32 vcc, v0, v47
                                        ; implicit-def: $vgpr0_vgpr1
	s_and_saveexec_b64 s[18:19], vcc
	s_cbranch_execz .LBB38_312
; %bb.316:                              ;   in Loop: Header=BB38_314 Depth=1
	v_mov_b32_e32 v1, s26
	v_add_co_u32_e32 v0, vcc, s33, v2
	v_addc_co_u32_e32 v1, vcc, v3, v1, vcc
	v_mov_b32_e32 v3, s95
	v_add_co_u32_e32 v10, vcc, s94, v10
	v_addc_co_u32_e32 v11, vcc, v11, v3, vcc
	v_cmp_le_i64_e32 vcc, s[52:53], v[0:1]
	s_mov_b64 s[16:17], exec
	s_orn2_b64 s[20:21], vcc, exec
	s_branch .LBB38_312
.LBB38_317:
	s_or_b64 exec, exec, s[6:7]
	s_xor_b64 s[6:7], s[8:9], -1
	s_and_saveexec_b64 s[8:9], s[6:7]
	s_xor_b64 s[8:9], exec, s[8:9]
	s_cbranch_execz .LBB38_322
; %bb.318:
	s_mov_b64 s[6:7], exec
	s_brev_b32 s8, -2
.LBB38_319:                             ; =>This Inner Loop Header: Depth=1
	s_ff1_i32_b64 s9, s[6:7]
	v_readlane_b32 s12, v2, s9
	s_lshl_b64 s[10:11], 1, s9
	s_min_i32 s8, s8, s12
	s_andn2_b64 s[6:7], s[6:7], s[10:11]
	s_cmp_lg_u64 s[6:7], 0
	s_cbranch_scc1 .LBB38_319
; %bb.320:
	v_mbcnt_lo_u32_b32 v0, exec_lo, 0
	v_mbcnt_hi_u32_b32 v0, exec_hi, v0
	v_cmp_eq_u32_e32 vcc, 0, v0
	s_and_saveexec_b64 s[6:7], vcc
	s_xor_b64 s[6:7], exec, s[6:7]
	s_cbranch_execz .LBB38_322
; %bb.321:
	v_mov_b32_e32 v0, 0
	v_mov_b32_e32 v1, s8
	ds_min_i32 v0, v1 offset:5140
.LBB38_322:
	s_or_b64 exec, exec, s[4:5]
	s_waitcnt lgkmcnt(0)
	s_barrier
	s_mov_b64 s[4:5], exec
	v_readlane_b32 s6, v52, 32
	v_readlane_b32 s7, v52, 33
	s_and_b64 s[6:7], s[4:5], s[6:7]
	s_mov_b64 exec, s[6:7]
	s_cbranch_execz .LBB38_324
; %bb.323:
	s_mul_i32 s6, s34, s31
	s_mul_hi_u32 s7, s34, s30
	s_add_i32 s6, s7, s6
	s_mul_i32 s7, s35, s30
	s_add_i32 s6, s6, s7
	s_mul_i32 s7, s34, s30
	v_readlane_b32 s10, v52, 8
	s_sub_u32 s8, s24, s7
	v_readlane_b32 s11, v52, 9
	s_subb_u32 s6, 0, s6
	s_mul_i32 s7, s8, s11
	s_mul_hi_u32 s9, s8, s10
	v_readlane_b32 s12, v52, 0
	s_add_i32 s7, s9, s7
	s_mul_i32 s6, s6, s10
	v_readlane_b32 s13, v52, 1
	v_readlane_b32 s18, v52, 6
	s_add_i32 s7, s7, s6
	s_mul_i32 s6, s8, s10
	v_readlane_b32 s19, v52, 7
	s_mul_i32 s8, s18, s13
	s_mul_hi_u32 s9, s18, s12
	s_add_i32 s8, s9, s8
	s_mul_i32 s9, s19, s12
	s_add_i32 s8, s8, s9
	s_mul_i32 s9, s18, s12
	v_readlane_b32 s16, v52, 4
	v_readlane_b32 s20, v52, 16
	;; [unrolled: 1-line block ×3, first 2 shown]
	s_sub_u32 s10, s16, s9
	v_readlane_b32 s22, v52, 18
	v_readlane_b32 s23, v52, 19
	s_subb_u32 s8, s17, s8
	s_mul_i32 s9, s10, s23
	s_mul_hi_u32 s11, s10, s22
	v_readlane_b32 s14, v52, 2
	v_readlane_b32 s15, v52, 3
	;; [unrolled: 1-line block ×3, first 2 shown]
	s_add_i32 s9, s11, s9
	s_mul_i32 s8, s8, s22
	s_add_i32 s9, s9, s8
	s_mul_i32 s8, s10, s22
	s_mul_i32 s10, s18, s21
	s_mul_hi_u32 s11, s18, s20
	s_mul_i32 s12, s16, s15
	s_mul_hi_u32 s13, s16, s14
	s_add_i32 s10, s11, s10
	s_mul_i32 s11, s19, s20
	s_add_i32 s12, s13, s12
	s_mul_i32 s13, s17, s14
	s_add_i32 s11, s10, s11
	s_add_i32 s12, s12, s13
	s_mul_i32 s13, s16, s14
	v_readlane_b32 s16, v52, 14
	s_sub_u32 s14, s24, s13
	v_readlane_b32 s17, v52, 15
	s_subb_u32 s12, 0, s12
	s_mul_i32 s13, s14, s17
	s_mul_hi_u32 s15, s14, s16
	s_mul_i32 s10, s18, s20
	s_add_i32 s13, s15, s13
	s_mul_i32 s12, s12, s16
	v_readlane_b32 s18, v52, 20
	s_add_i32 s13, s13, s12
	s_mul_i32 s12, s14, s16
	v_readlane_b32 s19, v52, 21
	s_mul_i32 s14, s18, s29
	s_mul_hi_u32 s15, s18, s28
	s_add_i32 s14, s15, s14
	s_mul_i32 s15, s19, s28
	s_add_i32 s14, s14, s15
	s_mul_i32 s15, s18, s28
	v_readlane_b32 s20, v52, 10
	s_sub_u32 s16, s34, s15
	v_readlane_b32 s22, v52, 12
	v_readlane_b32 s23, v52, 13
	s_subb_u32 s14, s35, s14
	s_mul_i32 s15, s16, s23
	s_mul_hi_u32 s17, s16, s22
	v_readlane_b32 s21, v52, 11
	s_add_i32 s15, s17, s15
	s_mul_i32 s14, s14, s22
	s_add_i32 s15, s15, s14
	s_mul_i32 s14, s16, s22
	s_mul_i32 s16, s18, s21
	s_mul_hi_u32 s17, s18, s20
	s_add_i32 s16, s17, s16
	s_mul_i32 s17, s19, s20
	s_add_i32 s17, s16, s17
	s_mul_i32 s16, s18, s20
	s_lshl_b64 s[10:11], s[10:11], 1
	v_readlane_b32 s18, v52, 30
	v_readlane_b32 s19, v52, 31
	s_add_u32 s10, s18, s10
	s_addc_u32 s11, s19, s11
	s_lshl_b64 s[8:9], s[8:9], 1
	s_add_u32 s10, s10, s8
	s_addc_u32 s11, s11, s9
	s_lshl_b64 s[8:9], s[12:13], 1
	;; [unrolled: 3-line block ×3, first 2 shown]
	v_readlane_b32 s12, v52, 28
	v_mov_b32_e32 v2, 0
	v_readlane_b32 s13, v52, 29
	s_add_u32 s12, s12, s10
	ds_read_b32 v0, v2 offset:5140
	s_addc_u32 s13, s13, s11
	s_lshl_b64 s[10:11], s[14:15], 3
	s_add_u32 s10, s12, s10
	s_addc_u32 s11, s13, s11
	s_lshl_b64 s[6:7], s[6:7], 3
	s_add_u32 s6, s10, s6
	s_addc_u32 s7, s11, s7
	s_waitcnt lgkmcnt(0)
	v_ashrrev_i32_e32 v1, 31, v0
	global_store_dwordx2 v2, v[0:1], s[6:7]
	global_store_short v2, v47, s[8:9]
.LBB38_324:
	s_or_b64 exec, exec, s[4:5]
.LBB38_325:
	s_or_saveexec_b64 s[2:3], s[2:3]
	s_mov_b64 s[4:5], 0
	s_xor_b64 exec, exec, s[2:3]
	s_cbranch_execnz .LBB38_328
.LBB38_326:
	s_or_b64 exec, exec, s[2:3]
	s_and_b64 s[2:3], s[4:5], exec
	s_andn2_saveexec_b64 s[0:1], s[0:1]
	s_cbranch_execz .LBB38_302
.LBB38_327:
	s_or_b64 s[2:3], s[2:3], exec
	s_trap 2
	s_or_b64 exec, exec, s[0:1]
	s_and_saveexec_b64 s[0:1], s[2:3]
	s_cbranch_execnz .LBB38_303
	s_branch .LBB38_304
.LBB38_328:
	s_mov_b64 s[4:5], exec
	s_trap 2
	s_branch .LBB38_326
	.section	.rodata,"a",@progbits
	.p2align	6, 0x0
	.amdhsa_kernel _ZN2at6native12_GLOBAL__N_114gatherKthValueIslLi3EEEvNS_4cuda6detail10TensorInfoIKT_T0_EES8_S8_S8_S8_NS5_IS6_S8_EENS5_IlS8_EE
		.amdhsa_group_segment_fixed_size 5144
		.amdhsa_private_segment_fixed_size 0
		.amdhsa_kernarg_size 1536
		.amdhsa_user_sgpr_count 6
		.amdhsa_user_sgpr_private_segment_buffer 1
		.amdhsa_user_sgpr_dispatch_ptr 0
		.amdhsa_user_sgpr_queue_ptr 0
		.amdhsa_user_sgpr_kernarg_segment_ptr 1
		.amdhsa_user_sgpr_dispatch_id 0
		.amdhsa_user_sgpr_flat_scratch_init 0
		.amdhsa_user_sgpr_kernarg_preload_length 0
		.amdhsa_user_sgpr_kernarg_preload_offset 0
		.amdhsa_user_sgpr_private_segment_size 0
		.amdhsa_uses_dynamic_stack 0
		.amdhsa_system_sgpr_private_segment_wavefront_offset 0
		.amdhsa_system_sgpr_workgroup_id_x 1
		.amdhsa_system_sgpr_workgroup_id_y 1
		.amdhsa_system_sgpr_workgroup_id_z 1
		.amdhsa_system_sgpr_workgroup_info 0
		.amdhsa_system_vgpr_workitem_id 0
		.amdhsa_next_free_vgpr 53
		.amdhsa_next_free_sgpr 96
		.amdhsa_accum_offset 56
		.amdhsa_reserve_vcc 1
		.amdhsa_reserve_flat_scratch 0
		.amdhsa_float_round_mode_32 0
		.amdhsa_float_round_mode_16_64 0
		.amdhsa_float_denorm_mode_32 3
		.amdhsa_float_denorm_mode_16_64 3
		.amdhsa_dx10_clamp 1
		.amdhsa_ieee_mode 1
		.amdhsa_fp16_overflow 0
		.amdhsa_tg_split 0
		.amdhsa_exception_fp_ieee_invalid_op 0
		.amdhsa_exception_fp_denorm_src 0
		.amdhsa_exception_fp_ieee_div_zero 0
		.amdhsa_exception_fp_ieee_overflow 0
		.amdhsa_exception_fp_ieee_underflow 0
		.amdhsa_exception_fp_ieee_inexact 0
		.amdhsa_exception_int_div_zero 0
	.end_amdhsa_kernel
	.section	.text._ZN2at6native12_GLOBAL__N_114gatherKthValueIslLi3EEEvNS_4cuda6detail10TensorInfoIKT_T0_EES8_S8_S8_S8_NS5_IS6_S8_EENS5_IlS8_EE,"axG",@progbits,_ZN2at6native12_GLOBAL__N_114gatherKthValueIslLi3EEEvNS_4cuda6detail10TensorInfoIKT_T0_EES8_S8_S8_S8_NS5_IS6_S8_EENS5_IlS8_EE,comdat
.Lfunc_end38:
	.size	_ZN2at6native12_GLOBAL__N_114gatherKthValueIslLi3EEEvNS_4cuda6detail10TensorInfoIKT_T0_EES8_S8_S8_S8_NS5_IS6_S8_EENS5_IlS8_EE, .Lfunc_end38-_ZN2at6native12_GLOBAL__N_114gatherKthValueIslLi3EEEvNS_4cuda6detail10TensorInfoIKT_T0_EES8_S8_S8_S8_NS5_IS6_S8_EENS5_IlS8_EE
                                        ; -- End function
	.section	.AMDGPU.csdata,"",@progbits
; Kernel info:
; codeLenInByte = 20896
; NumSgprs: 100
; NumVgprs: 53
; NumAgprs: 0
; TotalNumVgprs: 53
; ScratchSize: 0
; MemoryBound: 0
; FloatMode: 240
; IeeeMode: 1
; LDSByteSize: 5144 bytes/workgroup (compile time only)
; SGPRBlocks: 12
; VGPRBlocks: 6
; NumSGPRsForWavesPerEU: 100
; NumVGPRsForWavesPerEU: 53
; AccumOffset: 56
; Occupancy: 8
; WaveLimiterHint : 1
; COMPUTE_PGM_RSRC2:SCRATCH_EN: 0
; COMPUTE_PGM_RSRC2:USER_SGPR: 6
; COMPUTE_PGM_RSRC2:TRAP_HANDLER: 0
; COMPUTE_PGM_RSRC2:TGID_X_EN: 1
; COMPUTE_PGM_RSRC2:TGID_Y_EN: 1
; COMPUTE_PGM_RSRC2:TGID_Z_EN: 1
; COMPUTE_PGM_RSRC2:TIDIG_COMP_CNT: 0
; COMPUTE_PGM_RSRC3_GFX90A:ACCUM_OFFSET: 13
; COMPUTE_PGM_RSRC3_GFX90A:TG_SPLIT: 0
	.section	.text._ZN2at6native12_GLOBAL__N_114gatherKthValueIslLin1EEEvNS_4cuda6detail10TensorInfoIKT_T0_EES8_S8_S8_S8_NS5_IS6_S8_EENS5_IlS8_EE,"axG",@progbits,_ZN2at6native12_GLOBAL__N_114gatherKthValueIslLin1EEEvNS_4cuda6detail10TensorInfoIKT_T0_EES8_S8_S8_S8_NS5_IS6_S8_EENS5_IlS8_EE,comdat
	.globl	_ZN2at6native12_GLOBAL__N_114gatherKthValueIslLin1EEEvNS_4cuda6detail10TensorInfoIKT_T0_EES8_S8_S8_S8_NS5_IS6_S8_EENS5_IlS8_EE ; -- Begin function _ZN2at6native12_GLOBAL__N_114gatherKthValueIslLin1EEEvNS_4cuda6detail10TensorInfoIKT_T0_EES8_S8_S8_S8_NS5_IS6_S8_EENS5_IlS8_EE
	.p2align	8
	.type	_ZN2at6native12_GLOBAL__N_114gatherKthValueIslLin1EEEvNS_4cuda6detail10TensorInfoIKT_T0_EES8_S8_S8_S8_NS5_IS6_S8_EENS5_IlS8_EE,@function
_ZN2at6native12_GLOBAL__N_114gatherKthValueIslLin1EEEvNS_4cuda6detail10TensorInfoIKT_T0_EES8_S8_S8_S8_NS5_IS6_S8_EENS5_IlS8_EE: ; @_ZN2at6native12_GLOBAL__N_114gatherKthValueIslLin1EEEvNS_4cuda6detail10TensorInfoIKT_T0_EES8_S8_S8_S8_NS5_IS6_S8_EENS5_IlS8_EE
; %bb.0:
	s_load_dwordx8 s[52:59], s[4:5], 0x1a0
	s_load_dwordx2 s[12:13], s[4:5], 0x500
	s_add_u32 s10, s4, 0x500
	s_addc_u32 s11, s5, 0
	s_mov_b32 s9, 0
	s_waitcnt lgkmcnt(0)
	v_mov_b32_e32 v2, s56
	s_mul_i32 s0, s13, s8
	s_add_i32 s0, s0, s7
	s_mul_i32 s0, s0, s12
	v_mov_b32_e32 v3, s57
	s_add_i32 s8, s0, s6
	v_cmp_ge_i64_e32 vcc, s[8:9], v[2:3]
	s_cbranch_vccnz .LBB39_304
; %bb.1:
	s_load_dword s0, s[4:5], 0x198
	s_mov_b64 s[2:3], 0
	s_mov_b64 s[14:15], s[8:9]
	s_waitcnt lgkmcnt(0)
	s_cmp_lt_i32 s0, 2
	s_cbranch_scc1 .LBB39_9
; %bb.2:
	s_mov_b32 s16, 0
	s_add_i32 s7, s0, 1
	s_add_i32 s0, s0, -1
	s_mov_b32 s1, s16
	s_lshl_b64 s[0:1], s[0:1], 3
	s_add_u32 s0, s0, s4
	s_addc_u32 s1, s1, s5
	s_add_u32 s18, s0, 8
	s_addc_u32 s19, s1, 0
	s_mov_b64 s[20:21], s[8:9]
.LBB39_3:                               ; =>This Inner Loop Header: Depth=1
	s_load_dwordx2 s[22:23], s[18:19], 0x0
	s_waitcnt lgkmcnt(0)
	s_or_b64 s[0:1], s[20:21], s[22:23]
	s_mov_b32 s17, s1
	s_cmp_lg_u64 s[16:17], 0
	s_cbranch_scc0 .LBB39_8
; %bb.4:                                ;   in Loop: Header=BB39_3 Depth=1
	s_ashr_i32 s14, s23, 31
	s_add_u32 s0, s22, s14
	s_mov_b32 s15, s14
	s_addc_u32 s1, s23, s14
	s_xor_b64 s[24:25], s[0:1], s[14:15]
	v_cvt_f32_u32_e32 v1, s24
	v_cvt_f32_u32_e32 v2, s25
	s_sub_u32 s0, 0, s24
	s_subb_u32 s1, 0, s25
	v_mac_f32_e32 v1, 0x4f800000, v2
	v_rcp_f32_e32 v1, v1
	v_mul_f32_e32 v1, 0x5f7ffffc, v1
	v_mul_f32_e32 v2, 0x2f800000, v1
	v_trunc_f32_e32 v2, v2
	v_mac_f32_e32 v1, 0xcf800000, v2
	v_cvt_u32_f32_e32 v2, v2
	v_cvt_u32_f32_e32 v1, v1
	v_readfirstlane_b32 s13, v2
	v_readfirstlane_b32 s17, v1
	s_mul_i32 s26, s0, s13
	s_mul_hi_u32 s28, s0, s17
	s_mul_i32 s27, s1, s17
	s_add_i32 s26, s28, s26
	s_add_i32 s26, s26, s27
	s_mul_i32 s29, s0, s17
	s_mul_hi_u32 s27, s17, s26
	s_mul_i32 s28, s17, s26
	s_mul_hi_u32 s17, s17, s29
	s_add_u32 s17, s17, s28
	s_addc_u32 s27, 0, s27
	s_mul_hi_u32 s30, s13, s29
	s_mul_i32 s29, s13, s29
	s_add_u32 s17, s17, s29
	s_mul_hi_u32 s28, s13, s26
	s_addc_u32 s17, s27, s30
	s_addc_u32 s27, s28, 0
	s_mul_i32 s26, s13, s26
	s_add_u32 s17, s17, s26
	s_addc_u32 s26, 0, s27
	v_add_co_u32_e32 v1, vcc, s17, v1
	s_cmp_lg_u64 vcc, 0
	s_addc_u32 s13, s13, s26
	v_readfirstlane_b32 s26, v1
	s_mul_i32 s17, s0, s13
	s_mul_hi_u32 s27, s0, s26
	s_add_i32 s17, s27, s17
	s_mul_i32 s1, s1, s26
	s_add_i32 s17, s17, s1
	s_mul_i32 s0, s0, s26
	s_mul_hi_u32 s27, s13, s0
	s_mul_i32 s28, s13, s0
	s_mul_i32 s30, s26, s17
	s_mul_hi_u32 s0, s26, s0
	s_mul_hi_u32 s29, s26, s17
	s_add_u32 s0, s0, s30
	s_addc_u32 s26, 0, s29
	s_add_u32 s0, s0, s28
	s_mul_hi_u32 s1, s13, s17
	s_addc_u32 s0, s26, s27
	s_addc_u32 s1, s1, 0
	s_mul_i32 s17, s13, s17
	s_add_u32 s0, s0, s17
	s_addc_u32 s1, 0, s1
	v_add_co_u32_e32 v1, vcc, s0, v1
	s_cmp_lg_u64 vcc, 0
	s_addc_u32 s13, s13, s1
	s_ashr_i32 s26, s21, 31
	s_add_u32 s0, s20, s26
	s_mov_b32 s27, s26
	s_addc_u32 s1, s21, s26
	s_xor_b64 s[28:29], s[0:1], s[26:27]
	v_readfirstlane_b32 s17, v1
	s_mul_i32 s1, s28, s13
	s_mul_hi_u32 s30, s28, s17
	s_mul_hi_u32 s0, s28, s13
	s_add_u32 s1, s30, s1
	s_addc_u32 s0, 0, s0
	s_mul_hi_u32 s31, s29, s17
	s_mul_i32 s17, s29, s17
	s_add_u32 s1, s1, s17
	s_mul_hi_u32 s30, s29, s13
	s_addc_u32 s0, s0, s31
	s_addc_u32 s1, s30, 0
	s_mul_i32 s13, s29, s13
	s_add_u32 s13, s0, s13
	s_addc_u32 s17, 0, s1
	s_mul_i32 s0, s24, s17
	s_mul_hi_u32 s1, s24, s13
	s_add_i32 s0, s1, s0
	s_mul_i32 s1, s25, s13
	s_add_i32 s30, s0, s1
	s_mul_i32 s1, s24, s13
	v_mov_b32_e32 v1, s1
	s_sub_i32 s0, s29, s30
	v_sub_co_u32_e32 v1, vcc, s28, v1
	s_cmp_lg_u64 vcc, 0
	s_subb_u32 s28, s0, s25
	v_subrev_co_u32_e64 v2, s[0:1], s24, v1
	s_cmp_lg_u64 s[0:1], 0
	s_subb_u32 s0, s28, 0
	s_cmp_ge_u32 s0, s25
	v_readfirstlane_b32 s28, v2
	s_cselect_b32 s1, -1, 0
	s_cmp_ge_u32 s28, s24
	s_cselect_b32 s28, -1, 0
	s_cmp_eq_u32 s0, s25
	s_cselect_b32 s0, s28, s1
	s_add_u32 s1, s13, 1
	s_addc_u32 s28, s17, 0
	s_add_u32 s31, s13, 2
	s_addc_u32 s33, s17, 0
	s_cmp_lg_u32 s0, 0
	s_cselect_b32 s0, s31, s1
	s_cselect_b32 s1, s33, s28
	s_cmp_lg_u64 vcc, 0
	s_subb_u32 s28, s29, s30
	s_cmp_ge_u32 s28, s25
	v_readfirstlane_b32 s30, v1
	s_cselect_b32 s29, -1, 0
	s_cmp_ge_u32 s30, s24
	s_cselect_b32 s24, -1, 0
	s_cmp_eq_u32 s28, s25
	s_cselect_b32 s24, s24, s29
	s_cmp_lg_u32 s24, 0
	s_cselect_b32 s1, s1, s17
	s_cselect_b32 s0, s0, s13
	s_xor_b64 s[14:15], s[26:27], s[14:15]
	s_xor_b64 s[0:1], s[0:1], s[14:15]
	s_sub_u32 s14, s0, s14
	s_subb_u32 s15, s1, s15
	s_cbranch_execnz .LBB39_6
.LBB39_5:                               ;   in Loop: Header=BB39_3 Depth=1
	v_cvt_f32_u32_e32 v1, s22
	s_sub_i32 s0, 0, s22
	s_mov_b32 s15, s16
	v_rcp_iflag_f32_e32 v1, v1
	v_mul_f32_e32 v1, 0x4f7ffffe, v1
	v_cvt_u32_f32_e32 v1, v1
	v_readfirstlane_b32 s1, v1
	s_mul_i32 s0, s0, s1
	s_mul_hi_u32 s0, s1, s0
	s_add_i32 s1, s1, s0
	s_mul_hi_u32 s0, s20, s1
	s_mul_i32 s13, s0, s22
	s_sub_i32 s13, s20, s13
	s_add_i32 s1, s0, 1
	s_sub_i32 s14, s13, s22
	s_cmp_ge_u32 s13, s22
	s_cselect_b32 s0, s1, s0
	s_cselect_b32 s13, s14, s13
	s_add_i32 s1, s0, 1
	s_cmp_ge_u32 s13, s22
	s_cselect_b32 s14, s1, s0
.LBB39_6:                               ;   in Loop: Header=BB39_3 Depth=1
	s_mul_i32 s0, s14, s23
	s_mul_hi_u32 s1, s14, s22
	s_add_i32 s13, s1, s0
	s_load_dwordx2 s[0:1], s[18:19], 0xc8
	s_mul_i32 s17, s15, s22
	s_add_i32 s13, s13, s17
	s_mul_i32 s17, s14, s22
	s_sub_u32 s17, s20, s17
	s_subb_u32 s13, s21, s13
	s_waitcnt lgkmcnt(0)
	s_mul_i32 s13, s0, s13
	s_mul_hi_u32 s20, s0, s17
	s_add_i32 s13, s20, s13
	s_mul_i32 s1, s1, s17
	s_add_i32 s13, s13, s1
	s_mul_i32 s0, s0, s17
	s_add_u32 s2, s0, s2
	s_addc_u32 s3, s13, s3
	s_add_i32 s7, s7, -1
	s_add_u32 s18, s18, -8
	s_addc_u32 s19, s19, -1
	s_cmp_gt_u32 s7, 2
	s_cbranch_scc0 .LBB39_9
; %bb.7:                                ;   in Loop: Header=BB39_3 Depth=1
	s_mov_b64 s[20:21], s[14:15]
	s_branch .LBB39_3
.LBB39_8:                               ;   in Loop: Header=BB39_3 Depth=1
                                        ; implicit-def: $sgpr14_sgpr15
	s_branch .LBB39_5
.LBB39_9:
	s_load_dword s0, s[4:5], 0x358
	s_load_dwordx2 s[16:17], s[4:5], 0xd0
	s_add_u32 s18, s4, 0x1c0
	s_addc_u32 s19, s5, 0
	s_mov_b64 s[40:41], 0
	s_waitcnt lgkmcnt(0)
	s_cmp_lt_i32 s0, 2
	s_mov_b64 s[28:29], s[8:9]
	s_cbranch_scc1 .LBB39_17
; %bb.10:
	s_mov_b32 s20, 0
	s_add_i32 s7, s0, 1
	s_add_i32 s0, s0, -1
	s_mov_b32 s1, s20
	s_lshl_b64 s[0:1], s[0:1], 3
	s_add_u32 s0, s0, s18
	s_addc_u32 s1, s1, s19
	s_add_u32 s22, s0, 8
	s_addc_u32 s23, s1, 0
	s_mov_b64 s[24:25], s[8:9]
.LBB39_11:                              ; =>This Inner Loop Header: Depth=1
	s_load_dwordx2 s[26:27], s[22:23], 0x0
	s_waitcnt lgkmcnt(0)
	s_or_b64 s[0:1], s[24:25], s[26:27]
	s_mov_b32 s21, s1
	s_cmp_lg_u64 s[20:21], 0
	s_cbranch_scc0 .LBB39_16
; %bb.12:                               ;   in Loop: Header=BB39_11 Depth=1
	s_ashr_i32 s28, s27, 31
	s_add_u32 s0, s26, s28
	s_mov_b32 s29, s28
	s_addc_u32 s1, s27, s28
	s_xor_b64 s[30:31], s[0:1], s[28:29]
	v_cvt_f32_u32_e32 v1, s30
	v_cvt_f32_u32_e32 v2, s31
	s_sub_u32 s0, 0, s30
	s_subb_u32 s1, 0, s31
	v_mac_f32_e32 v1, 0x4f800000, v2
	v_rcp_f32_e32 v1, v1
	v_mul_f32_e32 v1, 0x5f7ffffc, v1
	v_mul_f32_e32 v2, 0x2f800000, v1
	v_trunc_f32_e32 v2, v2
	v_mac_f32_e32 v1, 0xcf800000, v2
	v_cvt_u32_f32_e32 v2, v2
	v_cvt_u32_f32_e32 v1, v1
	v_readfirstlane_b32 s13, v2
	v_readfirstlane_b32 s21, v1
	s_mul_i32 s33, s0, s13
	s_mul_hi_u32 s35, s0, s21
	s_mul_i32 s34, s1, s21
	s_add_i32 s33, s35, s33
	s_add_i32 s33, s33, s34
	s_mul_i32 s36, s0, s21
	s_mul_hi_u32 s34, s21, s33
	s_mul_i32 s35, s21, s33
	s_mul_hi_u32 s21, s21, s36
	s_add_u32 s21, s21, s35
	s_addc_u32 s34, 0, s34
	s_mul_hi_u32 s37, s13, s36
	s_mul_i32 s36, s13, s36
	s_add_u32 s21, s21, s36
	s_mul_hi_u32 s35, s13, s33
	s_addc_u32 s21, s34, s37
	s_addc_u32 s34, s35, 0
	s_mul_i32 s33, s13, s33
	s_add_u32 s21, s21, s33
	s_addc_u32 s33, 0, s34
	v_add_co_u32_e32 v1, vcc, s21, v1
	s_cmp_lg_u64 vcc, 0
	s_addc_u32 s13, s13, s33
	v_readfirstlane_b32 s33, v1
	s_mul_i32 s21, s0, s13
	s_mul_hi_u32 s34, s0, s33
	s_add_i32 s21, s34, s21
	s_mul_i32 s1, s1, s33
	s_add_i32 s21, s21, s1
	s_mul_i32 s0, s0, s33
	s_mul_hi_u32 s34, s13, s0
	s_mul_i32 s35, s13, s0
	s_mul_i32 s37, s33, s21
	s_mul_hi_u32 s0, s33, s0
	s_mul_hi_u32 s36, s33, s21
	s_add_u32 s0, s0, s37
	s_addc_u32 s33, 0, s36
	s_add_u32 s0, s0, s35
	s_mul_hi_u32 s1, s13, s21
	s_addc_u32 s0, s33, s34
	s_addc_u32 s1, s1, 0
	s_mul_i32 s21, s13, s21
	s_add_u32 s0, s0, s21
	s_addc_u32 s1, 0, s1
	v_add_co_u32_e32 v1, vcc, s0, v1
	s_cmp_lg_u64 vcc, 0
	s_addc_u32 s13, s13, s1
	s_ashr_i32 s34, s25, 31
	s_add_u32 s0, s24, s34
	s_mov_b32 s35, s34
	s_addc_u32 s1, s25, s34
	s_xor_b64 s[36:37], s[0:1], s[34:35]
	v_readfirstlane_b32 s21, v1
	s_mul_i32 s1, s36, s13
	s_mul_hi_u32 s33, s36, s21
	s_mul_hi_u32 s0, s36, s13
	s_add_u32 s1, s33, s1
	s_addc_u32 s0, 0, s0
	s_mul_hi_u32 s38, s37, s21
	s_mul_i32 s21, s37, s21
	s_add_u32 s1, s1, s21
	s_mul_hi_u32 s33, s37, s13
	s_addc_u32 s0, s0, s38
	s_addc_u32 s1, s33, 0
	s_mul_i32 s13, s37, s13
	s_add_u32 s13, s0, s13
	s_addc_u32 s21, 0, s1
	s_mul_i32 s0, s30, s21
	s_mul_hi_u32 s1, s30, s13
	s_add_i32 s0, s1, s0
	s_mul_i32 s1, s31, s13
	s_add_i32 s33, s0, s1
	s_mul_i32 s1, s30, s13
	v_mov_b32_e32 v1, s1
	s_sub_i32 s0, s37, s33
	v_sub_co_u32_e32 v1, vcc, s36, v1
	s_cmp_lg_u64 vcc, 0
	s_subb_u32 s36, s0, s31
	v_subrev_co_u32_e64 v2, s[0:1], s30, v1
	s_cmp_lg_u64 s[0:1], 0
	s_subb_u32 s0, s36, 0
	s_cmp_ge_u32 s0, s31
	v_readfirstlane_b32 s36, v2
	s_cselect_b32 s1, -1, 0
	s_cmp_ge_u32 s36, s30
	s_cselect_b32 s36, -1, 0
	s_cmp_eq_u32 s0, s31
	s_cselect_b32 s0, s36, s1
	s_add_u32 s1, s13, 1
	s_addc_u32 s36, s21, 0
	s_add_u32 s38, s13, 2
	s_addc_u32 s39, s21, 0
	s_cmp_lg_u32 s0, 0
	s_cselect_b32 s0, s38, s1
	s_cselect_b32 s1, s39, s36
	s_cmp_lg_u64 vcc, 0
	s_subb_u32 s33, s37, s33
	s_cmp_ge_u32 s33, s31
	v_readfirstlane_b32 s37, v1
	s_cselect_b32 s36, -1, 0
	s_cmp_ge_u32 s37, s30
	s_cselect_b32 s30, -1, 0
	s_cmp_eq_u32 s33, s31
	s_cselect_b32 s30, s30, s36
	s_cmp_lg_u32 s30, 0
	s_cselect_b32 s1, s1, s21
	s_cselect_b32 s0, s0, s13
	s_xor_b64 s[28:29], s[34:35], s[28:29]
	s_xor_b64 s[0:1], s[0:1], s[28:29]
	s_sub_u32 s28, s0, s28
	s_subb_u32 s29, s1, s29
	s_cbranch_execnz .LBB39_14
.LBB39_13:                              ;   in Loop: Header=BB39_11 Depth=1
	v_cvt_f32_u32_e32 v1, s26
	s_sub_i32 s0, 0, s26
	s_mov_b32 s29, s20
	v_rcp_iflag_f32_e32 v1, v1
	v_mul_f32_e32 v1, 0x4f7ffffe, v1
	v_cvt_u32_f32_e32 v1, v1
	v_readfirstlane_b32 s1, v1
	s_mul_i32 s0, s0, s1
	s_mul_hi_u32 s0, s1, s0
	s_add_i32 s1, s1, s0
	s_mul_hi_u32 s0, s24, s1
	s_mul_i32 s13, s0, s26
	s_sub_i32 s13, s24, s13
	s_add_i32 s1, s0, 1
	s_sub_i32 s21, s13, s26
	s_cmp_ge_u32 s13, s26
	s_cselect_b32 s0, s1, s0
	s_cselect_b32 s13, s21, s13
	s_add_i32 s1, s0, 1
	s_cmp_ge_u32 s13, s26
	s_cselect_b32 s28, s1, s0
.LBB39_14:                              ;   in Loop: Header=BB39_11 Depth=1
	s_mul_i32 s0, s28, s27
	s_mul_hi_u32 s1, s28, s26
	s_add_i32 s13, s1, s0
	s_load_dwordx2 s[0:1], s[22:23], 0xc8
	s_mul_i32 s21, s29, s26
	s_add_i32 s13, s13, s21
	s_mul_i32 s21, s28, s26
	s_sub_u32 s21, s24, s21
	s_subb_u32 s13, s25, s13
	s_waitcnt lgkmcnt(0)
	s_mul_i32 s13, s0, s13
	s_mul_hi_u32 s24, s0, s21
	s_add_i32 s13, s24, s13
	s_mul_i32 s1, s1, s21
	s_add_i32 s13, s13, s1
	s_mul_i32 s0, s0, s21
	s_add_u32 s40, s0, s40
	s_addc_u32 s41, s13, s41
	s_add_i32 s7, s7, -1
	s_add_u32 s22, s22, -8
	s_addc_u32 s23, s23, -1
	s_cmp_gt_u32 s7, 2
	s_cbranch_scc0 .LBB39_17
; %bb.15:                               ;   in Loop: Header=BB39_11 Depth=1
	s_mov_b64 s[24:25], s[28:29]
	s_branch .LBB39_11
.LBB39_16:                              ;   in Loop: Header=BB39_11 Depth=1
                                        ; implicit-def: $sgpr28_sgpr29
	s_branch .LBB39_13
.LBB39_17:
                                        ; implicit-def: $vgpr55 : SGPR spill to VGPR lane
	s_load_dword s13, s[4:5], 0x4f8
	s_load_dwordx2 s[0:1], s[18:19], 0xd0
	v_writelane_b32 v55, s40, 0
	v_writelane_b32 v55, s41, 1
	v_writelane_b32 v55, s28, 2
	v_writelane_b32 v55, s29, 3
	s_waitcnt lgkmcnt(0)
	v_writelane_b32 v55, s0, 4
	v_writelane_b32 v55, s1, 5
	s_add_u32 s0, s4, 0x360
	s_addc_u32 s1, s5, 0
	s_cmp_lt_i32 s13, 2
                                        ; kill: killed $sgpr18 killed $sgpr19
	s_cbranch_scc1 .LBB39_25
; %bb.18:
	s_mov_b32 s18, 0
	s_add_i32 s20, s13, -1
	s_mov_b32 s21, s18
	s_add_i32 s7, s13, 1
	s_lshl_b64 s[20:21], s[20:21], 3
	s_add_u32 s0, s20, s0
	s_addc_u32 s1, s21, s1
	s_add_u32 s20, s0, 8
	s_addc_u32 s21, s1, 0
	s_mov_b64 s[0:1], 0
	v_writelane_b32 v55, s0, 6
	v_writelane_b32 v55, s1, 7
.LBB39_19:                              ; =>This Inner Loop Header: Depth=1
	s_load_dwordx2 s[22:23], s[20:21], 0x0
	s_waitcnt lgkmcnt(0)
	s_or_b64 s[0:1], s[8:9], s[22:23]
	s_mov_b32 s19, s1
	s_cmp_lg_u64 s[18:19], 0
	s_cbranch_scc0 .LBB39_24
; %bb.20:                               ;   in Loop: Header=BB39_19 Depth=1
	s_ashr_i32 s24, s23, 31
	s_add_u32 s0, s22, s24
	s_mov_b32 s25, s24
	s_addc_u32 s1, s23, s24
	s_xor_b64 s[26:27], s[0:1], s[24:25]
	v_cvt_f32_u32_e32 v1, s26
	v_cvt_f32_u32_e32 v2, s27
	s_sub_u32 s0, 0, s26
	s_subb_u32 s1, 0, s27
	v_mac_f32_e32 v1, 0x4f800000, v2
	v_rcp_f32_e32 v1, v1
	v_mul_f32_e32 v1, 0x5f7ffffc, v1
	v_mul_f32_e32 v2, 0x2f800000, v1
	v_trunc_f32_e32 v2, v2
	v_mac_f32_e32 v1, 0xcf800000, v2
	v_cvt_u32_f32_e32 v2, v2
	v_cvt_u32_f32_e32 v1, v1
	v_readfirstlane_b32 s13, v2
	v_readfirstlane_b32 s19, v1
	s_mul_i32 s28, s0, s13
	s_mul_hi_u32 s30, s0, s19
	s_mul_i32 s29, s1, s19
	s_add_i32 s28, s30, s28
	s_add_i32 s28, s28, s29
	s_mul_i32 s31, s0, s19
	s_mul_hi_u32 s29, s19, s28
	s_mul_i32 s30, s19, s28
	s_mul_hi_u32 s19, s19, s31
	s_add_u32 s19, s19, s30
	s_addc_u32 s29, 0, s29
	s_mul_hi_u32 s33, s13, s31
	s_mul_i32 s31, s13, s31
	s_add_u32 s19, s19, s31
	s_mul_hi_u32 s30, s13, s28
	s_addc_u32 s19, s29, s33
	s_addc_u32 s29, s30, 0
	s_mul_i32 s28, s13, s28
	s_add_u32 s19, s19, s28
	s_addc_u32 s28, 0, s29
	v_add_co_u32_e32 v1, vcc, s19, v1
	s_cmp_lg_u64 vcc, 0
	s_addc_u32 s13, s13, s28
	v_readfirstlane_b32 s28, v1
	s_mul_i32 s19, s0, s13
	s_mul_hi_u32 s29, s0, s28
	s_add_i32 s19, s29, s19
	s_mul_i32 s1, s1, s28
	s_add_i32 s19, s19, s1
	s_mul_i32 s0, s0, s28
	s_mul_hi_u32 s29, s13, s0
	s_mul_i32 s30, s13, s0
	s_mul_i32 s33, s28, s19
	s_mul_hi_u32 s0, s28, s0
	s_mul_hi_u32 s31, s28, s19
	s_add_u32 s0, s0, s33
	s_addc_u32 s28, 0, s31
	s_add_u32 s0, s0, s30
	s_mul_hi_u32 s1, s13, s19
	s_addc_u32 s0, s28, s29
	s_addc_u32 s1, s1, 0
	s_mul_i32 s19, s13, s19
	s_add_u32 s0, s0, s19
	s_addc_u32 s1, 0, s1
	v_add_co_u32_e32 v1, vcc, s0, v1
	s_cmp_lg_u64 vcc, 0
	s_addc_u32 s13, s13, s1
	s_ashr_i32 s28, s9, 31
	s_add_u32 s0, s8, s28
	s_mov_b32 s29, s28
	s_addc_u32 s1, s9, s28
	s_xor_b64 s[30:31], s[0:1], s[28:29]
	v_readfirstlane_b32 s19, v1
	s_mul_i32 s1, s30, s13
	s_mul_hi_u32 s33, s30, s19
	s_mul_hi_u32 s0, s30, s13
	s_add_u32 s1, s33, s1
	s_addc_u32 s0, 0, s0
	s_mul_hi_u32 s34, s31, s19
	s_mul_i32 s19, s31, s19
	s_add_u32 s1, s1, s19
	s_mul_hi_u32 s33, s31, s13
	s_addc_u32 s0, s0, s34
	s_addc_u32 s1, s33, 0
	s_mul_i32 s13, s31, s13
	s_add_u32 s13, s0, s13
	s_addc_u32 s19, 0, s1
	s_mul_i32 s0, s26, s19
	s_mul_hi_u32 s1, s26, s13
	s_add_i32 s0, s1, s0
	s_mul_i32 s1, s27, s13
	s_add_i32 s33, s0, s1
	s_mul_i32 s1, s26, s13
	v_mov_b32_e32 v1, s1
	s_sub_i32 s0, s31, s33
	v_sub_co_u32_e32 v1, vcc, s30, v1
	s_cmp_lg_u64 vcc, 0
	s_subb_u32 s30, s0, s27
	v_subrev_co_u32_e64 v2, s[0:1], s26, v1
	s_cmp_lg_u64 s[0:1], 0
	s_subb_u32 s0, s30, 0
	s_cmp_ge_u32 s0, s27
	v_readfirstlane_b32 s30, v2
	s_cselect_b32 s1, -1, 0
	s_cmp_ge_u32 s30, s26
	s_cselect_b32 s30, -1, 0
	s_cmp_eq_u32 s0, s27
	s_cselect_b32 s0, s30, s1
	s_add_u32 s1, s13, 1
	s_addc_u32 s30, s19, 0
	s_add_u32 s34, s13, 2
	s_addc_u32 s35, s19, 0
	s_cmp_lg_u32 s0, 0
	s_cselect_b32 s0, s34, s1
	s_cselect_b32 s1, s35, s30
	s_cmp_lg_u64 vcc, 0
	s_subb_u32 s30, s31, s33
	s_cmp_ge_u32 s30, s27
	v_readfirstlane_b32 s33, v1
	s_cselect_b32 s31, -1, 0
	s_cmp_ge_u32 s33, s26
	s_cselect_b32 s26, -1, 0
	s_cmp_eq_u32 s30, s27
	s_cselect_b32 s26, s26, s31
	s_cmp_lg_u32 s26, 0
	s_cselect_b32 s1, s1, s19
	s_cselect_b32 s0, s0, s13
	s_xor_b64 s[24:25], s[28:29], s[24:25]
	s_xor_b64 s[0:1], s[0:1], s[24:25]
	s_sub_u32 s90, s0, s24
	s_subb_u32 s91, s1, s25
	s_cbranch_execnz .LBB39_22
.LBB39_21:                              ;   in Loop: Header=BB39_19 Depth=1
	v_cvt_f32_u32_e32 v1, s22
	s_sub_i32 s0, 0, s22
	s_mov_b32 s91, s18
	v_rcp_iflag_f32_e32 v1, v1
	v_mul_f32_e32 v1, 0x4f7ffffe, v1
	v_cvt_u32_f32_e32 v1, v1
	v_readfirstlane_b32 s1, v1
	s_mul_i32 s0, s0, s1
	s_mul_hi_u32 s0, s1, s0
	s_add_i32 s1, s1, s0
	s_mul_hi_u32 s0, s8, s1
	s_mul_i32 s13, s0, s22
	s_sub_i32 s13, s8, s13
	s_add_i32 s1, s0, 1
	s_sub_i32 s19, s13, s22
	s_cmp_ge_u32 s13, s22
	s_cselect_b32 s0, s1, s0
	s_cselect_b32 s13, s19, s13
	s_add_i32 s1, s0, 1
	s_cmp_ge_u32 s13, s22
	s_cselect_b32 s90, s1, s0
.LBB39_22:                              ;   in Loop: Header=BB39_19 Depth=1
	s_mul_i32 s0, s90, s23
	s_mul_hi_u32 s1, s90, s22
	s_add_i32 s13, s1, s0
	s_load_dwordx2 s[0:1], s[20:21], 0xc8
	s_mul_i32 s19, s91, s22
	s_add_i32 s13, s13, s19
	s_mul_i32 s19, s90, s22
	s_sub_u32 s8, s8, s19
	s_subb_u32 s9, s9, s13
	s_waitcnt lgkmcnt(0)
	s_mul_i32 s9, s0, s9
	s_mul_hi_u32 s13, s0, s8
	s_add_i32 s9, s13, s9
	s_mul_i32 s1, s1, s8
	s_add_i32 s9, s9, s1
	s_mul_i32 s0, s0, s8
	v_readlane_b32 s22, v55, 6
	v_readlane_b32 s23, v55, 7
	s_add_u32 s22, s0, s22
	s_addc_u32 s23, s9, s23
	s_add_i32 s7, s7, -1
	s_add_u32 s20, s20, -8
	s_addc_u32 s21, s21, -1
	v_writelane_b32 v55, s22, 6
	s_cmp_gt_u32 s7, 2
	v_writelane_b32 v55, s23, 7
	s_cbranch_scc0 .LBB39_26
; %bb.23:                               ;   in Loop: Header=BB39_19 Depth=1
	s_mov_b64 s[8:9], s[90:91]
	s_branch .LBB39_19
.LBB39_24:                              ;   in Loop: Header=BB39_19 Depth=1
                                        ; implicit-def: $sgpr90_sgpr91
	s_branch .LBB39_21
.LBB39_25:
	s_mov_b64 s[0:1], 0
	v_writelane_b32 v55, s0, 6
	s_mov_b64 s[90:91], s[8:9]
	v_writelane_b32 v55, s1, 7
.LBB39_26:
	s_load_dwordx2 s[0:1], s[4:5], 0x0
	s_load_dwordx2 s[8:9], s[4:5], 0x1c0
	s_mov_b32 s75, 0
                                        ; kill: killed $sgpr4 killed $sgpr5
	s_waitcnt lgkmcnt(0)
	v_writelane_b32 v55, s8, 8
	v_writelane_b32 v55, s9, 9
	s_load_dwordx2 s[8:9], s[4:5], 0x430
	s_waitcnt lgkmcnt(0)
	v_writelane_b32 v55, s8, 10
	v_writelane_b32 v55, s9, 11
	s_load_dwordx2 s[8:9], s[4:5], 0x360
	s_waitcnt lgkmcnt(0)
	v_writelane_b32 v55, s8, 12
	v_writelane_b32 v55, s9, 13
	v_cmp_eq_u32_e64 s[8:9], 0, v0
	s_mov_b64 s[4:5], exec
	v_writelane_b32 v55, s8, 14
	v_writelane_b32 v55, s9, 15
	s_and_b64 s[8:9], s[4:5], s[8:9]
	s_mov_b64 exec, s[8:9]
	s_cbranch_execz .LBB39_28
; %bb.27:
	v_mov_b32_e32 v2, 0
	v_mov_b32_e32 v4, s52
	;; [unrolled: 1-line block ×4, first 2 shown]
	ds_write_b32 v2, v2 offset:5136
	ds_write_b128 v2, v[2:5] offset:5120
.LBB39_28:
	s_or_b64 exec, exec, s[4:5]
	s_mul_i32 s4, s16, s15
	s_mul_hi_u32 s5, s16, s14
	s_add_i32 s4, s5, s4
	s_mul_i32 s5, s17, s14
	s_add_i32 s5, s4, s5
	s_mul_i32 s4, s16, s14
	s_lshl_b64 s[8:9], s[4:5], 1
	s_lshl_b64 s[78:79], s[2:3], 1
	s_add_u32 s14, s0, s8
	v_mbcnt_lo_u32_b32 v1, -1, 0
	s_addc_u32 s15, s1, s9
	v_mbcnt_hi_u32_b32 v42, -1, v1
	s_add_u32 s7, s14, s78
	v_cmp_gt_u32_e32 vcc, 64, v0
	v_cmp_gt_i32_e64 s[2:3], 4, v42
	s_addc_u32 s13, s15, s79
	s_and_b64 s[48:49], vcc, s[2:3]
	v_cmp_gt_u32_e64 s[2:3], 2, v0
	v_mov_b32_e32 v2, 0x600
	v_writelane_b32 v55, s2, 16
	v_mov_b32_e32 v3, 0
	v_writelane_b32 v55, s3, 17
	v_cmp_gt_i64_e64 s[2:3], s[52:53], v[2:3]
	v_writelane_b32 v55, s2, 18
	v_writelane_b32 v55, s3, 19
	v_mad_u64_u32 v[2:3], s[2:3], v0, s58, 0
	v_mov_b32_e32 v13, 0
	v_mov_b32_e32 v4, v3
	;; [unrolled: 1-line block ×3, first 2 shown]
	v_mad_u64_u32 v[4:5], s[2:3], v0, s59, v[4:5]
	v_writelane_b32 v55, s13, 20
	v_writelane_b32 v55, s7, 21
	v_cmp_gt_i64_e64 s[2:3], s[52:53], v[0:1]
	v_writelane_b32 v55, s2, 22
	s_waitcnt lgkmcnt(0)
	s_barrier
	v_writelane_b32 v55, s3, 23
	s_load_dword s2, s[10:11], 0xc
	v_mov_b32_e32 v3, v4
	v_lshlrev_b64 v[4:5], 1, v[2:3]
	v_add_co_u32_e32 v14, vcc, s7, v4
	s_waitcnt lgkmcnt(0)
	s_and_b32 s33, s2, 0xffff
	s_bfe_u32 s3, s2, 0xa0006
	v_cmp_gt_u16_e64 s[16:17], s2, 63
	v_writelane_b32 v55, s16, 24
	s_add_u32 s2, s33, -1
	v_writelane_b32 v55, s17, 25
	s_addc_u32 s7, 0, -1
	v_writelane_b32 v55, s2, 26
	s_add_u32 s2, s2, s52
	s_addc_u32 s51, s7, s53
	s_cmp_lt_u32 s6, s12
	v_writelane_b32 v55, s2, 27
	s_cselect_b32 s2, 12, 18
	s_add_u32 s68, s10, s2
	s_addc_u32 s69, s11, 0
	s_add_i32 s2, s3, -1
	s_bfe_u32 s6, s33, 0x30006
	s_cmp_gt_u32 s2, 6
	v_writelane_b32 v55, s7, 28
	s_cselect_b64 s[10:11], -1, 0
	v_writelane_b32 v55, s10, 29
	s_and_b32 s34, s3, 0x3f8
	v_writelane_b32 v55, s11, 30
	s_cmp_lg_u32 s6, 0
	v_writelane_b32 v55, s6, 31
	s_cselect_b64 s[2:3], -1, 0
	v_writelane_b32 v55, s2, 32
	v_writelane_b32 v55, s3, 33
	s_add_u32 s2, s8, s78
	s_addc_u32 s3, s9, s79
	v_mov_b32_e32 v6, s13
	s_add_u32 s2, s0, s2
	v_addc_co_u32_e32 v15, vcc, v6, v5, vcc
	v_lshrrev_b32_e32 v6, 4, v0
	s_addc_u32 s3, s1, s3
	v_and_b32_e32 v45, 60, v6
	v_lshlrev_b32_e32 v6, 2, v42
	v_writelane_b32 v55, s2, 34
	v_and_b32_e32 v46, 0x100, v6
	v_lshlrev_b64 v[6:7], v42, -1
	v_writelane_b32 v55, s3, 35
	s_lshl_b64 s[2:3], s[58:59], 1
	v_lshlrev_b32_e32 v47, 3, v0
	v_not_b32_e32 v19, v7
	v_not_b32_e32 v18, v6
	v_writelane_b32 v55, s2, 36
	v_or_b32_e32 v9, 6, v47
	v_pk_mov_b32 v[6:7], s[14:15], s[14:15] op_sel:[0,1]
	v_writelane_b32 v55, s3, 37
	v_mad_u64_u32 v[20:21], s[2:3], s58, v9, v[6:7]
	v_mov_b32_e32 v8, v21
	v_mad_u64_u32 v[8:9], s[2:3], s59, v9, v[8:9]
	s_lshl_b64 s[2:3], s[58:59], 3
	v_writelane_b32 v55, s2, 38
	v_or_b32_e32 v9, 4, v47
	v_writelane_b32 v55, s3, 39
	v_mad_u64_u32 v[22:23], s[2:3], s58, v9, v[6:7]
	v_mov_b32_e32 v21, v8
	v_mov_b32_e32 v8, v23
	v_mad_u64_u32 v[8:9], s[2:3], s59, v9, v[8:9]
	v_mov_b32_e32 v23, v8
	v_or_b32_e32 v8, 2, v47
	v_mad_u64_u32 v[24:25], s[2:3], s58, v8, v[6:7]
	v_mov_b32_e32 v6, v25
	v_mad_u64_u32 v[6:7], s[2:3], s59, v8, v[6:7]
	v_lshlrev_b64 v[2:3], 3, v[2:3]
	v_mov_b32_e32 v25, v6
	v_mov_b32_e32 v6, s15
	v_add_co_u32_e32 v26, vcc, s14, v2
	s_add_u32 s0, s0, s78
	v_addc_co_u32_e32 v27, vcc, v6, v3, vcc
	s_addc_u32 s1, s1, s79
	v_writelane_b32 v55, s48, 40
	v_mov_b32_e32 v2, s53
	v_add_co_u32_e32 v48, vcc, s52, v0
	s_add_u32 s0, s0, s8
	v_writelane_b32 v55, s49, 41
	v_addc_co_u32_e32 v49, vcc, 0, v2, vcc
	v_mov_b32_e32 v2, 0xc00
	s_addc_u32 s1, s1, s9
	v_writelane_b32 v55, s68, 42
	v_cmp_eq_u32_e64 s[4:5], 0, v42
	v_lshl_or_b32 v50, v42, 3, v2
	v_mov_b32_e32 v2, s1
	v_add_co_u32_e32 v10, vcc, s0, v4
	s_mul_i32 s0, s59, s33
	s_mul_hi_u32 s1, s58, s33
	v_writelane_b32 v55, s69, 43
	v_lshlrev_b32_e32 v43, 1, v0
	s_add_i32 s1, s1, s0
	s_mul_i32 s0, s58, s33
	v_writelane_b32 v55, s4, 44
	v_add_u32_e32 v44, 0xc00, v43
	v_lshlrev_b32_e32 v16, 2, v0
	v_mov_b32_e32 v17, v13
	s_mov_b32 s84, s75
	v_addc_co_u32_e32 v11, vcc, v2, v5, vcc
	s_lshl_b64 s[76:77], s[0:1], 1
	s_lshl_b32 s94, s33, 1
	s_mov_b32 s67, 14
	s_mov_b64 s[70:71], 0
	s_mov_b32 s95, 0x8000
	v_cvt_f32_ubyte0_e32 v51, 0
	v_mov_b32_e32 v52, 0x5040100
	v_mov_b32_e32 v53, 0
	s_mov_b32 s85, 0
	s_mov_b32 s61, 0
	;; [unrolled: 1-line block ×3, first 2 shown]
	v_writelane_b32 v55, s5, 45
                                        ; implicit-def: $sgpr72_sgpr73
                                        ; implicit-def: $sgpr86_sgpr87
                                        ; implicit-def: $sgpr88_sgpr89
                                        ; implicit-def: $sgpr80_sgpr81
                                        ; implicit-def: $sgpr42_sgpr43
                                        ; implicit-def: $sgpr36_sgpr37
	v_writelane_b32 v55, s34, 46
	s_branch .LBB39_33
.LBB39_29:                              ;   in Loop: Header=BB39_33 Depth=1
	s_xor_b32 s85, s85, 1
	s_add_i32 s14, s67, -2
	s_cmp_eq_u32 s67, 0
	s_mov_b64 s[6:7], 0
	s_cselect_b64 s[10:11], -1, 0
	s_mov_b32 s67, s14
.LBB39_30:                              ;   in Loop: Header=BB39_33 Depth=1
	s_andn2_b64 s[14:15], s[20:21], exec
	s_and_b64 s[6:7], s[6:7], exec
	s_or_b64 s[20:21], s[14:15], s[6:7]
	s_andn2_b64 s[22:23], s[22:23], exec
	s_andn2_b64 s[18:19], s[18:19], exec
	s_orn2_b64 s[14:15], s[10:11], exec
.LBB39_31:                              ;   in Loop: Header=BB39_33 Depth=1
	s_or_b64 exec, exec, s[2:3]
	s_andn2_b64 s[2:3], s[36:37], exec
	s_and_b64 s[6:7], s[20:21], exec
	s_or_b64 s[36:37], s[2:3], s[6:7]
	s_andn2_b64 s[0:1], s[42:43], exec
	s_and_b64 s[2:3], s[22:23], exec
	s_or_b64 s[42:43], s[0:1], s[2:3]
	s_andn2_b64 s[2:3], s[80:81], exec
	s_and_b64 s[6:7], s[18:19], exec
	s_or_b64 s[80:81], s[2:3], s[6:7]
	s_orn2_b64 s[18:19], s[14:15], exec
.LBB39_32:                              ;   in Loop: Header=BB39_33 Depth=1
	s_or_b64 exec, exec, s[12:13]
	s_and_b64 s[2:3], exec, s[18:19]
	s_or_b64 s[70:71], s[2:3], s[70:71]
	s_andn2_b64 s[2:3], s[88:89], exec
	s_and_b64 s[6:7], s[36:37], exec
	s_or_b64 s[88:89], s[2:3], s[6:7]
	s_andn2_b64 s[2:3], s[86:87], exec
	s_and_b64 s[6:7], s[42:43], exec
	;; [unrolled: 3-line block ×3, first 2 shown]
	v_mov_b32_e32 v2, s61
	s_or_b64 s[72:73], s[2:3], s[6:7]
	s_andn2_b64 exec, exec, s[70:71]
	s_cbranch_execz .LBB39_300
.LBB39_33:                              ; =>This Loop Header: Depth=1
                                        ;     Child Loop BB39_38 Depth 2
                                        ;     Child Loop BB39_57 Depth 2
	;; [unrolled: 1-line block ×16, first 2 shown]
	ds_read_b128 v[2:5], v13 offset:5120
	s_waitcnt lgkmcnt(0)
	v_readfirstlane_b32 s83, v3
	v_readfirstlane_b32 s82, v2
	v_cmp_gt_i64_e64 s[2:3], s[82:83], 0
	s_and_b64 vcc, exec, s[2:3]
	s_cbranch_vccnz .LBB39_64
; %bb.34:                               ;   in Loop: Header=BB39_33 Depth=1
	v_readlane_b32 s0, v55, 18
	v_readlane_b32 s1, v55, 19
	s_and_b64 vcc, exec, s[0:1]
	s_cbranch_vccz .LBB39_46
; %bb.35:                               ;   in Loop: Header=BB39_33 Depth=1
	s_mov_b64 s[0:1], 0x601
	v_cmp_gt_i64_e32 vcc, s[0:1], v[4:5]
	s_mov_b64 s[2:3], 0
	s_mov_b64 s[6:7], 0
	s_cbranch_vccz .LBB39_51
; %bb.36:                               ;   in Loop: Header=BB39_33 Depth=1
	global_load_ushort v6, v13, s[68:69]
	global_load_ushort v7, v[14:15], off
	v_readlane_b32 s0, v55, 34
	v_readlane_b32 s1, v55, 35
	v_pk_mov_b32 v[2:3], s[0:1], s[0:1] op_sel:[0,1]
	v_readlane_b32 s0, v55, 36
	v_readlane_b32 s1, v55, 37
	s_mov_b64 s[12:13], 0
	s_waitcnt vmcnt(1)
	v_readfirstlane_b32 s6, v6
	s_and_b32 s6, 0xffff, s6
	v_add_u32_e32 v5, s6, v0
	s_mul_i32 s10, s1, s6
	s_mul_hi_u32 s11, s0, s6
	s_mul_i32 s20, s0, s6
	v_mad_u64_u32 v[2:3], s[6:7], s0, v5, v[2:3]
	v_mov_b32_e32 v4, v3
	v_mad_u64_u32 v[4:5], s[6:7], s1, v5, v[4:5]
	s_add_i32 s21, s11, s10
	v_mov_b32_e32 v3, v4
	v_pk_mov_b32 v[4:5], v[0:1], v[0:1] op_sel:[0,1]
	s_branch .LBB39_38
.LBB39_37:                              ;   in Loop: Header=BB39_38 Depth=2
	s_or_b64 exec, exec, s[6:7]
	v_mov_b32_e32 v7, s21
	v_add_co_u32_e32 v2, vcc, s20, v2
	v_addc_co_u32_e32 v3, vcc, v3, v7, vcc
	v_mov_b32_e32 v7, v8
	s_andn2_b64 exec, exec, s[12:13]
	s_cbranch_execz .LBB39_47
.LBB39_38:                              ;   Parent Loop BB39_33 Depth=1
                                        ; =>  This Inner Loop Header: Depth=2
	v_add_co_u32_sdwa v4, vcc, v4, v6 dst_sel:DWORD dst_unused:UNUSED_PAD src0_sel:DWORD src1_sel:WORD_0
	v_addc_co_u32_e32 v5, vcc, 0, v5, vcc
	v_cmp_gt_i64_e64 s[6:7], s[52:53], v[4:5]
	v_cmp_le_i64_e32 vcc, s[52:53], v[4:5]
	s_waitcnt lgkmcnt(0)
	v_mov_b32_e32 v9, 0
	v_mov_b32_e32 v8, 0
	s_and_saveexec_b64 s[10:11], s[6:7]
	s_cbranch_execz .LBB39_40
; %bb.39:                               ;   in Loop: Header=BB39_38 Depth=2
	global_load_ushort v8, v[2:3], off
.LBB39_40:                              ;   in Loop: Header=BB39_38 Depth=2
	s_or_b64 exec, exec, s[10:11]
	s_waitcnt vmcnt(0)
	v_add_u32_sdwa v12, sext(v7), s95 dst_sel:DWORD dst_unused:UNUSED_PAD src0_sel:WORD_0 src1_sel:DWORD
	v_and_b32_e32 v12, s60, v12
	v_cmp_eq_u32_e64 s[10:11], s61, v12
	s_cmp_lg_u64 s[10:11], 0
	s_cselect_b64 s[6:7], -1, 0
	s_and_b64 s[6:7], s[4:5], s[6:7]
	s_and_saveexec_b64 s[14:15], s[6:7]
	s_cbranch_execz .LBB39_44
; %bb.41:                               ;   in Loop: Header=BB39_38 Depth=2
	s_mov_b64 s[18:19], exec
	v_mbcnt_lo_u32_b32 v9, s18, 0
	v_mbcnt_hi_u32_b32 v9, s19, v9
	s_bcnt1_i32_b64 s22, s[10:11]
	v_cmp_eq_u32_e64 s[6:7], 0, v9
                                        ; implicit-def: $vgpr12
	s_and_saveexec_b64 s[16:17], s[6:7]
	s_cbranch_execz .LBB39_43
; %bb.42:                               ;   in Loop: Header=BB39_38 Depth=2
	s_bcnt1_i32_b64 s6, s[18:19]
	s_mul_i32 s6, s22, s6
	v_mov_b32_e32 v12, s6
	ds_add_rtn_u32 v12, v13, v12 offset:5136
.LBB39_43:                              ;   in Loop: Header=BB39_38 Depth=2
	s_or_b64 exec, exec, s[16:17]
	s_waitcnt lgkmcnt(0)
	v_readfirstlane_b32 s6, v12
	v_mov_b32_e32 v12, s6
	v_mad_u32_u24 v9, s22, v9, v12
.LBB39_44:                              ;   in Loop: Header=BB39_38 Depth=2
	s_or_b64 exec, exec, s[14:15]
	ds_bpermute_b32 v9, v46, v9
	s_and_b64 s[6:7], exec, vcc
	s_or_b64 s[12:13], s[6:7], s[12:13]
	s_and_saveexec_b64 s[6:7], s[10:11]
	s_cbranch_execz .LBB39_37
; %bb.45:                               ;   in Loop: Header=BB39_38 Depth=2
	v_and_b32_e32 v28, s10, v18
	v_and_b32_e32 v12, s11, v19
	v_bcnt_u32_b32 v28, v28, 0
	v_bcnt_u32_b32 v12, v12, v28
	v_lshlrev_b32_e32 v12, 1, v12
	s_waitcnt lgkmcnt(0)
	v_lshl_add_u32 v9, v9, 1, v12
	ds_write_b16 v9, v7
	s_branch .LBB39_37
.LBB39_46:                              ;   in Loop: Header=BB39_33 Depth=1
	s_mov_b64 s[2:3], -1
	s_mov_b64 s[6:7], 0
	s_branch .LBB39_50
.LBB39_47:                              ;   in Loop: Header=BB39_33 Depth=1
	s_or_b64 exec, exec, s[12:13]
	v_readlane_b32 s0, v55, 14
	v_readlane_b32 s1, v55, 15
	s_waitcnt lgkmcnt(0)
	s_barrier
	s_and_saveexec_b64 s[6:7], s[0:1]
	s_cbranch_execz .LBB39_49
; %bb.48:                               ;   in Loop: Header=BB39_33 Depth=1
	ds_read_b32 v2, v13 offset:5136
	s_waitcnt lgkmcnt(0)
	v_ashrrev_i32_e32 v3, 31, v2
	ds_write_b64 v13, v[2:3] offset:5120
.LBB39_49:                              ;   in Loop: Header=BB39_33 Depth=1
	s_or_b64 exec, exec, s[6:7]
	s_waitcnt lgkmcnt(0)
	s_barrier
	s_mov_b64 s[6:7], -1
.LBB39_50:                              ;   in Loop: Header=BB39_33 Depth=1
                                        ; implicit-def: $sgpr82_sgpr83
.LBB39_51:                              ;   in Loop: Header=BB39_33 Depth=1
	s_and_b64 vcc, exec, s[2:3]
	s_cbranch_vccz .LBB39_62
; %bb.52:                               ;   in Loop: Header=BB39_33 Depth=1
	v_readlane_b32 s0, v55, 22
	v_mov_b32_e32 v6, 0
	v_readlane_b32 s1, v55, 23
	s_and_saveexec_b64 s[2:3], s[0:1]
	s_cbranch_execz .LBB39_54
; %bb.53:                               ;   in Loop: Header=BB39_33 Depth=1
	global_load_ushort v6, v[14:15], off
.LBB39_54:                              ;   in Loop: Header=BB39_33 Depth=1
	s_or_b64 exec, exec, s[2:3]
	v_readlane_b32 s0, v55, 22
	v_readlane_b32 s1, v55, 23
	s_and_saveexec_b64 s[2:3], s[0:1]
	s_cbranch_execz .LBB39_59
; %bb.55:                               ;   in Loop: Header=BB39_33 Depth=1
	global_load_ushort v7, v13, s[68:69]
	v_readlane_b32 s0, v55, 34
	v_readlane_b32 s1, v55, 35
	v_pk_mov_b32 v[2:3], s[0:1], s[0:1] op_sel:[0,1]
	v_readlane_b32 s0, v55, 36
	v_readlane_b32 s1, v55, 37
	s_mov_b64 s[10:11], 0
	v_mov_b32_e32 v8, v43
	s_waitcnt vmcnt(0)
	v_readfirstlane_b32 s6, v7
	s_and_b32 s6, 0xffff, s6
	v_add_u32_e32 v5, s6, v0
	s_lshl_b32 s14, s6, 1
	s_mul_i32 s12, s1, s6
	s_mul_hi_u32 s13, s0, s6
	s_mul_i32 s15, s0, s6
	v_mad_u64_u32 v[2:3], s[6:7], s0, v5, v[2:3]
	v_mov_b32_e32 v4, v3
	v_mad_u64_u32 v[4:5], s[6:7], s1, v5, v[4:5]
	s_add_i32 s16, s13, s12
	v_mov_b32_e32 v3, v4
	v_pk_mov_b32 v[4:5], v[0:1], v[0:1] op_sel:[0,1]
	s_branch .LBB39_57
.LBB39_56:                              ;   in Loop: Header=BB39_57 Depth=2
	s_or_b64 exec, exec, s[12:13]
	s_and_b64 s[6:7], exec, vcc
	ds_write_b16 v8, v6
	v_mov_b32_e32 v6, s16
	v_add_co_u32_e32 v2, vcc, s15, v2
	s_or_b64 s[10:11], s[6:7], s[10:11]
	v_add_u32_e32 v8, s14, v8
	v_addc_co_u32_e32 v3, vcc, v3, v6, vcc
	s_waitcnt vmcnt(0)
	v_mov_b32_e32 v6, v9
	s_andn2_b64 exec, exec, s[10:11]
	s_cbranch_execz .LBB39_59
.LBB39_57:                              ;   Parent Loop BB39_33 Depth=1
                                        ; =>  This Inner Loop Header: Depth=2
	v_add_co_u32_sdwa v4, vcc, v4, v7 dst_sel:DWORD dst_unused:UNUSED_PAD src0_sel:DWORD src1_sel:WORD_0
	v_addc_co_u32_e32 v5, vcc, 0, v5, vcc
	v_cmp_gt_i64_e64 s[6:7], s[52:53], v[4:5]
	v_cmp_le_i64_e32 vcc, s[52:53], v[4:5]
	v_mov_b32_e32 v9, 0
	s_and_saveexec_b64 s[12:13], s[6:7]
	s_cbranch_execz .LBB39_56
; %bb.58:                               ;   in Loop: Header=BB39_57 Depth=2
	global_load_ushort v9, v[2:3], off
	s_branch .LBB39_56
.LBB39_59:                              ;   in Loop: Header=BB39_33 Depth=1
	s_or_b64 exec, exec, s[2:3]
	v_readlane_b32 s0, v55, 14
	v_readlane_b32 s1, v55, 15
	s_waitcnt lgkmcnt(0)
	s_barrier
	s_and_saveexec_b64 s[2:3], s[0:1]
	s_cbranch_execz .LBB39_61
; %bb.60:                               ;   in Loop: Header=BB39_33 Depth=1
	v_pk_mov_b32 v[2:3], s[52:53], s[52:53] op_sel:[0,1]
	ds_write_b64 v13, v[2:3] offset:5120
.LBB39_61:                              ;   in Loop: Header=BB39_33 Depth=1
	s_or_b64 exec, exec, s[2:3]
	s_mov_b64 s[6:7], -1
	s_waitcnt lgkmcnt(0)
	s_barrier
                                        ; implicit-def: $sgpr82_sgpr83
.LBB39_62:                              ;   in Loop: Header=BB39_33 Depth=1
	s_and_b64 vcc, exec, s[6:7]
	s_cbranch_vccz .LBB39_64
; %bb.63:                               ;   in Loop: Header=BB39_33 Depth=1
	ds_read_b64 v[2:3], v13 offset:5120
	s_waitcnt lgkmcnt(0)
	v_readfirstlane_b32 s82, v2
.LBB39_64:                              ;   in Loop: Header=BB39_33 Depth=1
	s_cmp_lt_i32 s82, 1
	s_cbranch_scc0 .LBB39_79
; %bb.65:                               ;   in Loop: Header=BB39_33 Depth=1
	global_load_ushort v2, v13, s[68:69]
	s_mov_b32 s2, s75
	s_waitcnt vmcnt(0)
	v_readfirstlane_b32 s3, v2
	s_and_b32 s74, s3, 0xffff
	s_lshl_b32 s83, s74, 2
	s_mov_b32 s3, s53
	s_cmp_lg_u64 s[2:3], 0
	s_cbranch_scc0 .LBB39_99
; %bb.66:                               ;   in Loop: Header=BB39_33 Depth=1
	v_cvt_f32_u32_e32 v2, s83
	s_sub_u32 s2, 0, s83
	s_subb_u32 s3, 0, 0
	v_mac_f32_e32 v2, 0x4f800000, v51
	v_rcp_f32_e32 v2, v2
	v_mul_f32_e32 v2, 0x5f7ffffc, v2
	v_mul_f32_e32 v3, 0x2f800000, v2
	v_trunc_f32_e32 v3, v3
	v_mac_f32_e32 v2, 0xcf800000, v3
	v_cvt_u32_f32_e32 v3, v3
	v_cvt_u32_f32_e32 v2, v2
	v_readfirstlane_b32 s6, v3
	v_readfirstlane_b32 s7, v2
	s_mul_i32 s10, s2, s6
	s_mul_hi_u32 s12, s2, s7
	s_mul_i32 s11, s3, s7
	s_add_i32 s10, s12, s10
	s_mul_i32 s13, s2, s7
	s_add_i32 s10, s10, s11
	s_mul_hi_u32 s12, s7, s13
	s_mul_hi_u32 s11, s7, s10
	s_mul_i32 s7, s7, s10
	s_add_u32 s7, s12, s7
	s_addc_u32 s11, 0, s11
	s_mul_hi_u32 s14, s6, s13
	s_mul_i32 s13, s6, s13
	s_add_u32 s7, s7, s13
	s_mul_hi_u32 s12, s6, s10
	s_addc_u32 s7, s11, s14
	s_addc_u32 s11, s12, 0
	s_mul_i32 s10, s6, s10
	s_add_u32 s7, s7, s10
	s_addc_u32 s10, 0, s11
	v_add_co_u32_e32 v2, vcc, s7, v2
	s_cmp_lg_u64 vcc, 0
	s_addc_u32 s6, s6, s10
	v_readfirstlane_b32 s10, v2
	s_mul_i32 s7, s2, s6
	s_mul_hi_u32 s11, s2, s10
	s_add_i32 s7, s11, s7
	s_mul_i32 s3, s3, s10
	s_add_i32 s7, s7, s3
	s_mul_i32 s2, s2, s10
	s_mul_hi_u32 s11, s6, s2
	s_mul_i32 s12, s6, s2
	s_mul_i32 s14, s10, s7
	s_mul_hi_u32 s2, s10, s2
	s_mul_hi_u32 s13, s10, s7
	s_add_u32 s2, s2, s14
	s_addc_u32 s10, 0, s13
	s_add_u32 s2, s2, s12
	s_mul_hi_u32 s3, s6, s7
	s_addc_u32 s2, s10, s11
	s_addc_u32 s3, s3, 0
	s_mul_i32 s7, s6, s7
	s_add_u32 s2, s2, s7
	s_addc_u32 s3, 0, s3
	v_add_co_u32_e32 v2, vcc, s2, v2
	s_cmp_lg_u64 vcc, 0
	s_addc_u32 s10, s6, s3
	s_ashr_i32 s2, s53, 31
	s_add_u32 s6, s52, s2
	s_mov_b32 s3, s2
	s_addc_u32 s7, s53, s2
	s_xor_b64 s[6:7], s[6:7], s[2:3]
	v_readfirstlane_b32 s12, v2
	s_mul_i32 s11, s6, s10
	s_mul_hi_u32 s13, s6, s12
	s_mul_hi_u32 s3, s6, s10
	s_add_u32 s11, s13, s11
	s_addc_u32 s3, 0, s3
	s_mul_hi_u32 s14, s7, s12
	s_mul_i32 s12, s7, s12
	s_add_u32 s11, s11, s12
	s_mul_hi_u32 s13, s7, s10
	s_addc_u32 s3, s3, s14
	s_addc_u32 s11, s13, 0
	s_mul_i32 s10, s7, s10
	s_add_u32 s3, s3, s10
	s_addc_u32 s10, 0, s11
	s_mul_hi_u32 s11, s83, s3
	s_mul_i32 s3, s83, s3
	s_mul_i32 s10, s83, s10
	v_mov_b32_e32 v2, s3
	s_add_i32 s11, s11, s10
	v_sub_co_u32_e32 v2, vcc, s6, v2
	s_cmp_lg_u64 vcc, 0
	s_subb_u32 s3, s7, s11
	v_subrev_co_u32_e32 v3, vcc, s83, v2
	s_cmp_lg_u64 vcc, 0
	s_subb_u32 s6, s3, 0
	v_subrev_co_u32_e32 v4, vcc, s83, v3
	s_cmp_lg_u64 vcc, 0
	s_subb_u32 s7, s6, 0
	v_cmp_le_u32_e32 vcc, s83, v3
	s_cmp_eq_u32 s6, 0
	v_cndmask_b32_e64 v5, 0, -1, vcc
	s_cselect_b64 vcc, -1, 0
	v_cndmask_b32_e32 v5, -1, v5, vcc
	v_mov_b32_e32 v6, s6
	v_mov_b32_e32 v7, s7
	v_cmp_ne_u32_e32 vcc, 0, v5
	v_cndmask_b32_e32 v5, v6, v7, vcc
	v_cndmask_b32_e32 v3, v3, v4, vcc
	v_cmp_le_u32_e32 vcc, s83, v2
	s_cmp_eq_u32 s3, 0
	v_cndmask_b32_e64 v4, 0, -1, vcc
	s_cselect_b64 vcc, -1, 0
	v_cndmask_b32_e32 v4, -1, v4, vcc
	v_cmp_ne_u32_e32 vcc, 0, v4
	v_mov_b32_e32 v6, s3
	v_cndmask_b32_e32 v2, v2, v3, vcc
	v_cndmask_b32_e32 v4, v6, v5, vcc
	v_xor_b32_e32 v2, s2, v2
	v_xor_b32_e32 v3, s2, v4
	v_mov_b32_e32 v4, s2
	v_subrev_co_u32_e32 v28, vcc, s2, v2
	v_subb_co_u32_e32 v29, vcc, v3, v4, vcc
	s_cbranch_execnz .LBB39_68
.LBB39_67:                              ;   in Loop: Header=BB39_33 Depth=1
	v_cvt_f32_u32_e32 v2, s83
	s_sub_i32 s2, 0, s83
	v_rcp_iflag_f32_e32 v2, v2
	v_mul_f32_e32 v2, 0x4f7ffffe, v2
	v_cvt_u32_f32_e32 v2, v2
	v_mul_lo_u32 v3, s2, v2
	v_mul_hi_u32 v3, v2, v3
	v_add_u32_e32 v2, v2, v3
	v_mul_hi_u32 v2, s52, v2
	v_mul_lo_u32 v2, v2, s83
	v_sub_u32_e32 v2, s52, v2
	v_subrev_u32_e32 v3, s83, v2
	v_cmp_le_u32_e32 vcc, s83, v2
	v_cndmask_b32_e32 v2, v2, v3, vcc
	v_subrev_u32_e32 v3, s83, v2
	v_cmp_le_u32_e32 vcc, s83, v2
	v_cndmask_b32_e32 v12, v2, v3, vcc
	v_pk_mov_b32 v[28:29], v[12:13], v[12:13] op_sel:[0,1]
.LBB39_68:                              ;   in Loop: Header=BB39_33 Depth=1
	v_mov_b32_e32 v2, s53
	v_sub_co_u32_e32 v30, vcc, s52, v28
	v_subb_co_u32_e32 v31, vcc, v2, v29, vcc
	v_pk_mov_b32 v[2:3], 0, 0
	v_cmp_gt_i64_e32 vcc, v[30:31], v[16:17]
	s_mov_b64 s[92:93], 0
	v_pk_mov_b32 v[4:5], v[2:3], v[2:3] op_sel:[0,1]
	v_pk_mov_b32 v[6:7], v[2:3], v[2:3] op_sel:[0,1]
	;; [unrolled: 1-line block ×3, first 2 shown]
	s_and_saveexec_b64 s[2:3], vcc
	s_cbranch_execz .LBB39_72
; %bb.69:                               ;   in Loop: Header=BB39_33 Depth=1
	v_readlane_b32 s10, v55, 38
	v_readlane_b32 s11, v55, 39
	s_mul_i32 s6, s11, s74
	s_mul_hi_u32 s7, s10, s74
	s_mov_b64 s[62:63], s[36:37]
	s_mov_b64 s[56:57], s[42:43]
	;; [unrolled: 1-line block ×5, first 2 shown]
	s_mov_b32 s9, s51
	s_mov_b64 s[0:1], s[90:91]
	s_mov_b32 s8, s67
	s_and_b32 s66, s67, 0xfe
	s_add_i32 s67, s7, s6
	s_mul_i32 s90, s10, s74
	v_pk_mov_b32 v[32:33], v[26:27], v[26:27] op_sel:[0,1]
	v_pk_mov_b32 v[34:35], v[24:25], v[24:25] op_sel:[0,1]
	;; [unrolled: 1-line block ×4, first 2 shown]
	s_mov_b64 s[26:27], 0
	s_mov_b64 s[68:69], 0
	;; [unrolled: 1-line block ×4, first 2 shown]
	v_pk_mov_b32 v[40:41], v[16:17], v[16:17] op_sel:[0,1]
.LBB39_70:                              ;   Parent Loop BB39_33 Depth=1
                                        ; =>  This Inner Loop Header: Depth=2
	v_mov_b32_e32 v7, s79
	v_add_co_u32_e32 v2, vcc, s78, v34
	v_add_co_u32_e64 v8, s[18:19], s78, v32
	v_add_co_u32_e64 v4, s[10:11], s78, v36
	;; [unrolled: 1-line block ×3, first 2 shown]
	v_addc_co_u32_e64 v9, s[18:19], v33, v7, s[18:19]
	v_addc_co_u32_e32 v3, vcc, v35, v7, vcc
	v_addc_co_u32_e64 v5, vcc, v37, v7, s[10:11]
	v_addc_co_u32_e64 v7, vcc, v39, v7, s[12:13]
	global_load_sshort v8, v[8:9], off
	s_nop 0
	global_load_sshort v2, v[2:3], off
	s_nop 0
	;; [unrolled: 2-line block ×3, first 2 shown]
	global_load_sshort v4, v[6:7], off
	v_mov_b32_e32 v12, s67
	v_add_co_u32_e64 v38, s[6:7], s90, v38
	v_add_co_u32_e64 v34, s[16:17], s90, v34
	;; [unrolled: 1-line block ×4, first 2 shown]
	v_addc_co_u32_e64 v39, vcc, v39, v12, s[6:7]
	v_addc_co_u32_e64 v35, vcc, v35, v12, s[16:17]
	v_addc_co_u32_e64 v41, s[22:23], 0, v41, s[22:23]
	v_addc_co_u32_e64 v37, vcc, v37, v12, s[14:15]
	v_add_co_u32_e64 v32, s[20:21], s90, v32
	v_addc_co_u32_e64 v33, vcc, v33, v12, s[20:21]
	v_cmp_ge_i64_e32 vcc, v[40:41], v[30:31]
	s_waitcnt vmcnt(3)
	v_add_u32_e32 v5, 0x8000, v8
	s_waitcnt vmcnt(2)
	v_add_u32_e32 v2, 0x8000, v2
	v_and_b32_e32 v6, s60, v5
	v_bfe_u32 v5, v5, s66, 2
	s_waitcnt vmcnt(1)
	v_add_u32_e32 v3, 0x8000, v3
	v_and_b32_e32 v7, s60, v2
	v_bfe_u32 v2, v2, s66, 2
	v_cmp_eq_u32_e64 s[16:17], s61, v6
	v_cmp_eq_u32_e64 s[6:7], 0, v5
	s_waitcnt vmcnt(0)
	v_add_u32_e32 v4, 0x8000, v4
	v_and_b32_e32 v8, s60, v3
	v_bfe_u32 v3, v3, s66, 2
	v_cmp_eq_u32_e64 s[14:15], s61, v7
	v_cmp_eq_u32_e64 s[28:29], 0, v2
	s_and_b64 s[6:7], s[16:17], s[6:7]
	v_and_b32_e32 v9, s60, v4
	v_bfe_u32 v4, v4, s66, 2
	v_cmp_eq_u32_e64 s[12:13], s61, v8
	v_cmp_eq_u32_e64 s[30:31], 0, v3
	;; [unrolled: 1-line block ×5, first 2 shown]
	v_cndmask_b32_e64 v2, 0, 1, s[6:7]
	s_and_b64 s[6:7], s[14:15], s[28:29]
	v_cmp_eq_u32_e64 s[10:11], s61, v9
	v_cmp_eq_u32_e64 s[34:35], 0, v4
	v_cmp_eq_u32_e64 s[40:41], 1, v3
	v_cmp_eq_u32_e64 s[48:49], 2, v3
	v_cmp_eq_u32_e64 s[20:21], 3, v3
	v_cndmask_b32_e64 v3, 0, 1, s[6:7]
	s_and_b64 s[6:7], s[12:13], s[30:31]
	v_cmp_eq_u32_e64 s[42:43], 1, v4
	v_cmp_eq_u32_e64 s[50:51], 2, v4
	;; [unrolled: 1-line block ×3, first 2 shown]
	v_cndmask_b32_e64 v4, 0, 1, s[6:7]
	s_and_b64 s[6:7], s[10:11], s[34:35]
	v_cmp_eq_u32_e64 s[36:37], 1, v5
	v_cmp_eq_u32_e64 s[44:45], 2, v5
	;; [unrolled: 1-line block ×3, first 2 shown]
	v_cndmask_b32_e64 v5, 0, 1, s[6:7]
	v_cmp_ne_u32_e64 s[6:7], 0, v2
	v_cmp_ne_u32_e64 s[28:29], 0, v3
	v_cmp_ne_u32_e64 s[30:31], 0, v4
	v_cmp_ne_u32_e64 s[34:35], 0, v5
	s_bcnt1_i32_b64 s6, s[6:7]
	s_bcnt1_i32_b64 s7, s[28:29]
	s_bcnt1_i32_b64 s28, s[30:31]
	s_bcnt1_i32_b64 s29, s[34:35]
	s_add_u32 s6, s6, s86
	s_addc_u32 s30, 0, s87
	s_add_u32 s6, s6, s7
	s_addc_u32 s7, s30, 0
	s_add_u32 s6, s6, s28
	s_addc_u32 s7, s7, 0
	s_add_u32 s86, s6, s29
	s_addc_u32 s87, s7, 0
	s_and_b64 s[6:7], s[16:17], s[36:37]
	v_cndmask_b32_e64 v4, 0, 1, s[6:7]
	s_and_b64 s[6:7], s[14:15], s[38:39]
	v_cndmask_b32_e64 v5, 0, 1, s[6:7]
	s_and_b64 s[6:7], s[12:13], s[40:41]
	v_cndmask_b32_e64 v6, 0, 1, s[6:7]
	s_and_b64 s[6:7], s[10:11], s[42:43]
	v_cndmask_b32_e64 v7, 0, 1, s[6:7]
	v_cmp_ne_u32_e64 s[6:7], 0, v4
	v_cmp_ne_u32_e64 s[28:29], 0, v5
	v_cmp_ne_u32_e64 s[30:31], 0, v6
	v_cmp_ne_u32_e64 s[34:35], 0, v7
	s_bcnt1_i32_b64 s6, s[6:7]
	s_bcnt1_i32_b64 s7, s[28:29]
	s_bcnt1_i32_b64 s28, s[30:31]
	s_bcnt1_i32_b64 s29, s[34:35]
	s_add_u32 s6, s6, s80
	s_addc_u32 s30, 0, s81
	s_add_u32 s6, s6, s7
	s_addc_u32 s7, s30, 0
	s_add_u32 s6, s6, s28
	s_addc_u32 s7, s7, 0
	s_add_u32 s80, s6, s29
	s_addc_u32 s81, s7, 0
	s_and_b64 s[6:7], s[16:17], s[44:45]
	v_cndmask_b32_e64 v6, 0, 1, s[6:7]
	s_and_b64 s[6:7], s[14:15], s[46:47]
	v_cndmask_b32_e64 v7, 0, 1, s[6:7]
	s_and_b64 s[6:7], s[12:13], s[48:49]
	v_cndmask_b32_e64 v8, 0, 1, s[6:7]
	s_and_b64 s[6:7], s[10:11], s[50:51]
	;; [unrolled: 24-line block ×3, first 2 shown]
	v_cndmask_b32_e64 v54, 0, 1, s[6:7]
	v_cmp_ne_u32_e64 s[6:7], 0, v8
	v_cmp_ne_u32_e64 s[10:11], 0, v9
	;; [unrolled: 1-line block ×4, first 2 shown]
	s_bcnt1_i32_b64 s6, s[6:7]
	s_bcnt1_i32_b64 s7, s[10:11]
	;; [unrolled: 1-line block ×4, first 2 shown]
	s_add_u32 s6, s6, s26
	s_addc_u32 s12, 0, s27
	s_add_u32 s6, s6, s7
	s_addc_u32 s7, s12, 0
	;; [unrolled: 2-line block ×4, first 2 shown]
	v_pk_mov_b32 v[2:3], s[86:87], s[86:87] op_sel:[0,1]
	v_pk_mov_b32 v[4:5], s[80:81], s[80:81] op_sel:[0,1]
	;; [unrolled: 1-line block ×3, first 2 shown]
	s_or_b64 s[92:93], vcc, s[92:93]
	v_pk_mov_b32 v[8:9], s[26:27], s[26:27] op_sel:[0,1]
	s_andn2_b64 exec, exec, s[92:93]
	s_cbranch_execnz .LBB39_70
; %bb.71:                               ;   in Loop: Header=BB39_33 Depth=1
	s_or_b64 exec, exec, s[92:93]
	v_readlane_b32 s48, v55, 40
	v_readlane_b32 s68, v55, 42
	s_mov_b64 s[86:87], s[4:5]
	v_readlane_b32 s4, v55, 44
	s_mov_b64 s[90:91], s[0:1]
	v_readlane_b32 s49, v55, 41
	s_mov_b32 s51, s9
	v_readlane_b32 s69, v55, 43
	s_mov_b32 s67, s8
	s_mov_b64 s[80:81], s[72:73]
	s_mov_b64 s[72:73], s[64:65]
	v_readlane_b32 s5, v55, 45
	s_mov_b64 s[42:43], s[56:57]
	s_mov_b64 s[36:37], s[62:63]
	v_readlane_b32 s34, v55, 46
.LBB39_72:                              ;   in Loop: Header=BB39_33 Depth=1
	s_or_b64 exec, exec, s[2:3]
	v_add_co_u32_e32 v30, vcc, v30, v0
	v_addc_co_u32_e32 v31, vcc, 0, v31, vcc
	v_cmp_gt_i64_e32 vcc, s[52:53], v[30:31]
	v_mov_b32_e32 v12, 0
	s_and_saveexec_b64 s[2:3], vcc
	s_cbranch_execz .LBB39_74
; %bb.73:                               ;   in Loop: Header=BB39_33 Depth=1
	v_mul_lo_u32 v12, v31, s58
	v_mul_lo_u32 v34, v30, s59
	v_mad_u64_u32 v[32:33], s[6:7], v30, s58, 0
	v_add3_u32 v33, v33, v34, v12
	v_readlane_b32 s0, v55, 20
	v_lshlrev_b64 v[32:33], 1, v[32:33]
	v_mov_b32_e32 v12, s0
	v_readlane_b32 s0, v55, 21
	v_add_co_u32_e64 v32, s[6:7], s0, v32
	v_addc_co_u32_e64 v33, s[6:7], v12, v33, s[6:7]
	global_load_ushort v12, v[32:33], off
.LBB39_74:                              ;   in Loop: Header=BB39_33 Depth=1
	s_or_b64 exec, exec, s[2:3]
	s_and_saveexec_b64 s[2:3], vcc
	s_cbranch_execz .LBB39_81
; %bb.75:                               ;   in Loop: Header=BB39_33 Depth=1
	v_mov_b32_e32 v32, s75
	v_add_co_u32_e32 v33, vcc, s74, v48
	v_addc_co_u32_e32 v32, vcc, v49, v32, vcc
	v_sub_co_u32_e32 v33, vcc, v33, v28
	v_readlane_b32 s0, v55, 34
	v_subb_co_u32_e32 v28, vcc, v32, v29, vcc
	v_readlane_b32 s8, v55, 36
	v_readlane_b32 s1, v55, 35
	v_mul_lo_u32 v32, s8, v28
	v_pk_mov_b32 v[28:29], s[0:1], s[0:1] op_sel:[0,1]
	v_readlane_b32 s9, v55, 37
	v_mad_u64_u32 v[28:29], s[6:7], s8, v33, v[28:29]
	v_mul_lo_u32 v34, s9, v33
	s_mul_i32 s6, s9, s74
	s_mul_hi_u32 s7, s8, s74
	s_and_b32 s14, s67, 0xfe
	v_add3_u32 v29, v34, v29, v32
	s_add_i32 s15, s7, s6
	s_mul_i32 s16, s8, s74
	s_mov_b64 s[10:11], 0
	s_branch .LBB39_77
.LBB39_76:                              ;   in Loop: Header=BB39_77 Depth=2
	s_or_b64 exec, exec, s[12:13]
	s_waitcnt vmcnt(0)
	v_add_u32_sdwa v12, sext(v12), s95 dst_sel:DWORD dst_unused:UNUSED_PAD src0_sel:WORD_0 src1_sel:DWORD
	s_and_b64 s[6:7], exec, vcc
	v_and_b32_e32 v33, s60, v12
	v_bfe_u32 v12, v12, s14, 2
	s_or_b64 s[10:11], s[6:7], s[10:11]
	v_cmp_eq_u32_e32 vcc, s61, v33
	v_cmp_eq_u32_e64 s[6:7], 0, v12
	s_and_b64 s[6:7], vcc, s[6:7]
	v_cndmask_b32_e64 v33, 0, 1, s[6:7]
	v_cmp_ne_u32_e64 s[6:7], 0, v33
	s_bcnt1_i32_b64 s6, s[6:7]
	v_add_co_u32_e64 v2, s[6:7], s6, v2
	v_addc_co_u32_e64 v3, s[6:7], 0, v3, s[6:7]
	v_cmp_eq_u32_e64 s[6:7], 1, v12
	s_and_b64 s[6:7], vcc, s[6:7]
	v_cndmask_b32_e64 v33, 0, 1, s[6:7]
	v_cmp_ne_u32_e64 s[6:7], 0, v33
	s_bcnt1_i32_b64 s6, s[6:7]
	v_add_co_u32_e64 v4, s[6:7], s6, v4
	v_addc_co_u32_e64 v5, s[6:7], 0, v5, s[6:7]
	;; [unrolled: 7-line block ×3, first 2 shown]
	v_cmp_eq_u32_e64 s[6:7], 3, v12
	s_and_b64 s[6:7], vcc, s[6:7]
	v_cndmask_b32_e64 v12, 0, 1, s[6:7]
	v_cmp_ne_u32_e32 vcc, 0, v12
	s_bcnt1_i32_b64 s6, vcc
	v_add_co_u32_e32 v8, vcc, s6, v8
	v_addc_co_u32_e32 v9, vcc, 0, v9, vcc
	v_mov_b32_e32 v12, s15
	v_add_co_u32_e32 v28, vcc, s16, v28
	v_addc_co_u32_e32 v29, vcc, v29, v12, vcc
	v_mov_b32_e32 v12, v32
	s_andn2_b64 exec, exec, s[10:11]
	s_cbranch_execz .LBB39_80
.LBB39_77:                              ;   Parent Loop BB39_33 Depth=1
                                        ; =>  This Inner Loop Header: Depth=2
	v_mov_b32_e32 v32, s75
	v_add_co_u32_e32 v30, vcc, s74, v30
	v_addc_co_u32_e32 v31, vcc, v31, v32, vcc
	v_cmp_gt_i64_e64 s[6:7], s[52:53], v[30:31]
	v_cmp_le_i64_e32 vcc, s[52:53], v[30:31]
	v_mov_b32_e32 v32, 0
	s_and_saveexec_b64 s[12:13], s[6:7]
	s_cbranch_execz .LBB39_76
; %bb.78:                               ;   in Loop: Header=BB39_77 Depth=2
	global_load_ushort v32, v[28:29], off
	s_branch .LBB39_76
.LBB39_79:                              ;   in Loop: Header=BB39_33 Depth=1
                                        ; implicit-def: $vgpr8_vgpr9
                                        ; implicit-def: $vgpr4_vgpr5
	s_cbranch_execnz .LBB39_82
	s_branch .LBB39_91
.LBB39_80:                              ;   in Loop: Header=BB39_33 Depth=1
	s_or_b64 exec, exec, s[10:11]
.LBB39_81:                              ;   in Loop: Header=BB39_33 Depth=1
	s_or_b64 exec, exec, s[2:3]
	s_branch .LBB39_91
.LBB39_82:                              ;   in Loop: Header=BB39_33 Depth=1
	global_load_ushort v8, v13, s[68:69]
	s_waitcnt vmcnt(0)
	v_readfirstlane_b32 s2, v8
	s_and_b32 s2, 0xffff, s2
	s_lshl_b32 s66, s2, 2
	v_cvt_f32_u32_e32 v2, s66
	s_sub_i32 s6, 0, s66
	s_mov_b64 s[2:3], 0
	v_and_b32_e32 v30, 0xffff, v8
	v_rcp_iflag_f32_e32 v6, v2
	v_pk_mov_b32 v[2:3], 0, 0
	v_pk_mov_b32 v[4:5], v[2:3], v[2:3] op_sel:[0,1]
	v_mul_f32_e32 v6, 0x4f7ffffe, v6
	v_cvt_u32_f32_e32 v9, v6
	v_pk_mov_b32 v[6:7], v[2:3], v[2:3] op_sel:[0,1]
	v_readfirstlane_b32 s7, v9
	s_mul_i32 s6, s6, s7
	s_mul_hi_u32 s6, s7, s6
	s_add_i32 s7, s7, s6
	s_mul_hi_u32 s6, s82, s7
	s_mul_i32 s6, s6, s66
	s_sub_i32 s6, s82, s6
	s_sub_i32 s7, s6, s66
	s_cmp_ge_u32 s6, s66
	s_cselect_b32 s6, s7, s6
	s_sub_i32 s7, s6, s66
	s_cmp_ge_u32 s6, s66
	s_cselect_b32 s6, s7, s6
	s_sub_i32 s74, s82, s6
	v_cmp_gt_u32_e32 vcc, s74, v16
	v_pk_mov_b32 v[8:9], v[2:3], v[2:3] op_sel:[0,1]
	s_and_saveexec_b64 s[26:27], vcc
	s_cbranch_execz .LBB39_86
; %bb.83:                               ;   in Loop: Header=BB39_33 Depth=1
	s_mov_b64 s[62:63], s[36:37]
	s_mov_b64 s[56:57], s[42:43]
	;; [unrolled: 1-line block ×4, first 2 shown]
	s_mov_b32 s1, s51
	s_mov_b32 s0, s67
	s_and_b32 s67, s67, 0xfe
	v_lshlrev_b32_e32 v12, 3, v30
	v_mov_b32_e32 v31, v47
	s_mov_b64 s[68:69], 0
	s_mov_b64 s[80:81], 0
	;; [unrolled: 1-line block ×4, first 2 shown]
	v_pk_mov_b32 v[28:29], v[16:17], v[16:17] op_sel:[0,1]
.LBB39_84:                              ;   Parent Loop BB39_33 Depth=1
                                        ; =>  This Inner Loop Header: Depth=2
	ds_read_b64 v[2:3], v31
	v_add_co_u32_e32 v28, vcc, s66, v28
	v_addc_co_u32_e32 v29, vcc, 0, v29, vcc
	s_waitcnt lgkmcnt(0)
	v_add_u32_sdwa v4, sext(v2), s95 dst_sel:DWORD dst_unused:UNUSED_PAD src0_sel:WORD_0 src1_sel:DWORD
	v_add_u32_sdwa v2, sext(v2), s95 dst_sel:DWORD dst_unused:UNUSED_PAD src0_sel:WORD_1 src1_sel:DWORD
	v_and_b32_e32 v6, s60, v4
	v_bfe_u32 v4, v4, s67, 2
	v_add_u32_sdwa v5, sext(v3), s95 dst_sel:DWORD dst_unused:UNUSED_PAD src0_sel:WORD_0 src1_sel:DWORD
	v_and_b32_e32 v7, s60, v2
	v_bfe_u32 v2, v2, s67, 2
	v_cmp_eq_u32_e64 s[16:17], s61, v6
	v_cmp_eq_u32_e64 s[6:7], 0, v4
	v_add_u32_sdwa v3, sext(v3), s95 dst_sel:DWORD dst_unused:UNUSED_PAD src0_sel:WORD_1 src1_sel:DWORD
	v_and_b32_e32 v8, s60, v5
	v_bfe_u32 v5, v5, s67, 2
	v_cmp_eq_u32_e64 s[14:15], s61, v7
	v_cmp_eq_u32_e64 s[28:29], 0, v2
	s_and_b64 s[6:7], s[16:17], s[6:7]
	v_and_b32_e32 v9, s60, v3
	v_bfe_u32 v3, v3, s67, 2
	v_cmp_eq_u32_e64 s[12:13], s61, v8
	v_cmp_eq_u32_e64 s[30:31], 0, v5
	;; [unrolled: 1-line block ×5, first 2 shown]
	v_cndmask_b32_e64 v2, 0, 1, s[6:7]
	s_and_b64 s[6:7], s[14:15], s[28:29]
	v_cmp_eq_u32_e64 s[10:11], s61, v9
	v_cmp_eq_u32_e64 s[34:35], 0, v3
	;; [unrolled: 1-line block ×5, first 2 shown]
	v_cndmask_b32_e64 v3, 0, 1, s[6:7]
	s_and_b64 s[6:7], s[12:13], s[30:31]
	v_cmp_eq_u32_e64 s[36:37], 1, v4
	v_cmp_eq_u32_e64 s[44:45], 2, v4
	;; [unrolled: 1-line block ×3, first 2 shown]
	v_cndmask_b32_e64 v4, 0, 1, s[6:7]
	s_and_b64 s[6:7], s[10:11], s[34:35]
	v_cmp_eq_u32_e64 s[40:41], 1, v5
	v_cmp_eq_u32_e64 s[48:49], 2, v5
	;; [unrolled: 1-line block ×3, first 2 shown]
	v_cndmask_b32_e64 v5, 0, 1, s[6:7]
	v_cmp_ne_u32_e64 s[6:7], 0, v2
	v_cmp_ne_u32_e64 s[28:29], 0, v3
	v_cmp_ne_u32_e64 s[30:31], 0, v4
	v_cmp_ne_u32_e64 s[34:35], 0, v5
	s_bcnt1_i32_b64 s6, s[6:7]
	s_bcnt1_i32_b64 s7, s[28:29]
	s_bcnt1_i32_b64 s28, s[30:31]
	s_bcnt1_i32_b64 s29, s[34:35]
	s_add_u32 s6, s6, s92
	s_addc_u32 s30, 0, s93
	s_add_u32 s6, s6, s7
	s_addc_u32 s7, s30, 0
	s_add_u32 s6, s6, s28
	s_addc_u32 s7, s7, 0
	s_add_u32 s92, s6, s29
	s_addc_u32 s93, s7, 0
	s_and_b64 s[6:7], s[16:17], s[36:37]
	v_cndmask_b32_e64 v4, 0, 1, s[6:7]
	s_and_b64 s[6:7], s[14:15], s[38:39]
	v_cndmask_b32_e64 v5, 0, 1, s[6:7]
	s_and_b64 s[6:7], s[12:13], s[40:41]
	v_cndmask_b32_e64 v6, 0, 1, s[6:7]
	s_and_b64 s[6:7], s[10:11], s[42:43]
	v_cndmask_b32_e64 v7, 0, 1, s[6:7]
	v_cmp_ne_u32_e64 s[6:7], 0, v4
	v_cmp_ne_u32_e64 s[28:29], 0, v5
	v_cmp_ne_u32_e64 s[30:31], 0, v6
	v_cmp_ne_u32_e64 s[34:35], 0, v7
	s_bcnt1_i32_b64 s6, s[6:7]
	s_bcnt1_i32_b64 s7, s[28:29]
	s_bcnt1_i32_b64 s28, s[30:31]
	s_bcnt1_i32_b64 s29, s[34:35]
	s_add_u32 s6, s6, s86
	s_addc_u32 s30, 0, s87
	s_add_u32 s6, s6, s7
	s_addc_u32 s7, s30, 0
	s_add_u32 s6, s6, s28
	s_addc_u32 s7, s7, 0
	s_add_u32 s86, s6, s29
	s_addc_u32 s87, s7, 0
	s_and_b64 s[6:7], s[16:17], s[44:45]
	v_cndmask_b32_e64 v6, 0, 1, s[6:7]
	s_and_b64 s[6:7], s[14:15], s[46:47]
	v_cndmask_b32_e64 v7, 0, 1, s[6:7]
	s_and_b64 s[6:7], s[12:13], s[48:49]
	v_cndmask_b32_e64 v8, 0, 1, s[6:7]
	s_and_b64 s[6:7], s[10:11], s[50:51]
	;; [unrolled: 24-line block ×3, first 2 shown]
	v_cndmask_b32_e64 v33, 0, 1, s[6:7]
	v_cmp_ne_u32_e64 s[6:7], 0, v8
	v_cmp_ne_u32_e64 s[10:11], 0, v9
	;; [unrolled: 1-line block ×4, first 2 shown]
	s_bcnt1_i32_b64 s6, s[6:7]
	s_bcnt1_i32_b64 s7, s[10:11]
	;; [unrolled: 1-line block ×4, first 2 shown]
	s_add_u32 s6, s6, s68
	s_addc_u32 s12, 0, s69
	s_add_u32 s6, s6, s7
	s_addc_u32 s7, s12, 0
	;; [unrolled: 2-line block ×3, first 2 shown]
	s_add_u32 s68, s6, s11
	v_cmp_le_u64_e32 vcc, s[74:75], v[28:29]
	s_addc_u32 s69, s7, 0
	v_add_u32_e32 v31, v31, v12
	v_pk_mov_b32 v[2:3], s[92:93], s[92:93] op_sel:[0,1]
	v_pk_mov_b32 v[4:5], s[86:87], s[86:87] op_sel:[0,1]
	v_pk_mov_b32 v[6:7], s[80:81], s[80:81] op_sel:[0,1]
	s_or_b64 s[2:3], vcc, s[2:3]
	v_pk_mov_b32 v[8:9], s[68:69], s[68:69] op_sel:[0,1]
	s_andn2_b64 exec, exec, s[2:3]
	s_cbranch_execnz .LBB39_84
; %bb.85:                               ;   in Loop: Header=BB39_33 Depth=1
	s_or_b64 exec, exec, s[2:3]
	v_readlane_b32 s48, v55, 40
	v_readlane_b32 s68, v55, 42
	s_mov_b64 s[86:87], s[4:5]
	v_readlane_b32 s4, v55, 44
	v_readlane_b32 s49, v55, 41
	s_mov_b32 s51, s1
	v_readlane_b32 s69, v55, 43
	s_mov_b32 s67, s0
	s_mov_b64 s[80:81], s[8:9]
	v_readlane_b32 s5, v55, 45
	s_mov_b64 s[42:43], s[56:57]
	s_mov_b64 s[36:37], s[62:63]
	v_readlane_b32 s34, v55, 46
.LBB39_86:                              ;   in Loop: Header=BB39_33 Depth=1
	s_or_b64 exec, exec, s[26:27]
	v_add_u32_e32 v12, s74, v0
	v_cmp_gt_u32_e32 vcc, s82, v12
	s_and_saveexec_b64 s[2:3], vcc
	s_cbranch_execz .LBB39_90
; %bb.87:                               ;   in Loop: Header=BB39_33 Depth=1
	s_and_b32 s74, s82, 0x7fffffff
	s_and_b32 s20, s67, 0xfe
	v_lshlrev_b32_e32 v31, 1, v12
	v_lshlrev_b32_e32 v32, 1, v30
	s_mov_b64 s[18:19], 0
	v_pk_mov_b32 v[28:29], v[12:13], v[12:13] op_sel:[0,1]
.LBB39_88:                              ;   Parent Loop BB39_33 Depth=1
                                        ; =>  This Inner Loop Header: Depth=2
	ds_read_i16 v12, v31
	v_add_co_u32_e32 v28, vcc, v28, v30
	v_addc_co_u32_e32 v29, vcc, 0, v29, vcc
	s_waitcnt lgkmcnt(0)
	v_add_u32_e32 v12, 0x8000, v12
	v_and_b32_e32 v33, s60, v12
	v_bfe_u32 v12, v12, s20, 2
	v_cmp_eq_u32_e64 s[6:7], s61, v33
	v_cmp_eq_u32_e64 s[10:11], 0, v12
	;; [unrolled: 1-line block ×3, first 2 shown]
	s_and_b64 s[10:11], s[6:7], s[10:11]
	v_cmp_eq_u32_e64 s[14:15], 2, v12
	v_cmp_eq_u32_e64 s[16:17], 3, v12
	v_cndmask_b32_e64 v12, 0, 1, s[10:11]
	s_and_b64 s[10:11], s[6:7], s[12:13]
	v_cndmask_b32_e64 v33, 0, 1, s[10:11]
	s_and_b64 s[10:11], s[6:7], s[14:15]
	s_and_b64 s[6:7], s[6:7], s[16:17]
	v_cndmask_b32_e64 v34, 0, 1, s[10:11]
	v_cndmask_b32_e64 v35, 0, 1, s[6:7]
	v_cmp_ne_u32_e64 s[6:7], 0, v12
	v_cmp_ne_u32_e64 s[10:11], 0, v33
	;; [unrolled: 1-line block ×4, first 2 shown]
	v_cmp_le_u64_e32 vcc, s[74:75], v[28:29]
	s_bcnt1_i32_b64 s6, s[6:7]
	s_bcnt1_i32_b64 s7, s[10:11]
	;; [unrolled: 1-line block ×4, first 2 shown]
	s_or_b64 s[18:19], vcc, s[18:19]
	v_add_co_u32_e32 v2, vcc, s6, v2
	v_addc_co_u32_e32 v3, vcc, 0, v3, vcc
	v_add_co_u32_e32 v4, vcc, s7, v4
	v_addc_co_u32_e32 v5, vcc, 0, v5, vcc
	;; [unrolled: 2-line block ×3, first 2 shown]
	v_add_co_u32_e32 v8, vcc, s11, v8
	v_add_u32_e32 v31, v31, v32
	v_addc_co_u32_e32 v9, vcc, 0, v9, vcc
	s_andn2_b64 exec, exec, s[18:19]
	s_cbranch_execnz .LBB39_88
; %bb.89:                               ;   in Loop: Header=BB39_33 Depth=1
	s_or_b64 exec, exec, s[18:19]
.LBB39_90:                              ;   in Loop: Header=BB39_33 Depth=1
	s_or_b64 exec, exec, s[2:3]
.LBB39_91:                              ;   in Loop: Header=BB39_33 Depth=1
	s_lshl_b32 s6, s85, 6
	s_and_saveexec_b64 s[2:3], s[4:5]
	s_cbranch_execz .LBB39_93
; %bb.92:                               ;   in Loop: Header=BB39_33 Depth=1
	s_waitcnt vmcnt(0)
	v_or_b32_e32 v12, s6, v45
	v_lshlrev_b32_e32 v12, 3, v12
	ds_write_b128 v12, v[2:5] offset:3072
	ds_write_b128 v12, v[6:9] offset:3088
.LBB39_93:                              ;   in Loop: Header=BB39_33 Depth=1
	s_or_b64 exec, exec, s[2:3]
	s_waitcnt lgkmcnt(0)
	s_barrier
	s_and_saveexec_b64 s[2:3], s[48:49]
	s_cbranch_execz .LBB39_105
; %bb.94:                               ;   in Loop: Header=BB39_33 Depth=1
	v_readlane_b32 s0, v55, 24
	v_readlane_b32 s1, v55, 25
	s_andn2_b64 vcc, exec, s[0:1]
	v_pk_mov_b32 v[2:3], 0, 0
	s_cbranch_vccnz .LBB39_104
; %bb.95:                               ;   in Loop: Header=BB39_33 Depth=1
	v_readlane_b32 s0, v55, 29
	v_readlane_b32 s1, v55, 30
	s_andn2_b64 vcc, exec, s[0:1]
	s_cbranch_vccnz .LBB39_100
; %bb.96:                               ;   in Loop: Header=BB39_33 Depth=1
	v_lshl_add_u32 v4, s85, 9, v50
	s_mov_b32 s7, 0
	v_pk_mov_b32 v[2:3], 0, 0
.LBB39_97:                              ;   Parent Loop BB39_33 Depth=1
                                        ; =>  This Inner Loop Header: Depth=2
	s_waitcnt vmcnt(0)
	ds_read2_b64 v[6:9], v4 offset1:4
	ds_read2_b64 v[28:31], v4 offset0:8 offset1:12
	ds_read2_b64 v[32:35], v4 offset0:16 offset1:20
	;; [unrolled: 1-line block ×3, first 2 shown]
	s_add_i32 s7, s7, 8
	s_waitcnt lgkmcnt(3)
	v_add_co_u32_e32 v2, vcc, v6, v2
	v_addc_co_u32_e32 v3, vcc, v7, v3, vcc
	v_add_co_u32_e32 v2, vcc, v8, v2
	v_addc_co_u32_e32 v3, vcc, v9, v3, vcc
	s_waitcnt lgkmcnt(2)
	v_add_co_u32_e32 v2, vcc, v28, v2
	v_addc_co_u32_e32 v3, vcc, v29, v3, vcc
	v_add_co_u32_e32 v2, vcc, v30, v2
	v_addc_co_u32_e32 v3, vcc, v31, v3, vcc
	;; [unrolled: 5-line block ×3, first 2 shown]
	s_waitcnt lgkmcnt(0)
	v_add_co_u32_e32 v2, vcc, v36, v2
	v_addc_co_u32_e32 v3, vcc, v37, v3, vcc
	v_add_co_u32_e32 v2, vcc, v38, v2
	v_add_u32_e32 v4, 0x100, v4
	s_cmp_eq_u32 s34, s7
	v_addc_co_u32_e32 v3, vcc, v39, v3, vcc
	s_cbranch_scc0 .LBB39_97
; %bb.98:                               ;   in Loop: Header=BB39_33 Depth=1
	s_mov_b32 s7, s34
	s_branch .LBB39_101
.LBB39_99:                              ;   in Loop: Header=BB39_33 Depth=1
                                        ; implicit-def: $vgpr28_vgpr29
	s_branch .LBB39_67
.LBB39_100:                             ;   in Loop: Header=BB39_33 Depth=1
	s_mov_b32 s7, 0
	v_pk_mov_b32 v[2:3], 0, 0
.LBB39_101:                             ;   in Loop: Header=BB39_33 Depth=1
	v_readlane_b32 s0, v55, 32
	v_readlane_b32 s1, v55, 33
	s_andn2_b64 vcc, exec, s[0:1]
	s_cbranch_vccnz .LBB39_104
; %bb.102:                              ;   in Loop: Header=BB39_33 Depth=1
	s_lshl_b32 s10, s85, 9
	s_lshl_b32 s7, s7, 5
	s_add_i32 s10, s10, s7
	v_add_u32_e32 v4, s10, v50
	v_readlane_b32 s7, v55, 31
.LBB39_103:                             ;   Parent Loop BB39_33 Depth=1
                                        ; =>  This Inner Loop Header: Depth=2
	s_waitcnt vmcnt(0)
	ds_read_b64 v[6:7], v4
	s_add_i32 s7, s7, -1
	v_add_u32_e32 v4, 32, v4
	s_cmp_lg_u32 s7, 0
	s_waitcnt lgkmcnt(0)
	v_add_co_u32_e32 v2, vcc, v6, v2
	v_addc_co_u32_e32 v3, vcc, v7, v3, vcc
	s_cbranch_scc1 .LBB39_103
.LBB39_104:                             ;   in Loop: Header=BB39_33 Depth=1
	v_add_lshl_u32 v4, s6, v42, 3
	ds_write_b64 v4, v[2:3] offset:3072
.LBB39_105:                             ;   in Loop: Header=BB39_33 Depth=1
	s_or_b64 exec, exec, s[2:3]
	s_lshl_b32 s2, s6, 3
	s_waitcnt vmcnt(0)
	v_mov_b32_e32 v6, s2
	s_waitcnt lgkmcnt(0)
	s_barrier
	ds_read_b128 v[2:5], v6 offset:3072
	ds_read_b128 v[6:9], v6 offset:3088
	s_and_b32 s40, s67, 0xfe
	s_lshl_b32 s46, 3, s40
	s_not_b32 s41, s46
	s_waitcnt lgkmcnt(1)
	v_readfirstlane_b32 s15, v3
	v_readfirstlane_b32 s14, v2
	s_cmp_eq_u64 s[14:15], 1
	s_cselect_b64 s[2:3], -1, 0
	s_cmp_eq_u64 s[54:55], 1
	s_cselect_b64 s[6:7], -1, 0
	s_and_b64 s[20:21], s[2:3], s[6:7]
	v_readfirstlane_b32 s28, v4
	v_readfirstlane_b32 s29, v5
	s_waitcnt lgkmcnt(0)
	v_readfirstlane_b32 s16, v6
	v_readfirstlane_b32 s17, v7
	;; [unrolled: 1-line block ×4, first 2 shown]
	s_mov_b64 s[18:19], -1
	s_and_b64 vcc, exec, s[20:21]
	s_cbranch_vccz .LBB39_120
; %bb.106:                              ;   in Loop: Header=BB39_33 Depth=1
	ds_read_b64 v[2:3], v13 offset:5120
	v_readlane_b32 s0, v55, 16
	v_readlane_b32 s1, v55, 17
	s_waitcnt lgkmcnt(0)
	s_barrier
	v_readfirstlane_b32 s12, v2
	v_readfirstlane_b32 s13, v3
	s_and_saveexec_b64 s[2:3], s[0:1]
	s_cbranch_execz .LBB39_108
; %bb.107:                              ;   in Loop: Header=BB39_33 Depth=1
	ds_write_b16 v44, v13
.LBB39_108:                             ;   in Loop: Header=BB39_33 Depth=1
	s_or_b64 exec, exec, s[2:3]
	v_cmp_lt_i64_e64 s[2:3], s[12:13], 1
	s_and_b32 s61, s61, s41
	s_or_b32 s60, s60, s46
	s_and_b64 vcc, exec, s[2:3]
	s_waitcnt lgkmcnt(0)
	s_barrier
	s_cbranch_vccz .LBB39_121
; %bb.109:                              ;   in Loop: Header=BB39_33 Depth=1
	s_mov_b32 s50, s75
	s_cmp_lg_u64 s[50:51], 0
	s_cbranch_scc0 .LBB39_166
; %bb.110:                              ;   in Loop: Header=BB39_33 Depth=1
	v_cvt_f32_u32_e32 v2, s33
	s_sub_u32 s2, 0, s33
	s_subb_u32 s3, 0, 0
	v_readlane_b32 s0, v55, 27
	v_mac_f32_e32 v2, 0x4f800000, v51
	v_rcp_f32_e32 v2, v2
	v_mul_f32_e32 v2, 0x5f7ffffc, v2
	v_mul_f32_e32 v3, 0x2f800000, v2
	v_trunc_f32_e32 v3, v3
	v_mac_f32_e32 v2, 0xcf800000, v3
	v_cvt_u32_f32_e32 v3, v3
	v_cvt_u32_f32_e32 v2, v2
	v_readfirstlane_b32 s6, v3
	v_readfirstlane_b32 s7, v2
	s_mul_i32 s22, s2, s6
	s_mul_hi_u32 s24, s2, s7
	s_mul_i32 s23, s3, s7
	s_add_i32 s22, s24, s22
	s_mul_i32 s25, s2, s7
	s_add_i32 s22, s22, s23
	s_mul_hi_u32 s24, s7, s25
	s_mul_hi_u32 s23, s7, s22
	s_mul_i32 s7, s7, s22
	s_add_u32 s7, s24, s7
	s_addc_u32 s23, 0, s23
	s_mul_hi_u32 s26, s6, s25
	s_mul_i32 s25, s6, s25
	s_add_u32 s7, s7, s25
	s_mul_hi_u32 s24, s6, s22
	s_addc_u32 s7, s23, s26
	s_addc_u32 s23, s24, 0
	s_mul_i32 s22, s6, s22
	s_add_u32 s7, s7, s22
	s_addc_u32 s22, 0, s23
	v_add_co_u32_e32 v2, vcc, s7, v2
	s_cmp_lg_u64 vcc, 0
	s_addc_u32 s6, s6, s22
	v_readfirstlane_b32 s22, v2
	s_mul_i32 s7, s2, s6
	s_mul_hi_u32 s23, s2, s22
	s_add_i32 s7, s23, s7
	s_mul_i32 s3, s3, s22
	s_add_i32 s7, s7, s3
	s_mul_i32 s2, s2, s22
	s_mul_hi_u32 s23, s6, s2
	s_mul_i32 s24, s6, s2
	s_mul_i32 s26, s22, s7
	s_mul_hi_u32 s2, s22, s2
	s_mul_hi_u32 s25, s22, s7
	s_add_u32 s2, s2, s26
	s_addc_u32 s22, 0, s25
	s_add_u32 s2, s2, s24
	s_mul_hi_u32 s3, s6, s7
	s_addc_u32 s2, s22, s23
	s_addc_u32 s3, s3, 0
	s_mul_i32 s7, s6, s7
	s_add_u32 s2, s2, s7
	s_addc_u32 s3, 0, s3
	v_add_co_u32_e32 v2, vcc, s2, v2
	s_cmp_lg_u64 vcc, 0
	s_addc_u32 s22, s6, s3
	s_ashr_i32 s2, s51, 31
	s_add_u32 s6, s0, s2
	s_mov_b32 s3, s2
	s_addc_u32 s7, s51, s2
	s_xor_b64 s[6:7], s[6:7], s[2:3]
	v_readfirstlane_b32 s24, v2
	s_mul_i32 s23, s6, s22
	s_mul_hi_u32 s25, s6, s24
	s_mul_hi_u32 s3, s6, s22
	s_add_u32 s23, s25, s23
	s_addc_u32 s3, 0, s3
	s_mul_hi_u32 s26, s7, s24
	s_mul_i32 s24, s7, s24
	s_add_u32 s23, s23, s24
	s_mul_hi_u32 s25, s7, s22
	s_addc_u32 s3, s3, s26
	s_addc_u32 s23, s25, 0
	s_mul_i32 s22, s7, s22
	s_add_u32 s3, s3, s22
	s_addc_u32 s22, 0, s23
	s_mul_hi_u32 s23, s33, s3
	s_mul_i32 s3, s33, s3
	s_mul_i32 s22, s33, s22
	v_mov_b32_e32 v2, s3
	s_add_i32 s23, s23, s22
	v_sub_co_u32_e32 v2, vcc, s6, v2
	s_cmp_lg_u64 vcc, 0
	s_subb_u32 s3, s7, s23
	v_subrev_co_u32_e32 v3, vcc, s33, v2
	s_cmp_lg_u64 vcc, 0
	s_subb_u32 s6, s3, 0
	v_subrev_co_u32_e32 v4, vcc, s33, v3
	s_cmp_lg_u64 vcc, 0
	s_subb_u32 s7, s6, 0
	v_cmp_le_u32_e32 vcc, s33, v3
	s_cmp_eq_u32 s6, 0
	v_cndmask_b32_e64 v5, 0, -1, vcc
	s_cselect_b64 vcc, -1, 0
	v_cndmask_b32_e32 v5, -1, v5, vcc
	v_mov_b32_e32 v6, s6
	v_mov_b32_e32 v7, s7
	v_cmp_ne_u32_e32 vcc, 0, v5
	v_cndmask_b32_e32 v5, v6, v7, vcc
	v_cndmask_b32_e32 v3, v3, v4, vcc
	v_cmp_le_u32_e32 vcc, s33, v2
	s_cmp_eq_u32 s3, 0
	v_cndmask_b32_e64 v4, 0, -1, vcc
	s_cselect_b64 vcc, -1, 0
	v_cndmask_b32_e32 v4, -1, v4, vcc
	v_cmp_ne_u32_e32 vcc, 0, v4
	v_mov_b32_e32 v6, s3
	v_cndmask_b32_e32 v2, v2, v3, vcc
	v_cndmask_b32_e32 v4, v6, v5, vcc
	v_xor_b32_e32 v2, s2, v2
	v_xor_b32_e32 v3, s2, v4
	v_mov_b32_e32 v4, s2
	v_subrev_co_u32_e32 v2, vcc, s2, v2
	v_subb_co_u32_e32 v3, vcc, v3, v4, vcc
	s_cbranch_execnz .LBB39_112
.LBB39_111:                             ;   in Loop: Header=BB39_33 Depth=1
	v_cvt_f32_u32_e32 v2, s33
	s_sub_i32 s2, 0, s33
	v_readlane_b32 s0, v55, 27
	v_rcp_iflag_f32_e32 v2, v2
	v_mul_f32_e32 v2, 0x4f7ffffe, v2
	v_cvt_u32_f32_e32 v2, v2
	v_mul_lo_u32 v3, s2, v2
	v_mul_hi_u32 v3, v2, v3
	v_add_u32_e32 v2, v2, v3
	v_mul_hi_u32 v2, s0, v2
	v_mul_lo_u32 v2, v2, s33
	v_sub_u32_e32 v2, s0, v2
	v_subrev_u32_e32 v3, s33, v2
	v_cmp_le_u32_e32 vcc, s33, v2
	v_cndmask_b32_e32 v2, v2, v3, vcc
	v_subrev_u32_e32 v3, s33, v2
	v_cmp_le_u32_e32 vcc, s33, v2
	v_cndmask_b32_e32 v12, v2, v3, vcc
	v_pk_mov_b32 v[2:3], v[12:13], v[12:13] op_sel:[0,1]
.LBB39_112:                             ;   in Loop: Header=BB39_33 Depth=1
	v_readlane_b32 s0, v55, 27
	v_mov_b32_e32 v4, s51
	v_sub_co_u32_e32 v2, vcc, s0, v2
	v_subb_co_u32_e32 v3, vcc, v4, v3, vcc
	v_cmp_gt_i64_e32 vcc, v[2:3], v[0:1]
	s_mov_b64 s[2:3], 0
                                        ; implicit-def: $vgpr53
	s_and_saveexec_b64 s[22:23], vcc
	s_cbranch_execz .LBB39_123
; %bb.113:                              ;   in Loop: Header=BB39_33 Depth=1
	v_pk_mov_b32 v[4:5], v[10:11], v[10:11] op_sel:[0,1]
	v_pk_mov_b32 v[6:7], v[0:1], v[0:1] op_sel:[0,1]
                                        ; implicit-def: $sgpr24_sgpr25
	s_branch .LBB39_115
.LBB39_114:                             ;   in Loop: Header=BB39_115 Depth=2
	s_or_b64 exec, exec, s[6:7]
	s_waitcnt lgkmcnt(0)
	s_barrier
	s_waitcnt vmcnt(0)
	ds_read_b32 v8, v13 offset:3072
	v_mov_b32_e32 v9, s84
	v_add_co_u32_e64 v6, s[6:7], s33, v6
	v_addc_co_u32_e64 v7, s[6:7], v7, v9, s[6:7]
	s_waitcnt lgkmcnt(0)
	v_cmp_ne_u16_e32 vcc, 0, v8
	v_cmp_ge_i64_e64 s[6:7], v[6:7], v[2:3]
	s_or_b64 s[26:27], vcc, s[6:7]
	v_mov_b32_e32 v9, s77
	v_add_co_u32_e64 v4, s[6:7], s76, v4
	v_addc_co_u32_e64 v5, s[6:7], v5, v9, s[6:7]
	s_and_b64 s[6:7], exec, s[26:27]
	s_or_b64 s[2:3], s[6:7], s[2:3]
	s_andn2_b64 s[6:7], s[24:25], exec
	s_and_b64 s[24:25], vcc, exec
	s_or_b64 s[24:25], s[6:7], s[24:25]
	s_barrier
	s_andn2_b64 exec, exec, s[2:3]
	s_cbranch_execz .LBB39_122
.LBB39_115:                             ;   Parent Loop BB39_33 Depth=1
                                        ; =>  This Inner Loop Header: Depth=2
	v_cmp_gt_i64_e32 vcc, s[52:53], v[6:7]
	v_mov_b32_e32 v8, 0
	s_and_saveexec_b64 s[6:7], vcc
	s_cbranch_execz .LBB39_117
; %bb.116:                              ;   in Loop: Header=BB39_115 Depth=2
	global_load_ushort v8, v[4:5], off
.LBB39_117:                             ;   in Loop: Header=BB39_115 Depth=2
	s_or_b64 exec, exec, s[6:7]
	s_and_saveexec_b64 s[6:7], vcc
	s_cbranch_execz .LBB39_114
; %bb.118:                              ;   in Loop: Header=BB39_115 Depth=2
	s_waitcnt vmcnt(0)
	v_add_u32_sdwa v9, sext(v8), s95 dst_sel:DWORD dst_unused:UNUSED_PAD src0_sel:WORD_0 src1_sel:DWORD
	v_and_b32_e32 v9, s60, v9
	v_cmp_eq_u32_e32 vcc, s61, v9
	s_and_b64 exec, exec, vcc
	s_cbranch_execz .LBB39_114
; %bb.119:                              ;   in Loop: Header=BB39_115 Depth=2
	v_perm_b32 v8, v8, 1, v52
	ds_write_b32 v13, v8 offset:3072
	s_branch .LBB39_114
.LBB39_120:                             ;   in Loop: Header=BB39_33 Depth=1
	s_mov_b64 s[2:3], -1
                                        ; implicit-def: $sgpr6_sgpr7
                                        ; implicit-def: $sgpr24_sgpr25
                                        ; implicit-def: $sgpr22_sgpr23
	s_branch .LBB39_137
.LBB39_121:                             ;   in Loop: Header=BB39_33 Depth=1
	s_mov_b64 s[6:7], -1
	s_mov_b64 s[2:3], 0
                                        ; implicit-def: $sgpr22_sgpr23
                                        ; implicit-def: $vgpr53
	s_mov_b64 s[24:25], s[6:7]
	s_cbranch_execnz .LBB39_124
	s_branch .LBB39_137
.LBB39_122:                             ;   in Loop: Header=BB39_33 Depth=1
	s_or_b64 exec, exec, s[2:3]
	v_lshrrev_b32_e32 v53, 16, v8
	s_and_b64 s[2:3], s[24:25], exec
.LBB39_123:                             ;   in Loop: Header=BB39_33 Depth=1
	s_or_b64 exec, exec, s[22:23]
	s_mov_b64 s[22:23], -1
	s_mov_b64 s[6:7], 0
	s_mov_b64 s[24:25], s[6:7]
	s_branch .LBB39_137
.LBB39_124:                             ;   in Loop: Header=BB39_33 Depth=1
	v_readlane_b32 s0, v55, 26
	s_add_u32 s22, s0, s12
	v_readlane_b32 s0, v55, 28
	s_addc_u32 s3, s0, s13
	s_mov_b32 s2, s75
	s_cmp_lg_u64 s[2:3], 0
	s_cbranch_scc0 .LBB39_167
; %bb.125:                              ;   in Loop: Header=BB39_33 Depth=1
	v_cvt_f32_u32_e32 v2, s33
	s_sub_u32 s2, 0, s33
	s_subb_u32 s6, 0, 0
	v_mac_f32_e32 v2, 0x4f800000, v51
	v_rcp_f32_e32 v2, v2
	v_mul_f32_e32 v2, 0x5f7ffffc, v2
	v_mul_f32_e32 v3, 0x2f800000, v2
	v_trunc_f32_e32 v3, v3
	v_mac_f32_e32 v2, 0xcf800000, v3
	v_cvt_u32_f32_e32 v3, v3
	v_cvt_u32_f32_e32 v2, v2
	v_readfirstlane_b32 s7, v3
	v_readfirstlane_b32 s23, v2
	s_mul_i32 s24, s2, s7
	s_mul_hi_u32 s26, s2, s23
	s_mul_i32 s25, s6, s23
	s_add_i32 s24, s26, s24
	s_mul_i32 s27, s2, s23
	s_add_i32 s24, s24, s25
	s_mul_hi_u32 s26, s23, s27
	s_mul_hi_u32 s25, s23, s24
	s_mul_i32 s23, s23, s24
	s_add_u32 s23, s26, s23
	s_addc_u32 s25, 0, s25
	s_mul_hi_u32 s30, s7, s27
	s_mul_i32 s27, s7, s27
	s_add_u32 s23, s23, s27
	s_mul_hi_u32 s26, s7, s24
	s_addc_u32 s23, s25, s30
	s_addc_u32 s25, s26, 0
	s_mul_i32 s24, s7, s24
	s_add_u32 s23, s23, s24
	s_addc_u32 s24, 0, s25
	v_add_co_u32_e32 v2, vcc, s23, v2
	s_cmp_lg_u64 vcc, 0
	s_addc_u32 s7, s7, s24
	v_readfirstlane_b32 s24, v2
	s_mul_i32 s23, s2, s7
	s_mul_hi_u32 s25, s2, s24
	s_add_i32 s23, s25, s23
	s_mul_i32 s6, s6, s24
	s_add_i32 s23, s23, s6
	s_mul_i32 s2, s2, s24
	s_mul_hi_u32 s25, s7, s2
	s_mul_i32 s26, s7, s2
	s_mul_i32 s30, s24, s23
	s_mul_hi_u32 s2, s24, s2
	s_mul_hi_u32 s27, s24, s23
	s_add_u32 s2, s2, s30
	s_addc_u32 s24, 0, s27
	s_add_u32 s2, s2, s26
	s_mul_hi_u32 s6, s7, s23
	s_addc_u32 s2, s24, s25
	s_addc_u32 s6, s6, 0
	s_mul_i32 s23, s7, s23
	s_add_u32 s2, s2, s23
	s_addc_u32 s6, 0, s6
	v_add_co_u32_e32 v2, vcc, s2, v2
	s_cmp_lg_u64 vcc, 0
	s_addc_u32 s2, s7, s6
	s_ashr_i32 s6, s3, 31
	s_add_u32 s24, s22, s6
	s_mov_b32 s7, s6
	s_addc_u32 s25, s3, s6
	s_xor_b64 s[24:25], s[24:25], s[6:7]
	v_readfirstlane_b32 s26, v2
	s_mul_i32 s23, s24, s2
	s_mul_hi_u32 s27, s24, s26
	s_mul_hi_u32 s7, s24, s2
	s_add_u32 s23, s27, s23
	s_addc_u32 s7, 0, s7
	s_mul_hi_u32 s30, s25, s26
	s_mul_i32 s26, s25, s26
	s_add_u32 s23, s23, s26
	s_mul_hi_u32 s27, s25, s2
	s_addc_u32 s7, s7, s30
	s_addc_u32 s23, s27, 0
	s_mul_i32 s2, s25, s2
	s_add_u32 s2, s7, s2
	s_addc_u32 s7, 0, s23
	s_mul_hi_u32 s23, s33, s2
	s_mul_i32 s2, s33, s2
	s_mul_i32 s7, s33, s7
	v_mov_b32_e32 v2, s2
	s_add_i32 s23, s23, s7
	v_sub_co_u32_e32 v2, vcc, s24, v2
	s_cmp_lg_u64 vcc, 0
	s_subb_u32 s2, s25, s23
	v_subrev_co_u32_e32 v3, vcc, s33, v2
	s_cmp_lg_u64 vcc, 0
	s_subb_u32 s7, s2, 0
	v_subrev_co_u32_e32 v4, vcc, s33, v3
	s_cmp_lg_u64 vcc, 0
	s_subb_u32 s23, s7, 0
	v_cmp_le_u32_e32 vcc, s33, v3
	s_cmp_eq_u32 s7, 0
	v_cndmask_b32_e64 v5, 0, -1, vcc
	s_cselect_b64 vcc, -1, 0
	v_cndmask_b32_e32 v5, -1, v5, vcc
	v_mov_b32_e32 v6, s7
	v_mov_b32_e32 v7, s23
	v_cmp_ne_u32_e32 vcc, 0, v5
	v_cndmask_b32_e32 v5, v6, v7, vcc
	v_cndmask_b32_e32 v3, v3, v4, vcc
	v_cmp_le_u32_e32 vcc, s33, v2
	s_cmp_eq_u32 s2, 0
	v_cndmask_b32_e64 v4, 0, -1, vcc
	s_cselect_b64 vcc, -1, 0
	v_cndmask_b32_e32 v4, -1, v4, vcc
	v_cmp_ne_u32_e32 vcc, 0, v4
	v_mov_b32_e32 v6, s2
	v_cndmask_b32_e32 v2, v2, v3, vcc
	v_cndmask_b32_e32 v4, v6, v5, vcc
	v_xor_b32_e32 v2, s6, v2
	v_xor_b32_e32 v3, s6, v4
	v_mov_b32_e32 v4, s6
	v_subrev_co_u32_e32 v2, vcc, s6, v2
	v_subb_co_u32_e32 v3, vcc, v3, v4, vcc
	s_cbranch_execnz .LBB39_127
.LBB39_126:                             ;   in Loop: Header=BB39_33 Depth=1
	v_cvt_f32_u32_e32 v2, s33
	s_sub_i32 s2, 0, s33
	v_rcp_iflag_f32_e32 v2, v2
	v_mul_f32_e32 v2, 0x4f7ffffe, v2
	v_cvt_u32_f32_e32 v2, v2
	v_mul_lo_u32 v3, s2, v2
	v_mul_hi_u32 v3, v2, v3
	v_add_u32_e32 v2, v2, v3
	v_mul_hi_u32 v2, s22, v2
	v_mul_lo_u32 v2, v2, s33
	v_sub_u32_e32 v2, s22, v2
	v_subrev_u32_e32 v3, s33, v2
	v_cmp_le_u32_e32 vcc, s33, v2
	v_cndmask_b32_e32 v2, v2, v3, vcc
	v_subrev_u32_e32 v3, s33, v2
	v_cmp_le_u32_e32 vcc, s33, v2
	v_cndmask_b32_e32 v12, v2, v3, vcc
	v_pk_mov_b32 v[2:3], v[12:13], v[12:13] op_sel:[0,1]
.LBB39_127:                             ;   in Loop: Header=BB39_33 Depth=1
	v_mov_b32_e32 v4, s3
	v_sub_co_u32_e32 v2, vcc, s22, v2
	v_subb_co_u32_e32 v3, vcc, v4, v3, vcc
	v_cmp_gt_i64_e32 vcc, v[2:3], v[0:1]
	s_mov_b64 s[2:3], 0
                                        ; implicit-def: $vgpr53
	s_and_saveexec_b64 s[22:23], vcc
	s_cbranch_execz .LBB39_136
; %bb.128:                              ;   in Loop: Header=BB39_33 Depth=1
	v_mov_b32_e32 v6, v43
	v_pk_mov_b32 v[4:5], v[0:1], v[0:1] op_sel:[0,1]
                                        ; implicit-def: $sgpr24_sgpr25
	s_branch .LBB39_130
.LBB39_129:                             ;   in Loop: Header=BB39_130 Depth=2
	s_or_b64 exec, exec, s[6:7]
	s_waitcnt lgkmcnt(0)
	s_barrier
	ds_read_b32 v7, v13 offset:3072
	v_mov_b32_e32 v8, s84
	v_add_co_u32_e64 v4, s[6:7], s33, v4
	v_addc_co_u32_e64 v5, s[6:7], v5, v8, s[6:7]
	s_waitcnt lgkmcnt(0)
	v_cmp_ne_u16_e32 vcc, 0, v7
	v_cmp_ge_i64_e64 s[6:7], v[4:5], v[2:3]
	s_or_b64 s[6:7], vcc, s[6:7]
	s_and_b64 s[6:7], exec, s[6:7]
	s_or_b64 s[2:3], s[6:7], s[2:3]
	s_andn2_b64 s[6:7], s[24:25], exec
	s_and_b64 s[24:25], vcc, exec
	v_add_u32_e32 v6, s94, v6
	s_or_b64 s[24:25], s[6:7], s[24:25]
	s_barrier
	s_andn2_b64 exec, exec, s[2:3]
	s_cbranch_execz .LBB39_135
.LBB39_130:                             ;   Parent Loop BB39_33 Depth=1
                                        ; =>  This Inner Loop Header: Depth=2
	v_cmp_gt_i64_e32 vcc, s[12:13], v[4:5]
	v_mov_b32_e32 v7, 0
	s_and_saveexec_b64 s[6:7], vcc
	s_cbranch_execz .LBB39_132
; %bb.131:                              ;   in Loop: Header=BB39_130 Depth=2
	ds_read_u16 v7, v6
.LBB39_132:                             ;   in Loop: Header=BB39_130 Depth=2
	s_or_b64 exec, exec, s[6:7]
	s_and_saveexec_b64 s[6:7], vcc
	s_cbranch_execz .LBB39_129
; %bb.133:                              ;   in Loop: Header=BB39_130 Depth=2
	s_waitcnt lgkmcnt(0)
	v_add_u32_sdwa v8, sext(v7), s95 dst_sel:DWORD dst_unused:UNUSED_PAD src0_sel:WORD_0 src1_sel:DWORD
	v_and_b32_e32 v8, s60, v8
	v_cmp_eq_u32_e32 vcc, s61, v8
	s_and_b64 exec, exec, vcc
	s_cbranch_execz .LBB39_129
; %bb.134:                              ;   in Loop: Header=BB39_130 Depth=2
	v_perm_b32 v7, v7, 1, v52
	ds_write_b32 v13, v7 offset:3072
	s_branch .LBB39_129
.LBB39_135:                             ;   in Loop: Header=BB39_33 Depth=1
	s_or_b64 exec, exec, s[2:3]
	v_lshrrev_b32_e32 v53, 16, v7
	s_and_b64 s[2:3], s[24:25], exec
.LBB39_136:                             ;   in Loop: Header=BB39_33 Depth=1
	s_or_b64 exec, exec, s[22:23]
	s_mov_b64 s[24:25], -1
	s_mov_b64 s[6:7], 0
	s_mov_b64 s[22:23], 0
.LBB39_137:                             ;   in Loop: Header=BB39_33 Depth=1
	s_andn2_b64 s[8:9], s[36:37], exec
	s_and_b64 s[6:7], s[6:7], exec
	s_or_b64 s[36:37], s[8:9], s[6:7]
	s_andn2_b64 s[0:1], s[42:43], exec
	s_and_b64 s[6:7], s[24:25], exec
	s_or_b64 s[42:43], s[0:1], s[6:7]
	;; [unrolled: 3-line block ×3, first 2 shown]
	s_and_saveexec_b64 s[12:13], s[2:3]
	s_cbranch_execz .LBB39_32
; %bb.138:                              ;   in Loop: Header=BB39_33 Depth=1
	s_xor_b64 s[2:3], s[20:21], -1
	s_andn2_b64 vcc, exec, s[2:3]
	s_mov_b32 s47, 1
	s_cbranch_vccnz .LBB39_149
; %bb.139:                              ;   in Loop: Header=BB39_33 Depth=1
	v_pk_mov_b32 v[2:3], s[14:15], s[14:15] op_sel:[0,1]
	v_cmp_gt_i64_e32 vcc, s[54:55], v[2:3]
	s_mov_b64 s[2:3], -1
                                        ; implicit-def: $sgpr47
                                        ; implicit-def: $sgpr6
                                        ; implicit-def: $sgpr7
	s_cbranch_vccnz .LBB39_145
; %bb.140:                              ;   in Loop: Header=BB39_33 Depth=1
	ds_read_b64 v[2:3], v13 offset:5120
	s_waitcnt lgkmcnt(0)
	v_cmp_ne_u64_e32 vcc, 0, v[2:3]
	s_cbranch_vccnz .LBB39_144
; %bb.141:                              ;   in Loop: Header=BB39_33 Depth=1
	v_readlane_b32 s0, v55, 14
	v_readlane_b32 s1, v55, 15
	s_and_saveexec_b64 s[2:3], s[0:1]
	s_cbranch_execz .LBB39_143
; %bb.142:                              ;   in Loop: Header=BB39_33 Depth=1
	v_pk_mov_b32 v[2:3], s[14:15], s[14:15] op_sel:[0,1]
	ds_write_b64 v13, v[2:3] offset:5128
.LBB39_143:                             ;   in Loop: Header=BB39_33 Depth=1
	s_or_b64 exec, exec, s[2:3]
	s_waitcnt lgkmcnt(0)
	s_barrier
.LBB39_144:                             ;   in Loop: Header=BB39_33 Depth=1
	s_and_b32 s6, s61, s41
	s_or_b32 s7, s60, s46
	s_mov_b64 s[2:3], 0
	s_mov_b32 s47, 8
.LBB39_145:                             ;   in Loop: Header=BB39_33 Depth=1
	s_andn2_b64 vcc, exec, s[2:3]
	s_cbranch_vccnz .LBB39_147
; %bb.146:                              ;   in Loop: Header=BB39_33 Depth=1
	s_sub_u32 s54, s54, s14
	s_subb_u32 s55, s55, s15
	s_mov_b64 s[2:3], -1
	s_mov_b32 s47, 0
	s_mov_b32 s6, s61
	;; [unrolled: 1-line block ×3, first 2 shown]
.LBB39_147:                             ;   in Loop: Header=BB39_33 Depth=1
	s_mov_b32 s60, s7
	s_mov_b32 s61, s6
	s_mov_b64 s[14:15], -1
	s_and_b64 vcc, exec, s[2:3]
	s_cbranch_vccnz .LBB39_150
.LBB39_148:                             ;   in Loop: Header=BB39_33 Depth=1
	s_mov_b64 s[6:7], -1
                                        ; implicit-def: $sgpr18_sgpr19
                                        ; implicit-def: $sgpr22_sgpr23
                                        ; implicit-def: $sgpr20_sgpr21
	s_and_saveexec_b64 s[2:3], s[6:7]
	s_xor_b64 s[2:3], exec, s[2:3]
	s_cbranch_execz .LBB39_31
	s_branch .LBB39_296
.LBB39_149:                             ;   in Loop: Header=BB39_33 Depth=1
	s_mov_b64 s[54:55], 1
	s_mov_b64 s[14:15], -1
	s_branch .LBB39_148
.LBB39_150:                             ;   in Loop: Header=BB39_33 Depth=1
	s_cmp_eq_u64 s[28:29], 1
	s_cselect_b64 s[2:3], -1, 0
	s_cmp_eq_u64 s[54:55], 1
	s_cselect_b64 s[6:7], -1, 0
	s_and_b64 s[30:31], s[2:3], s[6:7]
	s_mov_b64 s[2:3], -1
	s_and_b64 vcc, exec, s[30:31]
	s_cbranch_vccz .LBB39_165
; %bb.151:                              ;   in Loop: Header=BB39_33 Depth=1
	ds_read_b64 v[2:3], v13 offset:5120
	v_readlane_b32 s0, v55, 16
	v_readlane_b32 s1, v55, 17
	s_waitcnt lgkmcnt(0)
	s_barrier
	v_readfirstlane_b32 s24, v2
	v_readfirstlane_b32 s25, v3
	s_and_saveexec_b64 s[2:3], s[0:1]
	s_cbranch_execz .LBB39_153
; %bb.152:                              ;   in Loop: Header=BB39_33 Depth=1
	ds_write_b16 v44, v13
.LBB39_153:                             ;   in Loop: Header=BB39_33 Depth=1
	s_or_b64 exec, exec, s[2:3]
	s_lshl_b32 s2, 1, s40
	s_and_b32 s3, s61, s41
	s_or_b32 s61, s3, s2
	v_cmp_gt_i64_e64 s[2:3], s[24:25], 0
	s_or_b32 s60, s60, s46
	s_and_b64 vcc, exec, s[2:3]
	s_waitcnt lgkmcnt(0)
	s_barrier
	s_cbranch_vccnz .LBB39_168
; %bb.154:                              ;   in Loop: Header=BB39_33 Depth=1
	s_mov_b32 s50, s75
	s_cmp_lg_u64 s[50:51], 0
	s_cbranch_scc0 .LBB39_213
; %bb.155:                              ;   in Loop: Header=BB39_33 Depth=1
	v_cvt_f32_u32_e32 v2, s33
	s_sub_u32 s2, 0, s33
	s_subb_u32 s3, 0, 0
	v_readlane_b32 s0, v55, 27
	v_mac_f32_e32 v2, 0x4f800000, v51
	v_rcp_f32_e32 v2, v2
	v_mul_f32_e32 v2, 0x5f7ffffc, v2
	v_mul_f32_e32 v3, 0x2f800000, v2
	v_trunc_f32_e32 v3, v3
	v_mac_f32_e32 v2, 0xcf800000, v3
	v_cvt_u32_f32_e32 v3, v3
	v_cvt_u32_f32_e32 v2, v2
	v_readfirstlane_b32 s6, v3
	v_readfirstlane_b32 s7, v2
	s_mul_i32 s18, s2, s6
	s_mul_hi_u32 s20, s2, s7
	s_mul_i32 s19, s3, s7
	s_add_i32 s18, s20, s18
	s_mul_i32 s21, s2, s7
	s_add_i32 s18, s18, s19
	s_mul_hi_u32 s20, s7, s21
	s_mul_hi_u32 s19, s7, s18
	s_mul_i32 s7, s7, s18
	s_add_u32 s7, s20, s7
	s_addc_u32 s19, 0, s19
	s_mul_hi_u32 s22, s6, s21
	s_mul_i32 s21, s6, s21
	s_add_u32 s7, s7, s21
	s_mul_hi_u32 s20, s6, s18
	s_addc_u32 s7, s19, s22
	s_addc_u32 s19, s20, 0
	s_mul_i32 s18, s6, s18
	s_add_u32 s7, s7, s18
	s_addc_u32 s18, 0, s19
	v_add_co_u32_e32 v2, vcc, s7, v2
	s_cmp_lg_u64 vcc, 0
	s_addc_u32 s6, s6, s18
	v_readfirstlane_b32 s18, v2
	s_mul_i32 s7, s2, s6
	s_mul_hi_u32 s19, s2, s18
	s_add_i32 s7, s19, s7
	s_mul_i32 s3, s3, s18
	s_add_i32 s7, s7, s3
	s_mul_i32 s2, s2, s18
	s_mul_hi_u32 s19, s6, s2
	s_mul_i32 s20, s6, s2
	s_mul_i32 s22, s18, s7
	s_mul_hi_u32 s2, s18, s2
	s_mul_hi_u32 s21, s18, s7
	s_add_u32 s2, s2, s22
	s_addc_u32 s18, 0, s21
	s_add_u32 s2, s2, s20
	s_mul_hi_u32 s3, s6, s7
	s_addc_u32 s2, s18, s19
	s_addc_u32 s3, s3, 0
	s_mul_i32 s7, s6, s7
	s_add_u32 s2, s2, s7
	s_addc_u32 s3, 0, s3
	v_add_co_u32_e32 v2, vcc, s2, v2
	s_cmp_lg_u64 vcc, 0
	s_addc_u32 s18, s6, s3
	s_ashr_i32 s2, s51, 31
	s_add_u32 s6, s0, s2
	s_mov_b32 s3, s2
	s_addc_u32 s7, s51, s2
	s_xor_b64 s[6:7], s[6:7], s[2:3]
	v_readfirstlane_b32 s20, v2
	s_mul_i32 s19, s6, s18
	s_mul_hi_u32 s21, s6, s20
	s_mul_hi_u32 s3, s6, s18
	s_add_u32 s19, s21, s19
	s_addc_u32 s3, 0, s3
	s_mul_hi_u32 s22, s7, s20
	s_mul_i32 s20, s7, s20
	s_add_u32 s19, s19, s20
	s_mul_hi_u32 s21, s7, s18
	s_addc_u32 s3, s3, s22
	s_addc_u32 s19, s21, 0
	s_mul_i32 s18, s7, s18
	s_add_u32 s3, s3, s18
	s_addc_u32 s18, 0, s19
	s_mul_hi_u32 s19, s33, s3
	s_mul_i32 s3, s33, s3
	s_mul_i32 s18, s33, s18
	v_mov_b32_e32 v2, s3
	s_add_i32 s19, s19, s18
	v_sub_co_u32_e32 v2, vcc, s6, v2
	s_cmp_lg_u64 vcc, 0
	s_subb_u32 s3, s7, s19
	v_subrev_co_u32_e32 v3, vcc, s33, v2
	s_cmp_lg_u64 vcc, 0
	s_subb_u32 s6, s3, 0
	v_subrev_co_u32_e32 v4, vcc, s33, v3
	s_cmp_lg_u64 vcc, 0
	s_subb_u32 s7, s6, 0
	v_cmp_le_u32_e32 vcc, s33, v3
	s_cmp_eq_u32 s6, 0
	v_cndmask_b32_e64 v5, 0, -1, vcc
	s_cselect_b64 vcc, -1, 0
	v_cndmask_b32_e32 v5, -1, v5, vcc
	v_mov_b32_e32 v6, s6
	v_mov_b32_e32 v7, s7
	v_cmp_ne_u32_e32 vcc, 0, v5
	v_cndmask_b32_e32 v5, v6, v7, vcc
	v_cndmask_b32_e32 v3, v3, v4, vcc
	v_cmp_le_u32_e32 vcc, s33, v2
	s_cmp_eq_u32 s3, 0
	v_cndmask_b32_e64 v4, 0, -1, vcc
	s_cselect_b64 vcc, -1, 0
	v_cndmask_b32_e32 v4, -1, v4, vcc
	v_cmp_ne_u32_e32 vcc, 0, v4
	v_mov_b32_e32 v6, s3
	v_cndmask_b32_e32 v2, v2, v3, vcc
	v_cndmask_b32_e32 v4, v6, v5, vcc
	v_xor_b32_e32 v2, s2, v2
	v_xor_b32_e32 v3, s2, v4
	v_mov_b32_e32 v4, s2
	v_subrev_co_u32_e32 v2, vcc, s2, v2
	v_subb_co_u32_e32 v3, vcc, v3, v4, vcc
	s_cbranch_execnz .LBB39_157
.LBB39_156:                             ;   in Loop: Header=BB39_33 Depth=1
	v_cvt_f32_u32_e32 v2, s33
	s_sub_i32 s2, 0, s33
	v_readlane_b32 s0, v55, 27
	v_rcp_iflag_f32_e32 v2, v2
	v_mul_f32_e32 v2, 0x4f7ffffe, v2
	v_cvt_u32_f32_e32 v2, v2
	v_mul_lo_u32 v3, s2, v2
	v_mul_hi_u32 v3, v2, v3
	v_add_u32_e32 v2, v2, v3
	v_mul_hi_u32 v2, s0, v2
	v_mul_lo_u32 v2, v2, s33
	v_sub_u32_e32 v2, s0, v2
	v_subrev_u32_e32 v3, s33, v2
	v_cmp_le_u32_e32 vcc, s33, v2
	v_cndmask_b32_e32 v2, v2, v3, vcc
	v_subrev_u32_e32 v3, s33, v2
	v_cmp_le_u32_e32 vcc, s33, v2
	v_cndmask_b32_e32 v12, v2, v3, vcc
	v_pk_mov_b32 v[2:3], v[12:13], v[12:13] op_sel:[0,1]
.LBB39_157:                             ;   in Loop: Header=BB39_33 Depth=1
	v_readlane_b32 s0, v55, 27
	v_mov_b32_e32 v4, s51
	v_sub_co_u32_e32 v2, vcc, s0, v2
	v_subb_co_u32_e32 v3, vcc, v4, v3, vcc
	v_cmp_gt_i64_e32 vcc, v[2:3], v[0:1]
	s_mov_b64 s[2:3], 0
                                        ; implicit-def: $vgpr53
	s_and_saveexec_b64 s[18:19], vcc
	s_cbranch_execz .LBB39_170
; %bb.158:                              ;   in Loop: Header=BB39_33 Depth=1
	v_pk_mov_b32 v[4:5], v[10:11], v[10:11] op_sel:[0,1]
	v_pk_mov_b32 v[6:7], v[0:1], v[0:1] op_sel:[0,1]
                                        ; implicit-def: $sgpr20_sgpr21
	s_branch .LBB39_160
.LBB39_159:                             ;   in Loop: Header=BB39_160 Depth=2
	s_or_b64 exec, exec, s[6:7]
	s_waitcnt lgkmcnt(0)
	s_barrier
	s_waitcnt vmcnt(0)
	ds_read_b32 v8, v13 offset:3072
	v_mov_b32_e32 v9, s84
	v_add_co_u32_e64 v6, s[6:7], s33, v6
	v_addc_co_u32_e64 v7, s[6:7], v7, v9, s[6:7]
	s_waitcnt lgkmcnt(0)
	v_cmp_ne_u16_e32 vcc, 0, v8
	v_cmp_ge_i64_e64 s[6:7], v[6:7], v[2:3]
	s_or_b64 s[22:23], vcc, s[6:7]
	v_mov_b32_e32 v9, s77
	v_add_co_u32_e64 v4, s[6:7], s76, v4
	v_addc_co_u32_e64 v5, s[6:7], v5, v9, s[6:7]
	s_and_b64 s[6:7], exec, s[22:23]
	s_or_b64 s[2:3], s[6:7], s[2:3]
	s_andn2_b64 s[6:7], s[20:21], exec
	s_and_b64 s[20:21], vcc, exec
	s_or_b64 s[20:21], s[6:7], s[20:21]
	s_barrier
	s_andn2_b64 exec, exec, s[2:3]
	s_cbranch_execz .LBB39_169
.LBB39_160:                             ;   Parent Loop BB39_33 Depth=1
                                        ; =>  This Inner Loop Header: Depth=2
	v_cmp_gt_i64_e32 vcc, s[52:53], v[6:7]
	v_mov_b32_e32 v8, 0
	s_and_saveexec_b64 s[6:7], vcc
	s_cbranch_execz .LBB39_162
; %bb.161:                              ;   in Loop: Header=BB39_160 Depth=2
	global_load_ushort v8, v[4:5], off
.LBB39_162:                             ;   in Loop: Header=BB39_160 Depth=2
	s_or_b64 exec, exec, s[6:7]
	s_and_saveexec_b64 s[6:7], vcc
	s_cbranch_execz .LBB39_159
; %bb.163:                              ;   in Loop: Header=BB39_160 Depth=2
	s_waitcnt vmcnt(0)
	v_add_u32_sdwa v9, sext(v8), s95 dst_sel:DWORD dst_unused:UNUSED_PAD src0_sel:WORD_0 src1_sel:DWORD
	v_and_b32_e32 v9, s60, v9
	v_cmp_eq_u32_e32 vcc, s61, v9
	s_and_b64 exec, exec, vcc
	s_cbranch_execz .LBB39_159
; %bb.164:                              ;   in Loop: Header=BB39_160 Depth=2
	v_perm_b32 v8, v8, 1, v52
	ds_write_b32 v13, v8 offset:3072
	s_branch .LBB39_159
.LBB39_165:                             ;   in Loop: Header=BB39_33 Depth=1
                                        ; implicit-def: $sgpr20_sgpr21
                                        ; implicit-def: $sgpr22_sgpr23
                                        ; implicit-def: $sgpr18_sgpr19
	s_branch .LBB39_184
.LBB39_166:                             ;   in Loop: Header=BB39_33 Depth=1
                                        ; implicit-def: $vgpr2_vgpr3
	s_branch .LBB39_111
.LBB39_167:                             ;   in Loop: Header=BB39_33 Depth=1
                                        ; implicit-def: $vgpr2_vgpr3
	s_branch .LBB39_126
.LBB39_168:                             ;   in Loop: Header=BB39_33 Depth=1
	s_mov_b64 s[20:21], -1
	s_mov_b64 s[2:3], 0
                                        ; implicit-def: $sgpr18_sgpr19
                                        ; implicit-def: $vgpr53
	s_mov_b64 s[22:23], s[20:21]
	s_cbranch_execnz .LBB39_171
	s_branch .LBB39_184
.LBB39_169:                             ;   in Loop: Header=BB39_33 Depth=1
	s_or_b64 exec, exec, s[2:3]
	v_lshrrev_b32_e32 v53, 16, v8
	s_and_b64 s[2:3], s[20:21], exec
.LBB39_170:                             ;   in Loop: Header=BB39_33 Depth=1
	s_or_b64 exec, exec, s[18:19]
	s_mov_b64 s[18:19], -1
	s_mov_b64 s[20:21], 0
	s_mov_b64 s[22:23], s[20:21]
	s_branch .LBB39_184
.LBB39_171:                             ;   in Loop: Header=BB39_33 Depth=1
	v_readlane_b32 s0, v55, 26
	s_add_u32 s18, s0, s24
	v_readlane_b32 s0, v55, 28
	s_addc_u32 s3, s0, s25
	s_mov_b32 s2, s75
	s_cmp_lg_u64 s[2:3], 0
	s_cbranch_scc0 .LBB39_214
; %bb.172:                              ;   in Loop: Header=BB39_33 Depth=1
	v_cvt_f32_u32_e32 v2, s33
	s_sub_u32 s2, 0, s33
	s_subb_u32 s6, 0, 0
	v_mac_f32_e32 v2, 0x4f800000, v51
	v_rcp_f32_e32 v2, v2
	v_mul_f32_e32 v2, 0x5f7ffffc, v2
	v_mul_f32_e32 v3, 0x2f800000, v2
	v_trunc_f32_e32 v3, v3
	v_mac_f32_e32 v2, 0xcf800000, v3
	v_cvt_u32_f32_e32 v3, v3
	v_cvt_u32_f32_e32 v2, v2
	v_readfirstlane_b32 s7, v3
	v_readfirstlane_b32 s19, v2
	s_mul_i32 s20, s2, s7
	s_mul_hi_u32 s22, s2, s19
	s_mul_i32 s21, s6, s19
	s_add_i32 s20, s22, s20
	s_mul_i32 s23, s2, s19
	s_add_i32 s20, s20, s21
	s_mul_hi_u32 s22, s19, s23
	s_mul_hi_u32 s21, s19, s20
	s_mul_i32 s19, s19, s20
	s_add_u32 s19, s22, s19
	s_addc_u32 s21, 0, s21
	s_mul_hi_u32 s26, s7, s23
	s_mul_i32 s23, s7, s23
	s_add_u32 s19, s19, s23
	s_mul_hi_u32 s22, s7, s20
	s_addc_u32 s19, s21, s26
	s_addc_u32 s21, s22, 0
	s_mul_i32 s20, s7, s20
	s_add_u32 s19, s19, s20
	s_addc_u32 s20, 0, s21
	v_add_co_u32_e32 v2, vcc, s19, v2
	s_cmp_lg_u64 vcc, 0
	s_addc_u32 s7, s7, s20
	v_readfirstlane_b32 s20, v2
	s_mul_i32 s19, s2, s7
	s_mul_hi_u32 s21, s2, s20
	s_add_i32 s19, s21, s19
	s_mul_i32 s6, s6, s20
	s_add_i32 s19, s19, s6
	s_mul_i32 s2, s2, s20
	s_mul_hi_u32 s21, s7, s2
	s_mul_i32 s22, s7, s2
	s_mul_i32 s26, s20, s19
	s_mul_hi_u32 s2, s20, s2
	s_mul_hi_u32 s23, s20, s19
	s_add_u32 s2, s2, s26
	s_addc_u32 s20, 0, s23
	s_add_u32 s2, s2, s22
	s_mul_hi_u32 s6, s7, s19
	s_addc_u32 s2, s20, s21
	s_addc_u32 s6, s6, 0
	s_mul_i32 s19, s7, s19
	s_add_u32 s2, s2, s19
	s_addc_u32 s6, 0, s6
	v_add_co_u32_e32 v2, vcc, s2, v2
	s_cmp_lg_u64 vcc, 0
	s_addc_u32 s2, s7, s6
	s_ashr_i32 s6, s3, 31
	s_add_u32 s20, s18, s6
	s_mov_b32 s7, s6
	s_addc_u32 s21, s3, s6
	s_xor_b64 s[20:21], s[20:21], s[6:7]
	v_readfirstlane_b32 s22, v2
	s_mul_i32 s19, s20, s2
	s_mul_hi_u32 s23, s20, s22
	s_mul_hi_u32 s7, s20, s2
	s_add_u32 s19, s23, s19
	s_addc_u32 s7, 0, s7
	s_mul_hi_u32 s26, s21, s22
	s_mul_i32 s22, s21, s22
	s_add_u32 s19, s19, s22
	s_mul_hi_u32 s23, s21, s2
	s_addc_u32 s7, s7, s26
	s_addc_u32 s19, s23, 0
	s_mul_i32 s2, s21, s2
	s_add_u32 s2, s7, s2
	s_addc_u32 s7, 0, s19
	s_mul_hi_u32 s19, s33, s2
	s_mul_i32 s2, s33, s2
	s_mul_i32 s7, s33, s7
	v_mov_b32_e32 v2, s2
	s_add_i32 s19, s19, s7
	v_sub_co_u32_e32 v2, vcc, s20, v2
	s_cmp_lg_u64 vcc, 0
	s_subb_u32 s2, s21, s19
	v_subrev_co_u32_e32 v3, vcc, s33, v2
	s_cmp_lg_u64 vcc, 0
	s_subb_u32 s7, s2, 0
	v_subrev_co_u32_e32 v4, vcc, s33, v3
	s_cmp_lg_u64 vcc, 0
	s_subb_u32 s19, s7, 0
	v_cmp_le_u32_e32 vcc, s33, v3
	s_cmp_eq_u32 s7, 0
	v_cndmask_b32_e64 v5, 0, -1, vcc
	s_cselect_b64 vcc, -1, 0
	v_cndmask_b32_e32 v5, -1, v5, vcc
	v_mov_b32_e32 v6, s7
	v_mov_b32_e32 v7, s19
	v_cmp_ne_u32_e32 vcc, 0, v5
	v_cndmask_b32_e32 v5, v6, v7, vcc
	v_cndmask_b32_e32 v3, v3, v4, vcc
	v_cmp_le_u32_e32 vcc, s33, v2
	s_cmp_eq_u32 s2, 0
	v_cndmask_b32_e64 v4, 0, -1, vcc
	s_cselect_b64 vcc, -1, 0
	v_cndmask_b32_e32 v4, -1, v4, vcc
	v_cmp_ne_u32_e32 vcc, 0, v4
	v_mov_b32_e32 v6, s2
	v_cndmask_b32_e32 v2, v2, v3, vcc
	v_cndmask_b32_e32 v4, v6, v5, vcc
	v_xor_b32_e32 v2, s6, v2
	v_xor_b32_e32 v3, s6, v4
	v_mov_b32_e32 v4, s6
	v_subrev_co_u32_e32 v2, vcc, s6, v2
	v_subb_co_u32_e32 v3, vcc, v3, v4, vcc
	s_cbranch_execnz .LBB39_174
.LBB39_173:                             ;   in Loop: Header=BB39_33 Depth=1
	v_cvt_f32_u32_e32 v2, s33
	s_sub_i32 s2, 0, s33
	v_rcp_iflag_f32_e32 v2, v2
	v_mul_f32_e32 v2, 0x4f7ffffe, v2
	v_cvt_u32_f32_e32 v2, v2
	v_mul_lo_u32 v3, s2, v2
	v_mul_hi_u32 v3, v2, v3
	v_add_u32_e32 v2, v2, v3
	v_mul_hi_u32 v2, s18, v2
	v_mul_lo_u32 v2, v2, s33
	v_sub_u32_e32 v2, s18, v2
	v_subrev_u32_e32 v3, s33, v2
	v_cmp_le_u32_e32 vcc, s33, v2
	v_cndmask_b32_e32 v2, v2, v3, vcc
	v_subrev_u32_e32 v3, s33, v2
	v_cmp_le_u32_e32 vcc, s33, v2
	v_cndmask_b32_e32 v12, v2, v3, vcc
	v_pk_mov_b32 v[2:3], v[12:13], v[12:13] op_sel:[0,1]
.LBB39_174:                             ;   in Loop: Header=BB39_33 Depth=1
	v_mov_b32_e32 v4, s3
	v_sub_co_u32_e32 v2, vcc, s18, v2
	v_subb_co_u32_e32 v3, vcc, v4, v3, vcc
	v_cmp_gt_i64_e32 vcc, v[2:3], v[0:1]
	s_mov_b64 s[2:3], 0
                                        ; implicit-def: $vgpr53
	s_and_saveexec_b64 s[18:19], vcc
	s_cbranch_execz .LBB39_183
; %bb.175:                              ;   in Loop: Header=BB39_33 Depth=1
	v_mov_b32_e32 v6, v43
	v_pk_mov_b32 v[4:5], v[0:1], v[0:1] op_sel:[0,1]
                                        ; implicit-def: $sgpr20_sgpr21
	s_branch .LBB39_177
.LBB39_176:                             ;   in Loop: Header=BB39_177 Depth=2
	s_or_b64 exec, exec, s[6:7]
	s_waitcnt lgkmcnt(0)
	s_barrier
	ds_read_b32 v7, v13 offset:3072
	v_mov_b32_e32 v8, s84
	v_add_co_u32_e64 v4, s[6:7], s33, v4
	v_addc_co_u32_e64 v5, s[6:7], v5, v8, s[6:7]
	s_waitcnt lgkmcnt(0)
	v_cmp_ne_u16_e32 vcc, 0, v7
	v_cmp_ge_i64_e64 s[6:7], v[4:5], v[2:3]
	s_or_b64 s[6:7], vcc, s[6:7]
	s_and_b64 s[6:7], exec, s[6:7]
	s_or_b64 s[2:3], s[6:7], s[2:3]
	s_andn2_b64 s[6:7], s[20:21], exec
	s_and_b64 s[20:21], vcc, exec
	v_add_u32_e32 v6, s94, v6
	s_or_b64 s[20:21], s[6:7], s[20:21]
	s_barrier
	s_andn2_b64 exec, exec, s[2:3]
	s_cbranch_execz .LBB39_182
.LBB39_177:                             ;   Parent Loop BB39_33 Depth=1
                                        ; =>  This Inner Loop Header: Depth=2
	v_cmp_gt_i64_e32 vcc, s[24:25], v[4:5]
	v_mov_b32_e32 v7, 0
	s_and_saveexec_b64 s[6:7], vcc
	s_cbranch_execz .LBB39_179
; %bb.178:                              ;   in Loop: Header=BB39_177 Depth=2
	ds_read_u16 v7, v6
.LBB39_179:                             ;   in Loop: Header=BB39_177 Depth=2
	s_or_b64 exec, exec, s[6:7]
	s_and_saveexec_b64 s[6:7], vcc
	s_cbranch_execz .LBB39_176
; %bb.180:                              ;   in Loop: Header=BB39_177 Depth=2
	s_waitcnt lgkmcnt(0)
	v_add_u32_sdwa v8, sext(v7), s95 dst_sel:DWORD dst_unused:UNUSED_PAD src0_sel:WORD_0 src1_sel:DWORD
	v_and_b32_e32 v8, s60, v8
	v_cmp_eq_u32_e32 vcc, s61, v8
	s_and_b64 exec, exec, vcc
	s_cbranch_execz .LBB39_176
; %bb.181:                              ;   in Loop: Header=BB39_177 Depth=2
	v_perm_b32 v7, v7, 1, v52
	ds_write_b32 v13, v7 offset:3072
	s_branch .LBB39_176
.LBB39_182:                             ;   in Loop: Header=BB39_33 Depth=1
	s_or_b64 exec, exec, s[2:3]
	v_lshrrev_b32_e32 v53, 16, v7
	s_and_b64 s[2:3], s[20:21], exec
.LBB39_183:                             ;   in Loop: Header=BB39_33 Depth=1
	s_or_b64 exec, exec, s[18:19]
	s_mov_b64 s[22:23], -1
	s_mov_b64 s[20:21], 0
	s_mov_b64 s[18:19], 0
.LBB39_184:                             ;   in Loop: Header=BB39_33 Depth=1
	s_mov_b64 s[6:7], 0
                                        ; implicit-def: $sgpr47
	s_and_saveexec_b64 s[24:25], s[2:3]
	s_cbranch_execz .LBB39_295
; %bb.185:                              ;   in Loop: Header=BB39_33 Depth=1
	s_xor_b64 s[2:3], s[30:31], -1
	s_andn2_b64 vcc, exec, s[2:3]
	s_mov_b32 s47, 1
	s_cbranch_vccnz .LBB39_196
; %bb.186:                              ;   in Loop: Header=BB39_33 Depth=1
	v_pk_mov_b32 v[2:3], s[28:29], s[28:29] op_sel:[0,1]
	v_cmp_gt_i64_e32 vcc, s[54:55], v[2:3]
	s_mov_b64 s[2:3], -1
                                        ; implicit-def: $sgpr47
                                        ; implicit-def: $sgpr6
                                        ; implicit-def: $sgpr7
	s_cbranch_vccnz .LBB39_192
; %bb.187:                              ;   in Loop: Header=BB39_33 Depth=1
	ds_read_b64 v[2:3], v13 offset:5120
	s_waitcnt lgkmcnt(0)
	v_cmp_ne_u64_e32 vcc, 0, v[2:3]
	s_cbranch_vccnz .LBB39_191
; %bb.188:                              ;   in Loop: Header=BB39_33 Depth=1
	v_readlane_b32 s0, v55, 14
	v_readlane_b32 s1, v55, 15
	s_and_saveexec_b64 s[2:3], s[0:1]
	s_cbranch_execz .LBB39_190
; %bb.189:                              ;   in Loop: Header=BB39_33 Depth=1
	v_pk_mov_b32 v[2:3], s[28:29], s[28:29] op_sel:[0,1]
	ds_write_b64 v13, v[2:3] offset:5128
.LBB39_190:                             ;   in Loop: Header=BB39_33 Depth=1
	s_or_b64 exec, exec, s[2:3]
	s_waitcnt lgkmcnt(0)
	s_barrier
.LBB39_191:                             ;   in Loop: Header=BB39_33 Depth=1
	s_lshl_b32 s2, 1, s40
	s_and_b32 s3, s61, s41
	s_or_b32 s6, s3, s2
	s_or_b32 s7, s60, s46
	s_mov_b64 s[2:3], 0
	s_mov_b32 s47, 8
.LBB39_192:                             ;   in Loop: Header=BB39_33 Depth=1
	s_andn2_b64 vcc, exec, s[2:3]
	s_cbranch_vccnz .LBB39_194
; %bb.193:                              ;   in Loop: Header=BB39_33 Depth=1
	s_sub_u32 s54, s54, s28
	s_subb_u32 s55, s55, s29
	s_mov_b64 s[2:3], -1
	s_mov_b32 s47, 0
	s_mov_b32 s6, s61
	s_mov_b32 s7, s60
.LBB39_194:                             ;   in Loop: Header=BB39_33 Depth=1
	s_mov_b32 s60, s7
	s_mov_b32 s61, s6
	s_andn2_b64 vcc, exec, s[2:3]
	s_mov_b64 s[6:7], -1
	s_cbranch_vccz .LBB39_197
.LBB39_195:                             ;   in Loop: Header=BB39_33 Depth=1
                                        ; implicit-def: $sgpr30_sgpr31
                                        ; implicit-def: $sgpr34_sgpr35
                                        ; implicit-def: $sgpr28_sgpr29
	s_branch .LBB39_294
.LBB39_196:                             ;   in Loop: Header=BB39_33 Depth=1
	s_mov_b64 s[54:55], 1
	s_mov_b64 s[6:7], -1
	s_cbranch_execnz .LBB39_195
.LBB39_197:                             ;   in Loop: Header=BB39_33 Depth=1
	s_cmp_eq_u64 s[16:17], 1
	s_cselect_b64 s[2:3], -1, 0
	s_cmp_eq_u64 s[54:55], 1
	s_cselect_b64 s[6:7], -1, 0
	s_and_b64 s[38:39], s[2:3], s[6:7]
	s_mov_b64 s[56:57], s[36:37]
	s_mov_b64 s[2:3], -1
	s_and_b64 vcc, exec, s[38:39]
	s_cbranch_vccz .LBB39_212
; %bb.198:                              ;   in Loop: Header=BB39_33 Depth=1
	ds_read_b64 v[2:3], v13 offset:5120
	v_readlane_b32 s0, v55, 16
	v_readlane_b32 s1, v55, 17
	s_waitcnt lgkmcnt(0)
	s_barrier
	v_readfirstlane_b32 s36, v2
	v_readfirstlane_b32 s37, v3
	s_and_saveexec_b64 s[2:3], s[0:1]
	s_cbranch_execz .LBB39_200
; %bb.199:                              ;   in Loop: Header=BB39_33 Depth=1
	ds_write_b16 v44, v13
.LBB39_200:                             ;   in Loop: Header=BB39_33 Depth=1
	s_or_b64 exec, exec, s[2:3]
	s_lshl_b32 s2, 2, s40
	s_and_b32 s3, s61, s41
	s_or_b32 s61, s3, s2
	v_cmp_gt_i64_e64 s[2:3], s[36:37], 0
	s_or_b32 s60, s60, s46
	s_and_b64 vcc, exec, s[2:3]
	s_waitcnt lgkmcnt(0)
	s_barrier
	s_cbranch_vccnz .LBB39_215
; %bb.201:                              ;   in Loop: Header=BB39_33 Depth=1
	s_mov_b32 s50, s75
	s_cmp_lg_u64 s[50:51], 0
	s_cbranch_scc0 .LBB39_260
; %bb.202:                              ;   in Loop: Header=BB39_33 Depth=1
	v_cvt_f32_u32_e32 v2, s33
	s_sub_u32 s2, 0, s33
	s_subb_u32 s3, 0, 0
	v_readlane_b32 s0, v55, 27
	v_mac_f32_e32 v2, 0x4f800000, v51
	v_rcp_f32_e32 v2, v2
	v_mul_f32_e32 v2, 0x5f7ffffc, v2
	v_mul_f32_e32 v3, 0x2f800000, v2
	v_trunc_f32_e32 v3, v3
	v_mac_f32_e32 v2, 0xcf800000, v3
	v_cvt_u32_f32_e32 v3, v3
	v_cvt_u32_f32_e32 v2, v2
	v_readfirstlane_b32 s6, v3
	v_readfirstlane_b32 s7, v2
	s_mul_i32 s26, s2, s6
	s_mul_hi_u32 s28, s2, s7
	s_mul_i32 s27, s3, s7
	s_add_i32 s26, s28, s26
	s_mul_i32 s29, s2, s7
	s_add_i32 s26, s26, s27
	s_mul_hi_u32 s28, s7, s29
	s_mul_hi_u32 s27, s7, s26
	s_mul_i32 s7, s7, s26
	s_add_u32 s7, s28, s7
	s_addc_u32 s27, 0, s27
	s_mul_hi_u32 s30, s6, s29
	s_mul_i32 s29, s6, s29
	s_add_u32 s7, s7, s29
	s_mul_hi_u32 s28, s6, s26
	s_addc_u32 s7, s27, s30
	s_addc_u32 s27, s28, 0
	s_mul_i32 s26, s6, s26
	s_add_u32 s7, s7, s26
	s_addc_u32 s26, 0, s27
	v_add_co_u32_e32 v2, vcc, s7, v2
	s_cmp_lg_u64 vcc, 0
	s_addc_u32 s6, s6, s26
	v_readfirstlane_b32 s26, v2
	s_mul_i32 s7, s2, s6
	s_mul_hi_u32 s27, s2, s26
	s_add_i32 s7, s27, s7
	s_mul_i32 s3, s3, s26
	s_add_i32 s7, s7, s3
	s_mul_i32 s2, s2, s26
	s_mul_hi_u32 s27, s6, s2
	s_mul_i32 s28, s6, s2
	s_mul_i32 s30, s26, s7
	s_mul_hi_u32 s2, s26, s2
	s_mul_hi_u32 s29, s26, s7
	s_add_u32 s2, s2, s30
	s_addc_u32 s26, 0, s29
	s_add_u32 s2, s2, s28
	s_mul_hi_u32 s3, s6, s7
	s_addc_u32 s2, s26, s27
	s_addc_u32 s3, s3, 0
	s_mul_i32 s7, s6, s7
	s_add_u32 s2, s2, s7
	s_addc_u32 s3, 0, s3
	v_add_co_u32_e32 v2, vcc, s2, v2
	s_cmp_lg_u64 vcc, 0
	s_addc_u32 s26, s6, s3
	s_ashr_i32 s2, s51, 31
	s_add_u32 s6, s0, s2
	s_mov_b32 s3, s2
	s_addc_u32 s7, s51, s2
	s_xor_b64 s[6:7], s[6:7], s[2:3]
	v_readfirstlane_b32 s28, v2
	s_mul_i32 s27, s6, s26
	s_mul_hi_u32 s29, s6, s28
	s_mul_hi_u32 s3, s6, s26
	s_add_u32 s27, s29, s27
	s_addc_u32 s3, 0, s3
	s_mul_hi_u32 s30, s7, s28
	s_mul_i32 s28, s7, s28
	s_add_u32 s27, s27, s28
	s_mul_hi_u32 s29, s7, s26
	s_addc_u32 s3, s3, s30
	s_addc_u32 s27, s29, 0
	s_mul_i32 s26, s7, s26
	s_add_u32 s3, s3, s26
	s_addc_u32 s26, 0, s27
	s_mul_hi_u32 s27, s33, s3
	s_mul_i32 s3, s33, s3
	s_mul_i32 s26, s33, s26
	v_mov_b32_e32 v2, s3
	s_add_i32 s27, s27, s26
	v_sub_co_u32_e32 v2, vcc, s6, v2
	s_cmp_lg_u64 vcc, 0
	s_subb_u32 s3, s7, s27
	v_subrev_co_u32_e32 v3, vcc, s33, v2
	s_cmp_lg_u64 vcc, 0
	s_subb_u32 s6, s3, 0
	v_subrev_co_u32_e32 v4, vcc, s33, v3
	s_cmp_lg_u64 vcc, 0
	s_subb_u32 s7, s6, 0
	v_cmp_le_u32_e32 vcc, s33, v3
	s_cmp_eq_u32 s6, 0
	v_cndmask_b32_e64 v5, 0, -1, vcc
	s_cselect_b64 vcc, -1, 0
	v_cndmask_b32_e32 v5, -1, v5, vcc
	v_mov_b32_e32 v6, s6
	v_mov_b32_e32 v7, s7
	v_cmp_ne_u32_e32 vcc, 0, v5
	v_cndmask_b32_e32 v5, v6, v7, vcc
	v_cndmask_b32_e32 v3, v3, v4, vcc
	v_cmp_le_u32_e32 vcc, s33, v2
	s_cmp_eq_u32 s3, 0
	v_cndmask_b32_e64 v4, 0, -1, vcc
	s_cselect_b64 vcc, -1, 0
	v_cndmask_b32_e32 v4, -1, v4, vcc
	v_cmp_ne_u32_e32 vcc, 0, v4
	v_mov_b32_e32 v6, s3
	v_cndmask_b32_e32 v2, v2, v3, vcc
	v_cndmask_b32_e32 v4, v6, v5, vcc
	v_xor_b32_e32 v2, s2, v2
	v_xor_b32_e32 v3, s2, v4
	v_mov_b32_e32 v4, s2
	v_subrev_co_u32_e32 v2, vcc, s2, v2
	v_subb_co_u32_e32 v3, vcc, v3, v4, vcc
	s_cbranch_execnz .LBB39_204
.LBB39_203:                             ;   in Loop: Header=BB39_33 Depth=1
	v_cvt_f32_u32_e32 v2, s33
	s_sub_i32 s2, 0, s33
	v_readlane_b32 s0, v55, 27
	v_rcp_iflag_f32_e32 v2, v2
	v_mul_f32_e32 v2, 0x4f7ffffe, v2
	v_cvt_u32_f32_e32 v2, v2
	v_mul_lo_u32 v3, s2, v2
	v_mul_hi_u32 v3, v2, v3
	v_add_u32_e32 v2, v2, v3
	v_mul_hi_u32 v2, s0, v2
	v_mul_lo_u32 v2, v2, s33
	v_sub_u32_e32 v2, s0, v2
	v_subrev_u32_e32 v3, s33, v2
	v_cmp_le_u32_e32 vcc, s33, v2
	v_cndmask_b32_e32 v2, v2, v3, vcc
	v_subrev_u32_e32 v3, s33, v2
	v_cmp_le_u32_e32 vcc, s33, v2
	v_cndmask_b32_e32 v12, v2, v3, vcc
	v_pk_mov_b32 v[2:3], v[12:13], v[12:13] op_sel:[0,1]
.LBB39_204:                             ;   in Loop: Header=BB39_33 Depth=1
	v_readlane_b32 s0, v55, 27
	v_mov_b32_e32 v4, s51
	v_sub_co_u32_e32 v2, vcc, s0, v2
	v_subb_co_u32_e32 v3, vcc, v4, v3, vcc
	v_cmp_gt_i64_e32 vcc, v[2:3], v[0:1]
	s_mov_b64 s[2:3], 0
                                        ; implicit-def: $vgpr53
	s_and_saveexec_b64 s[26:27], vcc
	s_cbranch_execz .LBB39_217
; %bb.205:                              ;   in Loop: Header=BB39_33 Depth=1
	v_pk_mov_b32 v[4:5], v[10:11], v[10:11] op_sel:[0,1]
	v_pk_mov_b32 v[6:7], v[0:1], v[0:1] op_sel:[0,1]
                                        ; implicit-def: $sgpr28_sgpr29
	s_branch .LBB39_207
.LBB39_206:                             ;   in Loop: Header=BB39_207 Depth=2
	s_or_b64 exec, exec, s[6:7]
	s_waitcnt lgkmcnt(0)
	s_barrier
	s_waitcnt vmcnt(0)
	ds_read_b32 v8, v13 offset:3072
	v_mov_b32_e32 v9, s84
	v_add_co_u32_e64 v6, s[6:7], s33, v6
	v_addc_co_u32_e64 v7, s[6:7], v7, v9, s[6:7]
	s_waitcnt lgkmcnt(0)
	v_cmp_ne_u16_e32 vcc, 0, v8
	v_cmp_ge_i64_e64 s[6:7], v[6:7], v[2:3]
	s_or_b64 s[30:31], vcc, s[6:7]
	v_mov_b32_e32 v9, s77
	v_add_co_u32_e64 v4, s[6:7], s76, v4
	v_addc_co_u32_e64 v5, s[6:7], v5, v9, s[6:7]
	s_and_b64 s[6:7], exec, s[30:31]
	s_or_b64 s[2:3], s[6:7], s[2:3]
	s_andn2_b64 s[6:7], s[28:29], exec
	s_and_b64 s[28:29], vcc, exec
	s_or_b64 s[28:29], s[6:7], s[28:29]
	s_barrier
	s_andn2_b64 exec, exec, s[2:3]
	s_cbranch_execz .LBB39_216
.LBB39_207:                             ;   Parent Loop BB39_33 Depth=1
                                        ; =>  This Inner Loop Header: Depth=2
	v_cmp_gt_i64_e32 vcc, s[52:53], v[6:7]
	v_mov_b32_e32 v8, 0
	s_and_saveexec_b64 s[6:7], vcc
	s_cbranch_execz .LBB39_209
; %bb.208:                              ;   in Loop: Header=BB39_207 Depth=2
	global_load_ushort v8, v[4:5], off
.LBB39_209:                             ;   in Loop: Header=BB39_207 Depth=2
	s_or_b64 exec, exec, s[6:7]
	s_and_saveexec_b64 s[6:7], vcc
	s_cbranch_execz .LBB39_206
; %bb.210:                              ;   in Loop: Header=BB39_207 Depth=2
	s_waitcnt vmcnt(0)
	v_add_u32_sdwa v9, sext(v8), s95 dst_sel:DWORD dst_unused:UNUSED_PAD src0_sel:WORD_0 src1_sel:DWORD
	v_and_b32_e32 v9, s60, v9
	v_cmp_eq_u32_e32 vcc, s61, v9
	s_and_b64 exec, exec, vcc
	s_cbranch_execz .LBB39_206
; %bb.211:                              ;   in Loop: Header=BB39_207 Depth=2
	v_perm_b32 v8, v8, 1, v52
	ds_write_b32 v13, v8 offset:3072
	s_branch .LBB39_206
.LBB39_212:                             ;   in Loop: Header=BB39_33 Depth=1
                                        ; implicit-def: $sgpr28_sgpr29
                                        ; implicit-def: $sgpr34_sgpr35
                                        ; implicit-def: $sgpr30_sgpr31
	s_branch .LBB39_231
.LBB39_213:                             ;   in Loop: Header=BB39_33 Depth=1
                                        ; implicit-def: $vgpr2_vgpr3
	s_branch .LBB39_156
.LBB39_214:                             ;   in Loop: Header=BB39_33 Depth=1
                                        ; implicit-def: $vgpr2_vgpr3
	s_branch .LBB39_173
.LBB39_215:                             ;   in Loop: Header=BB39_33 Depth=1
	s_mov_b64 s[28:29], -1
	s_mov_b64 s[2:3], 0
                                        ; implicit-def: $sgpr30_sgpr31
                                        ; implicit-def: $vgpr53
	s_mov_b64 s[34:35], s[28:29]
	s_cbranch_execnz .LBB39_218
	s_branch .LBB39_231
.LBB39_216:                             ;   in Loop: Header=BB39_33 Depth=1
	s_or_b64 exec, exec, s[2:3]
	v_lshrrev_b32_e32 v53, 16, v8
	s_and_b64 s[2:3], s[28:29], exec
.LBB39_217:                             ;   in Loop: Header=BB39_33 Depth=1
	s_or_b64 exec, exec, s[26:27]
	s_mov_b64 s[30:31], -1
	s_mov_b64 s[28:29], 0
	s_mov_b64 s[34:35], s[28:29]
	s_branch .LBB39_231
.LBB39_218:                             ;   in Loop: Header=BB39_33 Depth=1
	v_readlane_b32 s0, v55, 26
	s_add_u32 s26, s0, s36
	v_readlane_b32 s0, v55, 28
	s_addc_u32 s3, s0, s37
	s_mov_b32 s2, s75
	s_cmp_lg_u64 s[2:3], 0
	s_cbranch_scc0 .LBB39_261
; %bb.219:                              ;   in Loop: Header=BB39_33 Depth=1
	v_cvt_f32_u32_e32 v2, s33
	s_sub_u32 s2, 0, s33
	s_subb_u32 s6, 0, 0
	v_mac_f32_e32 v2, 0x4f800000, v51
	v_rcp_f32_e32 v2, v2
	v_mul_f32_e32 v2, 0x5f7ffffc, v2
	v_mul_f32_e32 v3, 0x2f800000, v2
	v_trunc_f32_e32 v3, v3
	v_mac_f32_e32 v2, 0xcf800000, v3
	v_cvt_u32_f32_e32 v3, v3
	v_cvt_u32_f32_e32 v2, v2
	v_readfirstlane_b32 s7, v3
	v_readfirstlane_b32 s27, v2
	s_mul_i32 s28, s2, s7
	s_mul_hi_u32 s30, s2, s27
	s_mul_i32 s29, s6, s27
	s_add_i32 s28, s30, s28
	s_mul_i32 s31, s2, s27
	s_add_i32 s28, s28, s29
	s_mul_hi_u32 s30, s27, s31
	s_mul_hi_u32 s29, s27, s28
	s_mul_i32 s27, s27, s28
	s_add_u32 s27, s30, s27
	s_addc_u32 s29, 0, s29
	s_mul_hi_u32 s34, s7, s31
	s_mul_i32 s31, s7, s31
	s_add_u32 s27, s27, s31
	s_mul_hi_u32 s30, s7, s28
	s_addc_u32 s27, s29, s34
	s_addc_u32 s29, s30, 0
	s_mul_i32 s28, s7, s28
	s_add_u32 s27, s27, s28
	s_addc_u32 s28, 0, s29
	v_add_co_u32_e32 v2, vcc, s27, v2
	s_cmp_lg_u64 vcc, 0
	s_addc_u32 s7, s7, s28
	v_readfirstlane_b32 s28, v2
	s_mul_i32 s27, s2, s7
	s_mul_hi_u32 s29, s2, s28
	s_add_i32 s27, s29, s27
	s_mul_i32 s6, s6, s28
	s_add_i32 s27, s27, s6
	s_mul_i32 s2, s2, s28
	s_mul_hi_u32 s29, s7, s2
	s_mul_i32 s30, s7, s2
	s_mul_i32 s34, s28, s27
	s_mul_hi_u32 s2, s28, s2
	s_mul_hi_u32 s31, s28, s27
	s_add_u32 s2, s2, s34
	s_addc_u32 s28, 0, s31
	s_add_u32 s2, s2, s30
	s_mul_hi_u32 s6, s7, s27
	s_addc_u32 s2, s28, s29
	s_addc_u32 s6, s6, 0
	s_mul_i32 s27, s7, s27
	s_add_u32 s2, s2, s27
	s_addc_u32 s6, 0, s6
	v_add_co_u32_e32 v2, vcc, s2, v2
	s_cmp_lg_u64 vcc, 0
	s_addc_u32 s2, s7, s6
	s_ashr_i32 s6, s3, 31
	s_add_u32 s28, s26, s6
	s_mov_b32 s7, s6
	s_addc_u32 s29, s3, s6
	s_xor_b64 s[28:29], s[28:29], s[6:7]
	v_readfirstlane_b32 s30, v2
	s_mul_i32 s27, s28, s2
	s_mul_hi_u32 s31, s28, s30
	s_mul_hi_u32 s7, s28, s2
	s_add_u32 s27, s31, s27
	s_addc_u32 s7, 0, s7
	s_mul_hi_u32 s34, s29, s30
	s_mul_i32 s30, s29, s30
	s_add_u32 s27, s27, s30
	s_mul_hi_u32 s31, s29, s2
	s_addc_u32 s7, s7, s34
	s_addc_u32 s27, s31, 0
	s_mul_i32 s2, s29, s2
	s_add_u32 s2, s7, s2
	s_addc_u32 s7, 0, s27
	s_mul_hi_u32 s27, s33, s2
	s_mul_i32 s2, s33, s2
	s_mul_i32 s7, s33, s7
	v_mov_b32_e32 v2, s2
	s_add_i32 s27, s27, s7
	v_sub_co_u32_e32 v2, vcc, s28, v2
	s_cmp_lg_u64 vcc, 0
	s_subb_u32 s2, s29, s27
	v_subrev_co_u32_e32 v3, vcc, s33, v2
	s_cmp_lg_u64 vcc, 0
	s_subb_u32 s7, s2, 0
	v_subrev_co_u32_e32 v4, vcc, s33, v3
	s_cmp_lg_u64 vcc, 0
	s_subb_u32 s27, s7, 0
	v_cmp_le_u32_e32 vcc, s33, v3
	s_cmp_eq_u32 s7, 0
	v_cndmask_b32_e64 v5, 0, -1, vcc
	s_cselect_b64 vcc, -1, 0
	v_cndmask_b32_e32 v5, -1, v5, vcc
	v_mov_b32_e32 v6, s7
	v_mov_b32_e32 v7, s27
	v_cmp_ne_u32_e32 vcc, 0, v5
	v_cndmask_b32_e32 v5, v6, v7, vcc
	v_cndmask_b32_e32 v3, v3, v4, vcc
	v_cmp_le_u32_e32 vcc, s33, v2
	s_cmp_eq_u32 s2, 0
	v_cndmask_b32_e64 v4, 0, -1, vcc
	s_cselect_b64 vcc, -1, 0
	v_cndmask_b32_e32 v4, -1, v4, vcc
	v_cmp_ne_u32_e32 vcc, 0, v4
	v_mov_b32_e32 v6, s2
	v_cndmask_b32_e32 v2, v2, v3, vcc
	v_cndmask_b32_e32 v4, v6, v5, vcc
	v_xor_b32_e32 v2, s6, v2
	v_xor_b32_e32 v3, s6, v4
	v_mov_b32_e32 v4, s6
	v_subrev_co_u32_e32 v2, vcc, s6, v2
	v_subb_co_u32_e32 v3, vcc, v3, v4, vcc
	s_cbranch_execnz .LBB39_221
.LBB39_220:                             ;   in Loop: Header=BB39_33 Depth=1
	v_cvt_f32_u32_e32 v2, s33
	s_sub_i32 s2, 0, s33
	v_rcp_iflag_f32_e32 v2, v2
	v_mul_f32_e32 v2, 0x4f7ffffe, v2
	v_cvt_u32_f32_e32 v2, v2
	v_mul_lo_u32 v3, s2, v2
	v_mul_hi_u32 v3, v2, v3
	v_add_u32_e32 v2, v2, v3
	v_mul_hi_u32 v2, s26, v2
	v_mul_lo_u32 v2, v2, s33
	v_sub_u32_e32 v2, s26, v2
	v_subrev_u32_e32 v3, s33, v2
	v_cmp_le_u32_e32 vcc, s33, v2
	v_cndmask_b32_e32 v2, v2, v3, vcc
	v_subrev_u32_e32 v3, s33, v2
	v_cmp_le_u32_e32 vcc, s33, v2
	v_cndmask_b32_e32 v12, v2, v3, vcc
	v_pk_mov_b32 v[2:3], v[12:13], v[12:13] op_sel:[0,1]
.LBB39_221:                             ;   in Loop: Header=BB39_33 Depth=1
	v_mov_b32_e32 v4, s3
	v_sub_co_u32_e32 v2, vcc, s26, v2
	v_subb_co_u32_e32 v3, vcc, v4, v3, vcc
	v_cmp_gt_i64_e32 vcc, v[2:3], v[0:1]
	s_mov_b64 s[2:3], 0
                                        ; implicit-def: $vgpr53
	s_and_saveexec_b64 s[26:27], vcc
	s_cbranch_execz .LBB39_230
; %bb.222:                              ;   in Loop: Header=BB39_33 Depth=1
	v_mov_b32_e32 v6, v43
	v_pk_mov_b32 v[4:5], v[0:1], v[0:1] op_sel:[0,1]
                                        ; implicit-def: $sgpr28_sgpr29
	s_branch .LBB39_224
.LBB39_223:                             ;   in Loop: Header=BB39_224 Depth=2
	s_or_b64 exec, exec, s[6:7]
	s_waitcnt lgkmcnt(0)
	s_barrier
	ds_read_b32 v7, v13 offset:3072
	v_mov_b32_e32 v8, s84
	v_add_co_u32_e64 v4, s[6:7], s33, v4
	v_addc_co_u32_e64 v5, s[6:7], v5, v8, s[6:7]
	s_waitcnt lgkmcnt(0)
	v_cmp_ne_u16_e32 vcc, 0, v7
	v_cmp_ge_i64_e64 s[6:7], v[4:5], v[2:3]
	s_or_b64 s[6:7], vcc, s[6:7]
	s_and_b64 s[6:7], exec, s[6:7]
	s_or_b64 s[2:3], s[6:7], s[2:3]
	s_andn2_b64 s[6:7], s[28:29], exec
	s_and_b64 s[28:29], vcc, exec
	v_add_u32_e32 v6, s94, v6
	s_or_b64 s[28:29], s[6:7], s[28:29]
	s_barrier
	s_andn2_b64 exec, exec, s[2:3]
	s_cbranch_execz .LBB39_229
.LBB39_224:                             ;   Parent Loop BB39_33 Depth=1
                                        ; =>  This Inner Loop Header: Depth=2
	v_cmp_gt_i64_e32 vcc, s[36:37], v[4:5]
	v_mov_b32_e32 v7, 0
	s_and_saveexec_b64 s[6:7], vcc
	s_cbranch_execz .LBB39_226
; %bb.225:                              ;   in Loop: Header=BB39_224 Depth=2
	ds_read_u16 v7, v6
.LBB39_226:                             ;   in Loop: Header=BB39_224 Depth=2
	s_or_b64 exec, exec, s[6:7]
	s_and_saveexec_b64 s[6:7], vcc
	s_cbranch_execz .LBB39_223
; %bb.227:                              ;   in Loop: Header=BB39_224 Depth=2
	s_waitcnt lgkmcnt(0)
	v_add_u32_sdwa v8, sext(v7), s95 dst_sel:DWORD dst_unused:UNUSED_PAD src0_sel:WORD_0 src1_sel:DWORD
	v_and_b32_e32 v8, s60, v8
	v_cmp_eq_u32_e32 vcc, s61, v8
	s_and_b64 exec, exec, vcc
	s_cbranch_execz .LBB39_223
; %bb.228:                              ;   in Loop: Header=BB39_224 Depth=2
	v_perm_b32 v7, v7, 1, v52
	ds_write_b32 v13, v7 offset:3072
	s_branch .LBB39_223
.LBB39_229:                             ;   in Loop: Header=BB39_33 Depth=1
	s_or_b64 exec, exec, s[2:3]
	v_lshrrev_b32_e32 v53, 16, v7
	s_and_b64 s[2:3], s[28:29], exec
.LBB39_230:                             ;   in Loop: Header=BB39_33 Depth=1
	s_or_b64 exec, exec, s[26:27]
	s_mov_b64 s[34:35], -1
	s_mov_b64 s[28:29], 0
	s_mov_b64 s[30:31], 0
.LBB39_231:                             ;   in Loop: Header=BB39_33 Depth=1
	s_mov_b64 s[6:7], 0
                                        ; implicit-def: $sgpr47
	s_and_saveexec_b64 s[36:37], s[2:3]
	s_cbranch_execz .LBB39_293
; %bb.232:                              ;   in Loop: Header=BB39_33 Depth=1
	s_xor_b64 s[2:3], s[38:39], -1
	s_andn2_b64 vcc, exec, s[2:3]
	s_mov_b32 s47, 1
	s_cbranch_vccnz .LBB39_243
; %bb.233:                              ;   in Loop: Header=BB39_33 Depth=1
	v_pk_mov_b32 v[2:3], s[16:17], s[16:17] op_sel:[0,1]
	v_cmp_gt_i64_e32 vcc, s[54:55], v[2:3]
	s_mov_b64 s[2:3], -1
                                        ; implicit-def: $sgpr47
                                        ; implicit-def: $sgpr6
                                        ; implicit-def: $sgpr7
	s_cbranch_vccnz .LBB39_239
; %bb.234:                              ;   in Loop: Header=BB39_33 Depth=1
	ds_read_b64 v[2:3], v13 offset:5120
	s_waitcnt lgkmcnt(0)
	v_cmp_ne_u64_e32 vcc, 0, v[2:3]
	s_cbranch_vccnz .LBB39_238
; %bb.235:                              ;   in Loop: Header=BB39_33 Depth=1
	v_readlane_b32 s0, v55, 14
	v_readlane_b32 s1, v55, 15
	s_and_saveexec_b64 s[2:3], s[0:1]
	s_cbranch_execz .LBB39_237
; %bb.236:                              ;   in Loop: Header=BB39_33 Depth=1
	v_pk_mov_b32 v[2:3], s[16:17], s[16:17] op_sel:[0,1]
	ds_write_b64 v13, v[2:3] offset:5128
.LBB39_237:                             ;   in Loop: Header=BB39_33 Depth=1
	s_or_b64 exec, exec, s[2:3]
	s_waitcnt lgkmcnt(0)
	s_barrier
.LBB39_238:                             ;   in Loop: Header=BB39_33 Depth=1
	s_lshl_b32 s2, 2, s40
	s_and_b32 s3, s61, s41
	s_or_b32 s6, s3, s2
	s_or_b32 s7, s60, s46
	s_mov_b64 s[2:3], 0
	s_mov_b32 s47, 8
.LBB39_239:                             ;   in Loop: Header=BB39_33 Depth=1
	s_mov_b64 s[8:9], s[42:43]
	s_andn2_b64 vcc, exec, s[2:3]
	s_cbranch_vccnz .LBB39_241
; %bb.240:                              ;   in Loop: Header=BB39_33 Depth=1
	s_sub_u32 s54, s54, s16
	s_subb_u32 s55, s55, s17
	s_mov_b64 s[2:3], -1
	s_mov_b32 s47, 0
	s_mov_b32 s6, s61
	s_mov_b32 s7, s60
.LBB39_241:                             ;   in Loop: Header=BB39_33 Depth=1
	s_mov_b32 s60, s7
	s_mov_b32 s61, s6
	s_andn2_b64 vcc, exec, s[2:3]
	s_mov_b64 s[42:43], -1
	s_cbranch_vccz .LBB39_244
.LBB39_242:                             ;   in Loop: Header=BB39_33 Depth=1
                                        ; implicit-def: $sgpr2_sgpr3
                                        ; implicit-def: $sgpr26_sgpr27
                                        ; implicit-def: $sgpr6_sgpr7
	s_branch .LBB39_292
.LBB39_243:                             ;   in Loop: Header=BB39_33 Depth=1
	s_mov_b64 s[8:9], s[42:43]
	s_mov_b64 s[54:55], 1
	s_mov_b64 s[42:43], -1
	s_cbranch_execnz .LBB39_242
.LBB39_244:                             ;   in Loop: Header=BB39_33 Depth=1
	s_cmp_eq_u64 s[10:11], 1
	s_cselect_b64 s[2:3], -1, 0
	s_cmp_eq_u64 s[54:55], 1
	s_cselect_b64 s[6:7], -1, 0
	s_and_b64 s[16:17], s[2:3], s[6:7]
	s_mov_b64 s[40:41], -1
	s_and_b64 vcc, exec, s[16:17]
	s_cbranch_vccz .LBB39_259
; %bb.245:                              ;   in Loop: Header=BB39_33 Depth=1
	ds_read_b64 v[2:3], v13 offset:5120
	v_readlane_b32 s0, v55, 16
	v_readlane_b32 s1, v55, 17
	s_waitcnt lgkmcnt(0)
	s_barrier
	v_readfirstlane_b32 s38, v2
	v_readfirstlane_b32 s39, v3
	s_and_saveexec_b64 s[2:3], s[0:1]
	s_cbranch_execz .LBB39_247
; %bb.246:                              ;   in Loop: Header=BB39_33 Depth=1
	ds_write_b16 v44, v13
.LBB39_247:                             ;   in Loop: Header=BB39_33 Depth=1
	s_or_b64 exec, exec, s[2:3]
	v_cmp_gt_i64_e64 s[2:3], s[38:39], 0
	s_or_b32 s61, s61, s46
	s_or_b32 s60, s60, s46
	s_and_b64 vcc, exec, s[2:3]
	s_waitcnt lgkmcnt(0)
	s_barrier
	s_cbranch_vccnz .LBB39_262
; %bb.248:                              ;   in Loop: Header=BB39_33 Depth=1
	s_mov_b32 s50, s75
	s_cmp_lg_u64 s[50:51], 0
	s_cbranch_scc0 .LBB39_298
; %bb.249:                              ;   in Loop: Header=BB39_33 Depth=1
	v_cvt_f32_u32_e32 v2, s33
	s_sub_u32 s2, 0, s33
	s_subb_u32 s3, 0, 0
	v_readlane_b32 s0, v55, 27
	v_mac_f32_e32 v2, 0x4f800000, v51
	v_rcp_f32_e32 v2, v2
	v_mul_f32_e32 v2, 0x5f7ffffc, v2
	v_mul_f32_e32 v3, 0x2f800000, v2
	v_trunc_f32_e32 v3, v3
	v_mac_f32_e32 v2, 0xcf800000, v3
	v_cvt_u32_f32_e32 v3, v3
	v_cvt_u32_f32_e32 v2, v2
	v_readfirstlane_b32 s6, v3
	v_readfirstlane_b32 s7, v2
	s_mul_i32 s26, s2, s6
	s_mul_hi_u32 s40, s2, s7
	s_mul_i32 s27, s3, s7
	s_add_i32 s26, s40, s26
	s_mul_i32 s41, s2, s7
	s_add_i32 s26, s26, s27
	s_mul_hi_u32 s40, s7, s41
	s_mul_hi_u32 s27, s7, s26
	s_mul_i32 s7, s7, s26
	s_add_u32 s7, s40, s7
	s_addc_u32 s27, 0, s27
	s_mul_hi_u32 s42, s6, s41
	s_mul_i32 s41, s6, s41
	s_add_u32 s7, s7, s41
	s_mul_hi_u32 s40, s6, s26
	s_addc_u32 s7, s27, s42
	s_addc_u32 s27, s40, 0
	s_mul_i32 s26, s6, s26
	s_add_u32 s7, s7, s26
	s_addc_u32 s26, 0, s27
	v_add_co_u32_e32 v2, vcc, s7, v2
	s_cmp_lg_u64 vcc, 0
	s_addc_u32 s6, s6, s26
	v_readfirstlane_b32 s26, v2
	s_mul_i32 s7, s2, s6
	s_mul_hi_u32 s27, s2, s26
	s_add_i32 s7, s27, s7
	s_mul_i32 s3, s3, s26
	s_add_i32 s7, s7, s3
	s_mul_i32 s2, s2, s26
	s_mul_hi_u32 s27, s6, s2
	s_mul_i32 s40, s6, s2
	s_mul_i32 s42, s26, s7
	s_mul_hi_u32 s2, s26, s2
	s_mul_hi_u32 s41, s26, s7
	s_add_u32 s2, s2, s42
	s_addc_u32 s26, 0, s41
	s_add_u32 s2, s2, s40
	s_mul_hi_u32 s3, s6, s7
	s_addc_u32 s2, s26, s27
	s_addc_u32 s3, s3, 0
	s_mul_i32 s7, s6, s7
	s_add_u32 s2, s2, s7
	s_addc_u32 s3, 0, s3
	v_add_co_u32_e32 v2, vcc, s2, v2
	s_cmp_lg_u64 vcc, 0
	s_addc_u32 s26, s6, s3
	s_ashr_i32 s2, s51, 31
	s_add_u32 s6, s0, s2
	s_mov_b32 s3, s2
	s_addc_u32 s7, s51, s2
	s_xor_b64 s[6:7], s[6:7], s[2:3]
	v_readfirstlane_b32 s40, v2
	s_mul_i32 s27, s6, s26
	s_mul_hi_u32 s41, s6, s40
	s_mul_hi_u32 s3, s6, s26
	s_add_u32 s27, s41, s27
	s_addc_u32 s3, 0, s3
	s_mul_hi_u32 s42, s7, s40
	s_mul_i32 s40, s7, s40
	s_add_u32 s27, s27, s40
	s_mul_hi_u32 s41, s7, s26
	s_addc_u32 s3, s3, s42
	s_addc_u32 s27, s41, 0
	s_mul_i32 s26, s7, s26
	s_add_u32 s3, s3, s26
	s_addc_u32 s26, 0, s27
	s_mul_hi_u32 s27, s33, s3
	s_mul_i32 s3, s33, s3
	s_mul_i32 s26, s33, s26
	v_mov_b32_e32 v2, s3
	s_add_i32 s27, s27, s26
	v_sub_co_u32_e32 v2, vcc, s6, v2
	s_cmp_lg_u64 vcc, 0
	s_subb_u32 s3, s7, s27
	v_subrev_co_u32_e32 v3, vcc, s33, v2
	s_cmp_lg_u64 vcc, 0
	s_subb_u32 s6, s3, 0
	v_subrev_co_u32_e32 v4, vcc, s33, v3
	s_cmp_lg_u64 vcc, 0
	s_subb_u32 s7, s6, 0
	v_cmp_le_u32_e32 vcc, s33, v3
	s_cmp_eq_u32 s6, 0
	v_cndmask_b32_e64 v5, 0, -1, vcc
	s_cselect_b64 vcc, -1, 0
	v_cndmask_b32_e32 v5, -1, v5, vcc
	v_mov_b32_e32 v6, s6
	v_mov_b32_e32 v7, s7
	v_cmp_ne_u32_e32 vcc, 0, v5
	v_cndmask_b32_e32 v5, v6, v7, vcc
	v_cndmask_b32_e32 v3, v3, v4, vcc
	v_cmp_le_u32_e32 vcc, s33, v2
	s_cmp_eq_u32 s3, 0
	v_cndmask_b32_e64 v4, 0, -1, vcc
	s_cselect_b64 vcc, -1, 0
	v_cndmask_b32_e32 v4, -1, v4, vcc
	v_cmp_ne_u32_e32 vcc, 0, v4
	v_mov_b32_e32 v6, s3
	v_cndmask_b32_e32 v2, v2, v3, vcc
	v_cndmask_b32_e32 v4, v6, v5, vcc
	v_xor_b32_e32 v2, s2, v2
	v_xor_b32_e32 v3, s2, v4
	v_mov_b32_e32 v4, s2
	v_subrev_co_u32_e32 v2, vcc, s2, v2
	v_subb_co_u32_e32 v3, vcc, v3, v4, vcc
	s_cbranch_execnz .LBB39_251
.LBB39_250:                             ;   in Loop: Header=BB39_33 Depth=1
	v_cvt_f32_u32_e32 v2, s33
	s_sub_i32 s2, 0, s33
	v_readlane_b32 s0, v55, 27
	v_rcp_iflag_f32_e32 v2, v2
	v_mul_f32_e32 v2, 0x4f7ffffe, v2
	v_cvt_u32_f32_e32 v2, v2
	v_mul_lo_u32 v3, s2, v2
	v_mul_hi_u32 v3, v2, v3
	v_add_u32_e32 v2, v2, v3
	v_mul_hi_u32 v2, s0, v2
	v_mul_lo_u32 v2, v2, s33
	v_sub_u32_e32 v2, s0, v2
	v_subrev_u32_e32 v3, s33, v2
	v_cmp_le_u32_e32 vcc, s33, v2
	v_cndmask_b32_e32 v2, v2, v3, vcc
	v_subrev_u32_e32 v3, s33, v2
	v_cmp_le_u32_e32 vcc, s33, v2
	v_cndmask_b32_e32 v12, v2, v3, vcc
	v_pk_mov_b32 v[2:3], v[12:13], v[12:13] op_sel:[0,1]
.LBB39_251:                             ;   in Loop: Header=BB39_33 Depth=1
	v_readlane_b32 s0, v55, 27
	v_mov_b32_e32 v4, s51
	v_sub_co_u32_e32 v2, vcc, s0, v2
	v_subb_co_u32_e32 v3, vcc, v4, v3, vcc
	v_cmp_gt_i64_e32 vcc, v[2:3], v[0:1]
	s_mov_b64 s[40:41], 0
                                        ; implicit-def: $vgpr53
	s_and_saveexec_b64 s[2:3], vcc
	s_cbranch_execz .LBB39_264
; %bb.252:                              ;   in Loop: Header=BB39_33 Depth=1
	s_mov_b64 s[26:27], 0
	v_pk_mov_b32 v[4:5], v[10:11], v[10:11] op_sel:[0,1]
	v_pk_mov_b32 v[6:7], v[0:1], v[0:1] op_sel:[0,1]
                                        ; implicit-def: $sgpr40_sgpr41
	s_branch .LBB39_254
.LBB39_253:                             ;   in Loop: Header=BB39_254 Depth=2
	s_or_b64 exec, exec, s[6:7]
	s_waitcnt lgkmcnt(0)
	s_barrier
	s_waitcnt vmcnt(0)
	ds_read_b32 v8, v13 offset:3072
	v_mov_b32_e32 v9, s84
	v_add_co_u32_e64 v6, s[6:7], s33, v6
	v_addc_co_u32_e64 v7, s[6:7], v7, v9, s[6:7]
	s_waitcnt lgkmcnt(0)
	v_cmp_ne_u16_e32 vcc, 0, v8
	v_cmp_ge_i64_e64 s[6:7], v[6:7], v[2:3]
	s_or_b64 s[42:43], vcc, s[6:7]
	v_mov_b32_e32 v9, s77
	v_add_co_u32_e64 v4, s[6:7], s76, v4
	v_addc_co_u32_e64 v5, s[6:7], v5, v9, s[6:7]
	s_and_b64 s[6:7], exec, s[42:43]
	s_or_b64 s[26:27], s[6:7], s[26:27]
	s_andn2_b64 s[6:7], s[40:41], exec
	s_and_b64 s[40:41], vcc, exec
	s_or_b64 s[40:41], s[6:7], s[40:41]
	s_barrier
	s_andn2_b64 exec, exec, s[26:27]
	s_cbranch_execz .LBB39_263
.LBB39_254:                             ;   Parent Loop BB39_33 Depth=1
                                        ; =>  This Inner Loop Header: Depth=2
	v_cmp_gt_i64_e32 vcc, s[52:53], v[6:7]
	v_mov_b32_e32 v8, 0
	s_and_saveexec_b64 s[6:7], vcc
	s_cbranch_execz .LBB39_256
; %bb.255:                              ;   in Loop: Header=BB39_254 Depth=2
	global_load_ushort v8, v[4:5], off
.LBB39_256:                             ;   in Loop: Header=BB39_254 Depth=2
	s_or_b64 exec, exec, s[6:7]
	s_and_saveexec_b64 s[6:7], vcc
	s_cbranch_execz .LBB39_253
; %bb.257:                              ;   in Loop: Header=BB39_254 Depth=2
	s_waitcnt vmcnt(0)
	v_add_u32_sdwa v9, sext(v8), s95 dst_sel:DWORD dst_unused:UNUSED_PAD src0_sel:WORD_0 src1_sel:DWORD
	v_and_b32_e32 v9, s60, v9
	v_cmp_eq_u32_e32 vcc, s61, v9
	s_and_b64 exec, exec, vcc
	s_cbranch_execz .LBB39_253
; %bb.258:                              ;   in Loop: Header=BB39_254 Depth=2
	v_perm_b32 v8, v8, 1, v52
	ds_write_b32 v13, v8 offset:3072
	s_branch .LBB39_253
.LBB39_259:                             ;   in Loop: Header=BB39_33 Depth=1
                                        ; implicit-def: $sgpr2_sgpr3
                                        ; implicit-def: $sgpr26_sgpr27
                                        ; implicit-def: $sgpr6_sgpr7
	s_branch .LBB39_278
.LBB39_260:                             ;   in Loop: Header=BB39_33 Depth=1
                                        ; implicit-def: $vgpr2_vgpr3
	s_branch .LBB39_203
.LBB39_261:                             ;   in Loop: Header=BB39_33 Depth=1
                                        ; implicit-def: $vgpr2_vgpr3
	s_branch .LBB39_220
.LBB39_262:                             ;   in Loop: Header=BB39_33 Depth=1
	s_mov_b64 s[2:3], -1
	s_mov_b64 s[40:41], 0
                                        ; implicit-def: $sgpr6_sgpr7
                                        ; implicit-def: $vgpr53
	s_mov_b64 s[26:27], s[2:3]
	s_cbranch_execnz .LBB39_265
	s_branch .LBB39_278
.LBB39_263:                             ;   in Loop: Header=BB39_33 Depth=1
	s_or_b64 exec, exec, s[26:27]
	v_lshrrev_b32_e32 v53, 16, v8
	s_and_b64 s[40:41], s[40:41], exec
.LBB39_264:                             ;   in Loop: Header=BB39_33 Depth=1
	s_or_b64 exec, exec, s[2:3]
	s_mov_b64 s[6:7], -1
	s_mov_b64 s[2:3], 0
	s_mov_b64 s[26:27], s[2:3]
	s_branch .LBB39_278
.LBB39_265:                             ;   in Loop: Header=BB39_33 Depth=1
	v_readlane_b32 s0, v55, 26
	s_add_u32 s26, s0, s38
	v_readlane_b32 s0, v55, 28
	s_addc_u32 s3, s0, s39
	s_mov_b32 s2, s75
	s_cmp_lg_u64 s[2:3], 0
	s_cbranch_scc0 .LBB39_299
; %bb.266:                              ;   in Loop: Header=BB39_33 Depth=1
	v_cvt_f32_u32_e32 v2, s33
	s_sub_u32 s2, 0, s33
	s_subb_u32 s6, 0, 0
	v_mac_f32_e32 v2, 0x4f800000, v51
	v_rcp_f32_e32 v2, v2
	v_mul_f32_e32 v2, 0x5f7ffffc, v2
	v_mul_f32_e32 v3, 0x2f800000, v2
	v_trunc_f32_e32 v3, v3
	v_mac_f32_e32 v2, 0xcf800000, v3
	v_cvt_u32_f32_e32 v3, v3
	v_cvt_u32_f32_e32 v2, v2
	v_readfirstlane_b32 s7, v3
	v_readfirstlane_b32 s27, v2
	s_mul_i32 s40, s2, s7
	s_mul_hi_u32 s42, s2, s27
	s_mul_i32 s41, s6, s27
	s_add_i32 s40, s42, s40
	s_mul_i32 s43, s2, s27
	s_add_i32 s40, s40, s41
	s_mul_hi_u32 s42, s27, s43
	s_mul_hi_u32 s41, s27, s40
	s_mul_i32 s27, s27, s40
	s_add_u32 s27, s42, s27
	s_addc_u32 s41, 0, s41
	s_mul_hi_u32 s44, s7, s43
	s_mul_i32 s43, s7, s43
	s_add_u32 s27, s27, s43
	s_mul_hi_u32 s42, s7, s40
	s_addc_u32 s27, s41, s44
	s_addc_u32 s41, s42, 0
	s_mul_i32 s40, s7, s40
	s_add_u32 s27, s27, s40
	s_addc_u32 s40, 0, s41
	v_add_co_u32_e32 v2, vcc, s27, v2
	s_cmp_lg_u64 vcc, 0
	s_addc_u32 s7, s7, s40
	v_readfirstlane_b32 s40, v2
	s_mul_i32 s27, s2, s7
	s_mul_hi_u32 s41, s2, s40
	s_add_i32 s27, s41, s27
	s_mul_i32 s6, s6, s40
	s_add_i32 s27, s27, s6
	s_mul_i32 s2, s2, s40
	s_mul_hi_u32 s41, s7, s2
	s_mul_i32 s42, s7, s2
	s_mul_i32 s44, s40, s27
	s_mul_hi_u32 s2, s40, s2
	s_mul_hi_u32 s43, s40, s27
	s_add_u32 s2, s2, s44
	s_addc_u32 s40, 0, s43
	s_add_u32 s2, s2, s42
	s_mul_hi_u32 s6, s7, s27
	s_addc_u32 s2, s40, s41
	s_addc_u32 s6, s6, 0
	s_mul_i32 s27, s7, s27
	s_add_u32 s2, s2, s27
	s_addc_u32 s6, 0, s6
	v_add_co_u32_e32 v2, vcc, s2, v2
	s_cmp_lg_u64 vcc, 0
	s_addc_u32 s2, s7, s6
	s_ashr_i32 s6, s3, 31
	s_add_u32 s40, s26, s6
	s_mov_b32 s7, s6
	s_addc_u32 s41, s3, s6
	s_xor_b64 s[40:41], s[40:41], s[6:7]
	v_readfirstlane_b32 s42, v2
	s_mul_i32 s27, s40, s2
	s_mul_hi_u32 s43, s40, s42
	s_mul_hi_u32 s7, s40, s2
	s_add_u32 s27, s43, s27
	s_addc_u32 s7, 0, s7
	s_mul_hi_u32 s44, s41, s42
	s_mul_i32 s42, s41, s42
	s_add_u32 s27, s27, s42
	s_mul_hi_u32 s43, s41, s2
	s_addc_u32 s7, s7, s44
	s_addc_u32 s27, s43, 0
	s_mul_i32 s2, s41, s2
	s_add_u32 s2, s7, s2
	s_addc_u32 s7, 0, s27
	s_mul_hi_u32 s27, s33, s2
	s_mul_i32 s2, s33, s2
	s_mul_i32 s7, s33, s7
	v_mov_b32_e32 v2, s2
	s_add_i32 s27, s27, s7
	v_sub_co_u32_e32 v2, vcc, s40, v2
	s_cmp_lg_u64 vcc, 0
	s_subb_u32 s2, s41, s27
	v_subrev_co_u32_e32 v3, vcc, s33, v2
	s_cmp_lg_u64 vcc, 0
	s_subb_u32 s7, s2, 0
	v_subrev_co_u32_e32 v4, vcc, s33, v3
	s_cmp_lg_u64 vcc, 0
	s_subb_u32 s27, s7, 0
	v_cmp_le_u32_e32 vcc, s33, v3
	s_cmp_eq_u32 s7, 0
	v_cndmask_b32_e64 v5, 0, -1, vcc
	s_cselect_b64 vcc, -1, 0
	v_cndmask_b32_e32 v5, -1, v5, vcc
	v_mov_b32_e32 v6, s7
	v_mov_b32_e32 v7, s27
	v_cmp_ne_u32_e32 vcc, 0, v5
	v_cndmask_b32_e32 v5, v6, v7, vcc
	v_cndmask_b32_e32 v3, v3, v4, vcc
	v_cmp_le_u32_e32 vcc, s33, v2
	s_cmp_eq_u32 s2, 0
	v_cndmask_b32_e64 v4, 0, -1, vcc
	s_cselect_b64 vcc, -1, 0
	v_cndmask_b32_e32 v4, -1, v4, vcc
	v_cmp_ne_u32_e32 vcc, 0, v4
	v_mov_b32_e32 v6, s2
	v_cndmask_b32_e32 v2, v2, v3, vcc
	v_cndmask_b32_e32 v4, v6, v5, vcc
	v_xor_b32_e32 v2, s6, v2
	v_xor_b32_e32 v3, s6, v4
	v_mov_b32_e32 v4, s6
	v_subrev_co_u32_e32 v2, vcc, s6, v2
	v_subb_co_u32_e32 v3, vcc, v3, v4, vcc
	s_cbranch_execnz .LBB39_268
.LBB39_267:                             ;   in Loop: Header=BB39_33 Depth=1
	v_cvt_f32_u32_e32 v2, s33
	s_sub_i32 s2, 0, s33
	v_rcp_iflag_f32_e32 v2, v2
	v_mul_f32_e32 v2, 0x4f7ffffe, v2
	v_cvt_u32_f32_e32 v2, v2
	v_mul_lo_u32 v3, s2, v2
	v_mul_hi_u32 v3, v2, v3
	v_add_u32_e32 v2, v2, v3
	v_mul_hi_u32 v2, s26, v2
	v_mul_lo_u32 v2, v2, s33
	v_sub_u32_e32 v2, s26, v2
	v_subrev_u32_e32 v3, s33, v2
	v_cmp_le_u32_e32 vcc, s33, v2
	v_cndmask_b32_e32 v2, v2, v3, vcc
	v_subrev_u32_e32 v3, s33, v2
	v_cmp_le_u32_e32 vcc, s33, v2
	v_cndmask_b32_e32 v12, v2, v3, vcc
	v_pk_mov_b32 v[2:3], v[12:13], v[12:13] op_sel:[0,1]
.LBB39_268:                             ;   in Loop: Header=BB39_33 Depth=1
	v_mov_b32_e32 v4, s3
	v_sub_co_u32_e32 v2, vcc, s26, v2
	v_subb_co_u32_e32 v3, vcc, v4, v3, vcc
	v_cmp_gt_i64_e32 vcc, v[2:3], v[0:1]
	s_mov_b64 s[40:41], 0
                                        ; implicit-def: $vgpr53
	s_and_saveexec_b64 s[2:3], vcc
	s_cbranch_execz .LBB39_277
; %bb.269:                              ;   in Loop: Header=BB39_33 Depth=1
	s_mov_b64 s[26:27], 0
	v_mov_b32_e32 v6, v43
	v_pk_mov_b32 v[4:5], v[0:1], v[0:1] op_sel:[0,1]
                                        ; implicit-def: $sgpr40_sgpr41
	s_branch .LBB39_271
.LBB39_270:                             ;   in Loop: Header=BB39_271 Depth=2
	s_or_b64 exec, exec, s[6:7]
	s_waitcnt lgkmcnt(0)
	s_barrier
	ds_read_b32 v7, v13 offset:3072
	v_mov_b32_e32 v8, s84
	v_add_co_u32_e64 v4, s[6:7], s33, v4
	v_addc_co_u32_e64 v5, s[6:7], v5, v8, s[6:7]
	s_waitcnt lgkmcnt(0)
	v_cmp_ne_u16_e32 vcc, 0, v7
	v_cmp_ge_i64_e64 s[6:7], v[4:5], v[2:3]
	s_or_b64 s[6:7], vcc, s[6:7]
	s_and_b64 s[6:7], exec, s[6:7]
	s_or_b64 s[26:27], s[6:7], s[26:27]
	s_andn2_b64 s[6:7], s[40:41], exec
	s_and_b64 s[40:41], vcc, exec
	v_add_u32_e32 v6, s94, v6
	s_or_b64 s[40:41], s[6:7], s[40:41]
	s_barrier
	s_andn2_b64 exec, exec, s[26:27]
	s_cbranch_execz .LBB39_276
.LBB39_271:                             ;   Parent Loop BB39_33 Depth=1
                                        ; =>  This Inner Loop Header: Depth=2
	v_cmp_gt_i64_e32 vcc, s[38:39], v[4:5]
	v_mov_b32_e32 v7, 0
	s_and_saveexec_b64 s[6:7], vcc
	s_cbranch_execz .LBB39_273
; %bb.272:                              ;   in Loop: Header=BB39_271 Depth=2
	ds_read_u16 v7, v6
.LBB39_273:                             ;   in Loop: Header=BB39_271 Depth=2
	s_or_b64 exec, exec, s[6:7]
	s_and_saveexec_b64 s[6:7], vcc
	s_cbranch_execz .LBB39_270
; %bb.274:                              ;   in Loop: Header=BB39_271 Depth=2
	s_waitcnt lgkmcnt(0)
	v_add_u32_sdwa v8, sext(v7), s95 dst_sel:DWORD dst_unused:UNUSED_PAD src0_sel:WORD_0 src1_sel:DWORD
	v_and_b32_e32 v8, s60, v8
	v_cmp_eq_u32_e32 vcc, s61, v8
	s_and_b64 exec, exec, vcc
	s_cbranch_execz .LBB39_270
; %bb.275:                              ;   in Loop: Header=BB39_271 Depth=2
	v_perm_b32 v7, v7, 1, v52
	ds_write_b32 v13, v7 offset:3072
	s_branch .LBB39_270
.LBB39_276:                             ;   in Loop: Header=BB39_33 Depth=1
	s_or_b64 exec, exec, s[26:27]
	v_lshrrev_b32_e32 v53, 16, v7
	s_and_b64 s[40:41], s[40:41], exec
.LBB39_277:                             ;   in Loop: Header=BB39_33 Depth=1
	s_or_b64 exec, exec, s[2:3]
	s_mov_b64 s[26:27], -1
	s_mov_b64 s[2:3], 0
	s_mov_b64 s[6:7], 0
.LBB39_278:                             ;   in Loop: Header=BB39_33 Depth=1
	s_mov_b64 s[42:43], 0
                                        ; implicit-def: $sgpr47
                                        ; implicit-def: $sgpr44_sgpr45
	s_and_saveexec_b64 s[38:39], s[40:41]
	s_cbranch_execz .LBB39_291
; %bb.279:                              ;   in Loop: Header=BB39_33 Depth=1
	s_xor_b64 s[16:17], s[16:17], -1
	s_mov_b64 s[44:45], 1
	s_andn2_b64 vcc, exec, s[16:17]
	s_mov_b32 s47, 1
	s_cbranch_vccnz .LBB39_290
; %bb.280:                              ;   in Loop: Header=BB39_33 Depth=1
	v_pk_mov_b32 v[2:3], s[10:11], s[10:11] op_sel:[0,1]
	v_cmp_gt_i64_e32 vcc, s[54:55], v[2:3]
	s_cbranch_vccnz .LBB39_286
; %bb.281:                              ;   in Loop: Header=BB39_33 Depth=1
	ds_read_b64 v[2:3], v13 offset:5120
	s_waitcnt lgkmcnt(0)
	v_cmp_ne_u64_e32 vcc, 0, v[2:3]
	s_cbranch_vccnz .LBB39_285
; %bb.282:                              ;   in Loop: Header=BB39_33 Depth=1
	v_readlane_b32 s0, v55, 14
	v_readlane_b32 s1, v55, 15
	s_and_saveexec_b64 s[16:17], s[0:1]
	s_cbranch_execz .LBB39_284
; %bb.283:                              ;   in Loop: Header=BB39_33 Depth=1
	v_pk_mov_b32 v[2:3], s[10:11], s[10:11] op_sel:[0,1]
	ds_write_b64 v13, v[2:3] offset:5128
.LBB39_284:                             ;   in Loop: Header=BB39_33 Depth=1
	s_or_b64 exec, exec, s[16:17]
	s_waitcnt lgkmcnt(0)
	s_barrier
.LBB39_285:                             ;   in Loop: Header=BB39_33 Depth=1
	s_or_b32 s40, s61, s46
	s_or_b32 s41, s60, s46
	s_mov_b64 s[16:17], 0
	s_mov_b32 s47, 8
	s_branch .LBB39_287
.LBB39_286:                             ;   in Loop: Header=BB39_33 Depth=1
	s_mov_b64 s[16:17], -1
                                        ; implicit-def: $sgpr47
                                        ; implicit-def: $sgpr40
                                        ; implicit-def: $sgpr41
.LBB39_287:                             ;   in Loop: Header=BB39_33 Depth=1
	s_andn2_b64 vcc, exec, s[16:17]
	s_cbranch_vccnz .LBB39_289
; %bb.288:                              ;   in Loop: Header=BB39_33 Depth=1
	s_sub_u32 s54, s54, s10
	s_subb_u32 s55, s55, s11
	s_mov_b32 s47, 8
	s_mov_b32 s40, s61
	;; [unrolled: 1-line block ×3, first 2 shown]
.LBB39_289:                             ;   in Loop: Header=BB39_33 Depth=1
	s_mov_b64 s[44:45], s[54:55]
	s_mov_b32 s61, s40
	s_mov_b32 s60, s41
.LBB39_290:                             ;   in Loop: Header=BB39_33 Depth=1
	s_mov_b64 s[42:43], exec
.LBB39_291:                             ;   in Loop: Header=BB39_33 Depth=1
	s_or_b64 exec, exec, s[38:39]
	s_mov_b64 s[54:55], s[44:45]
.LBB39_292:                             ;   in Loop: Header=BB39_33 Depth=1
	s_andn2_b64 s[10:11], s[28:29], exec
	s_and_b64 s[2:3], s[2:3], exec
	s_or_b64 s[28:29], s[10:11], s[2:3]
	s_andn2_b64 s[2:3], s[34:35], exec
	s_and_b64 s[10:11], s[26:27], exec
	s_or_b64 s[34:35], s[2:3], s[10:11]
	s_andn2_b64 s[2:3], s[30:31], exec
	s_and_b64 s[6:7], s[6:7], exec
	v_readlane_b32 s4, v55, 44
	s_or_b64 s[30:31], s[2:3], s[6:7]
	s_and_b64 s[6:7], s[42:43], exec
	v_readlane_b32 s5, v55, 45
	s_mov_b64 s[42:43], s[8:9]
.LBB39_293:                             ;   in Loop: Header=BB39_33 Depth=1
	s_or_b64 exec, exec, s[36:37]
	s_mov_b64 s[36:37], s[56:57]
.LBB39_294:                             ;   in Loop: Header=BB39_33 Depth=1
	s_andn2_b64 s[2:3], s[20:21], exec
	s_and_b64 s[10:11], s[28:29], exec
	s_or_b64 s[20:21], s[2:3], s[10:11]
	s_andn2_b64 s[2:3], s[22:23], exec
	s_and_b64 s[10:11], s[34:35], exec
	s_or_b64 s[22:23], s[2:3], s[10:11]
	s_andn2_b64 s[2:3], s[18:19], exec
	s_and_b64 s[10:11], s[30:31], exec
	s_or_b64 s[18:19], s[2:3], s[10:11]
	s_and_b64 s[6:7], s[6:7], exec
	v_readlane_b32 s34, v55, 46
.LBB39_295:                             ;   in Loop: Header=BB39_33 Depth=1
	s_or_b64 exec, exec, s[24:25]
	s_and_saveexec_b64 s[2:3], s[6:7]
	s_xor_b64 s[2:3], exec, s[2:3]
	s_cbranch_execz .LBB39_31
.LBB39_296:                             ;   in Loop: Header=BB39_33 Depth=1
	s_and_b32 s6, s47, -9
	s_cmp_eq_u32 s6, 0
	s_cbranch_scc1 .LBB39_29
; %bb.297:                              ;   in Loop: Header=BB39_33 Depth=1
	s_mov_b64 s[6:7], -1
                                        ; implicit-def: $sgpr60
                                        ; implicit-def: $sgpr67
                                        ; implicit-def: $sgpr85
	s_mov_b64 s[10:11], -1
	s_branch .LBB39_30
.LBB39_298:                             ;   in Loop: Header=BB39_33 Depth=1
                                        ; implicit-def: $vgpr2_vgpr3
	s_branch .LBB39_250
.LBB39_299:                             ;   in Loop: Header=BB39_33 Depth=1
                                        ; implicit-def: $vgpr2_vgpr3
	s_branch .LBB39_267
.LBB39_300:
	s_or_b64 exec, exec, s[70:71]
	s_xor_b64 s[6:7], s[86:87], -1
	s_xor_b64 s[0:1], s[72:73], -1
	;; [unrolled: 1-line block ×3, first 2 shown]
	s_mov_b64 s[2:3], 0
	s_and_saveexec_b64 s[8:9], s[0:1]
	s_xor_b64 s[0:1], exec, s[8:9]
	s_cbranch_execnz .LBB39_305
; %bb.301:
	s_andn2_saveexec_b64 s[0:1], s[0:1]
	s_cbranch_execnz .LBB39_327
.LBB39_302:
	s_or_b64 exec, exec, s[0:1]
	s_and_saveexec_b64 s[0:1], s[2:3]
.LBB39_303:
	; divergent unreachable
.LBB39_304:
	s_endpgm
.LBB39_305:
	s_and_saveexec_b64 s[2:3], s[6:7]
	s_xor_b64 s[2:3], exec, s[2:3]
	s_cbranch_execz .LBB39_325
; %bb.306:
	s_and_saveexec_b64 s[6:7], s[4:5]
	s_xor_b64 s[4:5], exec, s[6:7]
; %bb.307:
	v_xor_b32_e32 v53, 0xffff8000, v2
; %bb.308:
	s_or_b64 exec, exec, s[4:5]
	s_mov_b64 s[4:5], exec
	v_readlane_b32 s6, v55, 14
	v_readlane_b32 s7, v55, 15
	s_and_b64 s[6:7], s[4:5], s[6:7]
	s_mov_b64 exec, s[6:7]
	s_cbranch_execz .LBB39_310
; %bb.309:
	v_mov_b32_e32 v2, 0
	v_mov_b32_e32 v3, s52
	ds_write_b32 v2, v3 offset:5140
.LBB39_310:
	s_or_b64 exec, exec, s[4:5]
	s_waitcnt lgkmcnt(0)
	s_barrier
	s_mov_b64 s[4:5], exec
	v_readlane_b32 s6, v55, 22
	v_readlane_b32 s7, v55, 23
	s_and_b64 s[6:7], s[4:5], s[6:7]
	s_mov_b64 exec, s[6:7]
	s_cbranch_execz .LBB39_322
; %bb.311:
	v_mov_b32_e32 v2, 0
	ds_read_b32 v4, v2 offset:5140
	s_mov_b64 s[6:7], 0
                                        ; implicit-def: $sgpr8_sgpr9
                                        ; implicit-def: $sgpr10_sgpr11
                                        ; implicit-def: $sgpr12_sgpr13
	s_waitcnt lgkmcnt(0)
	v_ashrrev_i32_e32 v5, 31, v4
	s_branch .LBB39_314
.LBB39_312:                             ;   in Loop: Header=BB39_314 Depth=1
	s_or_b64 exec, exec, s[18:19]
	s_andn2_b64 s[12:13], s[12:13], exec
	s_and_b64 s[16:17], s[16:17], exec
	s_or_b64 s[12:13], s[12:13], s[16:17]
	s_andn2_b64 s[10:11], s[10:11], exec
	s_and_b64 s[16:17], s[20:21], exec
	s_or_b64 s[10:11], s[10:11], s[16:17]
.LBB39_313:                             ;   in Loop: Header=BB39_314 Depth=1
	s_or_b64 exec, exec, s[14:15]
	s_and_b64 s[14:15], exec, s[10:11]
	s_or_b64 s[6:7], s[14:15], s[6:7]
	s_andn2_b64 s[8:9], s[8:9], exec
	s_and_b64 s[14:15], s[12:13], exec
	s_or_b64 s[8:9], s[8:9], s[14:15]
	s_andn2_b64 exec, exec, s[6:7]
	s_cbranch_execz .LBB39_317
.LBB39_314:                             ; =>This Inner Loop Header: Depth=1
	v_pk_mov_b32 v[2:3], v[0:1], v[0:1] op_sel:[0,1]
	v_cmp_lt_i64_e32 vcc, v[2:3], v[4:5]
	s_or_b64 s[12:13], s[12:13], exec
	s_or_b64 s[10:11], s[10:11], exec
                                        ; implicit-def: $vgpr0_vgpr1
	s_and_saveexec_b64 s[14:15], vcc
	s_cbranch_execz .LBB39_313
; %bb.315:                              ;   in Loop: Header=BB39_314 Depth=1
	global_load_ushort v0, v[10:11], off
	s_mov_b64 s[20:21], -1
	s_mov_b64 s[16:17], 0
	s_waitcnt vmcnt(0)
	v_cmp_ne_u16_e32 vcc, v0, v53
                                        ; implicit-def: $vgpr0_vgpr1
	s_and_saveexec_b64 s[18:19], vcc
	s_cbranch_execz .LBB39_312
; %bb.316:                              ;   in Loop: Header=BB39_314 Depth=1
	v_mov_b32_e32 v1, s84
	v_add_co_u32_e32 v0, vcc, s33, v2
	v_addc_co_u32_e32 v1, vcc, v3, v1, vcc
	v_mov_b32_e32 v3, s77
	v_add_co_u32_e32 v10, vcc, s76, v10
	v_addc_co_u32_e32 v11, vcc, v11, v3, vcc
	v_cmp_le_i64_e32 vcc, s[52:53], v[0:1]
	s_mov_b64 s[16:17], exec
	s_orn2_b64 s[20:21], vcc, exec
	s_branch .LBB39_312
.LBB39_317:
	s_or_b64 exec, exec, s[6:7]
	s_xor_b64 s[6:7], s[8:9], -1
	s_and_saveexec_b64 s[8:9], s[6:7]
	s_xor_b64 s[8:9], exec, s[8:9]
	s_cbranch_execz .LBB39_322
; %bb.318:
	s_mov_b64 s[6:7], exec
	s_brev_b32 s8, -2
.LBB39_319:                             ; =>This Inner Loop Header: Depth=1
	s_ff1_i32_b64 s9, s[6:7]
	v_readlane_b32 s12, v2, s9
	s_lshl_b64 s[10:11], 1, s9
	s_min_i32 s8, s8, s12
	s_andn2_b64 s[6:7], s[6:7], s[10:11]
	s_cmp_lg_u64 s[6:7], 0
	s_cbranch_scc1 .LBB39_319
; %bb.320:
	v_mbcnt_lo_u32_b32 v0, exec_lo, 0
	v_mbcnt_hi_u32_b32 v0, exec_hi, v0
	v_cmp_eq_u32_e32 vcc, 0, v0
	s_and_saveexec_b64 s[6:7], vcc
	s_xor_b64 s[6:7], exec, s[6:7]
	s_cbranch_execz .LBB39_322
; %bb.321:
	v_mov_b32_e32 v0, 0
	v_mov_b32_e32 v1, s8
	ds_min_i32 v0, v1 offset:5140
.LBB39_322:
	s_or_b64 exec, exec, s[4:5]
	s_waitcnt lgkmcnt(0)
	s_barrier
	s_mov_b64 s[4:5], exec
	v_readlane_b32 s6, v55, 14
	v_readlane_b32 s7, v55, 15
	s_and_b64 s[6:7], s[4:5], s[6:7]
	s_mov_b64 exec, s[6:7]
	s_cbranch_execz .LBB39_324
; %bb.323:
	v_readlane_b32 s8, v55, 2
	v_readlane_b32 s9, v55, 3
	;; [unrolled: 1-line block ×4, first 2 shown]
	s_mul_i32 s6, s10, s9
	s_mul_hi_u32 s7, s10, s8
	s_add_i32 s6, s7, s6
	s_mul_i32 s7, s11, s8
	s_add_i32 s7, s6, s7
	s_mul_i32 s6, s10, s8
	v_readlane_b32 s10, v55, 10
	v_readlane_b32 s11, v55, 11
	s_mul_i32 s8, s10, s91
	s_mul_hi_u32 s9, s10, s90
	s_add_i32 s8, s9, s8
	s_mul_i32 s9, s11, s90
	s_add_i32 s9, s8, s9
	s_mul_i32 s8, s10, s90
	s_lshl_b64 s[6:7], s[6:7], 1
	v_readlane_b32 s10, v55, 8
	v_readlane_b32 s11, v55, 9
	s_add_u32 s10, s10, s6
	s_addc_u32 s11, s11, s7
	v_readlane_b32 s6, v55, 0
	v_readlane_b32 s7, v55, 1
	s_lshl_b64 s[6:7], s[6:7], 1
	s_add_u32 s6, s10, s6
	s_addc_u32 s7, s11, s7
	s_lshl_b64 s[8:9], s[8:9], 3
	v_readlane_b32 s10, v55, 12
	v_mov_b32_e32 v2, 0
	v_readlane_b32 s11, v55, 13
	s_add_u32 s10, s10, s8
	ds_read_b32 v0, v2 offset:5140
	s_addc_u32 s11, s11, s9
	v_readlane_b32 s8, v55, 6
	v_readlane_b32 s9, v55, 7
	s_lshl_b64 s[8:9], s[8:9], 3
	s_add_u32 s8, s10, s8
	s_addc_u32 s9, s11, s9
	s_waitcnt lgkmcnt(0)
	v_ashrrev_i32_e32 v1, 31, v0
	global_store_dwordx2 v2, v[0:1], s[8:9]
	global_store_short v2, v53, s[6:7]
.LBB39_324:
	s_or_b64 exec, exec, s[4:5]
.LBB39_325:
	s_or_saveexec_b64 s[2:3], s[2:3]
	s_mov_b64 s[4:5], 0
	s_xor_b64 exec, exec, s[2:3]
	s_cbranch_execnz .LBB39_328
.LBB39_326:
	s_or_b64 exec, exec, s[2:3]
	s_and_b64 s[2:3], s[4:5], exec
	s_andn2_saveexec_b64 s[0:1], s[0:1]
	s_cbranch_execz .LBB39_302
.LBB39_327:
	s_or_b64 s[2:3], s[2:3], exec
	s_trap 2
	s_or_b64 exec, exec, s[0:1]
	s_and_saveexec_b64 s[0:1], s[2:3]
	s_cbranch_execnz .LBB39_303
	s_branch .LBB39_304
.LBB39_328:
	s_mov_b64 s[4:5], exec
	s_trap 2
	s_branch .LBB39_326
	.section	.rodata,"a",@progbits
	.p2align	6, 0x0
	.amdhsa_kernel _ZN2at6native12_GLOBAL__N_114gatherKthValueIslLin1EEEvNS_4cuda6detail10TensorInfoIKT_T0_EES8_S8_S8_S8_NS5_IS6_S8_EENS5_IlS8_EE
		.amdhsa_group_segment_fixed_size 5144
		.amdhsa_private_segment_fixed_size 0
		.amdhsa_kernarg_size 1536
		.amdhsa_user_sgpr_count 6
		.amdhsa_user_sgpr_private_segment_buffer 1
		.amdhsa_user_sgpr_dispatch_ptr 0
		.amdhsa_user_sgpr_queue_ptr 0
		.amdhsa_user_sgpr_kernarg_segment_ptr 1
		.amdhsa_user_sgpr_dispatch_id 0
		.amdhsa_user_sgpr_flat_scratch_init 0
		.amdhsa_user_sgpr_kernarg_preload_length 0
		.amdhsa_user_sgpr_kernarg_preload_offset 0
		.amdhsa_user_sgpr_private_segment_size 0
		.amdhsa_uses_dynamic_stack 0
		.amdhsa_system_sgpr_private_segment_wavefront_offset 0
		.amdhsa_system_sgpr_workgroup_id_x 1
		.amdhsa_system_sgpr_workgroup_id_y 1
		.amdhsa_system_sgpr_workgroup_id_z 1
		.amdhsa_system_sgpr_workgroup_info 0
		.amdhsa_system_vgpr_workitem_id 0
		.amdhsa_next_free_vgpr 56
		.amdhsa_next_free_sgpr 96
		.amdhsa_accum_offset 56
		.amdhsa_reserve_vcc 1
		.amdhsa_reserve_flat_scratch 0
		.amdhsa_float_round_mode_32 0
		.amdhsa_float_round_mode_16_64 0
		.amdhsa_float_denorm_mode_32 3
		.amdhsa_float_denorm_mode_16_64 3
		.amdhsa_dx10_clamp 1
		.amdhsa_ieee_mode 1
		.amdhsa_fp16_overflow 0
		.amdhsa_tg_split 0
		.amdhsa_exception_fp_ieee_invalid_op 0
		.amdhsa_exception_fp_denorm_src 0
		.amdhsa_exception_fp_ieee_div_zero 0
		.amdhsa_exception_fp_ieee_overflow 0
		.amdhsa_exception_fp_ieee_underflow 0
		.amdhsa_exception_fp_ieee_inexact 0
		.amdhsa_exception_int_div_zero 0
	.end_amdhsa_kernel
	.section	.text._ZN2at6native12_GLOBAL__N_114gatherKthValueIslLin1EEEvNS_4cuda6detail10TensorInfoIKT_T0_EES8_S8_S8_S8_NS5_IS6_S8_EENS5_IlS8_EE,"axG",@progbits,_ZN2at6native12_GLOBAL__N_114gatherKthValueIslLin1EEEvNS_4cuda6detail10TensorInfoIKT_T0_EES8_S8_S8_S8_NS5_IS6_S8_EENS5_IlS8_EE,comdat
.Lfunc_end39:
	.size	_ZN2at6native12_GLOBAL__N_114gatherKthValueIslLin1EEEvNS_4cuda6detail10TensorInfoIKT_T0_EES8_S8_S8_S8_NS5_IS6_S8_EENS5_IlS8_EE, .Lfunc_end39-_ZN2at6native12_GLOBAL__N_114gatherKthValueIslLin1EEEvNS_4cuda6detail10TensorInfoIKT_T0_EES8_S8_S8_S8_NS5_IS6_S8_EENS5_IlS8_EE
                                        ; -- End function
	.section	.AMDGPU.csdata,"",@progbits
; Kernel info:
; codeLenInByte = 19032
; NumSgprs: 100
; NumVgprs: 56
; NumAgprs: 0
; TotalNumVgprs: 56
; ScratchSize: 0
; MemoryBound: 0
; FloatMode: 240
; IeeeMode: 1
; LDSByteSize: 5144 bytes/workgroup (compile time only)
; SGPRBlocks: 12
; VGPRBlocks: 6
; NumSGPRsForWavesPerEU: 100
; NumVGPRsForWavesPerEU: 56
; AccumOffset: 56
; Occupancy: 8
; WaveLimiterHint : 1
; COMPUTE_PGM_RSRC2:SCRATCH_EN: 0
; COMPUTE_PGM_RSRC2:USER_SGPR: 6
; COMPUTE_PGM_RSRC2:TRAP_HANDLER: 0
; COMPUTE_PGM_RSRC2:TGID_X_EN: 1
; COMPUTE_PGM_RSRC2:TGID_Y_EN: 1
; COMPUTE_PGM_RSRC2:TGID_Z_EN: 1
; COMPUTE_PGM_RSRC2:TIDIG_COMP_CNT: 0
; COMPUTE_PGM_RSRC3_GFX90A:ACCUM_OFFSET: 13
; COMPUTE_PGM_RSRC3_GFX90A:TG_SPLIT: 0
	.section	.text._ZN2at6native12_GLOBAL__N_114gatherKthValueIdiLi1EEEvNS_4cuda6detail10TensorInfoIKT_T0_EES8_S8_S8_S8_NS5_IS6_S8_EENS5_IlS8_EE,"axG",@progbits,_ZN2at6native12_GLOBAL__N_114gatherKthValueIdiLi1EEEvNS_4cuda6detail10TensorInfoIKT_T0_EES8_S8_S8_S8_NS5_IS6_S8_EENS5_IlS8_EE,comdat
	.globl	_ZN2at6native12_GLOBAL__N_114gatherKthValueIdiLi1EEEvNS_4cuda6detail10TensorInfoIKT_T0_EES8_S8_S8_S8_NS5_IS6_S8_EENS5_IlS8_EE ; -- Begin function _ZN2at6native12_GLOBAL__N_114gatherKthValueIdiLi1EEEvNS_4cuda6detail10TensorInfoIKT_T0_EES8_S8_S8_S8_NS5_IS6_S8_EENS5_IlS8_EE
	.p2align	8
	.type	_ZN2at6native12_GLOBAL__N_114gatherKthValueIdiLi1EEEvNS_4cuda6detail10TensorInfoIKT_T0_EES8_S8_S8_S8_NS5_IS6_S8_EENS5_IlS8_EE,@function
_ZN2at6native12_GLOBAL__N_114gatherKthValueIdiLi1EEEvNS_4cuda6detail10TensorInfoIKT_T0_EES8_S8_S8_S8_NS5_IS6_S8_EENS5_IlS8_EE: ; @_ZN2at6native12_GLOBAL__N_114gatherKthValueIdiLi1EEEvNS_4cuda6detail10TensorInfoIKT_T0_EES8_S8_S8_S8_NS5_IS6_S8_EENS5_IlS8_EE
; %bb.0:
	s_load_dwordx2 s[12:13], s[4:5], 0x298
	s_load_dwordx4 s[60:63], s[4:5], 0xd8
	s_add_u32 s10, s4, 0x298
	s_addc_u32 s11, s5, 0
	s_waitcnt lgkmcnt(0)
	s_mul_i32 s0, s13, s8
	s_add_i32 s0, s0, s7
	s_mul_i32 s0, s0, s12
	s_add_i32 s7, s0, s6
	s_cmp_ge_i32 s7, s62
	s_cbranch_scc1 .LBB40_250
; %bb.1:
	s_load_dwordx2 s[0:1], s[4:5], 0x1c0
                                        ; implicit-def: $vgpr54 : SGPR spill to VGPR lane
	s_mov_b32 s68, 0
	v_cmp_eq_u32_e64 s[14:15], 0, v0
	s_waitcnt lgkmcnt(0)
	v_writelane_b32 v54, s0, 0
	v_writelane_b32 v54, s1, 1
	s_load_dwordx2 s[0:1], s[4:5], 0xe8
	s_waitcnt lgkmcnt(0)
	v_writelane_b32 v54, s0, 2
	v_writelane_b32 v54, s1, 3
	s_load_dword s0, s[4:5], 0x6c
	s_load_dwordx2 s[2:3], s[4:5], 0x0
	s_mov_b64 s[8:9], exec
	v_writelane_b32 v54, s14, 4
	v_writelane_b32 v54, s15, 5
	s_and_b64 s[14:15], s[8:9], s[14:15]
	s_mov_b64 exec, s[14:15]
	s_cbranch_execz .LBB40_3
; %bb.2:
	v_mov_b32_e32 v2, 0
	v_mov_b32_e32 v3, s60
	;; [unrolled: 1-line block ×3, first 2 shown]
	ds_write_b96 v2, v[2:4] offset:4096
.LBB40_3:
	s_or_b64 exec, exec, s[8:9]
	s_load_dword s1, s[4:5], 0x22c
                                        ; kill: killed $sgpr4 killed $sgpr5
	s_waitcnt lgkmcnt(0)
	s_barrier
	s_mul_i32 s0, s0, s7
	v_writelane_b32 v54, s1, 6
	s_load_dword s1, s[4:5], 0x154
	v_mbcnt_lo_u32_b32 v1, -1, 0
	s_load_dword s4, s[10:11], 0xc
	v_mbcnt_hi_u32_b32 v23, -1, v1
	v_cmp_gt_u32_e32 vcc, 64, v0
	s_waitcnt lgkmcnt(0)
	v_writelane_b32 v54, s1, 7
	s_ashr_i32 s1, s0, 31
	s_lshl_b64 s[0:1], s[0:1], 3
	s_add_u32 s62, s2, s0
	s_addc_u32 s16, s3, s1
	s_and_b32 s33, s4, 0xffff
	v_cmp_gt_i32_e64 s[2:3], 4, v23
	s_add_i32 s0, s33, -1
	v_writelane_b32 v54, s7, 8
	s_lshl_b32 s1, s33, 2
	s_bfe_u32 s7, s4, 0xa0006
	s_and_b64 s[70:71], vcc, s[2:3]
	s_add_i32 s17, s0, s60
	s_cmpk_gt_i32 s60, 0x180
	v_writelane_b32 v54, s0, 9
	s_cselect_b64 s[2:3], -1, 0
	v_writelane_b32 v54, s2, 10
	s_cmp_gt_u32 s33, 63
	v_writelane_b32 v54, s3, 11
	s_cselect_b64 s[2:3], -1, 0
	s_cmp_lt_u32 s6, s12
	v_writelane_b32 v54, s2, 12
	s_cselect_b32 s0, 12, 18
	v_writelane_b32 v54, s3, 13
	s_add_u32 s2, s10, s0
	s_addc_u32 s3, s11, 0
	v_writelane_b32 v54, s2, 14
	s_add_i32 s0, s7, -2
	v_writelane_b32 v54, s3, 15
	s_lshr_b32 s2, s0, 1
	s_add_i32 s6, s2, 1
	s_cmpk_gt_u32 s33, 0x7f
	v_mov_b32_e32 v19, 0
	s_cselect_b64 s[2:3], -1, 0
	v_writelane_b32 v54, s2, 16
	v_mul_lo_u32 v16, v0, s63
	v_mov_b32_e32 v17, v19
	v_writelane_b32 v54, s3, 17
	v_cmp_gt_u32_e64 s[8:9], s60, v0
	v_lshlrev_b64 v[2:3], 3, v[16:17]
	v_writelane_b32 v54, s8, 18
	v_mov_b32_e32 v17, s16
	v_add_co_u32_e32 v20, vcc, s62, v2
	v_writelane_b32 v54, s9, 19
	v_addc_co_u32_e32 v21, vcc, v17, v3, vcc
	v_cmp_gt_i32_e64 s[8:9], s60, v0
	v_lshlrev_b64 v[2:3], v23, -1
	v_writelane_b32 v54, s8, 20
	v_not_b32_e32 v22, v2
	v_cvt_f32_u32_e32 v2, s1
	v_writelane_b32 v54, s9, 21
	s_and_b32 s8, s7, 0x3fe
	s_and_b32 s9, s6, 7
	s_cmp_gt_u32 s0, 13
	s_cselect_b64 s[10:11], -1, 0
	v_writelane_b32 v54, s10, 22
	v_rcp_iflag_f32_e32 v2, v2
	v_writelane_b32 v54, s11, 23
	s_and_b32 s0, s6, -8
	v_writelane_b32 v54, s0, 24
	s_cmp_lg_u32 s9, 0
	v_writelane_b32 v54, s9, 25
	s_cselect_b64 s[10:11], -1, 0
	v_writelane_b32 v54, s10, 26
	v_mul_f32_e32 v2, 0x4f7ffffe, v2
	v_writelane_b32 v54, s11, 27
	v_cvt_u32_f32_e32 v2, v2
	v_writelane_b32 v54, s7, 28
	s_cmp_lg_u32 s8, s7
	v_writelane_b32 v54, s8, 29
	s_cselect_b64 s[6:7], -1, 0
	v_writelane_b32 v54, s6, 30
	v_writelane_b32 v54, s7, 31
	s_sub_i32 s0, 0, s1
	v_readfirstlane_b32 s6, v2
	s_mul_i32 s0, s0, s6
	s_mul_hi_u32 s0, s6, s0
	s_add_i32 s8, s6, s0
	s_mul_hi_u32 s0, s60, s8
	s_mul_i32 s0, s0, s1
	s_sub_i32 s0, s60, s0
	s_sub_i32 s6, s0, s1
	s_cmp_ge_u32 s0, s1
	s_cselect_b32 s0, s6, s0
	s_sub_i32 s6, s0, s1
	v_cvt_f32_u32_e32 v5, s33
	s_cmp_ge_u32 s0, s1
	s_cselect_b32 s6, s6, s0
	s_sub_i32 s9, s60, s6
	v_add_u32_e32 v35, s9, v0
	v_rcp_iflag_f32_e32 v5, v5
	v_lshrrev_b32_e32 v1, 4, v0
	v_mul_lo_u32 v2, v35, s63
	v_lshlrev_b32_e32 v30, 2, v0
	v_and_b32_e32 v33, 60, v1
	v_not_b32_e32 v1, v3
	v_ashrrev_i32_e32 v3, 31, v2
	v_cmp_gt_i32_e64 s[10:11], s9, v30
	v_lshlrev_b64 v[2:3], 3, v[2:3]
	v_writelane_b32 v54, s10, 32
	v_add_co_u32_e32 v24, vcc, s62, v2
	v_mul_f32_e32 v2, 0x4f7ffffe, v5
	v_writelane_b32 v54, s11, 33
	v_cmp_gt_u32_e64 s[10:11], s60, v35
	v_cvt_u32_f32_e32 v2, v2
	v_writelane_b32 v54, s10, 34
	v_writelane_b32 v54, s11, 35
	v_cmp_gt_i32_e64 s[10:11], s60, v35
	v_writelane_b32 v54, s10, 36
	v_writelane_b32 v54, s11, 37
	s_sub_i32 s10, 0, s33
	v_readfirstlane_b32 s11, v2
	s_mul_i32 s10, s10, s11
	s_mul_hi_u32 s10, s11, s10
	s_abs_i32 s7, s17
	s_add_i32 s10, s11, s10
	v_writelane_b32 v54, s10, 38
	s_mul_hi_u32 s10, s7, s10
	s_mul_i32 s10, s10, s33
	s_sub_i32 s7, s7, s10
	s_ashr_i32 s0, s17, 31
	s_sub_i32 s10, s7, s33
	s_cmp_ge_u32 s7, s33
	s_cselect_b32 s7, s10, s7
	s_sub_i32 s10, s7, s33
	s_cmp_ge_u32 s7, s33
	s_cselect_b32 s7, s10, s7
	v_mul_lo_u32 v2, s63, v30
	s_xor_b32 s7, s7, s0
	v_add_u32_e32 v36, s63, v2
	v_or_b32_e32 v2, 2, v30
	s_sub_i32 s0, s0, s7
	v_mul_lo_u32 v37, s63, v2
	v_or_b32_e32 v2, 3, v30
	s_add_i32 s7, s33, s60
	s_add_i32 s17, s17, s0
	v_mul_lo_u32 v38, s63, v2
	v_add_u32_e32 v2, s7, v0
	v_lshlrev_b32_e32 v31, 3, v0
	v_lshlrev_b32_e32 v4, 2, v23
	v_mov_b32_e32 v6, s16
	v_cmp_gt_i32_e64 s[10:11], s17, v0
	s_mul_i32 s0, s63, s33
	v_subrev_u32_e32 v2, s6, v2
	v_cmp_eq_u32_e64 s[2:3], 0, v23
	v_cmp_gt_u32_e64 s[4:5], 2, v0
	v_add_u32_e32 v32, 0xc00, v31
	v_and_b32_e32 v34, 0x100, v4
	v_addc_co_u32_e32 v25, vcc, v6, v3, vcc
	v_writelane_b32 v54, s10, 39
	s_lshl_b32 s72, s0, 2
	v_lshlrev_b32_e32 v39, 2, v16
	v_mul_lo_u32 v40, s63, v2
	v_lshlrev_b32_e32 v41, 5, v0
	s_lshl_b32 s73, s33, 5
	s_lshl_b32 s74, s33, 3
	v_or_b32_e32 v42, 0xc00, v4
	s_mov_b32 s75, 62
	s_mov_b64 s[86:87], 0
	v_pk_mov_b32 v[6:7], 0, 0
	v_mov_b32_e32 v3, 0x3ff00000
	v_mov_b32_e32 v43, 0xc00
	s_mov_b32 s6, 0
	s_mov_b64 s[82:83], 0
	s_mov_b64 s[80:81], 0
	v_writelane_b32 v54, s11, 40
                                        ; implicit-def: $sgpr88_sgpr89
                                        ; implicit-def: $sgpr92_sgpr93
                                        ; implicit-def: $sgpr90_sgpr91
                                        ; implicit-def: $sgpr94_sgpr95
                                        ; implicit-def: $sgpr64_sgpr65
                                        ; implicit-def: $sgpr66_sgpr67
	s_branch .LBB40_8
.LBB40_4:                               ;   in Loop: Header=BB40_8 Depth=1
	s_xor_b32 s6, s6, 1
	s_add_i32 s7, s75, -2
	s_cmp_eq_u32 s75, 0
	s_mov_b64 s[20:21], 0
	s_cselect_b64 s[24:25], -1, 0
	s_mov_b32 s75, s7
.LBB40_5:                               ;   in Loop: Header=BB40_8 Depth=1
	s_andn2_b64 s[10:11], s[28:29], exec
	s_and_b64 s[12:13], s[20:21], exec
	s_or_b64 s[28:29], s[10:11], s[12:13]
	s_andn2_b64 s[34:35], s[34:35], exec
	s_andn2_b64 s[26:27], s[26:27], exec
	s_orn2_b64 s[24:25], s[24:25], exec
	s_mov_b32 s61, s43
.LBB40_6:                               ;   in Loop: Header=BB40_8 Depth=1
	s_or_b64 exec, exec, s[18:19]
	s_andn2_b64 s[10:11], s[66:67], exec
	s_and_b64 s[12:13], s[28:29], exec
	s_or_b64 s[66:67], s[10:11], s[12:13]
	s_andn2_b64 s[10:11], s[64:65], exec
	s_and_b64 s[12:13], s[34:35], exec
	s_or_b64 s[64:65], s[10:11], s[12:13]
	;; [unrolled: 3-line block ×3, first 2 shown]
	s_orn2_b64 s[24:25], s[24:25], exec
.LBB40_7:                               ;   in Loop: Header=BB40_8 Depth=1
	s_or_b64 exec, exec, s[22:23]
	s_and_b64 s[10:11], exec, s[24:25]
	s_or_b64 s[86:87], s[10:11], s[86:87]
	s_andn2_b64 s[10:11], s[90:91], exec
	s_and_b64 s[12:13], s[66:67], exec
	s_or_b64 s[90:91], s[10:11], s[12:13]
	s_andn2_b64 s[10:11], s[92:93], exec
	s_and_b64 s[12:13], s[64:65], exec
	;; [unrolled: 3-line block ×3, first 2 shown]
	s_waitcnt vmcnt(0)
	v_pk_mov_b32 v[4:5], s[82:83], s[82:83] op_sel:[0,1]
	s_or_b64 s[88:89], s[10:11], s[12:13]
	s_andn2_b64 exec, exec, s[86:87]
	s_cbranch_execz .LBB40_246
.LBB40_8:                               ; =>This Loop Header: Depth=1
                                        ;     Child Loop BB40_16 Depth 2
                                        ;     Child Loop BB40_35 Depth 2
	;; [unrolled: 1-line block ×17, first 2 shown]
	ds_read_b64 v[4:5], v19 offset:4096
	s_waitcnt lgkmcnt(0)
	v_readfirstlane_b32 s7, v4
	s_cmp_gt_i32 s7, 0
	s_cbranch_scc1 .LBB40_42
; %bb.9:                                ;   in Loop: Header=BB40_8 Depth=1
	v_readlane_b32 s10, v54, 10
	v_readlane_b32 s11, v54, 11
	s_and_b64 vcc, exec, s[10:11]
	s_cbranch_vccz .LBB40_24
; %bb.10:                               ;   in Loop: Header=BB40_8 Depth=1
	s_movk_i32 s10, 0x181
	v_cmp_gt_i32_e32 vcc, s10, v5
	s_mov_b64 s[20:21], 0
	s_mov_b64 s[18:19], 0
	s_cbranch_vccz .LBB40_29
; %bb.11:                               ;   in Loop: Header=BB40_8 Depth=1
	v_pk_mov_b32 v[4:5], 0, 0
	s_mov_b64 s[18:19], exec
	v_readlane_b32 s10, v54, 18
	v_readlane_b32 s11, v54, 19
	s_and_b64 s[10:11], s[18:19], s[10:11]
	s_mov_b64 exec, s[10:11]
	s_cbranch_execz .LBB40_13
; %bb.12:                               ;   in Loop: Header=BB40_8 Depth=1
	global_load_dwordx2 v[4:5], v[20:21], off
.LBB40_13:                              ;   in Loop: Header=BB40_8 Depth=1
	s_or_b64 exec, exec, s[18:19]
	s_mov_b64 s[22:23], exec
	v_readlane_b32 s10, v54, 18
	v_readlane_b32 s11, v54, 19
	s_and_b64 s[10:11], s[22:23], s[10:11]
	s_mov_b64 exec, s[10:11]
	s_cbranch_execz .LBB40_25
; %bb.14:                               ;   in Loop: Header=BB40_8 Depth=1
	v_readlane_b32 s10, v54, 14
	v_readlane_b32 s11, v54, 15
	s_mov_b64 s[24:25], 0
	v_mov_b32_e32 v11, v0
	s_nop 2
	global_load_ushort v2, v19, s[10:11]
	s_waitcnt vmcnt(0)
	v_add_u32_e32 v8, v0, v2
	v_mul_lo_u32 v10, s63, v2
	v_mul_lo_u32 v18, s63, v8
	s_branch .LBB40_16
.LBB40_15:                              ;   in Loop: Header=BB40_16 Depth=2
	s_or_b64 exec, exec, s[18:19]
	v_cmp_le_i32_e32 vcc, s60, v11
	v_add_u32_e32 v18, v18, v10
	s_or_b64 s[24:25], vcc, s[24:25]
	s_waitcnt vmcnt(0)
	v_pk_mov_b32 v[4:5], v[8:9], v[8:9] op_sel:[0,1]
	s_andn2_b64 exec, exec, s[24:25]
	s_cbranch_execz .LBB40_25
.LBB40_16:                              ;   Parent Loop BB40_8 Depth=1
                                        ; =>  This Inner Loop Header: Depth=2
	v_add_u32_e32 v11, v11, v2
	v_cmp_gt_u32_e32 vcc, s60, v11
	v_pk_mov_b32 v[8:9], 0, 0
	s_and_saveexec_b64 s[18:19], vcc
	s_cbranch_execz .LBB40_18
; %bb.17:                               ;   in Loop: Header=BB40_16 Depth=2
	v_lshlrev_b64 v[8:9], 3, v[18:19]
	v_add_co_u32_e32 v8, vcc, s62, v8
	v_addc_co_u32_e32 v9, vcc, v17, v9, vcc
	global_load_dwordx2 v[8:9], v[8:9], off
.LBB40_18:                              ;   in Loop: Header=BB40_16 Depth=2
	s_or_b64 exec, exec, s[18:19]
	s_waitcnt lgkmcnt(0)
	v_ashrrev_i32_e32 v12, 31, v5
	v_or_b32_e32 v13, 0x80000000, v12
	v_xor_b32_e32 v13, v13, v5
	v_xor_b32_e32 v12, v12, v4
	v_cmp_o_f64_e32 vcc, v[4:5], v[4:5]
	v_cndmask_b32_e32 v13, -1, v13, vcc
	v_cndmask_b32_e32 v12, -1, v12, vcc
	v_and_b32_e32 v13, s81, v13
	v_and_b32_e32 v12, s80, v12
	v_cmp_eq_u64_e32 vcc, s[82:83], v[12:13]
	s_cmp_lg_u64 vcc, 0
	s_cselect_b64 s[10:11], -1, 0
	s_and_b64 s[10:11], s[2:3], s[10:11]
	v_mov_b32_e32 v12, 0
	s_and_saveexec_b64 s[26:27], s[10:11]
	s_cbranch_execz .LBB40_22
; %bb.19:                               ;   in Loop: Header=BB40_16 Depth=2
	s_mov_b64 s[30:31], exec
	v_mbcnt_lo_u32_b32 v12, s30, 0
	v_mbcnt_hi_u32_b32 v12, s31, v12
	s_bcnt1_i32_b64 s7, vcc
	v_cmp_eq_u32_e64 s[18:19], 0, v12
                                        ; implicit-def: $vgpr13
	s_and_saveexec_b64 s[28:29], s[18:19]
	s_cbranch_execz .LBB40_21
; %bb.20:                               ;   in Loop: Header=BB40_16 Depth=2
	s_bcnt1_i32_b64 s10, s[30:31]
	s_mul_i32 s10, s7, s10
	v_mov_b32_e32 v13, s10
	ds_add_rtn_u32 v13, v19, v13 offset:4104
.LBB40_21:                              ;   in Loop: Header=BB40_16 Depth=2
	s_or_b64 exec, exec, s[28:29]
	s_waitcnt lgkmcnt(0)
	v_readfirstlane_b32 s10, v13
	v_mov_b32_e32 v13, s10
	v_mad_u32_u24 v12, s7, v12, v13
.LBB40_22:                              ;   in Loop: Header=BB40_16 Depth=2
	s_or_b64 exec, exec, s[26:27]
	ds_bpermute_b32 v12, v34, v12
	s_and_saveexec_b64 s[18:19], vcc
	s_cbranch_execz .LBB40_15
; %bb.23:                               ;   in Loop: Header=BB40_16 Depth=2
	v_and_b32_e32 v14, vcc_lo, v22
	v_and_b32_e32 v13, vcc_hi, v1
	v_bcnt_u32_b32 v14, v14, 0
	v_bcnt_u32_b32 v13, v13, v14
	v_lshlrev_b32_e32 v13, 3, v13
	s_waitcnt lgkmcnt(0)
	v_lshl_add_u32 v12, v12, 3, v13
	ds_write_b64 v12, v[4:5]
	s_branch .LBB40_15
.LBB40_24:                              ;   in Loop: Header=BB40_8 Depth=1
	s_mov_b64 s[20:21], -1
	s_mov_b64 s[18:19], 0
	s_branch .LBB40_28
.LBB40_25:                              ;   in Loop: Header=BB40_8 Depth=1
	s_or_b64 exec, exec, s[22:23]
	s_waitcnt lgkmcnt(0)
	s_barrier
	s_mov_b64 s[18:19], exec
	v_readlane_b32 s10, v54, 4
	v_readlane_b32 s11, v54, 5
	s_and_b64 s[10:11], s[18:19], s[10:11]
	s_mov_b64 exec, s[10:11]
	s_cbranch_execz .LBB40_27
; %bb.26:                               ;   in Loop: Header=BB40_8 Depth=1
	ds_read_b32 v2, v19 offset:4104
	s_waitcnt lgkmcnt(0)
	ds_write_b32 v19, v2 offset:4096
.LBB40_27:                              ;   in Loop: Header=BB40_8 Depth=1
	s_or_b64 exec, exec, s[18:19]
	s_waitcnt lgkmcnt(0)
	s_barrier
	s_mov_b64 s[18:19], -1
.LBB40_28:                              ;   in Loop: Header=BB40_8 Depth=1
                                        ; implicit-def: $sgpr7
.LBB40_29:                              ;   in Loop: Header=BB40_8 Depth=1
	s_and_b64 vcc, exec, s[20:21]
	s_cbranch_vccz .LBB40_40
; %bb.30:                               ;   in Loop: Header=BB40_8 Depth=1
	s_waitcnt vmcnt(0)
	v_pk_mov_b32 v[4:5], 0, 0
	s_mov_b64 s[18:19], exec
	v_readlane_b32 s10, v54, 18
	v_readlane_b32 s11, v54, 19
	s_and_b64 s[10:11], s[18:19], s[10:11]
	s_mov_b64 exec, s[10:11]
	s_cbranch_execz .LBB40_32
; %bb.31:                               ;   in Loop: Header=BB40_8 Depth=1
	global_load_dwordx2 v[4:5], v[20:21], off
.LBB40_32:                              ;   in Loop: Header=BB40_8 Depth=1
	s_or_b64 exec, exec, s[18:19]
	s_mov_b64 s[18:19], exec
	v_readlane_b32 s10, v54, 20
	v_readlane_b32 s11, v54, 21
	s_and_b64 s[10:11], s[18:19], s[10:11]
	s_mov_b64 exec, s[10:11]
	s_cbranch_execz .LBB40_37
; %bb.33:                               ;   in Loop: Header=BB40_8 Depth=1
	v_readlane_b32 s10, v54, 14
	v_readlane_b32 s11, v54, 15
	s_mov_b64 s[20:21], 0
	v_mov_b32_e32 v10, v31
	v_mov_b32_e32 v13, v0
	s_nop 1
	global_load_ushort v2, v19, s[10:11]
	s_waitcnt vmcnt(0)
	v_add_u32_e32 v8, v0, v2
	v_lshlrev_b32_e32 v11, 3, v2
	v_mul_lo_u32 v12, s63, v2
	v_mul_lo_u32 v18, s63, v8
	s_branch .LBB40_35
.LBB40_34:                              ;   in Loop: Header=BB40_35 Depth=2
	s_or_b64 exec, exec, s[22:23]
	v_cmp_le_i32_e32 vcc, s60, v13
	ds_write_b64 v10, v[4:5]
	v_add_u32_e32 v10, v10, v11
	v_add_u32_e32 v18, v18, v12
	s_or_b64 s[20:21], vcc, s[20:21]
	s_waitcnt vmcnt(0)
	v_pk_mov_b32 v[4:5], v[8:9], v[8:9] op_sel:[0,1]
	s_andn2_b64 exec, exec, s[20:21]
	s_cbranch_execz .LBB40_37
.LBB40_35:                              ;   Parent Loop BB40_8 Depth=1
                                        ; =>  This Inner Loop Header: Depth=2
	v_add_u32_e32 v13, v13, v2
	v_cmp_gt_u32_e32 vcc, s60, v13
	v_pk_mov_b32 v[8:9], 0, 0
	s_and_saveexec_b64 s[22:23], vcc
	s_cbranch_execz .LBB40_34
; %bb.36:                               ;   in Loop: Header=BB40_35 Depth=2
	v_lshlrev_b64 v[8:9], 3, v[18:19]
	v_mov_b32_e32 v14, s16
	v_add_co_u32_e32 v8, vcc, s62, v8
	v_addc_co_u32_e32 v9, vcc, v14, v9, vcc
	global_load_dwordx2 v[8:9], v[8:9], off
	s_branch .LBB40_34
.LBB40_37:                              ;   in Loop: Header=BB40_8 Depth=1
	s_or_b64 exec, exec, s[18:19]
	s_waitcnt lgkmcnt(0)
	s_barrier
	s_mov_b64 s[18:19], exec
	v_readlane_b32 s10, v54, 4
	v_readlane_b32 s11, v54, 5
	s_and_b64 s[10:11], s[18:19], s[10:11]
	s_mov_b64 exec, s[10:11]
	s_cbranch_execz .LBB40_39
; %bb.38:                               ;   in Loop: Header=BB40_8 Depth=1
	v_mov_b32_e32 v2, s60
	ds_write_b32 v19, v2 offset:4096
.LBB40_39:                              ;   in Loop: Header=BB40_8 Depth=1
	s_or_b64 exec, exec, s[18:19]
	s_mov_b64 s[18:19], -1
	s_waitcnt lgkmcnt(0)
	s_barrier
                                        ; implicit-def: $sgpr7
.LBB40_40:                              ;   in Loop: Header=BB40_8 Depth=1
	s_and_b64 vcc, exec, s[18:19]
	s_cbranch_vccz .LBB40_42
; %bb.41:                               ;   in Loop: Header=BB40_8 Depth=1
	ds_read_b32 v2, v19 offset:4096
	s_waitcnt lgkmcnt(0)
	v_readfirstlane_b32 s7, v2
.LBB40_42:                              ;   in Loop: Header=BB40_8 Depth=1
	s_cmp_lt_i32 s7, 1
	s_cbranch_scc0 .LBB40_54
; %bb.43:                               ;   in Loop: Header=BB40_8 Depth=1
	v_mov_b32_e32 v8, 0
	s_mov_b32 s69, 0
	v_mov_b32_e32 v9, 0
	v_mov_b32_e32 v10, v8
	;; [unrolled: 1-line block ×3, first 2 shown]
	s_mov_b64 s[84:85], exec
	v_readlane_b32 s10, v54, 32
	v_readlane_b32 s11, v54, 33
	s_and_b64 s[10:11], s[84:85], s[10:11]
	s_mov_b64 exec, s[10:11]
	s_cbranch_execz .LBB40_47
; %bb.44:                               ;   in Loop: Header=BB40_8 Depth=1
	s_and_b32 s78, s75, 0xfe
	s_mov_b64 s[76:77], 0
	s_mov_b32 s79, 0
	s_mov_b32 s10, 0
	s_mov_b32 s11, 0
	s_mov_b32 s12, 0
	v_mov_b32_e32 v2, v30
.LBB40_45:                              ;   Parent Loop BB40_8 Depth=1
                                        ; =>  This Inner Loop Header: Depth=2
	v_add_u32_e32 v12, s69, v39
	v_ashrrev_i32_e32 v13, 31, v12
	v_add_u32_e32 v14, s69, v36
	v_lshlrev_b64 v[12:13], 3, v[12:13]
	s_waitcnt vmcnt(0)
	v_mov_b32_e32 v4, s16
	v_ashrrev_i32_e32 v15, 31, v14
	v_add_co_u32_e64 v12, s[18:19], s62, v12
	v_add_u32_e32 v26, s69, v37
	v_lshlrev_b64 v[14:15], 3, v[14:15]
	v_addc_co_u32_e64 v13, s[18:19], v4, v13, s[18:19]
	v_ashrrev_i32_e32 v27, 31, v26
	v_add_co_u32_e64 v14, s[18:19], s62, v14
	v_add_u32_e32 v28, s69, v38
	v_lshlrev_b64 v[26:27], 3, v[26:27]
	v_addc_co_u32_e64 v15, s[18:19], v4, v15, s[18:19]
	v_ashrrev_i32_e32 v29, 31, v28
	v_add_co_u32_e64 v26, s[18:19], s62, v26
	v_lshlrev_b64 v[28:29], 3, v[28:29]
	v_addc_co_u32_e64 v27, s[18:19], v4, v27, s[18:19]
	v_add_co_u32_e64 v28, s[18:19], s62, v28
	v_addc_co_u32_e64 v29, s[18:19], v4, v29, s[18:19]
	global_load_dwordx2 v[12:13], v[12:13], off
	s_nop 0
	global_load_dwordx2 v[14:15], v[14:15], off
	s_nop 0
	;; [unrolled: 2-line block ×3, first 2 shown]
	global_load_dwordx2 v[28:29], v[28:29], off
	v_mov_b32_e32 v5, v19
	v_mov_b32_e32 v9, v19
	;; [unrolled: 1-line block ×3, first 2 shown]
	v_add_u32_e32 v2, s1, v2
	s_add_i32 s69, s69, s72
	v_cmp_le_i32_e32 vcc, s9, v2
	s_waitcnt vmcnt(3)
	v_ashrrev_i32_e32 v4, 31, v13
	s_waitcnt vmcnt(2)
	v_ashrrev_i32_e32 v8, 31, v15
	v_xor_b32_e32 v44, v8, v14
	v_cmp_o_f64_e64 s[18:19], v[14:15], v[14:15]
	v_or_b32_e32 v14, 0x80000000, v4
	s_waitcnt vmcnt(1)
	v_ashrrev_i32_e32 v10, 31, v27
	s_waitcnt vmcnt(0)
	v_ashrrev_i32_e32 v18, 31, v29
	v_xor_b32_e32 v4, v4, v12
	v_or_b32_e32 v8, 0x80000000, v8
	v_cmp_o_f64_e64 s[24:25], v[12:13], v[12:13]
	v_xor_b32_e32 v13, v14, v13
	v_xor_b32_e32 v45, v10, v26
	v_cmp_o_f64_e64 s[20:21], v[26:27], v[26:27]
	v_xor_b32_e32 v46, v18, v28
	v_or_b32_e32 v10, 0x80000000, v10
	v_or_b32_e32 v18, 0x80000000, v18
	v_xor_b32_e32 v8, v8, v15
	v_cndmask_b32_e64 v12, -1, v4, s[24:25]
	v_cndmask_b32_e64 v13, -1, v13, s[24:25]
	v_cmp_o_f64_e64 s[22:23], v[28:29], v[28:29]
	v_xor_b32_e32 v10, v10, v27
	v_xor_b32_e32 v18, v18, v29
	v_cndmask_b32_e64 v14, -1, v44, s[18:19]
	v_cndmask_b32_e64 v26, -1, v45, s[20:21]
	;; [unrolled: 1-line block ×3, first 2 shown]
	v_and_b32_e32 v44, s80, v12
	v_and_b32_e32 v45, s81, v13
	v_lshrrev_b64 v[12:13], s78, v[12:13]
	v_cndmask_b32_e64 v28, -1, v46, s[22:23]
	v_cndmask_b32_e64 v27, -1, v10, s[20:21]
	;; [unrolled: 1-line block ×3, first 2 shown]
	v_and_b32_e32 v46, s80, v14
	v_and_b32_e32 v47, s81, v15
	v_lshrrev_b64 v[14:15], s78, v[14:15]
	v_and_b32_e32 v18, 3, v12
	v_and_b32_e32 v48, s80, v26
	;; [unrolled: 1-line block ×3, first 2 shown]
	v_lshrrev_b64 v[26:27], s78, v[26:27]
	v_cmp_eq_u64_e64 s[18:19], s[82:83], v[44:45]
	v_and_b32_e32 v4, 3, v14
	v_cmp_eq_u64_e64 s[26:27], 0, v[18:19]
	v_and_b32_e32 v50, s80, v28
	v_and_b32_e32 v51, s81, v29
	v_lshrrev_b64 v[28:29], s78, v[28:29]
	v_cmp_eq_u64_e64 s[20:21], s[82:83], v[46:47]
	v_and_b32_e32 v8, 3, v26
	v_cmp_eq_u64_e64 s[28:29], 0, v[4:5]
	s_and_b64 s[14:15], s[18:19], s[26:27]
	v_cmp_eq_u64_e64 s[22:23], s[82:83], v[48:49]
	v_and_b32_e32 v10, 3, v28
	v_cmp_eq_u64_e64 s[30:31], 0, v[8:9]
	v_cmp_eq_u64_e64 s[38:39], 1, v[4:5]
	;; [unrolled: 1-line block ×4, first 2 shown]
	v_cndmask_b32_e64 v4, 0, 1, s[14:15]
	s_and_b64 s[14:15], s[20:21], s[28:29]
	v_cmp_eq_u64_e64 s[24:25], s[82:83], v[50:51]
	v_cmp_eq_u64_e64 s[34:35], 0, v[10:11]
	v_cndmask_b32_e64 v5, 0, 1, s[14:15]
	s_and_b64 s[14:15], s[22:23], s[30:31]
	v_cmp_eq_u64_e64 s[36:37], 1, v[18:19]
	v_cmp_eq_u64_e64 s[40:41], 1, v[8:9]
	;; [unrolled: 1-line block ×4, first 2 shown]
	v_cndmask_b32_e64 v8, 0, 1, s[14:15]
	s_and_b64 s[14:15], s[24:25], s[34:35]
	v_cndmask_b32_e64 v9, 0, 1, s[14:15]
	s_and_b64 s[14:15], s[18:19], s[36:37]
	v_cmp_eq_u64_e64 s[42:43], 1, v[10:11]
	v_cmp_eq_u64_e64 s[50:51], 2, v[10:11]
	;; [unrolled: 1-line block ×3, first 2 shown]
	v_cndmask_b32_e64 v10, 0, 1, s[14:15]
	s_and_b64 s[14:15], s[20:21], s[38:39]
	v_cndmask_b32_e64 v11, 0, 1, s[14:15]
	s_and_b64 s[14:15], s[22:23], s[40:41]
	v_cmp_eq_u64_e64 s[44:45], 2, v[18:19]
	v_cndmask_b32_e64 v12, 0, 1, s[14:15]
	s_and_b64 s[14:15], s[24:25], s[42:43]
	v_cndmask_b32_e64 v13, 0, 1, s[14:15]
	s_and_b64 s[14:15], s[18:19], s[44:45]
	;; [unrolled: 2-line block ×4, first 2 shown]
	v_cmp_eq_u64_e64 s[52:53], 3, v[18:19]
	v_cndmask_b32_e64 v18, 0, 1, s[14:15]
	s_and_b64 s[14:15], s[24:25], s[50:51]
	v_cndmask_b32_e64 v26, 0, 1, s[14:15]
	s_and_b64 s[14:15], s[18:19], s[52:53]
	;; [unrolled: 2-line block ×5, first 2 shown]
	v_cmp_ne_u32_e64 s[18:19], 0, v4
	v_cmp_ne_u32_e64 s[22:23], 0, v8
	;; [unrolled: 1-line block ×5, first 2 shown]
	v_cndmask_b32_e64 v44, 0, 1, s[14:15]
	v_cmp_ne_u32_e64 s[20:21], 0, v5
	v_cmp_ne_u32_e64 s[24:25], 0, v9
	;; [unrolled: 1-line block ×5, first 2 shown]
	s_bcnt1_i32_b64 s13, s[18:19]
	s_bcnt1_i32_b64 s15, s[22:23]
	;; [unrolled: 1-line block ×5, first 2 shown]
	v_cmp_ne_u32_e64 s[30:31], 0, v12
	v_cmp_ne_u32_e64 s[40:41], 0, v18
	;; [unrolled: 1-line block ×3, first 2 shown]
	s_bcnt1_i32_b64 s14, s[20:21]
	s_bcnt1_i32_b64 s18, s[24:25]
	;; [unrolled: 1-line block ×5, first 2 shown]
	s_add_i32 s12, s12, s13
	s_add_i32 s11, s11, s19
	;; [unrolled: 1-line block ×4, first 2 shown]
	v_cmp_ne_u32_e64 s[34:35], 0, v13
	v_cmp_ne_u32_e64 s[42:43], 0, v26
	;; [unrolled: 1-line block ×3, first 2 shown]
	s_bcnt1_i32_b64 s21, s[30:31]
	s_bcnt1_i32_b64 s25, s[40:41]
	s_bcnt1_i32_b64 s29, s[48:49]
	s_add_i32 s12, s12, s14
	s_add_i32 s11, s11, s20
	;; [unrolled: 1-line block ×4, first 2 shown]
	s_bcnt1_i32_b64 s22, s[34:35]
	s_bcnt1_i32_b64 s26, s[42:43]
	s_bcnt1_i32_b64 s30, s[50:51]
	s_add_i32 s12, s12, s15
	s_add_i32 s11, s11, s21
	;; [unrolled: 1-line block ×8, first 2 shown]
	s_or_b64 s[76:77], vcc, s[76:77]
	v_mov_b32_e32 v8, s12
	v_mov_b32_e32 v9, s11
	;; [unrolled: 1-line block ×4, first 2 shown]
	s_andn2_b64 exec, exec, s[76:77]
	s_cbranch_execnz .LBB40_45
; %bb.46:                               ;   in Loop: Header=BB40_8 Depth=1
	s_or_b64 exec, exec, s[76:77]
.LBB40_47:                              ;   in Loop: Header=BB40_8 Depth=1
	s_or_b64 exec, exec, s[84:85]
	v_pk_mov_b32 v[12:13], 0, 0
	s_mov_b64 s[18:19], exec
	v_readlane_b32 s10, v54, 34
	v_readlane_b32 s11, v54, 35
	s_and_b64 s[10:11], s[18:19], s[10:11]
	s_mov_b64 exec, s[10:11]
	s_cbranch_execz .LBB40_49
; %bb.48:                               ;   in Loop: Header=BB40_8 Depth=1
	global_load_dwordx2 v[12:13], v[24:25], off
.LBB40_49:                              ;   in Loop: Header=BB40_8 Depth=1
	s_or_b64 exec, exec, s[18:19]
	s_mov_b64 s[20:21], 0
	s_mov_b64 s[84:85], 0
	s_mov_b64 s[22:23], exec
	v_readlane_b32 s10, v54, 36
	v_readlane_b32 s11, v54, 37
	s_and_b64 s[10:11], s[22:23], s[10:11]
	s_mov_b64 exec, s[10:11]
	s_cbranch_execz .LBB40_56
; %bb.50:                               ;   in Loop: Header=BB40_8 Depth=1
	s_and_b32 s10, s75, 0xfe
	s_mov_b64 s[24:25], 0
	s_waitcnt vmcnt(0)
	v_mov_b32_e32 v4, v40
	v_mov_b32_e32 v2, v35
	s_branch .LBB40_52
.LBB40_51:                              ;   in Loop: Header=BB40_52 Depth=2
	s_or_b64 exec, exec, s[18:19]
	v_ashrrev_i32_e32 v5, 31, v13
	v_or_b32_e32 v18, 0x80000000, v5
	v_xor_b32_e32 v18, v18, v13
	v_xor_b32_e32 v5, v5, v12
	v_cmp_o_f64_e32 vcc, v[12:13], v[12:13]
	v_cndmask_b32_e32 v13, -1, v18, vcc
	v_cndmask_b32_e32 v12, -1, v5, vcc
	v_and_b32_e32 v27, s81, v13
	v_and_b32_e32 v26, s80, v12
	v_lshrrev_b64 v[12:13], s10, v[12:13]
	v_and_b32_e32 v18, 3, v12
	v_cmp_eq_u64_e32 vcc, s[82:83], v[26:27]
	v_cmp_eq_u64_e64 s[18:19], 0, v[18:19]
	s_and_b64 s[12:13], vcc, s[18:19]
	v_cndmask_b32_e64 v5, 0, 1, s[12:13]
	v_cmp_ne_u32_e64 s[18:19], 0, v5
	s_bcnt1_i32_b64 s11, s[18:19]
	v_cmp_eq_u64_e64 s[18:19], 1, v[18:19]
	s_and_b64 s[12:13], vcc, s[18:19]
	v_cndmask_b32_e64 v5, 0, 1, s[12:13]
	v_cmp_ne_u32_e64 s[18:19], 0, v5
	v_add_u32_e32 v8, s11, v8
	s_bcnt1_i32_b64 s11, s[18:19]
	v_cmp_eq_u64_e64 s[18:19], 2, v[18:19]
	s_and_b64 s[12:13], vcc, s[18:19]
	v_cndmask_b32_e64 v5, 0, 1, s[12:13]
	v_cmp_ne_u32_e64 s[18:19], 0, v5
	v_add_u32_e32 v9, s11, v9
	s_bcnt1_i32_b64 s11, s[18:19]
	v_cmp_eq_u64_e64 s[18:19], 3, v[18:19]
	s_and_b64 s[12:13], vcc, s[18:19]
	v_cndmask_b32_e64 v5, 0, 1, s[12:13]
	v_cmp_ne_u32_e32 vcc, 0, v5
	v_add_u32_e32 v10, s11, v10
	s_bcnt1_i32_b64 s11, vcc
	v_cmp_le_i32_e32 vcc, s60, v2
	v_add_u32_e32 v11, s11, v11
	v_add_u32_e32 v4, s0, v4
	s_or_b64 s[24:25], vcc, s[24:25]
	s_waitcnt vmcnt(0)
	v_pk_mov_b32 v[12:13], v[14:15], v[14:15] op_sel:[0,1]
	s_andn2_b64 exec, exec, s[24:25]
	s_cbranch_execz .LBB40_55
.LBB40_52:                              ;   Parent Loop BB40_8 Depth=1
                                        ; =>  This Inner Loop Header: Depth=2
	v_add_u32_e32 v2, s33, v2
	v_cmp_gt_u32_e32 vcc, s60, v2
	v_pk_mov_b32 v[14:15], 0, 0
	s_and_saveexec_b64 s[18:19], vcc
	s_cbranch_execz .LBB40_51
; %bb.53:                               ;   in Loop: Header=BB40_52 Depth=2
	v_ashrrev_i32_e32 v5, 31, v4
	v_lshlrev_b64 v[14:15], 3, v[4:5]
	v_mov_b32_e32 v5, s16
	v_add_co_u32_e32 v14, vcc, s62, v14
	v_addc_co_u32_e32 v15, vcc, v5, v15, vcc
	global_load_dwordx2 v[14:15], v[14:15], off
	s_branch .LBB40_51
.LBB40_54:                              ;   in Loop: Header=BB40_8 Depth=1
	s_mov_b64 s[84:85], 0
                                        ; implicit-def: $vgpr11
	s_cbranch_execnz .LBB40_57
	s_branch .LBB40_66
.LBB40_55:                              ;   in Loop: Header=BB40_8 Depth=1
	s_or_b64 exec, exec, s[24:25]
	s_mov_b64 s[84:85], exec
.LBB40_56:                              ;   in Loop: Header=BB40_8 Depth=1
	s_or_b64 exec, exec, s[22:23]
	s_and_b64 vcc, exec, s[20:21]
	s_cbranch_vccz .LBB40_66
.LBB40_57:                              ;   in Loop: Header=BB40_8 Depth=1
	s_mul_hi_u32 s10, s7, s8
	s_mul_i32 s10, s10, s1
	s_sub_i32 s10, s7, s10
	s_sub_i32 s11, s10, s1
	s_cmp_ge_u32 s10, s1
	s_cselect_b32 s10, s11, s10
	s_sub_i32 s11, s10, s1
	s_cmp_ge_u32 s10, s1
	s_cselect_b32 s10, s11, s10
	s_sub_i32 s69, s7, s10
	v_cmp_gt_u32_e32 vcc, s69, v30
	s_mov_b32 s10, 0
	v_mov_b32_e32 v8, 0
	v_mov_b32_e32 v9, 0
	;; [unrolled: 1-line block ×4, first 2 shown]
	s_and_saveexec_b64 s[76:77], vcc
	s_cbranch_execz .LBB40_61
; %bb.58:                               ;   in Loop: Header=BB40_8 Depth=1
	s_and_b32 s11, s75, 0xfe
	s_mov_b64 s[78:79], 0
	v_mov_b32_e32 v2, v41
	s_mov_b32 s12, 0
	s_mov_b32 s13, 0
	;; [unrolled: 1-line block ×3, first 2 shown]
	v_mov_b32_e32 v44, v30
.LBB40_59:                              ;   Parent Loop BB40_8 Depth=1
                                        ; =>  This Inner Loop Header: Depth=2
	s_waitcnt vmcnt(0)
	ds_read_b128 v[12:15], v2
	ds_read_b128 v[8:11], v2 offset:16
	v_mov_b32_e32 v5, v19
	v_mov_b32_e32 v27, v19
	;; [unrolled: 1-line block ×3, first 2 shown]
	s_waitcnt lgkmcnt(1)
	v_ashrrev_i32_e32 v4, 31, v13
	v_ashrrev_i32_e32 v18, 31, v15
	s_waitcnt lgkmcnt(0)
	v_ashrrev_i32_e32 v26, 31, v9
	v_ashrrev_i32_e32 v28, 31, v11
	v_xor_b32_e32 v45, v18, v14
	v_cmp_o_f64_e64 s[18:19], v[14:15], v[14:15]
	v_xor_b32_e32 v14, v26, v8
	v_cmp_o_f64_e64 s[20:21], v[8:9], v[8:9]
	v_or_b32_e32 v8, 0x80000000, v4
	v_xor_b32_e32 v46, v28, v10
	v_cmp_o_f64_e64 s[22:23], v[10:11], v[10:11]
	v_xor_b32_e32 v4, v4, v12
	v_or_b32_e32 v10, 0x80000000, v18
	v_or_b32_e32 v18, 0x80000000, v26
	v_cmp_o_f64_e64 s[24:25], v[12:13], v[12:13]
	v_xor_b32_e32 v13, v8, v13
	v_or_b32_e32 v26, 0x80000000, v28
	v_xor_b32_e32 v15, v10, v15
	v_xor_b32_e32 v18, v18, v9
	v_cndmask_b32_e64 v8, -1, v4, s[24:25]
	v_cndmask_b32_e64 v9, -1, v13, s[24:25]
	v_xor_b32_e32 v26, v26, v11
	v_cndmask_b32_e64 v10, -1, v45, s[18:19]
	v_cndmask_b32_e64 v12, -1, v14, s[20:21]
	;; [unrolled: 1-line block ×4, first 2 shown]
	v_and_b32_e32 v46, s80, v8
	v_and_b32_e32 v47, s81, v9
	v_lshrrev_b64 v[8:9], s11, v[8:9]
	v_cndmask_b32_e64 v13, -1, v18, s[20:21]
	v_and_b32_e32 v48, s80, v10
	v_and_b32_e32 v49, s81, v11
	v_lshrrev_b64 v[10:11], s11, v[10:11]
	v_and_b32_e32 v18, 3, v8
	v_cndmask_b32_e64 v15, -1, v26, s[22:23]
	v_and_b32_e32 v50, s80, v12
	v_and_b32_e32 v51, s81, v13
	v_lshrrev_b64 v[12:13], s11, v[12:13]
	v_cmp_eq_u64_e64 s[18:19], s[82:83], v[46:47]
	v_and_b32_e32 v4, 3, v10
	v_cmp_eq_u64_e64 s[26:27], 0, v[18:19]
	v_and_b32_e32 v52, s80, v14
	v_and_b32_e32 v53, s81, v15
	v_lshrrev_b64 v[14:15], s11, v[14:15]
	v_cmp_eq_u64_e64 s[20:21], s[82:83], v[48:49]
	v_and_b32_e32 v26, 3, v12
	v_cmp_eq_u64_e64 s[28:29], 0, v[4:5]
	s_and_b64 s[26:27], s[18:19], s[26:27]
	v_cmp_eq_u64_e64 s[22:23], s[82:83], v[50:51]
	v_and_b32_e32 v28, 3, v14
	v_cmp_eq_u64_e64 s[30:31], 0, v[26:27]
	v_cmp_eq_u64_e64 s[38:39], 1, v[4:5]
	;; [unrolled: 1-line block ×4, first 2 shown]
	v_cndmask_b32_e64 v4, 0, 1, s[26:27]
	s_and_b64 s[26:27], s[20:21], s[28:29]
	v_cmp_eq_u64_e64 s[24:25], s[82:83], v[52:53]
	v_cmp_eq_u64_e64 s[34:35], 0, v[28:29]
	v_cndmask_b32_e64 v5, 0, 1, s[26:27]
	s_and_b64 s[26:27], s[22:23], s[30:31]
	v_cmp_eq_u64_e64 s[36:37], 1, v[18:19]
	v_cndmask_b32_e64 v8, 0, 1, s[26:27]
	s_and_b64 s[26:27], s[24:25], s[34:35]
	v_cndmask_b32_e64 v9, 0, 1, s[26:27]
	s_and_b64 s[26:27], s[18:19], s[36:37]
	v_cmp_eq_u64_e64 s[40:41], 1, v[26:27]
	v_cndmask_b32_e64 v10, 0, 1, s[26:27]
	s_and_b64 s[26:27], s[20:21], s[38:39]
	v_cmp_eq_u64_e64 s[42:43], 1, v[28:29]
	;; [unrolled: 3-line block ×3, first 2 shown]
	v_cmp_eq_u64_e64 s[52:53], 3, v[18:19]
	v_cndmask_b32_e64 v12, 0, 1, s[26:27]
	s_and_b64 s[26:27], s[24:25], s[42:43]
	v_cndmask_b32_e64 v13, 0, 1, s[26:27]
	s_and_b64 s[26:27], s[18:19], s[44:45]
	s_and_b64 s[18:19], s[18:19], s[52:53]
	v_cmp_eq_u64_e64 s[48:49], 2, v[26:27]
	v_cmp_eq_u64_e64 s[56:57], 3, v[26:27]
	v_cndmask_b32_e64 v14, 0, 1, s[26:27]
	s_and_b64 s[26:27], s[20:21], s[46:47]
	v_cndmask_b32_e64 v27, 0, 1, s[18:19]
	s_and_b64 s[18:19], s[20:21], s[54:55]
	v_cmp_eq_u64_e64 s[50:51], 2, v[28:29]
	v_cmp_eq_u64_e64 s[58:59], 3, v[28:29]
	v_cndmask_b32_e64 v15, 0, 1, s[26:27]
	s_and_b64 s[26:27], s[22:23], s[48:49]
	v_cndmask_b32_e64 v28, 0, 1, s[18:19]
	s_and_b64 s[18:19], s[22:23], s[56:57]
	;; [unrolled: 2-line block ×4, first 2 shown]
	v_cndmask_b32_e64 v26, 0, 1, s[26:27]
	v_cndmask_b32_e64 v45, 0, 1, s[18:19]
	v_cmp_ne_u32_e64 s[18:19], 0, v4
	v_cmp_ne_u32_e64 s[20:21], 0, v5
	;; [unrolled: 1-line block ×11, first 2 shown]
	s_bcnt1_i32_b64 s15, s[18:19]
	s_bcnt1_i32_b64 s18, s[20:21]
	;; [unrolled: 1-line block ×8, first 2 shown]
	v_cmp_ne_u32_e64 s[40:41], 0, v18
	v_cmp_ne_u32_e64 s[48:49], 0, v29
	s_bcnt1_i32_b64 s23, s[30:31]
	s_bcnt1_i32_b64 s26, s[38:39]
	s_bcnt1_i32_b64 s30, s[46:47]
	s_add_i32 s14, s14, s15
	s_add_i32 s13, s13, s21
	;; [unrolled: 1-line block ×4, first 2 shown]
	v_cmp_ne_u32_e64 s[34:35], 0, v13
	v_cmp_ne_u32_e64 s[42:43], 0, v26
	;; [unrolled: 1-line block ×3, first 2 shown]
	s_bcnt1_i32_b64 s27, s[40:41]
	s_bcnt1_i32_b64 s31, s[48:49]
	s_add_i32 s14, s14, s18
	s_add_i32 s13, s13, s22
	;; [unrolled: 1-line block ×4, first 2 shown]
	v_add_u32_e32 v44, s1, v44
	s_bcnt1_i32_b64 s24, s[34:35]
	s_bcnt1_i32_b64 s28, s[42:43]
	;; [unrolled: 1-line block ×3, first 2 shown]
	s_add_i32 s14, s14, s19
	s_add_i32 s13, s13, s23
	;; [unrolled: 1-line block ×4, first 2 shown]
	v_cmp_le_i32_e32 vcc, s69, v44
	s_add_i32 s14, s14, s20
	s_add_i32 s13, s13, s24
	;; [unrolled: 1-line block ×4, first 2 shown]
	v_add_u32_e32 v2, s73, v2
	s_or_b64 s[78:79], vcc, s[78:79]
	v_mov_b32_e32 v8, s14
	v_mov_b32_e32 v9, s13
	;; [unrolled: 1-line block ×4, first 2 shown]
	s_andn2_b64 exec, exec, s[78:79]
	s_cbranch_execnz .LBB40_59
; %bb.60:                               ;   in Loop: Header=BB40_8 Depth=1
	s_or_b64 exec, exec, s[78:79]
.LBB40_61:                              ;   in Loop: Header=BB40_8 Depth=1
	s_or_b64 exec, exec, s[76:77]
	v_add_u32_e32 v2, s69, v0
	v_cmp_gt_i32_e32 vcc, s7, v2
	s_and_saveexec_b64 s[28:29], vcc
	s_cbranch_execz .LBB40_65
; %bb.62:                               ;   in Loop: Header=BB40_8 Depth=1
	s_and_b32 s10, s75, 0xfe
	s_waitcnt vmcnt(0)
	v_lshlrev_b32_e32 v4, 3, v2
	s_mov_b64 s[30:31], 0
.LBB40_63:                              ;   Parent Loop BB40_8 Depth=1
                                        ; =>  This Inner Loop Header: Depth=2
	ds_read_b64 v[12:13], v4
	v_add_u32_e32 v2, s33, v2
	v_cmp_le_i32_e32 vcc, s7, v2
	v_add_u32_e32 v4, s74, v4
	s_waitcnt lgkmcnt(0)
	v_ashrrev_i32_e32 v5, 31, v13
	v_or_b32_e32 v14, 0x80000000, v5
	v_xor_b32_e32 v5, v5, v12
	v_cmp_o_f64_e64 s[18:19], v[12:13], v[12:13]
	v_xor_b32_e32 v13, v14, v13
	v_cndmask_b32_e64 v12, -1, v5, s[18:19]
	v_cndmask_b32_e64 v13, -1, v13, s[18:19]
	v_and_b32_e32 v14, s80, v12
	v_and_b32_e32 v15, s81, v13
	v_lshrrev_b64 v[12:13], s10, v[12:13]
	v_and_b32_e32 v18, 3, v12
	v_cmp_eq_u64_e64 s[18:19], s[82:83], v[14:15]
	v_cmp_eq_u64_e64 s[20:21], 0, v[18:19]
	;; [unrolled: 1-line block ×3, first 2 shown]
	s_and_b64 s[12:13], s[18:19], s[20:21]
	v_cmp_eq_u64_e64 s[24:25], 2, v[18:19]
	v_cndmask_b32_e64 v5, 0, 1, s[12:13]
	s_and_b64 s[12:13], s[18:19], s[22:23]
	v_cmp_eq_u64_e64 s[26:27], 3, v[18:19]
	v_cndmask_b32_e64 v12, 0, 1, s[12:13]
	s_and_b64 s[12:13], s[18:19], s[24:25]
	v_cndmask_b32_e64 v13, 0, 1, s[12:13]
	s_and_b64 s[12:13], s[18:19], s[26:27]
	v_cndmask_b32_e64 v14, 0, 1, s[12:13]
	v_cmp_ne_u32_e64 s[18:19], 0, v5
	v_cmp_ne_u32_e64 s[20:21], 0, v12
	;; [unrolled: 1-line block ×4, first 2 shown]
	s_bcnt1_i32_b64 s11, s[18:19]
	s_bcnt1_i32_b64 s12, s[20:21]
	;; [unrolled: 1-line block ×4, first 2 shown]
	v_add_u32_e32 v8, s11, v8
	v_add_u32_e32 v9, s12, v9
	;; [unrolled: 1-line block ×3, first 2 shown]
	s_or_b64 s[30:31], vcc, s[30:31]
	v_add_u32_e32 v11, s14, v11
	s_andn2_b64 exec, exec, s[30:31]
	s_cbranch_execnz .LBB40_63
; %bb.64:                               ;   in Loop: Header=BB40_8 Depth=1
	s_or_b64 exec, exec, s[30:31]
	s_or_b64 s[84:85], s[84:85], exec
.LBB40_65:                              ;   in Loop: Header=BB40_8 Depth=1
	s_or_b64 exec, exec, s[28:29]
.LBB40_66:                              ;   in Loop: Header=BB40_8 Depth=1
	s_and_saveexec_b64 s[18:19], s[84:85]
	s_or_b64 exec, exec, s[18:19]
	s_lshl_b32 s7, s6, 6
	s_and_saveexec_b64 s[18:19], s[2:3]
	s_cbranch_execz .LBB40_68
; %bb.67:                               ;   in Loop: Header=BB40_8 Depth=1
	v_or_b32_e32 v2, s7, v33
	v_lshlrev_b32_e32 v2, 2, v2
	ds_write_b128 v2, v[8:11] offset:3072
.LBB40_68:                              ;   in Loop: Header=BB40_8 Depth=1
	s_or_b64 exec, exec, s[18:19]
	s_waitcnt lgkmcnt(0)
	s_barrier
	s_and_saveexec_b64 s[18:19], s[70:71]
	s_cbranch_execz .LBB40_82
; %bb.69:                               ;   in Loop: Header=BB40_8 Depth=1
	v_readlane_b32 s10, v54, 12
	v_readlane_b32 s11, v54, 13
	v_add_u32_e32 v2, s7, v23
	s_andn2_b64 vcc, exec, s[10:11]
	s_waitcnt vmcnt(0)
	v_mov_b32_e32 v4, 0
	s_cbranch_vccnz .LBB40_81
; %bb.70:                               ;   in Loop: Header=BB40_8 Depth=1
	v_readlane_b32 s12, v54, 16
	v_readlane_b32 s13, v54, 17
	s_mov_b32 s10, 0
	s_and_b64 vcc, exec, s[12:13]
	v_mov_b32_e32 v4, 0
	s_cbranch_vccz .LBB40_74
; %bb.71:                               ;   in Loop: Header=BB40_8 Depth=1
	v_readlane_b32 s10, v54, 22
	v_readlane_b32 s11, v54, 23
	v_lshl_add_u32 v8, v2, 2, v43
	s_andn2_b64 vcc, exec, s[10:11]
	s_cbranch_vccnz .LBB40_75
; %bb.72:                               ;   in Loop: Header=BB40_8 Depth=1
	s_mov_b32 s21, 1
	s_mov_b32 s20, 0
	v_mov_b32_e32 v4, 0
	v_readlane_b32 s10, v54, 24
	v_mov_b32_e32 v5, 0
.LBB40_73:                              ;   Parent Loop BB40_8 Depth=1
                                        ; =>  This Inner Loop Header: Depth=2
	v_lshl_add_u32 v9, s20, 4, v8
	v_lshl_add_u32 v18, s21, 4, v8
	ds_read2_b32 v[10:11], v9 offset1:8
	ds_read2_b32 v[12:13], v18 offset1:8
	ds_read2_b32 v[14:15], v9 offset0:16 offset1:24
	ds_read2_b32 v[26:27], v18 offset0:16 offset1:24
	;; [unrolled: 1-line block ×6, first 2 shown]
	s_waitcnt lgkmcnt(7)
	v_add3_u32 v4, v10, v4, v11
	s_waitcnt lgkmcnt(6)
	v_add3_u32 v5, v12, v5, v13
	;; [unrolled: 2-line block ×3, first 2 shown]
	v_add3_u32 v4, v14, v4, v15
	s_add_i32 s21, s21, 16
	s_add_i32 s20, s20, 16
	s_add_i32 s10, s10, -8
	s_waitcnt lgkmcnt(3)
	v_add3_u32 v4, v28, v4, v29
	s_waitcnt lgkmcnt(2)
	v_add3_u32 v5, v44, v5, v45
	s_cmp_lg_u32 s10, 0
	s_waitcnt lgkmcnt(0)
	v_add3_u32 v5, v48, v5, v49
	v_add3_u32 v4, v46, v4, v47
	s_cbranch_scc1 .LBB40_73
	s_branch .LBB40_76
.LBB40_74:                              ;   in Loop: Header=BB40_8 Depth=1
	s_cbranch_execnz .LBB40_79
	s_branch .LBB40_81
.LBB40_75:                              ;   in Loop: Header=BB40_8 Depth=1
	s_mov_b32 s69, s68
	v_pk_mov_b32 v[4:5], s[68:69], s[68:69] op_sel:[0,1]
	s_mov_b32 s69, 1
	s_mov_b64 s[20:21], s[68:69]
.LBB40_76:                              ;   in Loop: Header=BB40_8 Depth=1
	v_readlane_b32 s10, v54, 26
	v_readlane_b32 s11, v54, 27
	s_andn2_b64 vcc, exec, s[10:11]
	v_readlane_b32 s10, v54, 25
	s_cbranch_vccnz .LBB40_78
.LBB40_77:                              ;   Parent Loop BB40_8 Depth=1
                                        ; =>  This Inner Loop Header: Depth=2
	v_lshl_add_u32 v9, s20, 4, v8
	v_lshl_add_u32 v10, s21, 4, v8
	ds_read_b32 v10, v10
	ds_read_b32 v9, v9
	s_add_i32 s21, s21, 2
	s_add_i32 s20, s20, 2
	s_add_i32 s10, s10, -1
	s_cmp_lg_u32 s10, 0
	s_waitcnt lgkmcnt(1)
	v_add_u32_e32 v5, v10, v5
	s_waitcnt lgkmcnt(0)
	v_add_u32_e32 v4, v9, v4
	s_cbranch_scc1 .LBB40_77
.LBB40_78:                              ;   in Loop: Header=BB40_8 Depth=1
	v_readlane_b32 s20, v54, 30
	v_add_u32_e32 v4, v4, v5
	v_readlane_b32 s10, v54, 29
	v_readlane_b32 s21, v54, 31
	s_and_b64 vcc, exec, s[20:21]
	s_cbranch_vccz .LBB40_81
.LBB40_79:                              ;   in Loop: Header=BB40_8 Depth=1
	s_lshl_b32 s11, s6, 8
	s_lshl_b32 s12, s10, 4
	s_add_i32 s11, s11, s12
	v_add_u32_e32 v5, s11, v42
	v_readlane_b32 s11, v54, 28
	s_sub_i32 s10, s11, s10
.LBB40_80:                              ;   Parent Loop BB40_8 Depth=1
                                        ; =>  This Inner Loop Header: Depth=2
	ds_read_b32 v8, v5
	s_add_i32 s10, s10, -1
	v_add_u32_e32 v5, 16, v5
	s_cmp_eq_u32 s10, 0
	s_waitcnt lgkmcnt(0)
	v_add_u32_e32 v4, v8, v4
	s_cbranch_scc0 .LBB40_80
.LBB40_81:                              ;   in Loop: Header=BB40_8 Depth=1
	v_lshlrev_b32_e32 v2, 2, v2
	ds_write_b32 v2, v4 offset:3072
.LBB40_82:                              ;   in Loop: Header=BB40_8 Depth=1
	s_or_b64 exec, exec, s[18:19]
	s_lshl_b32 s7, s7, 2
	v_mov_b32_e32 v2, s7
	s_waitcnt lgkmcnt(0)
	s_barrier
	ds_read_b128 v[8:11], v2 offset:3072
	s_and_b32 s51, s75, 0xfe
	s_lshl_b64 s[20:21], 3, s51
	s_not_b64 s[30:31], s[20:21]
	s_mov_b64 s[24:25], -1
	s_waitcnt lgkmcnt(0)
	v_readfirstlane_b32 s38, v8
	s_cmp_eq_u32 s38, 1
	s_cselect_b64 s[10:11], -1, 0
	s_cmp_eq_u32 s61, 1
	s_cselect_b64 s[12:13], -1, 0
	s_and_b64 s[26:27], s[10:11], s[12:13]
	v_readfirstlane_b32 s42, v9
	v_readfirstlane_b32 s50, v10
	;; [unrolled: 1-line block ×3, first 2 shown]
	s_and_b64 vcc, exec, s[26:27]
	s_cbranch_vccz .LBB40_94
; %bb.83:                               ;   in Loop: Header=BB40_8 Depth=1
	ds_read_b32 v2, v19 offset:4096
	s_waitcnt lgkmcnt(0)
	s_barrier
	v_readfirstlane_b32 s10, v2
	s_and_saveexec_b64 s[18:19], s[4:5]
	s_cbranch_execz .LBB40_85
; %bb.84:                               ;   in Loop: Header=BB40_8 Depth=1
	v_mov_b32_e32 v18, v19
	ds_write_b64 v32, v[18:19]
.LBB40_85:                              ;   in Loop: Header=BB40_8 Depth=1
	s_or_b64 exec, exec, s[18:19]
	s_and_b64 s[82:83], s[82:83], s[30:31]
	s_or_b64 s[80:81], s[80:81], s[20:21]
	s_cmp_lt_i32 s10, 1
	s_waitcnt lgkmcnt(0)
	s_barrier
	s_cbranch_scc0 .LBB40_95
; %bb.86:                               ;   in Loop: Header=BB40_8 Depth=1
	s_mov_b64 s[18:19], 0
                                        ; implicit-def: $vgpr6_vgpr7
	s_mov_b64 s[22:23], exec
	v_readlane_b32 s12, v54, 39
	v_readlane_b32 s13, v54, 40
	s_and_b64 s[12:13], s[22:23], s[12:13]
	s_mov_b64 exec, s[12:13]
	s_cbranch_execz .LBB40_97
; %bb.87:                               ;   in Loop: Header=BB40_8 Depth=1
	s_mov_b64 s[34:35], 0
	v_mov_b32_e32 v8, v16
	v_mov_b32_e32 v10, v0
                                        ; implicit-def: $sgpr28_sgpr29
	s_branch .LBB40_89
.LBB40_88:                              ;   in Loop: Header=BB40_89 Depth=2
	s_or_b64 exec, exec, s[18:19]
	s_waitcnt lgkmcnt(0)
	s_barrier
	s_waitcnt vmcnt(0)
	ds_read_b128 v[4:7], v19 offset:3072
	v_add_u32_e32 v10, s33, v10
	v_cmp_le_i32_e64 s[18:19], s17, v10
	v_add_u32_e32 v8, s0, v8
	s_waitcnt lgkmcnt(0)
	v_cmp_neq_f64_e32 vcc, 0, v[4:5]
	s_or_b64 s[12:13], s[18:19], vcc
	s_and_b64 s[12:13], exec, s[12:13]
	s_or_b64 s[34:35], s[12:13], s[34:35]
	s_andn2_b64 s[12:13], s[28:29], exec
	s_and_b64 s[14:15], vcc, exec
	s_or_b64 s[28:29], s[12:13], s[14:15]
	s_barrier
	s_andn2_b64 exec, exec, s[34:35]
	s_cbranch_execz .LBB40_96
.LBB40_89:                              ;   Parent Loop BB40_8 Depth=1
                                        ; =>  This Inner Loop Header: Depth=2
	v_cmp_gt_i32_e32 vcc, s60, v10
	s_waitcnt vmcnt(0)
	v_pk_mov_b32 v[4:5], 0, 0
	s_and_saveexec_b64 s[36:37], vcc
	s_cbranch_execz .LBB40_91
; %bb.90:                               ;   in Loop: Header=BB40_89 Depth=2
	v_ashrrev_i32_e32 v9, 31, v8
	v_lshlrev_b64 v[4:5], 3, v[8:9]
	v_mov_b32_e32 v2, s16
	v_add_co_u32_e64 v4, s[18:19], s62, v4
	v_addc_co_u32_e64 v5, s[18:19], v2, v5, s[18:19]
	global_load_dwordx2 v[4:5], v[4:5], off
.LBB40_91:                              ;   in Loop: Header=BB40_89 Depth=2
	s_or_b64 exec, exec, s[36:37]
	s_and_saveexec_b64 s[18:19], vcc
	s_cbranch_execz .LBB40_88
; %bb.92:                               ;   in Loop: Header=BB40_89 Depth=2
	s_waitcnt vmcnt(0)
	v_ashrrev_i32_e32 v2, 31, v5
	v_or_b32_e32 v6, 0x80000000, v2
	v_xor_b32_e32 v6, v6, v5
	v_xor_b32_e32 v2, v2, v4
	v_cmp_o_f64_e32 vcc, v[4:5], v[4:5]
	v_cndmask_b32_e32 v6, -1, v6, vcc
	v_cndmask_b32_e32 v2, -1, v2, vcc
	v_and_b32_e32 v7, s81, v6
	v_and_b32_e32 v6, s80, v2
	v_cmp_eq_u64_e32 vcc, s[82:83], v[6:7]
	s_and_b64 exec, exec, vcc
	s_cbranch_execz .LBB40_88
; %bb.93:                               ;   in Loop: Header=BB40_89 Depth=2
	v_mov_b32_e32 v2, v19
	ds_write_b128 v19, v[2:5] offset:3072
	s_branch .LBB40_88
.LBB40_94:                              ;   in Loop: Header=BB40_8 Depth=1
	s_mov_b64 s[18:19], -1
                                        ; implicit-def: $sgpr22_sgpr23
                                        ; implicit-def: $sgpr34_sgpr35
                                        ; implicit-def: $sgpr28_sgpr29
	s_branch .LBB40_108
.LBB40_95:                              ;   in Loop: Header=BB40_8 Depth=1
	s_mov_b64 s[22:23], -1
	s_mov_b64 s[18:19], 0
                                        ; implicit-def: $sgpr28_sgpr29
                                        ; implicit-def: $vgpr6_vgpr7
	s_mov_b64 s[34:35], s[22:23]
	s_cbranch_execnz .LBB40_98
	s_branch .LBB40_108
.LBB40_96:                              ;   in Loop: Header=BB40_8 Depth=1
	s_or_b64 exec, exec, s[34:35]
	s_and_b64 s[18:19], s[28:29], exec
.LBB40_97:                              ;   in Loop: Header=BB40_8 Depth=1
	s_or_b64 exec, exec, s[22:23]
	s_mov_b64 s[28:29], -1
	s_mov_b64 s[22:23], 0
	s_mov_b64 s[34:35], s[22:23]
	s_branch .LBB40_108
.LBB40_98:                              ;   in Loop: Header=BB40_8 Depth=1
	v_readlane_b32 s11, v54, 9
	s_add_i32 s11, s10, s11
	s_abs_i32 s13, s11
	v_readlane_b32 s14, v54, 38
	s_mul_hi_u32 s14, s13, s14
	s_mul_i32 s14, s14, s33
	s_sub_i32 s13, s13, s14
	s_ashr_i32 s12, s11, 31
	s_sub_i32 s14, s13, s33
	s_cmp_ge_u32 s13, s33
	s_cselect_b32 s13, s14, s13
	s_sub_i32 s14, s13, s33
	s_cmp_ge_u32 s13, s33
	s_cselect_b32 s13, s14, s13
	s_xor_b32 s13, s13, s12
	s_sub_i32 s12, s12, s13
	s_add_i32 s11, s11, s12
	v_cmp_gt_i32_e32 vcc, s11, v0
	s_mov_b64 s[18:19], 0
                                        ; implicit-def: $vgpr6_vgpr7
	s_and_saveexec_b64 s[22:23], vcc
	s_cbranch_execz .LBB40_107
; %bb.99:                               ;   in Loop: Header=BB40_8 Depth=1
	s_mov_b64 s[34:35], 0
	v_mov_b32_e32 v8, v31
	v_mov_b32_e32 v9, v0
                                        ; implicit-def: $sgpr28_sgpr29
	s_branch .LBB40_101
.LBB40_100:                             ;   in Loop: Header=BB40_101 Depth=2
	s_or_b64 exec, exec, s[18:19]
	s_waitcnt lgkmcnt(0)
	s_barrier
	ds_read_b128 v[4:7], v19 offset:3072
	v_add_u32_e32 v9, s33, v9
	v_cmp_le_i32_e64 s[18:19], s11, v9
	v_add_u32_e32 v8, s74, v8
	s_waitcnt lgkmcnt(0)
	v_cmp_neq_f64_e32 vcc, 0, v[4:5]
	s_or_b64 s[12:13], s[18:19], vcc
	s_and_b64 s[12:13], exec, s[12:13]
	s_or_b64 s[34:35], s[12:13], s[34:35]
	s_andn2_b64 s[12:13], s[28:29], exec
	s_and_b64 s[14:15], vcc, exec
	s_or_b64 s[28:29], s[12:13], s[14:15]
	s_barrier
	s_andn2_b64 exec, exec, s[34:35]
	s_cbranch_execz .LBB40_106
.LBB40_101:                             ;   Parent Loop BB40_8 Depth=1
                                        ; =>  This Inner Loop Header: Depth=2
	v_cmp_gt_i32_e32 vcc, s10, v9
	s_waitcnt vmcnt(0)
	v_pk_mov_b32 v[4:5], 0, 0
	s_and_saveexec_b64 s[18:19], vcc
	s_cbranch_execz .LBB40_103
; %bb.102:                              ;   in Loop: Header=BB40_101 Depth=2
	ds_read_b64 v[4:5], v8
.LBB40_103:                             ;   in Loop: Header=BB40_101 Depth=2
	s_or_b64 exec, exec, s[18:19]
	s_and_saveexec_b64 s[18:19], vcc
	s_cbranch_execz .LBB40_100
; %bb.104:                              ;   in Loop: Header=BB40_101 Depth=2
	s_waitcnt lgkmcnt(0)
	v_ashrrev_i32_e32 v2, 31, v5
	v_or_b32_e32 v6, 0x80000000, v2
	v_xor_b32_e32 v6, v6, v5
	v_xor_b32_e32 v2, v2, v4
	v_cmp_o_f64_e32 vcc, v[4:5], v[4:5]
	v_cndmask_b32_e32 v6, -1, v6, vcc
	v_cndmask_b32_e32 v2, -1, v2, vcc
	v_and_b32_e32 v7, s81, v6
	v_and_b32_e32 v6, s80, v2
	v_cmp_eq_u64_e32 vcc, s[82:83], v[6:7]
	s_and_b64 exec, exec, vcc
	s_cbranch_execz .LBB40_100
; %bb.105:                              ;   in Loop: Header=BB40_101 Depth=2
	v_mov_b32_e32 v2, v19
	ds_write_b128 v19, v[2:5] offset:3072
	s_branch .LBB40_100
.LBB40_106:                             ;   in Loop: Header=BB40_8 Depth=1
	s_or_b64 exec, exec, s[34:35]
	s_and_b64 s[18:19], s[28:29], exec
.LBB40_107:                             ;   in Loop: Header=BB40_8 Depth=1
	s_or_b64 exec, exec, s[22:23]
	s_mov_b64 s[34:35], -1
	s_mov_b64 s[22:23], 0
	s_mov_b64 s[28:29], 0
.LBB40_108:                             ;   in Loop: Header=BB40_8 Depth=1
	s_andn2_b64 s[10:11], s[66:67], exec
	s_and_b64 s[12:13], s[22:23], exec
	s_or_b64 s[66:67], s[10:11], s[12:13]
	s_andn2_b64 s[10:11], s[64:65], exec
	s_and_b64 s[12:13], s[34:35], exec
	s_or_b64 s[64:65], s[10:11], s[12:13]
	;; [unrolled: 3-line block ×3, first 2 shown]
	s_and_saveexec_b64 s[22:23], s[18:19]
	s_cbranch_execz .LBB40_7
; %bb.109:                              ;   in Loop: Header=BB40_8 Depth=1
	s_xor_b64 s[10:11], s[26:27], -1
	s_mov_b64 s[18:19], 0
	s_andn2_b64 vcc, exec, s[10:11]
	s_mov_b32 s43, 1
	s_cbranch_vccnz .LBB40_120
; %bb.110:                              ;   in Loop: Header=BB40_8 Depth=1
	s_cmp_gt_i32 s61, s38
	s_mov_b64 s[18:19], -1
                                        ; implicit-def: $sgpr57
                                        ; implicit-def: $sgpr24_sgpr25
                                        ; implicit-def: $sgpr26_sgpr27
	s_cbranch_scc1 .LBB40_116
; %bb.111:                              ;   in Loop: Header=BB40_8 Depth=1
	ds_read_b32 v2, v19 offset:4096
	s_waitcnt lgkmcnt(0)
	v_cmp_ne_u32_e32 vcc, 0, v2
	s_cbranch_vccnz .LBB40_115
; %bb.112:                              ;   in Loop: Header=BB40_8 Depth=1
	s_mov_b64 s[18:19], exec
	v_readlane_b32 s10, v54, 4
	v_readlane_b32 s11, v54, 5
	s_and_b64 s[10:11], s[18:19], s[10:11]
	s_mov_b64 exec, s[10:11]
	s_cbranch_execz .LBB40_114
; %bb.113:                              ;   in Loop: Header=BB40_8 Depth=1
	v_mov_b32_e32 v2, s38
	ds_write_b32 v19, v2 offset:4100
.LBB40_114:                             ;   in Loop: Header=BB40_8 Depth=1
	s_or_b64 exec, exec, s[18:19]
	s_waitcnt lgkmcnt(0)
	s_barrier
.LBB40_115:                             ;   in Loop: Header=BB40_8 Depth=1
	s_and_b64 s[24:25], s[82:83], s[30:31]
	s_or_b64 s[26:27], s[80:81], s[20:21]
	s_mov_b64 s[18:19], 0
	s_mov_b32 s57, 8
.LBB40_116:                             ;   in Loop: Header=BB40_8 Depth=1
	s_andn2_b64 vcc, exec, s[18:19]
	s_cbranch_vccnz .LBB40_118
; %bb.117:                              ;   in Loop: Header=BB40_8 Depth=1
	s_sub_i32 s61, s61, s38
	s_mov_b64 s[18:19], -1
	s_mov_b32 s57, 0
	s_mov_b64 s[24:25], s[82:83]
	s_mov_b64 s[26:27], s[80:81]
.LBB40_118:                             ;   in Loop: Header=BB40_8 Depth=1
	s_mov_b64 s[80:81], s[26:27]
	s_mov_b64 s[82:83], s[24:25]
	s_mov_b32 s43, s61
	s_mov_b64 s[24:25], -1
	s_and_b64 vcc, exec, s[18:19]
	s_cbranch_vccnz .LBB40_121
.LBB40_119:                             ;   in Loop: Header=BB40_8 Depth=1
	s_mov_b64 s[40:41], -1
                                        ; implicit-def: $sgpr26_sgpr27
                                        ; implicit-def: $sgpr34_sgpr35
                                        ; implicit-def: $sgpr28_sgpr29
	s_and_saveexec_b64 s[10:11], s[40:41]
	s_xor_b64 s[18:19], exec, s[10:11]
	s_cbranch_execz .LBB40_6
	s_branch .LBB40_244
.LBB40_120:                             ;   in Loop: Header=BB40_8 Depth=1
	s_mov_b32 s57, 1
	s_mov_b64 s[24:25], -1
	s_and_b64 vcc, exec, s[18:19]
	s_cbranch_vccz .LBB40_119
.LBB40_121:                             ;   in Loop: Header=BB40_8 Depth=1
	s_cmp_eq_u32 s42, 1
	s_cselect_b64 s[10:11], -1, 0
	s_cmp_eq_u32 s43, 1
	s_cselect_b64 s[12:13], -1, 0
	s_and_b64 s[38:39], s[10:11], s[12:13]
	s_mov_b64 s[18:19], -1
	s_and_b64 vcc, exec, s[38:39]
	s_cbranch_vccz .LBB40_133
; %bb.122:                              ;   in Loop: Header=BB40_8 Depth=1
	ds_read_b32 v2, v19 offset:4096
	s_waitcnt lgkmcnt(0)
	s_barrier
	v_readfirstlane_b32 s10, v2
	s_and_saveexec_b64 s[18:19], s[4:5]
	s_cbranch_execz .LBB40_124
; %bb.123:                              ;   in Loop: Header=BB40_8 Depth=1
	v_mov_b32_e32 v18, v19
	ds_write_b64 v32, v[18:19]
.LBB40_124:                             ;   in Loop: Header=BB40_8 Depth=1
	s_or_b64 exec, exec, s[18:19]
	s_lshl_b64 s[12:13], 1, s51
	s_and_b64 s[14:15], s[82:83], s[30:31]
	s_or_b64 s[82:83], s[14:15], s[12:13]
	s_or_b64 s[80:81], s[80:81], s[20:21]
	s_cmp_gt_i32 s10, 0
	s_waitcnt lgkmcnt(0)
	s_barrier
	s_cbranch_scc1 .LBB40_134
; %bb.125:                              ;   in Loop: Header=BB40_8 Depth=1
	s_mov_b64 s[18:19], 0
                                        ; implicit-def: $vgpr6_vgpr7
	s_mov_b64 s[26:27], exec
	v_readlane_b32 s12, v54, 39
	v_readlane_b32 s13, v54, 40
	s_and_b64 s[12:13], s[26:27], s[12:13]
	s_mov_b64 exec, s[12:13]
	s_cbranch_execz .LBB40_136
; %bb.126:                              ;   in Loop: Header=BB40_8 Depth=1
	s_mov_b64 s[34:35], 0
	v_mov_b32_e32 v8, v16
	v_mov_b32_e32 v10, v0
                                        ; implicit-def: $sgpr28_sgpr29
	s_branch .LBB40_128
.LBB40_127:                             ;   in Loop: Header=BB40_128 Depth=2
	s_or_b64 exec, exec, s[18:19]
	s_waitcnt lgkmcnt(0)
	s_barrier
	s_waitcnt vmcnt(0)
	ds_read_b128 v[4:7], v19 offset:3072
	v_add_u32_e32 v10, s33, v10
	v_cmp_le_i32_e64 s[18:19], s17, v10
	v_add_u32_e32 v8, s0, v8
	s_waitcnt lgkmcnt(0)
	v_cmp_neq_f64_e32 vcc, 0, v[4:5]
	s_or_b64 s[12:13], s[18:19], vcc
	s_and_b64 s[12:13], exec, s[12:13]
	s_or_b64 s[34:35], s[12:13], s[34:35]
	s_andn2_b64 s[12:13], s[28:29], exec
	s_and_b64 s[14:15], vcc, exec
	s_or_b64 s[28:29], s[12:13], s[14:15]
	s_barrier
	s_andn2_b64 exec, exec, s[34:35]
	s_cbranch_execz .LBB40_135
.LBB40_128:                             ;   Parent Loop BB40_8 Depth=1
                                        ; =>  This Inner Loop Header: Depth=2
	v_cmp_gt_i32_e32 vcc, s60, v10
	s_waitcnt vmcnt(0)
	v_pk_mov_b32 v[4:5], 0, 0
	s_and_saveexec_b64 s[36:37], vcc
	s_cbranch_execz .LBB40_130
; %bb.129:                              ;   in Loop: Header=BB40_128 Depth=2
	v_ashrrev_i32_e32 v9, 31, v8
	v_lshlrev_b64 v[4:5], 3, v[8:9]
	v_mov_b32_e32 v2, s16
	v_add_co_u32_e64 v4, s[18:19], s62, v4
	v_addc_co_u32_e64 v5, s[18:19], v2, v5, s[18:19]
	global_load_dwordx2 v[4:5], v[4:5], off
.LBB40_130:                             ;   in Loop: Header=BB40_128 Depth=2
	s_or_b64 exec, exec, s[36:37]
	s_and_saveexec_b64 s[18:19], vcc
	s_cbranch_execz .LBB40_127
; %bb.131:                              ;   in Loop: Header=BB40_128 Depth=2
	s_waitcnt vmcnt(0)
	v_ashrrev_i32_e32 v2, 31, v5
	v_or_b32_e32 v6, 0x80000000, v2
	v_xor_b32_e32 v6, v6, v5
	v_xor_b32_e32 v2, v2, v4
	v_cmp_o_f64_e32 vcc, v[4:5], v[4:5]
	v_cndmask_b32_e32 v6, -1, v6, vcc
	v_cndmask_b32_e32 v2, -1, v2, vcc
	v_and_b32_e32 v7, s81, v6
	v_and_b32_e32 v6, s80, v2
	v_cmp_eq_u64_e32 vcc, s[82:83], v[6:7]
	s_and_b64 exec, exec, vcc
	s_cbranch_execz .LBB40_127
; %bb.132:                              ;   in Loop: Header=BB40_128 Depth=2
	v_mov_b32_e32 v2, v19
	ds_write_b128 v19, v[2:5] offset:3072
	s_branch .LBB40_127
.LBB40_133:                             ;   in Loop: Header=BB40_8 Depth=1
                                        ; implicit-def: $sgpr28_sgpr29
                                        ; implicit-def: $sgpr34_sgpr35
                                        ; implicit-def: $sgpr26_sgpr27
	s_branch .LBB40_147
.LBB40_134:                             ;   in Loop: Header=BB40_8 Depth=1
	s_mov_b64 s[28:29], -1
	s_mov_b64 s[18:19], 0
                                        ; implicit-def: $sgpr26_sgpr27
                                        ; implicit-def: $vgpr6_vgpr7
	s_mov_b64 s[34:35], s[28:29]
	s_cbranch_execnz .LBB40_137
	s_branch .LBB40_147
.LBB40_135:                             ;   in Loop: Header=BB40_8 Depth=1
	s_or_b64 exec, exec, s[34:35]
	s_and_b64 s[18:19], s[28:29], exec
.LBB40_136:                             ;   in Loop: Header=BB40_8 Depth=1
	s_or_b64 exec, exec, s[26:27]
	s_mov_b64 s[26:27], -1
	s_mov_b64 s[28:29], 0
	s_mov_b64 s[34:35], s[28:29]
	s_branch .LBB40_147
.LBB40_137:                             ;   in Loop: Header=BB40_8 Depth=1
	v_readlane_b32 s11, v54, 9
	s_add_i32 s11, s10, s11
	s_abs_i32 s13, s11
	v_readlane_b32 s14, v54, 38
	s_mul_hi_u32 s14, s13, s14
	s_mul_i32 s14, s14, s33
	s_sub_i32 s13, s13, s14
	s_ashr_i32 s12, s11, 31
	s_sub_i32 s14, s13, s33
	s_cmp_ge_u32 s13, s33
	s_cselect_b32 s13, s14, s13
	s_sub_i32 s14, s13, s33
	s_cmp_ge_u32 s13, s33
	s_cselect_b32 s13, s14, s13
	s_xor_b32 s13, s13, s12
	s_sub_i32 s12, s12, s13
	s_add_i32 s11, s11, s12
	v_cmp_gt_i32_e32 vcc, s11, v0
	s_mov_b64 s[18:19], 0
                                        ; implicit-def: $vgpr6_vgpr7
	s_and_saveexec_b64 s[26:27], vcc
	s_cbranch_execz .LBB40_146
; %bb.138:                              ;   in Loop: Header=BB40_8 Depth=1
	s_mov_b64 s[34:35], 0
	v_mov_b32_e32 v8, v31
	v_mov_b32_e32 v9, v0
                                        ; implicit-def: $sgpr28_sgpr29
	s_branch .LBB40_140
.LBB40_139:                             ;   in Loop: Header=BB40_140 Depth=2
	s_or_b64 exec, exec, s[18:19]
	s_waitcnt lgkmcnt(0)
	s_barrier
	ds_read_b128 v[4:7], v19 offset:3072
	v_add_u32_e32 v9, s33, v9
	v_cmp_le_i32_e64 s[18:19], s11, v9
	v_add_u32_e32 v8, s74, v8
	s_waitcnt lgkmcnt(0)
	v_cmp_neq_f64_e32 vcc, 0, v[4:5]
	s_or_b64 s[12:13], s[18:19], vcc
	s_and_b64 s[12:13], exec, s[12:13]
	s_or_b64 s[34:35], s[12:13], s[34:35]
	s_andn2_b64 s[12:13], s[28:29], exec
	s_and_b64 s[14:15], vcc, exec
	s_or_b64 s[28:29], s[12:13], s[14:15]
	s_barrier
	s_andn2_b64 exec, exec, s[34:35]
	s_cbranch_execz .LBB40_145
.LBB40_140:                             ;   Parent Loop BB40_8 Depth=1
                                        ; =>  This Inner Loop Header: Depth=2
	v_cmp_gt_i32_e32 vcc, s10, v9
	s_waitcnt vmcnt(0)
	v_pk_mov_b32 v[4:5], 0, 0
	s_and_saveexec_b64 s[18:19], vcc
	s_cbranch_execz .LBB40_142
; %bb.141:                              ;   in Loop: Header=BB40_140 Depth=2
	ds_read_b64 v[4:5], v8
.LBB40_142:                             ;   in Loop: Header=BB40_140 Depth=2
	s_or_b64 exec, exec, s[18:19]
	s_and_saveexec_b64 s[18:19], vcc
	s_cbranch_execz .LBB40_139
; %bb.143:                              ;   in Loop: Header=BB40_140 Depth=2
	s_waitcnt lgkmcnt(0)
	v_ashrrev_i32_e32 v2, 31, v5
	v_or_b32_e32 v6, 0x80000000, v2
	v_xor_b32_e32 v6, v6, v5
	v_xor_b32_e32 v2, v2, v4
	v_cmp_o_f64_e32 vcc, v[4:5], v[4:5]
	v_cndmask_b32_e32 v6, -1, v6, vcc
	v_cndmask_b32_e32 v2, -1, v2, vcc
	v_and_b32_e32 v7, s81, v6
	v_and_b32_e32 v6, s80, v2
	v_cmp_eq_u64_e32 vcc, s[82:83], v[6:7]
	s_and_b64 exec, exec, vcc
	s_cbranch_execz .LBB40_139
; %bb.144:                              ;   in Loop: Header=BB40_140 Depth=2
	v_mov_b32_e32 v2, v19
	ds_write_b128 v19, v[2:5] offset:3072
	s_branch .LBB40_139
.LBB40_145:                             ;   in Loop: Header=BB40_8 Depth=1
	s_or_b64 exec, exec, s[34:35]
	s_and_b64 s[18:19], s[28:29], exec
.LBB40_146:                             ;   in Loop: Header=BB40_8 Depth=1
	s_or_b64 exec, exec, s[26:27]
	s_mov_b64 s[34:35], -1
	s_mov_b64 s[28:29], 0
	s_mov_b64 s[26:27], 0
.LBB40_147:                             ;   in Loop: Header=BB40_8 Depth=1
	s_mov_b64 s[40:41], 0
                                        ; implicit-def: $sgpr57
	s_and_saveexec_b64 s[36:37], s[18:19]
	s_cbranch_execz .LBB40_243
; %bb.148:                              ;   in Loop: Header=BB40_8 Depth=1
	s_xor_b64 s[10:11], s[38:39], -1
	s_mov_b64 s[18:19], 0
	s_andn2_b64 vcc, exec, s[10:11]
	s_mov_b32 s52, 1
	s_cbranch_vccnz .LBB40_159
; %bb.149:                              ;   in Loop: Header=BB40_8 Depth=1
	s_cmp_gt_i32 s43, s42
	s_mov_b64 s[18:19], -1
                                        ; implicit-def: $sgpr57
                                        ; implicit-def: $sgpr38_sgpr39
                                        ; implicit-def: $sgpr40_sgpr41
	s_cbranch_scc1 .LBB40_155
; %bb.150:                              ;   in Loop: Header=BB40_8 Depth=1
	ds_read_b32 v2, v19 offset:4096
	s_waitcnt lgkmcnt(0)
	v_cmp_ne_u32_e32 vcc, 0, v2
	s_cbranch_vccnz .LBB40_154
; %bb.151:                              ;   in Loop: Header=BB40_8 Depth=1
	s_mov_b64 s[18:19], exec
	v_readlane_b32 s10, v54, 4
	v_readlane_b32 s11, v54, 5
	s_and_b64 s[10:11], s[18:19], s[10:11]
	s_mov_b64 exec, s[10:11]
	s_cbranch_execz .LBB40_153
; %bb.152:                              ;   in Loop: Header=BB40_8 Depth=1
	v_mov_b32_e32 v2, s42
	ds_write_b32 v19, v2 offset:4100
.LBB40_153:                             ;   in Loop: Header=BB40_8 Depth=1
	s_or_b64 exec, exec, s[18:19]
	s_waitcnt lgkmcnt(0)
	s_barrier
.LBB40_154:                             ;   in Loop: Header=BB40_8 Depth=1
	s_lshl_b64 s[10:11], 1, s51
	s_and_b64 s[12:13], s[82:83], s[30:31]
	s_or_b64 s[38:39], s[12:13], s[10:11]
	s_or_b64 s[40:41], s[80:81], s[20:21]
	s_mov_b64 s[18:19], 0
	s_mov_b32 s57, 8
.LBB40_155:                             ;   in Loop: Header=BB40_8 Depth=1
	s_andn2_b64 vcc, exec, s[18:19]
	s_cbranch_vccnz .LBB40_157
; %bb.156:                              ;   in Loop: Header=BB40_8 Depth=1
	s_sub_i32 s43, s43, s42
	s_mov_b64 s[18:19], -1
	s_mov_b32 s57, 0
	s_mov_b64 s[38:39], s[82:83]
	s_mov_b64 s[40:41], s[80:81]
.LBB40_157:                             ;   in Loop: Header=BB40_8 Depth=1
	s_mov_b64 s[80:81], s[40:41]
	s_mov_b64 s[82:83], s[38:39]
	s_mov_b32 s52, s43
	s_andn2_b64 vcc, exec, s[18:19]
	s_mov_b64 s[48:49], -1
	s_cbranch_vccz .LBB40_160
.LBB40_158:                             ;   in Loop: Header=BB40_8 Depth=1
                                        ; implicit-def: $sgpr40_sgpr41
                                        ; implicit-def: $sgpr42_sgpr43
                                        ; implicit-def: $sgpr38_sgpr39
	s_branch .LBB40_242
.LBB40_159:                             ;   in Loop: Header=BB40_8 Depth=1
	s_mov_b32 s57, 1
	s_andn2_b64 vcc, exec, s[18:19]
	s_mov_b64 s[48:49], -1
	s_cbranch_vccnz .LBB40_158
.LBB40_160:                             ;   in Loop: Header=BB40_8 Depth=1
	s_cmp_eq_u32 s50, 1
	s_cselect_b64 s[10:11], -1, 0
	s_cmp_eq_u32 s52, 1
	s_cselect_b64 s[12:13], -1, 0
	s_and_b64 s[46:47], s[10:11], s[12:13]
	s_mov_b64 s[18:19], -1
	s_and_b64 vcc, exec, s[46:47]
	s_cbranch_vccz .LBB40_172
; %bb.161:                              ;   in Loop: Header=BB40_8 Depth=1
	ds_read_b32 v2, v19 offset:4096
	s_waitcnt lgkmcnt(0)
	s_barrier
	v_readfirstlane_b32 s10, v2
	s_and_saveexec_b64 s[18:19], s[4:5]
	s_cbranch_execz .LBB40_163
; %bb.162:                              ;   in Loop: Header=BB40_8 Depth=1
	v_mov_b32_e32 v18, v19
	ds_write_b64 v32, v[18:19]
.LBB40_163:                             ;   in Loop: Header=BB40_8 Depth=1
	s_or_b64 exec, exec, s[18:19]
	s_lshl_b64 s[12:13], 2, s51
	s_and_b64 s[14:15], s[82:83], s[30:31]
	s_or_b64 s[82:83], s[14:15], s[12:13]
	s_or_b64 s[80:81], s[80:81], s[20:21]
	s_cmp_gt_i32 s10, 0
	s_waitcnt lgkmcnt(0)
	s_barrier
	s_cbranch_scc1 .LBB40_173
; %bb.164:                              ;   in Loop: Header=BB40_8 Depth=1
	s_mov_b64 s[18:19], 0
                                        ; implicit-def: $vgpr6_vgpr7
	s_mov_b64 s[38:39], exec
	v_readlane_b32 s12, v54, 39
	v_readlane_b32 s13, v54, 40
	s_and_b64 s[12:13], s[38:39], s[12:13]
	s_mov_b64 exec, s[12:13]
	s_cbranch_execz .LBB40_175
; %bb.165:                              ;   in Loop: Header=BB40_8 Depth=1
	s_mov_b64 s[42:43], 0
	v_mov_b32_e32 v8, v16
	v_mov_b32_e32 v10, v0
                                        ; implicit-def: $sgpr40_sgpr41
	s_branch .LBB40_167
.LBB40_166:                             ;   in Loop: Header=BB40_167 Depth=2
	s_or_b64 exec, exec, s[18:19]
	s_waitcnt lgkmcnt(0)
	s_barrier
	s_waitcnt vmcnt(0)
	ds_read_b128 v[4:7], v19 offset:3072
	v_add_u32_e32 v10, s33, v10
	v_cmp_le_i32_e64 s[18:19], s17, v10
	v_add_u32_e32 v8, s0, v8
	s_waitcnt lgkmcnt(0)
	v_cmp_neq_f64_e32 vcc, 0, v[4:5]
	s_or_b64 s[12:13], s[18:19], vcc
	s_and_b64 s[12:13], exec, s[12:13]
	s_or_b64 s[42:43], s[12:13], s[42:43]
	s_andn2_b64 s[12:13], s[40:41], exec
	s_and_b64 s[14:15], vcc, exec
	s_or_b64 s[40:41], s[12:13], s[14:15]
	s_barrier
	s_andn2_b64 exec, exec, s[42:43]
	s_cbranch_execz .LBB40_174
.LBB40_167:                             ;   Parent Loop BB40_8 Depth=1
                                        ; =>  This Inner Loop Header: Depth=2
	v_cmp_gt_i32_e32 vcc, s60, v10
	s_waitcnt vmcnt(0)
	v_pk_mov_b32 v[4:5], 0, 0
	s_and_saveexec_b64 s[44:45], vcc
	s_cbranch_execz .LBB40_169
; %bb.168:                              ;   in Loop: Header=BB40_167 Depth=2
	v_ashrrev_i32_e32 v9, 31, v8
	v_lshlrev_b64 v[4:5], 3, v[8:9]
	v_mov_b32_e32 v2, s16
	v_add_co_u32_e64 v4, s[18:19], s62, v4
	v_addc_co_u32_e64 v5, s[18:19], v2, v5, s[18:19]
	global_load_dwordx2 v[4:5], v[4:5], off
.LBB40_169:                             ;   in Loop: Header=BB40_167 Depth=2
	s_or_b64 exec, exec, s[44:45]
	s_and_saveexec_b64 s[18:19], vcc
	s_cbranch_execz .LBB40_166
; %bb.170:                              ;   in Loop: Header=BB40_167 Depth=2
	s_waitcnt vmcnt(0)
	v_ashrrev_i32_e32 v2, 31, v5
	v_or_b32_e32 v6, 0x80000000, v2
	v_xor_b32_e32 v6, v6, v5
	v_xor_b32_e32 v2, v2, v4
	v_cmp_o_f64_e32 vcc, v[4:5], v[4:5]
	v_cndmask_b32_e32 v6, -1, v6, vcc
	v_cndmask_b32_e32 v2, -1, v2, vcc
	v_and_b32_e32 v7, s81, v6
	v_and_b32_e32 v6, s80, v2
	v_cmp_eq_u64_e32 vcc, s[82:83], v[6:7]
	s_and_b64 exec, exec, vcc
	s_cbranch_execz .LBB40_166
; %bb.171:                              ;   in Loop: Header=BB40_167 Depth=2
	v_mov_b32_e32 v2, v19
	ds_write_b128 v19, v[2:5] offset:3072
	s_branch .LBB40_166
.LBB40_172:                             ;   in Loop: Header=BB40_8 Depth=1
                                        ; implicit-def: $sgpr38_sgpr39
                                        ; implicit-def: $sgpr42_sgpr43
                                        ; implicit-def: $sgpr40_sgpr41
	s_branch .LBB40_186
.LBB40_173:                             ;   in Loop: Header=BB40_8 Depth=1
	s_mov_b64 s[38:39], -1
	s_mov_b64 s[18:19], 0
                                        ; implicit-def: $sgpr40_sgpr41
                                        ; implicit-def: $vgpr6_vgpr7
	s_mov_b64 s[42:43], s[38:39]
	s_cbranch_execnz .LBB40_176
	s_branch .LBB40_186
.LBB40_174:                             ;   in Loop: Header=BB40_8 Depth=1
	s_or_b64 exec, exec, s[42:43]
	s_and_b64 s[18:19], s[40:41], exec
.LBB40_175:                             ;   in Loop: Header=BB40_8 Depth=1
	s_or_b64 exec, exec, s[38:39]
	s_mov_b64 s[40:41], -1
	s_mov_b64 s[38:39], 0
	s_mov_b64 s[42:43], s[38:39]
	s_branch .LBB40_186
.LBB40_176:                             ;   in Loop: Header=BB40_8 Depth=1
	v_readlane_b32 s11, v54, 9
	s_add_i32 s11, s10, s11
	s_abs_i32 s13, s11
	v_readlane_b32 s14, v54, 38
	s_mul_hi_u32 s14, s13, s14
	s_mul_i32 s14, s14, s33
	s_sub_i32 s13, s13, s14
	s_ashr_i32 s12, s11, 31
	s_sub_i32 s14, s13, s33
	s_cmp_ge_u32 s13, s33
	s_cselect_b32 s13, s14, s13
	s_sub_i32 s14, s13, s33
	s_cmp_ge_u32 s13, s33
	s_cselect_b32 s13, s14, s13
	s_xor_b32 s13, s13, s12
	s_sub_i32 s12, s12, s13
	s_add_i32 s11, s11, s12
	v_cmp_gt_i32_e32 vcc, s11, v0
	s_mov_b64 s[18:19], 0
                                        ; implicit-def: $vgpr6_vgpr7
	s_and_saveexec_b64 s[38:39], vcc
	s_cbranch_execz .LBB40_185
; %bb.177:                              ;   in Loop: Header=BB40_8 Depth=1
	s_mov_b64 s[42:43], 0
	v_mov_b32_e32 v8, v31
	v_mov_b32_e32 v9, v0
                                        ; implicit-def: $sgpr40_sgpr41
	s_branch .LBB40_179
.LBB40_178:                             ;   in Loop: Header=BB40_179 Depth=2
	s_or_b64 exec, exec, s[18:19]
	s_waitcnt lgkmcnt(0)
	s_barrier
	ds_read_b128 v[4:7], v19 offset:3072
	v_add_u32_e32 v9, s33, v9
	v_cmp_le_i32_e64 s[18:19], s11, v9
	v_add_u32_e32 v8, s74, v8
	s_waitcnt lgkmcnt(0)
	v_cmp_neq_f64_e32 vcc, 0, v[4:5]
	s_or_b64 s[12:13], s[18:19], vcc
	s_and_b64 s[12:13], exec, s[12:13]
	s_or_b64 s[42:43], s[12:13], s[42:43]
	s_andn2_b64 s[12:13], s[40:41], exec
	s_and_b64 s[14:15], vcc, exec
	s_or_b64 s[40:41], s[12:13], s[14:15]
	s_barrier
	s_andn2_b64 exec, exec, s[42:43]
	s_cbranch_execz .LBB40_184
.LBB40_179:                             ;   Parent Loop BB40_8 Depth=1
                                        ; =>  This Inner Loop Header: Depth=2
	v_cmp_gt_i32_e32 vcc, s10, v9
	s_waitcnt vmcnt(0)
	v_pk_mov_b32 v[4:5], 0, 0
	s_and_saveexec_b64 s[18:19], vcc
	s_cbranch_execz .LBB40_181
; %bb.180:                              ;   in Loop: Header=BB40_179 Depth=2
	ds_read_b64 v[4:5], v8
.LBB40_181:                             ;   in Loop: Header=BB40_179 Depth=2
	s_or_b64 exec, exec, s[18:19]
	s_and_saveexec_b64 s[18:19], vcc
	s_cbranch_execz .LBB40_178
; %bb.182:                              ;   in Loop: Header=BB40_179 Depth=2
	s_waitcnt lgkmcnt(0)
	v_ashrrev_i32_e32 v2, 31, v5
	v_or_b32_e32 v6, 0x80000000, v2
	v_xor_b32_e32 v6, v6, v5
	v_xor_b32_e32 v2, v2, v4
	v_cmp_o_f64_e32 vcc, v[4:5], v[4:5]
	v_cndmask_b32_e32 v6, -1, v6, vcc
	v_cndmask_b32_e32 v2, -1, v2, vcc
	v_and_b32_e32 v7, s81, v6
	v_and_b32_e32 v6, s80, v2
	v_cmp_eq_u64_e32 vcc, s[82:83], v[6:7]
	s_and_b64 exec, exec, vcc
	s_cbranch_execz .LBB40_178
; %bb.183:                              ;   in Loop: Header=BB40_179 Depth=2
	v_mov_b32_e32 v2, v19
	ds_write_b128 v19, v[2:5] offset:3072
	s_branch .LBB40_178
.LBB40_184:                             ;   in Loop: Header=BB40_8 Depth=1
	s_or_b64 exec, exec, s[42:43]
	s_and_b64 s[18:19], s[40:41], exec
.LBB40_185:                             ;   in Loop: Header=BB40_8 Depth=1
	s_or_b64 exec, exec, s[38:39]
	s_mov_b64 s[42:43], -1
	s_mov_b64 s[38:39], 0
	s_mov_b64 s[40:41], 0
.LBB40_186:                             ;   in Loop: Header=BB40_8 Depth=1
	s_mov_b64 s[48:49], 0
                                        ; implicit-def: $sgpr57
	s_and_saveexec_b64 s[44:45], s[18:19]
	s_cbranch_execz .LBB40_241
; %bb.187:                              ;   in Loop: Header=BB40_8 Depth=1
	s_xor_b64 s[10:11], s[46:47], -1
	s_mov_b64 s[18:19], 0
	s_andn2_b64 vcc, exec, s[10:11]
	s_mov_b32 s56, 1
	s_cbranch_vccnz .LBB40_198
; %bb.188:                              ;   in Loop: Header=BB40_8 Depth=1
	s_cmp_gt_i32 s52, s50
	s_mov_b64 s[18:19], -1
                                        ; implicit-def: $sgpr57
                                        ; implicit-def: $sgpr46_sgpr47
                                        ; implicit-def: $sgpr48_sgpr49
	s_cbranch_scc1 .LBB40_194
; %bb.189:                              ;   in Loop: Header=BB40_8 Depth=1
	ds_read_b32 v2, v19 offset:4096
	s_waitcnt lgkmcnt(0)
	v_cmp_ne_u32_e32 vcc, 0, v2
	s_cbranch_vccnz .LBB40_193
; %bb.190:                              ;   in Loop: Header=BB40_8 Depth=1
	s_mov_b64 s[18:19], exec
	v_readlane_b32 s10, v54, 4
	v_readlane_b32 s11, v54, 5
	s_and_b64 s[10:11], s[18:19], s[10:11]
	s_mov_b64 exec, s[10:11]
	s_cbranch_execz .LBB40_192
; %bb.191:                              ;   in Loop: Header=BB40_8 Depth=1
	v_mov_b32_e32 v2, s50
	ds_write_b32 v19, v2 offset:4100
.LBB40_192:                             ;   in Loop: Header=BB40_8 Depth=1
	s_or_b64 exec, exec, s[18:19]
	s_waitcnt lgkmcnt(0)
	s_barrier
.LBB40_193:                             ;   in Loop: Header=BB40_8 Depth=1
	s_lshl_b64 s[10:11], 2, s51
	s_and_b64 s[12:13], s[82:83], s[30:31]
	s_or_b64 s[46:47], s[12:13], s[10:11]
	s_or_b64 s[48:49], s[80:81], s[20:21]
	s_mov_b64 s[18:19], 0
	s_mov_b32 s57, 8
.LBB40_194:                             ;   in Loop: Header=BB40_8 Depth=1
	s_andn2_b64 vcc, exec, s[18:19]
	s_cbranch_vccnz .LBB40_196
; %bb.195:                              ;   in Loop: Header=BB40_8 Depth=1
	s_sub_i32 s52, s52, s50
	s_mov_b64 s[18:19], -1
	s_mov_b32 s57, 0
	s_mov_b64 s[46:47], s[82:83]
	s_mov_b64 s[48:49], s[80:81]
.LBB40_196:                             ;   in Loop: Header=BB40_8 Depth=1
	s_mov_b64 s[80:81], s[48:49]
	s_mov_b64 s[82:83], s[46:47]
	s_mov_b32 s56, s52
	s_andn2_b64 vcc, exec, s[18:19]
	s_mov_b64 s[54:55], -1
	s_cbranch_vccz .LBB40_199
.LBB40_197:                             ;   in Loop: Header=BB40_8 Depth=1
                                        ; implicit-def: $sgpr18_sgpr19
                                        ; implicit-def: $sgpr48_sgpr49
                                        ; implicit-def: $sgpr46_sgpr47
	s_branch .LBB40_240
.LBB40_198:                             ;   in Loop: Header=BB40_8 Depth=1
	s_mov_b32 s57, 1
	s_andn2_b64 vcc, exec, s[18:19]
	s_mov_b64 s[54:55], -1
	s_cbranch_vccnz .LBB40_197
.LBB40_199:                             ;   in Loop: Header=BB40_8 Depth=1
	s_cmp_eq_u32 s7, 1
	s_cselect_b64 s[10:11], -1, 0
	s_cmp_eq_u32 s56, 1
	s_cselect_b64 s[12:13], -1, 0
	s_and_b64 s[30:31], s[10:11], s[12:13]
	s_mov_b64 s[50:51], -1
	s_and_b64 vcc, exec, s[30:31]
	s_cbranch_vccz .LBB40_211
; %bb.200:                              ;   in Loop: Header=BB40_8 Depth=1
	ds_read_b32 v2, v19 offset:4096
	s_waitcnt lgkmcnt(0)
	s_barrier
	v_readfirstlane_b32 s10, v2
	s_and_saveexec_b64 s[18:19], s[4:5]
	s_cbranch_execz .LBB40_202
; %bb.201:                              ;   in Loop: Header=BB40_8 Depth=1
	v_mov_b32_e32 v18, v19
	ds_write_b64 v32, v[18:19]
.LBB40_202:                             ;   in Loop: Header=BB40_8 Depth=1
	s_or_b64 exec, exec, s[18:19]
	s_or_b64 s[82:83], s[82:83], s[20:21]
	s_or_b64 s[80:81], s[80:81], s[20:21]
	s_cmp_gt_i32 s10, 0
	s_waitcnt lgkmcnt(0)
	s_barrier
	s_cbranch_scc1 .LBB40_212
; %bb.203:                              ;   in Loop: Header=BB40_8 Depth=1
	s_mov_b64 s[50:51], 0
                                        ; implicit-def: $vgpr6_vgpr7
	s_mov_b64 s[46:47], exec
	v_readlane_b32 s12, v54, 39
	v_readlane_b32 s13, v54, 40
	s_and_b64 s[12:13], s[46:47], s[12:13]
	s_mov_b64 exec, s[12:13]
	s_cbranch_execz .LBB40_214
; %bb.204:                              ;   in Loop: Header=BB40_8 Depth=1
	v_mov_b32_e32 v8, v16
	v_mov_b32_e32 v10, v0
                                        ; implicit-def: $sgpr48_sgpr49
	s_branch .LBB40_206
.LBB40_205:                             ;   in Loop: Header=BB40_206 Depth=2
	s_or_b64 exec, exec, s[18:19]
	s_waitcnt lgkmcnt(0)
	s_barrier
	s_waitcnt vmcnt(0)
	ds_read_b128 v[4:7], v19 offset:3072
	v_add_u32_e32 v10, s33, v10
	v_cmp_le_i32_e64 s[18:19], s17, v10
	v_add_u32_e32 v8, s0, v8
	s_waitcnt lgkmcnt(0)
	v_cmp_neq_f64_e32 vcc, 0, v[4:5]
	s_or_b64 s[12:13], s[18:19], vcc
	s_and_b64 s[12:13], exec, s[12:13]
	s_or_b64 s[50:51], s[12:13], s[50:51]
	s_andn2_b64 s[12:13], s[48:49], exec
	s_and_b64 s[14:15], vcc, exec
	s_or_b64 s[48:49], s[12:13], s[14:15]
	s_barrier
	s_andn2_b64 exec, exec, s[50:51]
	s_cbranch_execz .LBB40_213
.LBB40_206:                             ;   Parent Loop BB40_8 Depth=1
                                        ; =>  This Inner Loop Header: Depth=2
	v_cmp_gt_i32_e32 vcc, s60, v10
	s_waitcnt vmcnt(0)
	v_pk_mov_b32 v[4:5], 0, 0
	s_and_saveexec_b64 s[52:53], vcc
	s_cbranch_execz .LBB40_208
; %bb.207:                              ;   in Loop: Header=BB40_206 Depth=2
	v_ashrrev_i32_e32 v9, 31, v8
	v_lshlrev_b64 v[4:5], 3, v[8:9]
	v_mov_b32_e32 v2, s16
	v_add_co_u32_e64 v4, s[18:19], s62, v4
	v_addc_co_u32_e64 v5, s[18:19], v2, v5, s[18:19]
	global_load_dwordx2 v[4:5], v[4:5], off
.LBB40_208:                             ;   in Loop: Header=BB40_206 Depth=2
	s_or_b64 exec, exec, s[52:53]
	s_and_saveexec_b64 s[18:19], vcc
	s_cbranch_execz .LBB40_205
; %bb.209:                              ;   in Loop: Header=BB40_206 Depth=2
	s_waitcnt vmcnt(0)
	v_ashrrev_i32_e32 v2, 31, v5
	v_or_b32_e32 v6, 0x80000000, v2
	v_xor_b32_e32 v6, v6, v5
	v_xor_b32_e32 v2, v2, v4
	v_cmp_o_f64_e32 vcc, v[4:5], v[4:5]
	v_cndmask_b32_e32 v6, -1, v6, vcc
	v_cndmask_b32_e32 v2, -1, v2, vcc
	v_and_b32_e32 v7, s81, v6
	v_and_b32_e32 v6, s80, v2
	v_cmp_eq_u64_e32 vcc, s[82:83], v[6:7]
	s_and_b64 exec, exec, vcc
	s_cbranch_execz .LBB40_205
; %bb.210:                              ;   in Loop: Header=BB40_206 Depth=2
	v_mov_b32_e32 v2, v19
	ds_write_b128 v19, v[2:5] offset:3072
	s_branch .LBB40_205
.LBB40_211:                             ;   in Loop: Header=BB40_8 Depth=1
                                        ; implicit-def: $sgpr18_sgpr19
                                        ; implicit-def: $sgpr48_sgpr49
                                        ; implicit-def: $sgpr46_sgpr47
	s_branch .LBB40_225
.LBB40_212:                             ;   in Loop: Header=BB40_8 Depth=1
	s_mov_b64 s[18:19], -1
	s_mov_b64 s[50:51], 0
                                        ; implicit-def: $sgpr46_sgpr47
                                        ; implicit-def: $vgpr6_vgpr7
	s_mov_b64 s[48:49], s[18:19]
	s_cbranch_execnz .LBB40_215
	s_branch .LBB40_225
.LBB40_213:                             ;   in Loop: Header=BB40_8 Depth=1
	s_or_b64 exec, exec, s[50:51]
	s_and_b64 s[50:51], s[48:49], exec
.LBB40_214:                             ;   in Loop: Header=BB40_8 Depth=1
	s_or_b64 exec, exec, s[46:47]
	s_mov_b64 s[46:47], -1
	s_mov_b64 s[18:19], 0
	s_mov_b64 s[48:49], s[18:19]
	s_branch .LBB40_225
.LBB40_215:                             ;   in Loop: Header=BB40_8 Depth=1
	v_readlane_b32 s11, v54, 9
	s_add_i32 s11, s10, s11
	s_abs_i32 s13, s11
	v_readlane_b32 s14, v54, 38
	s_mul_hi_u32 s14, s13, s14
	s_mul_i32 s14, s14, s33
	s_sub_i32 s13, s13, s14
	s_ashr_i32 s12, s11, 31
	s_sub_i32 s14, s13, s33
	s_cmp_ge_u32 s13, s33
	s_cselect_b32 s13, s14, s13
	s_sub_i32 s14, s13, s33
	s_cmp_ge_u32 s13, s33
	s_cselect_b32 s13, s14, s13
	s_xor_b32 s13, s13, s12
	s_sub_i32 s12, s12, s13
	s_add_i32 s11, s11, s12
	v_cmp_gt_i32_e32 vcc, s11, v0
	s_mov_b64 s[50:51], 0
                                        ; implicit-def: $vgpr6_vgpr7
	s_and_saveexec_b64 s[46:47], vcc
	s_cbranch_execz .LBB40_224
; %bb.216:                              ;   in Loop: Header=BB40_8 Depth=1
	v_mov_b32_e32 v8, v31
	v_mov_b32_e32 v9, v0
                                        ; implicit-def: $sgpr48_sgpr49
	s_branch .LBB40_218
.LBB40_217:                             ;   in Loop: Header=BB40_218 Depth=2
	s_or_b64 exec, exec, s[18:19]
	s_waitcnt lgkmcnt(0)
	s_barrier
	ds_read_b128 v[4:7], v19 offset:3072
	v_add_u32_e32 v9, s33, v9
	v_cmp_le_i32_e64 s[18:19], s11, v9
	v_add_u32_e32 v8, s74, v8
	s_waitcnt lgkmcnt(0)
	v_cmp_neq_f64_e32 vcc, 0, v[4:5]
	s_or_b64 s[12:13], s[18:19], vcc
	s_and_b64 s[12:13], exec, s[12:13]
	s_or_b64 s[50:51], s[12:13], s[50:51]
	s_andn2_b64 s[12:13], s[48:49], exec
	s_and_b64 s[14:15], vcc, exec
	s_or_b64 s[48:49], s[12:13], s[14:15]
	s_barrier
	s_andn2_b64 exec, exec, s[50:51]
	s_cbranch_execz .LBB40_223
.LBB40_218:                             ;   Parent Loop BB40_8 Depth=1
                                        ; =>  This Inner Loop Header: Depth=2
	v_cmp_gt_i32_e32 vcc, s10, v9
	s_waitcnt vmcnt(0)
	v_pk_mov_b32 v[4:5], 0, 0
	s_and_saveexec_b64 s[18:19], vcc
	s_cbranch_execz .LBB40_220
; %bb.219:                              ;   in Loop: Header=BB40_218 Depth=2
	ds_read_b64 v[4:5], v8
.LBB40_220:                             ;   in Loop: Header=BB40_218 Depth=2
	s_or_b64 exec, exec, s[18:19]
	s_and_saveexec_b64 s[18:19], vcc
	s_cbranch_execz .LBB40_217
; %bb.221:                              ;   in Loop: Header=BB40_218 Depth=2
	s_waitcnt lgkmcnt(0)
	v_ashrrev_i32_e32 v2, 31, v5
	v_or_b32_e32 v6, 0x80000000, v2
	v_xor_b32_e32 v6, v6, v5
	v_xor_b32_e32 v2, v2, v4
	v_cmp_o_f64_e32 vcc, v[4:5], v[4:5]
	v_cndmask_b32_e32 v6, -1, v6, vcc
	v_cndmask_b32_e32 v2, -1, v2, vcc
	v_and_b32_e32 v7, s81, v6
	v_and_b32_e32 v6, s80, v2
	v_cmp_eq_u64_e32 vcc, s[82:83], v[6:7]
	s_and_b64 exec, exec, vcc
	s_cbranch_execz .LBB40_217
; %bb.222:                              ;   in Loop: Header=BB40_218 Depth=2
	v_mov_b32_e32 v2, v19
	ds_write_b128 v19, v[2:5] offset:3072
	s_branch .LBB40_217
.LBB40_223:                             ;   in Loop: Header=BB40_8 Depth=1
	s_or_b64 exec, exec, s[50:51]
	s_and_b64 s[50:51], s[48:49], exec
.LBB40_224:                             ;   in Loop: Header=BB40_8 Depth=1
	s_or_b64 exec, exec, s[46:47]
	s_mov_b64 s[48:49], -1
	s_mov_b64 s[18:19], 0
	s_mov_b64 s[46:47], 0
.LBB40_225:                             ;   in Loop: Header=BB40_8 Depth=1
	s_mov_b64 s[54:55], 0
                                        ; implicit-def: $sgpr57
	s_and_saveexec_b64 s[52:53], s[50:51]
	s_cbranch_execz .LBB40_239
; %bb.226:                              ;   in Loop: Header=BB40_8 Depth=1
	s_xor_b64 s[10:11], s[30:31], -1
	s_andn2_b64 vcc, exec, s[10:11]
	s_mov_b32 s57, 1
	s_cbranch_vccnz .LBB40_233
; %bb.227:                              ;   in Loop: Header=BB40_8 Depth=1
	s_cmp_gt_i32 s56, s7
	s_cbranch_scc1 .LBB40_234
; %bb.228:                              ;   in Loop: Header=BB40_8 Depth=1
	ds_read_b32 v2, v19 offset:4096
	s_waitcnt lgkmcnt(0)
	v_cmp_ne_u32_e32 vcc, 0, v2
	s_cbranch_vccnz .LBB40_232
; %bb.229:                              ;   in Loop: Header=BB40_8 Depth=1
	s_mov_b64 s[30:31], exec
	v_readlane_b32 s10, v54, 4
	v_readlane_b32 s11, v54, 5
	s_and_b64 s[10:11], s[30:31], s[10:11]
	s_mov_b64 exec, s[10:11]
	s_cbranch_execz .LBB40_231
; %bb.230:                              ;   in Loop: Header=BB40_8 Depth=1
	v_mov_b32_e32 v2, s7
	ds_write_b32 v19, v2 offset:4100
.LBB40_231:                             ;   in Loop: Header=BB40_8 Depth=1
	s_or_b64 exec, exec, s[30:31]
	s_waitcnt lgkmcnt(0)
	s_barrier
.LBB40_232:                             ;   in Loop: Header=BB40_8 Depth=1
	s_or_b64 s[30:31], s[82:83], s[20:21]
	s_or_b64 s[20:21], s[80:81], s[20:21]
	s_mov_b64 s[50:51], 0
	s_mov_b32 s57, 8
	s_branch .LBB40_235
.LBB40_233:                             ;   in Loop: Header=BB40_8 Depth=1
	s_mov_b32 s56, 1
	s_branch .LBB40_238
.LBB40_234:                             ;   in Loop: Header=BB40_8 Depth=1
	s_mov_b64 s[50:51], -1
                                        ; implicit-def: $sgpr57
                                        ; implicit-def: $sgpr30_sgpr31
                                        ; implicit-def: $sgpr20_sgpr21
.LBB40_235:                             ;   in Loop: Header=BB40_8 Depth=1
	s_andn2_b64 vcc, exec, s[50:51]
	s_cbranch_vccnz .LBB40_237
; %bb.236:                              ;   in Loop: Header=BB40_8 Depth=1
	s_sub_i32 s56, s56, s7
	s_mov_b32 s57, 8
	s_mov_b64 s[30:31], s[82:83]
	s_mov_b64 s[20:21], s[80:81]
.LBB40_237:                             ;   in Loop: Header=BB40_8 Depth=1
	s_mov_b64 s[82:83], s[30:31]
	s_mov_b64 s[80:81], s[20:21]
.LBB40_238:                             ;   in Loop: Header=BB40_8 Depth=1
	s_mov_b64 s[54:55], exec
.LBB40_239:                             ;   in Loop: Header=BB40_8 Depth=1
	s_or_b64 exec, exec, s[52:53]
.LBB40_240:                             ;   in Loop: Header=BB40_8 Depth=1
	s_andn2_b64 s[10:11], s[38:39], exec
	s_and_b64 s[12:13], s[18:19], exec
	s_or_b64 s[38:39], s[10:11], s[12:13]
	s_andn2_b64 s[10:11], s[42:43], exec
	s_and_b64 s[12:13], s[48:49], exec
	s_or_b64 s[42:43], s[10:11], s[12:13]
	;; [unrolled: 3-line block ×3, first 2 shown]
	s_and_b64 s[48:49], s[54:55], exec
	s_mov_b32 s52, s56
.LBB40_241:                             ;   in Loop: Header=BB40_8 Depth=1
	s_or_b64 exec, exec, s[44:45]
.LBB40_242:                             ;   in Loop: Header=BB40_8 Depth=1
	s_andn2_b64 s[10:11], s[28:29], exec
	s_and_b64 s[12:13], s[38:39], exec
	s_or_b64 s[28:29], s[10:11], s[12:13]
	s_andn2_b64 s[10:11], s[34:35], exec
	s_and_b64 s[12:13], s[42:43], exec
	s_or_b64 s[34:35], s[10:11], s[12:13]
	;; [unrolled: 3-line block ×3, first 2 shown]
	s_and_b64 s[40:41], s[48:49], exec
	s_mov_b32 s43, s52
.LBB40_243:                             ;   in Loop: Header=BB40_8 Depth=1
	s_or_b64 exec, exec, s[36:37]
	s_and_saveexec_b64 s[10:11], s[40:41]
	s_xor_b64 s[18:19], exec, s[10:11]
	s_cbranch_execz .LBB40_6
.LBB40_244:                             ;   in Loop: Header=BB40_8 Depth=1
	s_and_b32 s7, s57, -9
	s_cmp_eq_u32 s7, 0
	s_cbranch_scc1 .LBB40_4
; %bb.245:                              ;   in Loop: Header=BB40_8 Depth=1
	s_mov_b64 s[20:21], -1
                                        ; implicit-def: $sgpr80_sgpr81
                                        ; implicit-def: $sgpr43
                                        ; implicit-def: $sgpr75
                                        ; implicit-def: $sgpr6
	s_mov_b64 s[24:25], -1
	s_branch .LBB40_5
.LBB40_246:
	s_or_b64 exec, exec, s[86:87]
	s_xor_b64 s[6:7], s[92:93], -1
	s_xor_b64 s[4:5], s[88:89], -1
	s_xor_b64 s[8:9], s[90:91], -1
	s_mov_b64 s[2:3], 0
	s_and_saveexec_b64 s[10:11], s[4:5]
	s_xor_b64 s[4:5], exec, s[10:11]
	s_cbranch_execnz .LBB40_251
; %bb.247:
	s_andn2_saveexec_b64 s[0:1], s[4:5]
	s_cbranch_execnz .LBB40_271
.LBB40_248:
	s_or_b64 exec, exec, s[0:1]
	s_and_saveexec_b64 s[0:1], s[2:3]
.LBB40_249:
	; divergent unreachable
.LBB40_250:
	s_endpgm
.LBB40_251:
	s_and_saveexec_b64 s[2:3], s[6:7]
	s_xor_b64 s[6:7], exec, s[2:3]
	s_cbranch_execz .LBB40_269
; %bb.252:
	s_and_saveexec_b64 s[2:3], s[8:9]
	s_xor_b64 s[2:3], exec, s[2:3]
; %bb.253:
	v_lshrrev_b32_e32 v1, 31, v5
	v_add_co_u32_e32 v1, vcc, -1, v1
	v_addc_co_u32_e64 v2, s[8:9], 0, -1, vcc
	v_or_b32_e32 v2, 0x80000000, v2
	v_xor_b32_e32 v7, v2, v5
	v_xor_b32_e32 v6, v1, v4
; %bb.254:
	s_or_b64 exec, exec, s[2:3]
	s_mov_b64 s[2:3], exec
	v_readlane_b32 s8, v54, 4
	v_readlane_b32 s9, v54, 5
	s_and_b64 s[8:9], s[2:3], s[8:9]
	s_mov_b64 exec, s[8:9]
	s_cbranch_execz .LBB40_256
; %bb.255:
	v_mov_b32_e32 v1, 0
	v_mov_b32_e32 v2, s60
	ds_write_b32 v1, v2 offset:4108
.LBB40_256:
	s_or_b64 exec, exec, s[2:3]
	v_mov_b32_e32 v1, 0
	s_waitcnt lgkmcnt(0)
	s_barrier
	ds_read_b32 v1, v1 offset:4108
	s_waitcnt lgkmcnt(0)
	v_min_i32_e32 v1, s60, v1
	v_cmp_lt_i32_e32 vcc, v0, v1
	s_and_saveexec_b64 s[8:9], vcc
	s_cbranch_execz .LBB40_266
; %bb.257:
	v_cmp_u_f64_e32 vcc, v[6:7], v[6:7]
	s_mov_b64 s[10:11], 0
	v_mov_b32_e32 v3, s16
	s_xor_b64 s[14:15], vcc, -1
                                        ; implicit-def: $sgpr12_sgpr13
                                        ; implicit-def: $sgpr18_sgpr19
                                        ; implicit-def: $sgpr16_sgpr17
	s_branch .LBB40_259
.LBB40_258:                             ;   in Loop: Header=BB40_259 Depth=1
	s_or_b64 exec, exec, s[2:3]
	s_and_b64 s[2:3], exec, s[18:19]
	s_or_b64 s[10:11], s[2:3], s[10:11]
	s_andn2_b64 s[2:3], s[12:13], exec
	s_and_b64 s[12:13], s[16:17], exec
	s_or_b64 s[12:13], s[2:3], s[12:13]
	s_andn2_b64 exec, exec, s[10:11]
	s_cbranch_execz .LBB40_261
.LBB40_259:                             ; =>This Inner Loop Header: Depth=1
	v_ashrrev_i32_e32 v17, 31, v16
	v_lshlrev_b64 v[4:5], 3, v[16:17]
	v_add_co_u32_e32 v4, vcc, s62, v4
	v_addc_co_u32_e32 v5, vcc, v3, v5, vcc
	global_load_dwordx2 v[4:5], v[4:5], off
	v_mov_b32_e32 v2, v0
	s_or_b64 s[16:17], s[16:17], exec
	s_or_b64 s[18:19], s[18:19], exec
                                        ; implicit-def: $vgpr0
	s_waitcnt vmcnt(0)
	v_cmp_o_f64_e64 s[2:3], v[4:5], v[4:5]
	v_cmp_neq_f64_e32 vcc, v[4:5], v[6:7]
	s_or_b64 s[2:3], s[2:3], s[14:15]
	s_and_b64 s[20:21], vcc, s[2:3]
	s_and_saveexec_b64 s[2:3], s[20:21]
	s_cbranch_execz .LBB40_258
; %bb.260:                              ;   in Loop: Header=BB40_259 Depth=1
	v_add_u32_e32 v0, s33, v2
	v_cmp_ge_i32_e32 vcc, v0, v1
	s_andn2_b64 s[18:19], s[18:19], exec
	s_and_b64 s[20:21], vcc, exec
	v_add_u32_e32 v16, s0, v16
	s_andn2_b64 s[16:17], s[16:17], exec
	s_or_b64 s[18:19], s[18:19], s[20:21]
	s_branch .LBB40_258
.LBB40_261:
	s_or_b64 exec, exec, s[10:11]
	s_and_saveexec_b64 s[0:1], s[12:13]
	s_xor_b64 s[0:1], exec, s[0:1]
	s_cbranch_execz .LBB40_266
; %bb.262:
	s_mov_b64 s[2:3], exec
	s_brev_b32 s0, -2
.LBB40_263:                             ; =>This Inner Loop Header: Depth=1
	s_ff1_i32_b64 s1, s[2:3]
	v_readlane_b32 s12, v2, s1
	s_lshl_b64 s[10:11], 1, s1
	s_min_i32 s0, s0, s12
	s_andn2_b64 s[2:3], s[2:3], s[10:11]
	s_cmp_lg_u64 s[2:3], 0
	s_cbranch_scc1 .LBB40_263
; %bb.264:
	v_mbcnt_lo_u32_b32 v0, exec_lo, 0
	v_mbcnt_hi_u32_b32 v0, exec_hi, v0
	v_cmp_eq_u32_e32 vcc, 0, v0
	s_and_saveexec_b64 s[2:3], vcc
	s_xor_b64 s[2:3], exec, s[2:3]
	s_cbranch_execz .LBB40_266
; %bb.265:
	v_mov_b32_e32 v0, 0
	v_mov_b32_e32 v1, s0
	ds_min_i32 v0, v1 offset:4108
.LBB40_266:
	s_or_b64 exec, exec, s[8:9]
	s_waitcnt lgkmcnt(0)
	s_barrier
	s_mov_b64 s[2:3], exec
	v_readlane_b32 s0, v54, 4
	v_readlane_b32 s1, v54, 5
	s_and_b64 s[0:1], s[2:3], s[0:1]
	s_mov_b64 exec, s[0:1]
	s_cbranch_execz .LBB40_268
; %bb.267:
	v_readlane_b32 s1, v54, 8
	v_readlane_b32 s0, v54, 7
	s_mul_i32 s0, s0, s1
	v_readlane_b32 s8, v54, 6
	s_mul_i32 s8, s8, s1
	s_ashr_i32 s1, s0, 31
	v_mov_b32_e32 v2, 0
	s_lshl_b64 s[0:1], s[0:1], 3
	v_readlane_b32 s10, v54, 2
	ds_read_b32 v0, v2 offset:4108
	v_readlane_b32 s11, v54, 3
	s_add_u32 s0, s10, s0
	s_addc_u32 s1, s11, s1
	s_ashr_i32 s9, s8, 31
	s_lshl_b64 s[8:9], s[8:9], 3
	v_readlane_b32 s10, v54, 0
	v_readlane_b32 s11, v54, 1
	s_add_u32 s8, s10, s8
	s_addc_u32 s9, s11, s9
	s_waitcnt lgkmcnt(0)
	v_ashrrev_i32_e32 v1, 31, v0
	global_store_dwordx2 v2, v[0:1], s[8:9]
	global_store_dwordx2 v2, v[6:7], s[0:1]
.LBB40_268:
	s_or_b64 exec, exec, s[2:3]
.LBB40_269:
	s_or_saveexec_b64 s[0:1], s[6:7]
	s_mov_b64 s[2:3], 0
	s_xor_b64 exec, exec, s[0:1]
	s_cbranch_execnz .LBB40_272
.LBB40_270:
	s_or_b64 exec, exec, s[0:1]
	s_and_b64 s[2:3], s[2:3], exec
	s_andn2_saveexec_b64 s[0:1], s[4:5]
	s_cbranch_execz .LBB40_248
.LBB40_271:
	s_or_b64 s[2:3], s[2:3], exec
	s_trap 2
	s_or_b64 exec, exec, s[0:1]
	s_and_saveexec_b64 s[0:1], s[2:3]
	s_cbranch_execnz .LBB40_249
	s_branch .LBB40_250
.LBB40_272:
	s_mov_b64 s[2:3], exec
	s_trap 2
	s_branch .LBB40_270
	.section	.rodata,"a",@progbits
	.p2align	6, 0x0
	.amdhsa_kernel _ZN2at6native12_GLOBAL__N_114gatherKthValueIdiLi1EEEvNS_4cuda6detail10TensorInfoIKT_T0_EES8_S8_S8_S8_NS5_IS6_S8_EENS5_IlS8_EE
		.amdhsa_group_segment_fixed_size 4112
		.amdhsa_private_segment_fixed_size 0
		.amdhsa_kernarg_size 920
		.amdhsa_user_sgpr_count 6
		.amdhsa_user_sgpr_private_segment_buffer 1
		.amdhsa_user_sgpr_dispatch_ptr 0
		.amdhsa_user_sgpr_queue_ptr 0
		.amdhsa_user_sgpr_kernarg_segment_ptr 1
		.amdhsa_user_sgpr_dispatch_id 0
		.amdhsa_user_sgpr_flat_scratch_init 0
		.amdhsa_user_sgpr_kernarg_preload_length 0
		.amdhsa_user_sgpr_kernarg_preload_offset 0
		.amdhsa_user_sgpr_private_segment_size 0
		.amdhsa_uses_dynamic_stack 0
		.amdhsa_system_sgpr_private_segment_wavefront_offset 0
		.amdhsa_system_sgpr_workgroup_id_x 1
		.amdhsa_system_sgpr_workgroup_id_y 1
		.amdhsa_system_sgpr_workgroup_id_z 1
		.amdhsa_system_sgpr_workgroup_info 0
		.amdhsa_system_vgpr_workitem_id 0
		.amdhsa_next_free_vgpr 55
		.amdhsa_next_free_sgpr 96
		.amdhsa_accum_offset 56
		.amdhsa_reserve_vcc 1
		.amdhsa_reserve_flat_scratch 0
		.amdhsa_float_round_mode_32 0
		.amdhsa_float_round_mode_16_64 0
		.amdhsa_float_denorm_mode_32 3
		.amdhsa_float_denorm_mode_16_64 3
		.amdhsa_dx10_clamp 1
		.amdhsa_ieee_mode 1
		.amdhsa_fp16_overflow 0
		.amdhsa_tg_split 0
		.amdhsa_exception_fp_ieee_invalid_op 0
		.amdhsa_exception_fp_denorm_src 0
		.amdhsa_exception_fp_ieee_div_zero 0
		.amdhsa_exception_fp_ieee_overflow 0
		.amdhsa_exception_fp_ieee_underflow 0
		.amdhsa_exception_fp_ieee_inexact 0
		.amdhsa_exception_int_div_zero 0
	.end_amdhsa_kernel
	.section	.text._ZN2at6native12_GLOBAL__N_114gatherKthValueIdiLi1EEEvNS_4cuda6detail10TensorInfoIKT_T0_EES8_S8_S8_S8_NS5_IS6_S8_EENS5_IlS8_EE,"axG",@progbits,_ZN2at6native12_GLOBAL__N_114gatherKthValueIdiLi1EEEvNS_4cuda6detail10TensorInfoIKT_T0_EES8_S8_S8_S8_NS5_IS6_S8_EENS5_IlS8_EE,comdat
.Lfunc_end40:
	.size	_ZN2at6native12_GLOBAL__N_114gatherKthValueIdiLi1EEEvNS_4cuda6detail10TensorInfoIKT_T0_EES8_S8_S8_S8_NS5_IS6_S8_EENS5_IlS8_EE, .Lfunc_end40-_ZN2at6native12_GLOBAL__N_114gatherKthValueIdiLi1EEEvNS_4cuda6detail10TensorInfoIKT_T0_EES8_S8_S8_S8_NS5_IS6_S8_EENS5_IlS8_EE
                                        ; -- End function
	.section	.AMDGPU.csdata,"",@progbits
; Kernel info:
; codeLenInByte = 10804
; NumSgprs: 100
; NumVgprs: 55
; NumAgprs: 0
; TotalNumVgprs: 55
; ScratchSize: 0
; MemoryBound: 0
; FloatMode: 240
; IeeeMode: 1
; LDSByteSize: 4112 bytes/workgroup (compile time only)
; SGPRBlocks: 12
; VGPRBlocks: 6
; NumSGPRsForWavesPerEU: 100
; NumVGPRsForWavesPerEU: 55
; AccumOffset: 56
; Occupancy: 8
; WaveLimiterHint : 1
; COMPUTE_PGM_RSRC2:SCRATCH_EN: 0
; COMPUTE_PGM_RSRC2:USER_SGPR: 6
; COMPUTE_PGM_RSRC2:TRAP_HANDLER: 0
; COMPUTE_PGM_RSRC2:TGID_X_EN: 1
; COMPUTE_PGM_RSRC2:TGID_Y_EN: 1
; COMPUTE_PGM_RSRC2:TGID_Z_EN: 1
; COMPUTE_PGM_RSRC2:TIDIG_COMP_CNT: 0
; COMPUTE_PGM_RSRC3_GFX90A:ACCUM_OFFSET: 13
; COMPUTE_PGM_RSRC3_GFX90A:TG_SPLIT: 0
	.section	.text._ZN2at6native12_GLOBAL__N_114gatherKthValueIdiLi2EEEvNS_4cuda6detail10TensorInfoIKT_T0_EES8_S8_S8_S8_NS5_IS6_S8_EENS5_IlS8_EE,"axG",@progbits,_ZN2at6native12_GLOBAL__N_114gatherKthValueIdiLi2EEEvNS_4cuda6detail10TensorInfoIKT_T0_EES8_S8_S8_S8_NS5_IS6_S8_EENS5_IlS8_EE,comdat
	.globl	_ZN2at6native12_GLOBAL__N_114gatherKthValueIdiLi2EEEvNS_4cuda6detail10TensorInfoIKT_T0_EES8_S8_S8_S8_NS5_IS6_S8_EENS5_IlS8_EE ; -- Begin function _ZN2at6native12_GLOBAL__N_114gatherKthValueIdiLi2EEEvNS_4cuda6detail10TensorInfoIKT_T0_EES8_S8_S8_S8_NS5_IS6_S8_EENS5_IlS8_EE
	.p2align	8
	.type	_ZN2at6native12_GLOBAL__N_114gatherKthValueIdiLi2EEEvNS_4cuda6detail10TensorInfoIKT_T0_EES8_S8_S8_S8_NS5_IS6_S8_EENS5_IlS8_EE,@function
_ZN2at6native12_GLOBAL__N_114gatherKthValueIdiLi2EEEvNS_4cuda6detail10TensorInfoIKT_T0_EES8_S8_S8_S8_NS5_IS6_S8_EENS5_IlS8_EE: ; @_ZN2at6native12_GLOBAL__N_114gatherKthValueIdiLi2EEEvNS_4cuda6detail10TensorInfoIKT_T0_EES8_S8_S8_S8_NS5_IS6_S8_EENS5_IlS8_EE
; %bb.0:
	s_load_dwordx2 s[12:13], s[4:5], 0x298
	s_load_dwordx4 s[60:63], s[4:5], 0xd8
	s_add_u32 s10, s4, 0x298
	s_addc_u32 s11, s5, 0
	s_waitcnt lgkmcnt(0)
	s_mul_i32 s0, s13, s8
	s_add_i32 s0, s0, s7
	s_mul_i32 s0, s0, s12
	s_add_i32 s16, s0, s6
	s_cmp_ge_i32 s16, s62
	s_cbranch_scc1 .LBB41_250
; %bb.1:
	s_load_dword s0, s[4:5], 0xc
	s_load_dwordx2 s[2:3], s[4:5], 0xe8
                                        ; implicit-def: $vgpr54 : SGPR spill to VGPR lane
                                        ; kill: killed $sgpr4 killed $sgpr5
	s_abs_i32 s19, s16
	s_ashr_i32 s18, s16, 31
	s_mov_b32 s72, 0
	s_waitcnt lgkmcnt(0)
	s_abs_i32 s1, s0
	v_writelane_b32 v54, s2, 0
	v_writelane_b32 v54, s3, 1
	s_load_dwordx2 s[8:9], s[4:5], 0x6c
	s_load_dwordx2 s[2:3], s[4:5], 0x0
	;; [unrolled: 1-line block ×3, first 2 shown]
	v_cvt_f32_u32_e32 v1, s1
	s_ashr_i32 s7, s0, 31
	s_load_dword s20, s[4:5], 0xf4
	s_waitcnt lgkmcnt(0)
	v_writelane_b32 v54, s14, 2
	v_writelane_b32 v54, s15, 3
	s_load_dword s17, s[4:5], 0x1cc
	s_load_dwordx2 s[14:15], s[4:5], 0x1c0
	v_rcp_iflag_f32_e32 v1, v1
	s_waitcnt lgkmcnt(0)
	v_writelane_b32 v54, s14, 4
	v_writelane_b32 v54, s15, 5
	s_load_dwordx2 s[14:15], s[4:5], 0x154
	v_mul_f32_e32 v1, 0x4f7ffffe, v1
	v_cvt_u32_f32_e32 v1, v1
	s_sub_i32 s4, 0, s1
	s_waitcnt lgkmcnt(0)
	v_writelane_b32 v54, s14, 6
	v_writelane_b32 v54, s15, 7
	s_abs_i32 s15, s20
	v_cvt_f32_u32_e32 v2, s15
	v_readfirstlane_b32 s5, v1
	s_abs_i32 s14, s17
	s_mul_i32 s4, s4, s5
	v_rcp_iflag_f32_e32 v1, v2
	v_cvt_f32_u32_e32 v2, s14
	s_mul_hi_u32 s4, s5, s4
	s_add_i32 s5, s5, s4
	v_mul_f32_e32 v1, 0x4f7ffffe, v1
	v_cvt_u32_f32_e32 v1, v1
	v_rcp_iflag_f32_e32 v2, v2
	s_mul_hi_u32 s13, s19, s5
	s_sub_i32 s4, 0, s15
	v_readfirstlane_b32 s5, v1
	v_mul_f32_e32 v1, 0x4f7ffffe, v2
	s_mul_i32 s4, s4, s5
	v_cvt_u32_f32_e32 v1, v1
	s_mul_hi_u32 s4, s5, s4
	s_add_i32 s5, s5, s4
	v_writelane_b32 v54, s15, 8
	s_mul_hi_u32 s4, s19, s5
	v_writelane_b32 v54, s4, 9
	s_sub_i32 s4, 0, s14
	v_readfirstlane_b32 s5, v1
	s_mul_i32 s4, s4, s5
	s_mul_hi_u32 s4, s5, s4
	s_add_i32 s5, s5, s4
	v_writelane_b32 v54, s14, 10
	s_mul_hi_u32 s4, s19, s5
	v_writelane_b32 v54, s4, 11
	v_cmp_eq_u32_e64 s[14:15], 0, v0
	s_mov_b64 s[4:5], exec
	v_writelane_b32 v54, s14, 12
	v_writelane_b32 v54, s15, 13
	s_and_b64 s[14:15], s[4:5], s[14:15]
	s_mov_b64 exec, s[14:15]
	s_cbranch_execz .LBB41_3
; %bb.2:
	v_mov_b32_e32 v2, 0
	v_mov_b32_e32 v3, s60
	;; [unrolled: 1-line block ×3, first 2 shown]
	ds_write_b96 v2, v[2:4] offset:4096
.LBB41_3:
	s_or_b64 exec, exec, s[4:5]
	v_writelane_b32 v54, s20, 14
	s_ashr_i32 s4, s20, 31
	v_writelane_b32 v54, s4, 15
	s_mul_i32 s5, s13, s1
	v_writelane_b32 v54, s17, 16
	s_ashr_i32 s4, s17, 31
	s_sub_i32 s5, s19, s5
	v_writelane_b32 v54, s4, 17
	s_xor_b32 s4, s18, s7
	s_add_i32 s7, s13, 1
	s_sub_i32 s14, s5, s1
	s_cmp_ge_u32 s5, s1
	s_cselect_b32 s7, s7, s13
	s_cselect_b32 s5, s14, s5
	s_add_i32 s13, s7, 1
	s_cmp_ge_u32 s5, s1
	s_cselect_b32 s1, s13, s7
	s_xor_b32 s1, s1, s4
	s_sub_i32 s1, s1, s4
	s_mul_i32 s0, s1, s0
	s_sub_i32 s0, s16, s0
	s_mul_i32 s0, s0, s9
	s_mul_i32 s1, s1, s8
	s_waitcnt lgkmcnt(0)
	s_barrier
	s_load_dword s4, s[10:11], 0xc
	s_add_i32 s0, s1, s0
	s_ashr_i32 s1, s0, 31
	v_writelane_b32 v54, s18, 18
	s_lshl_b64 s[0:1], s[0:1], 3
	v_writelane_b32 v54, s19, 19
	s_add_u32 s62, s2, s0
	v_mbcnt_lo_u32_b32 v1, -1, 0
	v_writelane_b32 v54, s16, 20
	s_addc_u32 s16, s3, s1
	s_waitcnt lgkmcnt(0)
	s_and_b32 s33, s4, 0xffff
	v_mbcnt_hi_u32_b32 v23, -1, v1
	v_cmp_gt_u32_e32 vcc, 64, v0
	v_cmp_gt_i32_e64 s[2:3], 4, v23
	s_add_i32 s0, s33, -1
	s_lshl_b32 s1, s33, 2
	s_bfe_u32 s7, s4, 0xa0006
	s_and_b64 s[74:75], vcc, s[2:3]
	s_add_i32 s17, s0, s60
	s_cmpk_gt_i32 s60, 0x180
	v_writelane_b32 v54, s0, 21
	s_cselect_b64 s[2:3], -1, 0
	v_writelane_b32 v54, s2, 22
	s_cmp_gt_u32 s33, 63
	v_writelane_b32 v54, s3, 23
	s_cselect_b64 s[2:3], -1, 0
	s_cmp_lt_u32 s6, s12
	v_writelane_b32 v54, s2, 24
	s_cselect_b32 s0, 12, 18
	v_writelane_b32 v54, s3, 25
	s_add_u32 s2, s10, s0
	s_addc_u32 s3, s11, 0
	v_writelane_b32 v54, s2, 26
	s_add_i32 s0, s7, -2
	v_writelane_b32 v54, s3, 27
	s_lshr_b32 s2, s0, 1
	s_add_i32 s6, s2, 1
	s_cmpk_gt_u32 s33, 0x7f
	v_mov_b32_e32 v19, 0
	s_cselect_b64 s[2:3], -1, 0
	v_writelane_b32 v54, s2, 28
	v_mul_lo_u32 v16, v0, s63
	v_mov_b32_e32 v17, v19
	v_writelane_b32 v54, s3, 29
	v_cmp_gt_u32_e64 s[8:9], s60, v0
	v_lshlrev_b64 v[2:3], 3, v[16:17]
	v_writelane_b32 v54, s8, 30
	v_mov_b32_e32 v17, s16
	v_add_co_u32_e32 v20, vcc, s62, v2
	v_writelane_b32 v54, s9, 31
	v_addc_co_u32_e32 v21, vcc, v17, v3, vcc
	v_cmp_gt_i32_e64 s[8:9], s60, v0
	v_lshlrev_b64 v[2:3], v23, -1
	v_writelane_b32 v54, s8, 32
	v_not_b32_e32 v22, v2
	v_cvt_f32_u32_e32 v2, s1
	v_writelane_b32 v54, s9, 33
	s_and_b32 s8, s7, 0x3fe
	s_and_b32 s9, s6, 7
	s_cmp_gt_u32 s0, 13
	s_cselect_b64 s[10:11], -1, 0
	v_writelane_b32 v54, s10, 34
	v_rcp_iflag_f32_e32 v2, v2
	v_writelane_b32 v54, s11, 35
	s_and_b32 s0, s6, -8
	v_writelane_b32 v54, s0, 36
	s_cmp_lg_u32 s9, 0
	v_writelane_b32 v54, s9, 37
	s_cselect_b64 s[10:11], -1, 0
	v_writelane_b32 v54, s10, 38
	v_mul_f32_e32 v2, 0x4f7ffffe, v2
	v_writelane_b32 v54, s11, 39
	v_cvt_u32_f32_e32 v2, v2
	v_writelane_b32 v54, s7, 40
	s_cmp_lg_u32 s8, s7
	v_writelane_b32 v54, s8, 41
	s_cselect_b64 s[6:7], -1, 0
	v_writelane_b32 v54, s6, 42
	v_writelane_b32 v54, s7, 43
	s_sub_i32 s0, 0, s1
	v_readfirstlane_b32 s6, v2
	s_mul_i32 s0, s0, s6
	s_mul_hi_u32 s0, s6, s0
	s_add_i32 s8, s6, s0
	s_mul_hi_u32 s0, s60, s8
	s_mul_i32 s0, s0, s1
	s_sub_i32 s0, s60, s0
	s_sub_i32 s6, s0, s1
	s_cmp_ge_u32 s0, s1
	s_cselect_b32 s0, s6, s0
	s_sub_i32 s6, s0, s1
	v_cvt_f32_u32_e32 v5, s33
	s_cmp_ge_u32 s0, s1
	s_cselect_b32 s6, s6, s0
	s_sub_i32 s9, s60, s6
	v_add_u32_e32 v35, s9, v0
	v_rcp_iflag_f32_e32 v5, v5
	v_lshrrev_b32_e32 v1, 4, v0
	v_mul_lo_u32 v2, v35, s63
	v_lshlrev_b32_e32 v30, 2, v0
	v_and_b32_e32 v33, 60, v1
	v_not_b32_e32 v1, v3
	v_ashrrev_i32_e32 v3, 31, v2
	v_cmp_gt_i32_e64 s[10:11], s9, v30
	v_lshlrev_b64 v[2:3], 3, v[2:3]
	v_writelane_b32 v54, s10, 44
	v_add_co_u32_e32 v24, vcc, s62, v2
	v_mul_f32_e32 v2, 0x4f7ffffe, v5
	v_writelane_b32 v54, s11, 45
	v_cmp_gt_u32_e64 s[10:11], s60, v35
	v_cvt_u32_f32_e32 v2, v2
	v_writelane_b32 v54, s10, 46
	v_writelane_b32 v54, s11, 47
	v_cmp_gt_i32_e64 s[10:11], s60, v35
	v_writelane_b32 v54, s10, 48
	v_writelane_b32 v54, s11, 49
	s_sub_i32 s10, 0, s33
	v_readfirstlane_b32 s11, v2
	s_mul_i32 s10, s10, s11
	s_mul_hi_u32 s10, s11, s10
	s_abs_i32 s7, s17
	s_add_i32 s10, s11, s10
	v_writelane_b32 v54, s10, 50
	s_mul_hi_u32 s10, s7, s10
	s_mul_i32 s10, s10, s33
	s_sub_i32 s7, s7, s10
	s_ashr_i32 s0, s17, 31
	s_sub_i32 s10, s7, s33
	s_cmp_ge_u32 s7, s33
	s_cselect_b32 s7, s10, s7
	s_sub_i32 s10, s7, s33
	s_cmp_ge_u32 s7, s33
	s_cselect_b32 s7, s10, s7
	v_mul_lo_u32 v2, s63, v30
	s_xor_b32 s7, s7, s0
	v_add_u32_e32 v36, s63, v2
	v_or_b32_e32 v2, 2, v30
	s_sub_i32 s0, s0, s7
	v_mul_lo_u32 v37, s63, v2
	v_or_b32_e32 v2, 3, v30
	s_add_i32 s7, s33, s60
	s_add_i32 s17, s17, s0
	v_mul_lo_u32 v38, s63, v2
	v_add_u32_e32 v2, s7, v0
	v_lshlrev_b32_e32 v31, 3, v0
	v_lshlrev_b32_e32 v4, 2, v23
	v_mov_b32_e32 v6, s16
	v_cmp_gt_i32_e64 s[10:11], s17, v0
	s_mul_i32 s0, s63, s33
	v_subrev_u32_e32 v2, s6, v2
	v_cmp_eq_u32_e64 s[2:3], 0, v23
	v_cmp_gt_u32_e64 s[4:5], 2, v0
	v_add_u32_e32 v32, 0xc00, v31
	v_and_b32_e32 v34, 0x100, v4
	v_addc_co_u32_e32 v25, vcc, v6, v3, vcc
	v_writelane_b32 v54, s10, 51
	s_lshl_b32 s76, s0, 2
	v_lshlrev_b32_e32 v39, 2, v16
	v_mul_lo_u32 v40, s63, v2
	v_lshlrev_b32_e32 v41, 5, v0
	s_lshl_b32 s77, s33, 5
	s_lshl_b32 s78, s33, 3
	v_or_b32_e32 v42, 0xc00, v4
	s_mov_b32 s79, 62
	s_mov_b64 s[90:91], 0
	v_pk_mov_b32 v[6:7], 0, 0
	v_mov_b32_e32 v3, 0x3ff00000
	v_mov_b32_e32 v43, 0xc00
	s_mov_b32 s6, 0
	s_mov_b64 s[86:87], 0
	s_mov_b64 s[84:85], 0
	v_writelane_b32 v54, s11, 52
                                        ; implicit-def: $sgpr92_sgpr93
                                        ; implicit-def: $sgpr64_sgpr65
                                        ; implicit-def: $sgpr94_sgpr95
                                        ; implicit-def: $sgpr66_sgpr67
                                        ; implicit-def: $sgpr68_sgpr69
                                        ; implicit-def: $sgpr70_sgpr71
	s_branch .LBB41_8
.LBB41_4:                               ;   in Loop: Header=BB41_8 Depth=1
	s_xor_b32 s6, s6, 1
	s_add_i32 s7, s79, -2
	s_cmp_eq_u32 s79, 0
	s_mov_b64 s[20:21], 0
	s_cselect_b64 s[24:25], -1, 0
	s_mov_b32 s79, s7
.LBB41_5:                               ;   in Loop: Header=BB41_8 Depth=1
	s_andn2_b64 s[10:11], s[28:29], exec
	s_and_b64 s[12:13], s[20:21], exec
	s_or_b64 s[28:29], s[10:11], s[12:13]
	s_andn2_b64 s[34:35], s[34:35], exec
	s_andn2_b64 s[26:27], s[26:27], exec
	s_orn2_b64 s[24:25], s[24:25], exec
	s_mov_b32 s61, s43
.LBB41_6:                               ;   in Loop: Header=BB41_8 Depth=1
	s_or_b64 exec, exec, s[18:19]
	s_andn2_b64 s[10:11], s[70:71], exec
	s_and_b64 s[12:13], s[28:29], exec
	s_or_b64 s[70:71], s[10:11], s[12:13]
	s_andn2_b64 s[10:11], s[68:69], exec
	s_and_b64 s[12:13], s[34:35], exec
	s_or_b64 s[68:69], s[10:11], s[12:13]
	;; [unrolled: 3-line block ×3, first 2 shown]
	s_orn2_b64 s[24:25], s[24:25], exec
.LBB41_7:                               ;   in Loop: Header=BB41_8 Depth=1
	s_or_b64 exec, exec, s[22:23]
	s_and_b64 s[10:11], exec, s[24:25]
	s_or_b64 s[90:91], s[10:11], s[90:91]
	s_andn2_b64 s[10:11], s[94:95], exec
	s_and_b64 s[12:13], s[70:71], exec
	s_or_b64 s[94:95], s[10:11], s[12:13]
	s_andn2_b64 s[10:11], s[64:65], exec
	s_and_b64 s[12:13], s[68:69], exec
	;; [unrolled: 3-line block ×3, first 2 shown]
	s_waitcnt vmcnt(0)
	v_pk_mov_b32 v[4:5], s[86:87], s[86:87] op_sel:[0,1]
	s_or_b64 s[92:93], s[10:11], s[12:13]
	s_andn2_b64 exec, exec, s[90:91]
	s_cbranch_execz .LBB41_246
.LBB41_8:                               ; =>This Loop Header: Depth=1
                                        ;     Child Loop BB41_16 Depth 2
                                        ;     Child Loop BB41_35 Depth 2
                                        ;     Child Loop BB41_45 Depth 2
                                        ;     Child Loop BB41_52 Depth 2
                                        ;     Child Loop BB41_59 Depth 2
                                        ;     Child Loop BB41_63 Depth 2
                                        ;     Child Loop BB41_73 Depth 2
                                        ;     Child Loop BB41_77 Depth 2
                                        ;     Child Loop BB41_80 Depth 2
                                        ;     Child Loop BB41_101 Depth 2
                                        ;     Child Loop BB41_89 Depth 2
                                        ;     Child Loop BB41_140 Depth 2
                                        ;     Child Loop BB41_128 Depth 2
                                        ;     Child Loop BB41_179 Depth 2
                                        ;     Child Loop BB41_167 Depth 2
                                        ;     Child Loop BB41_218 Depth 2
                                        ;     Child Loop BB41_206 Depth 2
	ds_read_b64 v[4:5], v19 offset:4096
	s_waitcnt lgkmcnt(0)
	v_readfirstlane_b32 s7, v4
	s_cmp_gt_i32 s7, 0
	s_cbranch_scc1 .LBB41_42
; %bb.9:                                ;   in Loop: Header=BB41_8 Depth=1
	v_readlane_b32 s10, v54, 22
	v_readlane_b32 s11, v54, 23
	s_and_b64 vcc, exec, s[10:11]
	s_cbranch_vccz .LBB41_24
; %bb.10:                               ;   in Loop: Header=BB41_8 Depth=1
	s_movk_i32 s10, 0x181
	v_cmp_gt_i32_e32 vcc, s10, v5
	s_mov_b64 s[20:21], 0
	s_mov_b64 s[18:19], 0
	s_cbranch_vccz .LBB41_29
; %bb.11:                               ;   in Loop: Header=BB41_8 Depth=1
	v_pk_mov_b32 v[4:5], 0, 0
	s_mov_b64 s[18:19], exec
	v_readlane_b32 s10, v54, 30
	v_readlane_b32 s11, v54, 31
	s_and_b64 s[10:11], s[18:19], s[10:11]
	s_mov_b64 exec, s[10:11]
	s_cbranch_execz .LBB41_13
; %bb.12:                               ;   in Loop: Header=BB41_8 Depth=1
	global_load_dwordx2 v[4:5], v[20:21], off
.LBB41_13:                              ;   in Loop: Header=BB41_8 Depth=1
	s_or_b64 exec, exec, s[18:19]
	s_mov_b64 s[22:23], exec
	v_readlane_b32 s10, v54, 30
	v_readlane_b32 s11, v54, 31
	s_and_b64 s[10:11], s[22:23], s[10:11]
	s_mov_b64 exec, s[10:11]
	s_cbranch_execz .LBB41_25
; %bb.14:                               ;   in Loop: Header=BB41_8 Depth=1
	v_readlane_b32 s10, v54, 26
	v_readlane_b32 s11, v54, 27
	s_mov_b64 s[24:25], 0
	v_mov_b32_e32 v11, v0
	s_nop 2
	global_load_ushort v2, v19, s[10:11]
	s_waitcnt vmcnt(0)
	v_add_u32_e32 v8, v0, v2
	v_mul_lo_u32 v10, s63, v2
	v_mul_lo_u32 v18, s63, v8
	s_branch .LBB41_16
.LBB41_15:                              ;   in Loop: Header=BB41_16 Depth=2
	s_or_b64 exec, exec, s[18:19]
	v_cmp_le_i32_e32 vcc, s60, v11
	v_add_u32_e32 v18, v18, v10
	s_or_b64 s[24:25], vcc, s[24:25]
	s_waitcnt vmcnt(0)
	v_pk_mov_b32 v[4:5], v[8:9], v[8:9] op_sel:[0,1]
	s_andn2_b64 exec, exec, s[24:25]
	s_cbranch_execz .LBB41_25
.LBB41_16:                              ;   Parent Loop BB41_8 Depth=1
                                        ; =>  This Inner Loop Header: Depth=2
	v_add_u32_e32 v11, v11, v2
	v_cmp_gt_u32_e32 vcc, s60, v11
	v_pk_mov_b32 v[8:9], 0, 0
	s_and_saveexec_b64 s[18:19], vcc
	s_cbranch_execz .LBB41_18
; %bb.17:                               ;   in Loop: Header=BB41_16 Depth=2
	v_lshlrev_b64 v[8:9], 3, v[18:19]
	v_add_co_u32_e32 v8, vcc, s62, v8
	v_addc_co_u32_e32 v9, vcc, v17, v9, vcc
	global_load_dwordx2 v[8:9], v[8:9], off
.LBB41_18:                              ;   in Loop: Header=BB41_16 Depth=2
	s_or_b64 exec, exec, s[18:19]
	s_waitcnt lgkmcnt(0)
	v_ashrrev_i32_e32 v12, 31, v5
	v_or_b32_e32 v13, 0x80000000, v12
	v_xor_b32_e32 v13, v13, v5
	v_xor_b32_e32 v12, v12, v4
	v_cmp_o_f64_e32 vcc, v[4:5], v[4:5]
	v_cndmask_b32_e32 v13, -1, v13, vcc
	v_cndmask_b32_e32 v12, -1, v12, vcc
	v_and_b32_e32 v13, s85, v13
	v_and_b32_e32 v12, s84, v12
	v_cmp_eq_u64_e32 vcc, s[86:87], v[12:13]
	s_cmp_lg_u64 vcc, 0
	s_cselect_b64 s[10:11], -1, 0
	s_and_b64 s[10:11], s[2:3], s[10:11]
	v_mov_b32_e32 v12, 0
	s_and_saveexec_b64 s[26:27], s[10:11]
	s_cbranch_execz .LBB41_22
; %bb.19:                               ;   in Loop: Header=BB41_16 Depth=2
	s_mov_b64 s[30:31], exec
	v_mbcnt_lo_u32_b32 v12, s30, 0
	v_mbcnt_hi_u32_b32 v12, s31, v12
	s_bcnt1_i32_b64 s7, vcc
	v_cmp_eq_u32_e64 s[18:19], 0, v12
                                        ; implicit-def: $vgpr13
	s_and_saveexec_b64 s[28:29], s[18:19]
	s_cbranch_execz .LBB41_21
; %bb.20:                               ;   in Loop: Header=BB41_16 Depth=2
	s_bcnt1_i32_b64 s10, s[30:31]
	s_mul_i32 s10, s7, s10
	v_mov_b32_e32 v13, s10
	ds_add_rtn_u32 v13, v19, v13 offset:4104
.LBB41_21:                              ;   in Loop: Header=BB41_16 Depth=2
	s_or_b64 exec, exec, s[28:29]
	s_waitcnt lgkmcnt(0)
	v_readfirstlane_b32 s10, v13
	v_mov_b32_e32 v13, s10
	v_mad_u32_u24 v12, s7, v12, v13
.LBB41_22:                              ;   in Loop: Header=BB41_16 Depth=2
	s_or_b64 exec, exec, s[26:27]
	ds_bpermute_b32 v12, v34, v12
	s_and_saveexec_b64 s[18:19], vcc
	s_cbranch_execz .LBB41_15
; %bb.23:                               ;   in Loop: Header=BB41_16 Depth=2
	v_and_b32_e32 v14, vcc_lo, v22
	v_and_b32_e32 v13, vcc_hi, v1
	v_bcnt_u32_b32 v14, v14, 0
	v_bcnt_u32_b32 v13, v13, v14
	v_lshlrev_b32_e32 v13, 3, v13
	s_waitcnt lgkmcnt(0)
	v_lshl_add_u32 v12, v12, 3, v13
	ds_write_b64 v12, v[4:5]
	s_branch .LBB41_15
.LBB41_24:                              ;   in Loop: Header=BB41_8 Depth=1
	s_mov_b64 s[20:21], -1
	s_mov_b64 s[18:19], 0
	s_branch .LBB41_28
.LBB41_25:                              ;   in Loop: Header=BB41_8 Depth=1
	s_or_b64 exec, exec, s[22:23]
	s_waitcnt lgkmcnt(0)
	s_barrier
	s_mov_b64 s[18:19], exec
	v_readlane_b32 s10, v54, 12
	v_readlane_b32 s11, v54, 13
	s_and_b64 s[10:11], s[18:19], s[10:11]
	s_mov_b64 exec, s[10:11]
	s_cbranch_execz .LBB41_27
; %bb.26:                               ;   in Loop: Header=BB41_8 Depth=1
	ds_read_b32 v2, v19 offset:4104
	s_waitcnt lgkmcnt(0)
	ds_write_b32 v19, v2 offset:4096
.LBB41_27:                              ;   in Loop: Header=BB41_8 Depth=1
	s_or_b64 exec, exec, s[18:19]
	s_waitcnt lgkmcnt(0)
	s_barrier
	s_mov_b64 s[18:19], -1
.LBB41_28:                              ;   in Loop: Header=BB41_8 Depth=1
                                        ; implicit-def: $sgpr7
.LBB41_29:                              ;   in Loop: Header=BB41_8 Depth=1
	s_and_b64 vcc, exec, s[20:21]
	s_cbranch_vccz .LBB41_40
; %bb.30:                               ;   in Loop: Header=BB41_8 Depth=1
	s_waitcnt vmcnt(0)
	v_pk_mov_b32 v[4:5], 0, 0
	s_mov_b64 s[18:19], exec
	v_readlane_b32 s10, v54, 30
	v_readlane_b32 s11, v54, 31
	s_and_b64 s[10:11], s[18:19], s[10:11]
	s_mov_b64 exec, s[10:11]
	s_cbranch_execz .LBB41_32
; %bb.31:                               ;   in Loop: Header=BB41_8 Depth=1
	global_load_dwordx2 v[4:5], v[20:21], off
.LBB41_32:                              ;   in Loop: Header=BB41_8 Depth=1
	s_or_b64 exec, exec, s[18:19]
	s_mov_b64 s[18:19], exec
	v_readlane_b32 s10, v54, 32
	v_readlane_b32 s11, v54, 33
	s_and_b64 s[10:11], s[18:19], s[10:11]
	s_mov_b64 exec, s[10:11]
	s_cbranch_execz .LBB41_37
; %bb.33:                               ;   in Loop: Header=BB41_8 Depth=1
	v_readlane_b32 s10, v54, 26
	v_readlane_b32 s11, v54, 27
	s_mov_b64 s[20:21], 0
	v_mov_b32_e32 v10, v31
	v_mov_b32_e32 v13, v0
	s_nop 1
	global_load_ushort v2, v19, s[10:11]
	s_waitcnt vmcnt(0)
	v_add_u32_e32 v8, v0, v2
	v_lshlrev_b32_e32 v11, 3, v2
	v_mul_lo_u32 v12, s63, v2
	v_mul_lo_u32 v18, s63, v8
	s_branch .LBB41_35
.LBB41_34:                              ;   in Loop: Header=BB41_35 Depth=2
	s_or_b64 exec, exec, s[22:23]
	v_cmp_le_i32_e32 vcc, s60, v13
	ds_write_b64 v10, v[4:5]
	v_add_u32_e32 v10, v10, v11
	v_add_u32_e32 v18, v18, v12
	s_or_b64 s[20:21], vcc, s[20:21]
	s_waitcnt vmcnt(0)
	v_pk_mov_b32 v[4:5], v[8:9], v[8:9] op_sel:[0,1]
	s_andn2_b64 exec, exec, s[20:21]
	s_cbranch_execz .LBB41_37
.LBB41_35:                              ;   Parent Loop BB41_8 Depth=1
                                        ; =>  This Inner Loop Header: Depth=2
	v_add_u32_e32 v13, v13, v2
	v_cmp_gt_u32_e32 vcc, s60, v13
	v_pk_mov_b32 v[8:9], 0, 0
	s_and_saveexec_b64 s[22:23], vcc
	s_cbranch_execz .LBB41_34
; %bb.36:                               ;   in Loop: Header=BB41_35 Depth=2
	v_lshlrev_b64 v[8:9], 3, v[18:19]
	v_mov_b32_e32 v14, s16
	v_add_co_u32_e32 v8, vcc, s62, v8
	v_addc_co_u32_e32 v9, vcc, v14, v9, vcc
	global_load_dwordx2 v[8:9], v[8:9], off
	s_branch .LBB41_34
.LBB41_37:                              ;   in Loop: Header=BB41_8 Depth=1
	s_or_b64 exec, exec, s[18:19]
	s_waitcnt lgkmcnt(0)
	s_barrier
	s_mov_b64 s[18:19], exec
	v_readlane_b32 s10, v54, 12
	v_readlane_b32 s11, v54, 13
	s_and_b64 s[10:11], s[18:19], s[10:11]
	s_mov_b64 exec, s[10:11]
	s_cbranch_execz .LBB41_39
; %bb.38:                               ;   in Loop: Header=BB41_8 Depth=1
	v_mov_b32_e32 v2, s60
	ds_write_b32 v19, v2 offset:4096
.LBB41_39:                              ;   in Loop: Header=BB41_8 Depth=1
	s_or_b64 exec, exec, s[18:19]
	s_mov_b64 s[18:19], -1
	s_waitcnt lgkmcnt(0)
	s_barrier
                                        ; implicit-def: $sgpr7
.LBB41_40:                              ;   in Loop: Header=BB41_8 Depth=1
	s_and_b64 vcc, exec, s[18:19]
	s_cbranch_vccz .LBB41_42
; %bb.41:                               ;   in Loop: Header=BB41_8 Depth=1
	ds_read_b32 v2, v19 offset:4096
	s_waitcnt lgkmcnt(0)
	v_readfirstlane_b32 s7, v2
.LBB41_42:                              ;   in Loop: Header=BB41_8 Depth=1
	s_cmp_lt_i32 s7, 1
	s_cbranch_scc0 .LBB41_54
; %bb.43:                               ;   in Loop: Header=BB41_8 Depth=1
	v_mov_b32_e32 v8, 0
	s_mov_b32 s73, 0
	v_mov_b32_e32 v9, 0
	v_mov_b32_e32 v10, v8
	;; [unrolled: 1-line block ×3, first 2 shown]
	s_mov_b64 s[88:89], exec
	v_readlane_b32 s10, v54, 44
	v_readlane_b32 s11, v54, 45
	s_and_b64 s[10:11], s[88:89], s[10:11]
	s_mov_b64 exec, s[10:11]
	s_cbranch_execz .LBB41_47
; %bb.44:                               ;   in Loop: Header=BB41_8 Depth=1
	s_and_b32 s82, s79, 0xfe
	s_mov_b64 s[80:81], 0
	s_mov_b32 s83, 0
	s_mov_b32 s10, 0
	;; [unrolled: 1-line block ×4, first 2 shown]
	v_mov_b32_e32 v2, v30
.LBB41_45:                              ;   Parent Loop BB41_8 Depth=1
                                        ; =>  This Inner Loop Header: Depth=2
	v_add_u32_e32 v12, s73, v39
	v_ashrrev_i32_e32 v13, 31, v12
	v_add_u32_e32 v14, s73, v36
	v_lshlrev_b64 v[12:13], 3, v[12:13]
	s_waitcnt vmcnt(0)
	v_mov_b32_e32 v4, s16
	v_ashrrev_i32_e32 v15, 31, v14
	v_add_co_u32_e64 v12, s[18:19], s62, v12
	v_add_u32_e32 v26, s73, v37
	v_lshlrev_b64 v[14:15], 3, v[14:15]
	v_addc_co_u32_e64 v13, s[18:19], v4, v13, s[18:19]
	v_ashrrev_i32_e32 v27, 31, v26
	v_add_co_u32_e64 v14, s[18:19], s62, v14
	v_add_u32_e32 v28, s73, v38
	v_lshlrev_b64 v[26:27], 3, v[26:27]
	v_addc_co_u32_e64 v15, s[18:19], v4, v15, s[18:19]
	v_ashrrev_i32_e32 v29, 31, v28
	v_add_co_u32_e64 v26, s[18:19], s62, v26
	v_lshlrev_b64 v[28:29], 3, v[28:29]
	v_addc_co_u32_e64 v27, s[18:19], v4, v27, s[18:19]
	v_add_co_u32_e64 v28, s[18:19], s62, v28
	v_addc_co_u32_e64 v29, s[18:19], v4, v29, s[18:19]
	global_load_dwordx2 v[12:13], v[12:13], off
	s_nop 0
	global_load_dwordx2 v[14:15], v[14:15], off
	s_nop 0
	;; [unrolled: 2-line block ×3, first 2 shown]
	global_load_dwordx2 v[28:29], v[28:29], off
	v_mov_b32_e32 v5, v19
	v_mov_b32_e32 v9, v19
	;; [unrolled: 1-line block ×3, first 2 shown]
	v_add_u32_e32 v2, s1, v2
	s_add_i32 s73, s73, s76
	v_cmp_le_i32_e32 vcc, s9, v2
	s_waitcnt vmcnt(3)
	v_ashrrev_i32_e32 v4, 31, v13
	s_waitcnt vmcnt(2)
	v_ashrrev_i32_e32 v8, 31, v15
	v_xor_b32_e32 v44, v8, v14
	v_cmp_o_f64_e64 s[18:19], v[14:15], v[14:15]
	v_or_b32_e32 v14, 0x80000000, v4
	s_waitcnt vmcnt(1)
	v_ashrrev_i32_e32 v10, 31, v27
	s_waitcnt vmcnt(0)
	v_ashrrev_i32_e32 v18, 31, v29
	v_xor_b32_e32 v4, v4, v12
	v_or_b32_e32 v8, 0x80000000, v8
	v_cmp_o_f64_e64 s[24:25], v[12:13], v[12:13]
	v_xor_b32_e32 v13, v14, v13
	v_xor_b32_e32 v45, v10, v26
	v_cmp_o_f64_e64 s[20:21], v[26:27], v[26:27]
	v_xor_b32_e32 v46, v18, v28
	v_or_b32_e32 v10, 0x80000000, v10
	v_or_b32_e32 v18, 0x80000000, v18
	v_xor_b32_e32 v8, v8, v15
	v_cndmask_b32_e64 v12, -1, v4, s[24:25]
	v_cndmask_b32_e64 v13, -1, v13, s[24:25]
	v_cmp_o_f64_e64 s[22:23], v[28:29], v[28:29]
	v_xor_b32_e32 v10, v10, v27
	v_xor_b32_e32 v18, v18, v29
	v_cndmask_b32_e64 v14, -1, v44, s[18:19]
	v_cndmask_b32_e64 v26, -1, v45, s[20:21]
	v_cndmask_b32_e64 v15, -1, v8, s[18:19]
	v_and_b32_e32 v44, s84, v12
	v_and_b32_e32 v45, s85, v13
	v_lshrrev_b64 v[12:13], s82, v[12:13]
	v_cndmask_b32_e64 v28, -1, v46, s[22:23]
	v_cndmask_b32_e64 v27, -1, v10, s[20:21]
	;; [unrolled: 1-line block ×3, first 2 shown]
	v_and_b32_e32 v46, s84, v14
	v_and_b32_e32 v47, s85, v15
	v_lshrrev_b64 v[14:15], s82, v[14:15]
	v_and_b32_e32 v18, 3, v12
	v_and_b32_e32 v48, s84, v26
	;; [unrolled: 1-line block ×3, first 2 shown]
	v_lshrrev_b64 v[26:27], s82, v[26:27]
	v_cmp_eq_u64_e64 s[18:19], s[86:87], v[44:45]
	v_and_b32_e32 v4, 3, v14
	v_cmp_eq_u64_e64 s[26:27], 0, v[18:19]
	v_and_b32_e32 v50, s84, v28
	v_and_b32_e32 v51, s85, v29
	v_lshrrev_b64 v[28:29], s82, v[28:29]
	v_cmp_eq_u64_e64 s[20:21], s[86:87], v[46:47]
	v_and_b32_e32 v8, 3, v26
	v_cmp_eq_u64_e64 s[28:29], 0, v[4:5]
	s_and_b64 s[14:15], s[18:19], s[26:27]
	v_cmp_eq_u64_e64 s[22:23], s[86:87], v[48:49]
	v_and_b32_e32 v10, 3, v28
	v_cmp_eq_u64_e64 s[30:31], 0, v[8:9]
	v_cmp_eq_u64_e64 s[38:39], 1, v[4:5]
	;; [unrolled: 1-line block ×4, first 2 shown]
	v_cndmask_b32_e64 v4, 0, 1, s[14:15]
	s_and_b64 s[14:15], s[20:21], s[28:29]
	v_cmp_eq_u64_e64 s[24:25], s[86:87], v[50:51]
	v_cmp_eq_u64_e64 s[34:35], 0, v[10:11]
	v_cndmask_b32_e64 v5, 0, 1, s[14:15]
	s_and_b64 s[14:15], s[22:23], s[30:31]
	v_cmp_eq_u64_e64 s[36:37], 1, v[18:19]
	v_cmp_eq_u64_e64 s[40:41], 1, v[8:9]
	;; [unrolled: 1-line block ×4, first 2 shown]
	v_cndmask_b32_e64 v8, 0, 1, s[14:15]
	s_and_b64 s[14:15], s[24:25], s[34:35]
	v_cndmask_b32_e64 v9, 0, 1, s[14:15]
	s_and_b64 s[14:15], s[18:19], s[36:37]
	v_cmp_eq_u64_e64 s[42:43], 1, v[10:11]
	v_cmp_eq_u64_e64 s[50:51], 2, v[10:11]
	;; [unrolled: 1-line block ×3, first 2 shown]
	v_cndmask_b32_e64 v10, 0, 1, s[14:15]
	s_and_b64 s[14:15], s[20:21], s[38:39]
	v_cndmask_b32_e64 v11, 0, 1, s[14:15]
	s_and_b64 s[14:15], s[22:23], s[40:41]
	v_cmp_eq_u64_e64 s[44:45], 2, v[18:19]
	v_cndmask_b32_e64 v12, 0, 1, s[14:15]
	s_and_b64 s[14:15], s[24:25], s[42:43]
	v_cndmask_b32_e64 v13, 0, 1, s[14:15]
	s_and_b64 s[14:15], s[18:19], s[44:45]
	;; [unrolled: 2-line block ×4, first 2 shown]
	v_cmp_eq_u64_e64 s[52:53], 3, v[18:19]
	v_cndmask_b32_e64 v18, 0, 1, s[14:15]
	s_and_b64 s[14:15], s[24:25], s[50:51]
	v_cndmask_b32_e64 v26, 0, 1, s[14:15]
	s_and_b64 s[14:15], s[18:19], s[52:53]
	;; [unrolled: 2-line block ×5, first 2 shown]
	v_cmp_ne_u32_e64 s[18:19], 0, v4
	v_cmp_ne_u32_e64 s[22:23], 0, v8
	;; [unrolled: 1-line block ×5, first 2 shown]
	v_cndmask_b32_e64 v44, 0, 1, s[14:15]
	v_cmp_ne_u32_e64 s[20:21], 0, v5
	v_cmp_ne_u32_e64 s[24:25], 0, v9
	;; [unrolled: 1-line block ×5, first 2 shown]
	s_bcnt1_i32_b64 s13, s[18:19]
	s_bcnt1_i32_b64 s15, s[22:23]
	;; [unrolled: 1-line block ×5, first 2 shown]
	v_cmp_ne_u32_e64 s[30:31], 0, v12
	v_cmp_ne_u32_e64 s[40:41], 0, v18
	;; [unrolled: 1-line block ×3, first 2 shown]
	s_bcnt1_i32_b64 s14, s[20:21]
	s_bcnt1_i32_b64 s18, s[24:25]
	;; [unrolled: 1-line block ×5, first 2 shown]
	s_add_i32 s12, s12, s13
	s_add_i32 s11, s11, s19
	;; [unrolled: 1-line block ×4, first 2 shown]
	v_cmp_ne_u32_e64 s[34:35], 0, v13
	v_cmp_ne_u32_e64 s[42:43], 0, v26
	;; [unrolled: 1-line block ×3, first 2 shown]
	s_bcnt1_i32_b64 s21, s[30:31]
	s_bcnt1_i32_b64 s25, s[40:41]
	;; [unrolled: 1-line block ×3, first 2 shown]
	s_add_i32 s12, s12, s14
	s_add_i32 s11, s11, s20
	;; [unrolled: 1-line block ×4, first 2 shown]
	s_bcnt1_i32_b64 s22, s[34:35]
	s_bcnt1_i32_b64 s26, s[42:43]
	;; [unrolled: 1-line block ×3, first 2 shown]
	s_add_i32 s12, s12, s15
	s_add_i32 s11, s11, s21
	;; [unrolled: 1-line block ×8, first 2 shown]
	s_or_b64 s[80:81], vcc, s[80:81]
	v_mov_b32_e32 v8, s12
	v_mov_b32_e32 v9, s11
	;; [unrolled: 1-line block ×4, first 2 shown]
	s_andn2_b64 exec, exec, s[80:81]
	s_cbranch_execnz .LBB41_45
; %bb.46:                               ;   in Loop: Header=BB41_8 Depth=1
	s_or_b64 exec, exec, s[80:81]
.LBB41_47:                              ;   in Loop: Header=BB41_8 Depth=1
	s_or_b64 exec, exec, s[88:89]
	v_pk_mov_b32 v[12:13], 0, 0
	s_mov_b64 s[18:19], exec
	v_readlane_b32 s10, v54, 46
	v_readlane_b32 s11, v54, 47
	s_and_b64 s[10:11], s[18:19], s[10:11]
	s_mov_b64 exec, s[10:11]
	s_cbranch_execz .LBB41_49
; %bb.48:                               ;   in Loop: Header=BB41_8 Depth=1
	global_load_dwordx2 v[12:13], v[24:25], off
.LBB41_49:                              ;   in Loop: Header=BB41_8 Depth=1
	s_or_b64 exec, exec, s[18:19]
	s_mov_b64 s[20:21], 0
	s_mov_b64 s[88:89], 0
	s_mov_b64 s[22:23], exec
	v_readlane_b32 s10, v54, 48
	v_readlane_b32 s11, v54, 49
	s_and_b64 s[10:11], s[22:23], s[10:11]
	s_mov_b64 exec, s[10:11]
	s_cbranch_execz .LBB41_56
; %bb.50:                               ;   in Loop: Header=BB41_8 Depth=1
	s_and_b32 s10, s79, 0xfe
	s_mov_b64 s[24:25], 0
	s_waitcnt vmcnt(0)
	v_mov_b32_e32 v4, v40
	v_mov_b32_e32 v2, v35
	s_branch .LBB41_52
.LBB41_51:                              ;   in Loop: Header=BB41_52 Depth=2
	s_or_b64 exec, exec, s[18:19]
	v_ashrrev_i32_e32 v5, 31, v13
	v_or_b32_e32 v18, 0x80000000, v5
	v_xor_b32_e32 v18, v18, v13
	v_xor_b32_e32 v5, v5, v12
	v_cmp_o_f64_e32 vcc, v[12:13], v[12:13]
	v_cndmask_b32_e32 v13, -1, v18, vcc
	v_cndmask_b32_e32 v12, -1, v5, vcc
	v_and_b32_e32 v27, s85, v13
	v_and_b32_e32 v26, s84, v12
	v_lshrrev_b64 v[12:13], s10, v[12:13]
	v_and_b32_e32 v18, 3, v12
	v_cmp_eq_u64_e32 vcc, s[86:87], v[26:27]
	v_cmp_eq_u64_e64 s[18:19], 0, v[18:19]
	s_and_b64 s[12:13], vcc, s[18:19]
	v_cndmask_b32_e64 v5, 0, 1, s[12:13]
	v_cmp_ne_u32_e64 s[18:19], 0, v5
	s_bcnt1_i32_b64 s11, s[18:19]
	v_cmp_eq_u64_e64 s[18:19], 1, v[18:19]
	s_and_b64 s[12:13], vcc, s[18:19]
	v_cndmask_b32_e64 v5, 0, 1, s[12:13]
	v_cmp_ne_u32_e64 s[18:19], 0, v5
	v_add_u32_e32 v8, s11, v8
	s_bcnt1_i32_b64 s11, s[18:19]
	v_cmp_eq_u64_e64 s[18:19], 2, v[18:19]
	s_and_b64 s[12:13], vcc, s[18:19]
	v_cndmask_b32_e64 v5, 0, 1, s[12:13]
	v_cmp_ne_u32_e64 s[18:19], 0, v5
	v_add_u32_e32 v9, s11, v9
	s_bcnt1_i32_b64 s11, s[18:19]
	v_cmp_eq_u64_e64 s[18:19], 3, v[18:19]
	s_and_b64 s[12:13], vcc, s[18:19]
	v_cndmask_b32_e64 v5, 0, 1, s[12:13]
	v_cmp_ne_u32_e32 vcc, 0, v5
	v_add_u32_e32 v10, s11, v10
	s_bcnt1_i32_b64 s11, vcc
	v_cmp_le_i32_e32 vcc, s60, v2
	v_add_u32_e32 v11, s11, v11
	v_add_u32_e32 v4, s0, v4
	s_or_b64 s[24:25], vcc, s[24:25]
	s_waitcnt vmcnt(0)
	v_pk_mov_b32 v[12:13], v[14:15], v[14:15] op_sel:[0,1]
	s_andn2_b64 exec, exec, s[24:25]
	s_cbranch_execz .LBB41_55
.LBB41_52:                              ;   Parent Loop BB41_8 Depth=1
                                        ; =>  This Inner Loop Header: Depth=2
	v_add_u32_e32 v2, s33, v2
	v_cmp_gt_u32_e32 vcc, s60, v2
	v_pk_mov_b32 v[14:15], 0, 0
	s_and_saveexec_b64 s[18:19], vcc
	s_cbranch_execz .LBB41_51
; %bb.53:                               ;   in Loop: Header=BB41_52 Depth=2
	v_ashrrev_i32_e32 v5, 31, v4
	v_lshlrev_b64 v[14:15], 3, v[4:5]
	v_mov_b32_e32 v5, s16
	v_add_co_u32_e32 v14, vcc, s62, v14
	v_addc_co_u32_e32 v15, vcc, v5, v15, vcc
	global_load_dwordx2 v[14:15], v[14:15], off
	s_branch .LBB41_51
.LBB41_54:                              ;   in Loop: Header=BB41_8 Depth=1
	s_mov_b64 s[88:89], 0
                                        ; implicit-def: $vgpr11
	s_cbranch_execnz .LBB41_57
	s_branch .LBB41_66
.LBB41_55:                              ;   in Loop: Header=BB41_8 Depth=1
	s_or_b64 exec, exec, s[24:25]
	s_mov_b64 s[88:89], exec
.LBB41_56:                              ;   in Loop: Header=BB41_8 Depth=1
	s_or_b64 exec, exec, s[22:23]
	s_and_b64 vcc, exec, s[20:21]
	s_cbranch_vccz .LBB41_66
.LBB41_57:                              ;   in Loop: Header=BB41_8 Depth=1
	s_mul_hi_u32 s10, s7, s8
	s_mul_i32 s10, s10, s1
	s_sub_i32 s10, s7, s10
	s_sub_i32 s11, s10, s1
	s_cmp_ge_u32 s10, s1
	s_cselect_b32 s10, s11, s10
	s_sub_i32 s11, s10, s1
	s_cmp_ge_u32 s10, s1
	s_cselect_b32 s10, s11, s10
	s_sub_i32 s73, s7, s10
	v_cmp_gt_u32_e32 vcc, s73, v30
	s_mov_b32 s10, 0
	v_mov_b32_e32 v8, 0
	v_mov_b32_e32 v9, 0
	;; [unrolled: 1-line block ×4, first 2 shown]
	s_and_saveexec_b64 s[80:81], vcc
	s_cbranch_execz .LBB41_61
; %bb.58:                               ;   in Loop: Header=BB41_8 Depth=1
	s_and_b32 s11, s79, 0xfe
	s_mov_b64 s[82:83], 0
	v_mov_b32_e32 v2, v41
	s_mov_b32 s12, 0
	s_mov_b32 s13, 0
	;; [unrolled: 1-line block ×3, first 2 shown]
	v_mov_b32_e32 v44, v30
.LBB41_59:                              ;   Parent Loop BB41_8 Depth=1
                                        ; =>  This Inner Loop Header: Depth=2
	s_waitcnt vmcnt(0)
	ds_read_b128 v[12:15], v2
	ds_read_b128 v[8:11], v2 offset:16
	v_mov_b32_e32 v5, v19
	v_mov_b32_e32 v27, v19
	;; [unrolled: 1-line block ×3, first 2 shown]
	s_waitcnt lgkmcnt(1)
	v_ashrrev_i32_e32 v4, 31, v13
	v_ashrrev_i32_e32 v18, 31, v15
	s_waitcnt lgkmcnt(0)
	v_ashrrev_i32_e32 v26, 31, v9
	v_ashrrev_i32_e32 v28, 31, v11
	v_xor_b32_e32 v45, v18, v14
	v_cmp_o_f64_e64 s[18:19], v[14:15], v[14:15]
	v_xor_b32_e32 v14, v26, v8
	v_cmp_o_f64_e64 s[20:21], v[8:9], v[8:9]
	v_or_b32_e32 v8, 0x80000000, v4
	v_xor_b32_e32 v46, v28, v10
	v_cmp_o_f64_e64 s[22:23], v[10:11], v[10:11]
	v_xor_b32_e32 v4, v4, v12
	v_or_b32_e32 v10, 0x80000000, v18
	v_or_b32_e32 v18, 0x80000000, v26
	v_cmp_o_f64_e64 s[24:25], v[12:13], v[12:13]
	v_xor_b32_e32 v13, v8, v13
	v_or_b32_e32 v26, 0x80000000, v28
	v_xor_b32_e32 v15, v10, v15
	v_xor_b32_e32 v18, v18, v9
	v_cndmask_b32_e64 v8, -1, v4, s[24:25]
	v_cndmask_b32_e64 v9, -1, v13, s[24:25]
	v_xor_b32_e32 v26, v26, v11
	v_cndmask_b32_e64 v10, -1, v45, s[18:19]
	v_cndmask_b32_e64 v12, -1, v14, s[20:21]
	;; [unrolled: 1-line block ×4, first 2 shown]
	v_and_b32_e32 v46, s84, v8
	v_and_b32_e32 v47, s85, v9
	v_lshrrev_b64 v[8:9], s11, v[8:9]
	v_cndmask_b32_e64 v13, -1, v18, s[20:21]
	v_and_b32_e32 v48, s84, v10
	v_and_b32_e32 v49, s85, v11
	v_lshrrev_b64 v[10:11], s11, v[10:11]
	v_and_b32_e32 v18, 3, v8
	v_cndmask_b32_e64 v15, -1, v26, s[22:23]
	v_and_b32_e32 v50, s84, v12
	v_and_b32_e32 v51, s85, v13
	v_lshrrev_b64 v[12:13], s11, v[12:13]
	v_cmp_eq_u64_e64 s[18:19], s[86:87], v[46:47]
	v_and_b32_e32 v4, 3, v10
	v_cmp_eq_u64_e64 s[26:27], 0, v[18:19]
	v_and_b32_e32 v52, s84, v14
	v_and_b32_e32 v53, s85, v15
	v_lshrrev_b64 v[14:15], s11, v[14:15]
	v_cmp_eq_u64_e64 s[20:21], s[86:87], v[48:49]
	v_and_b32_e32 v26, 3, v12
	v_cmp_eq_u64_e64 s[28:29], 0, v[4:5]
	s_and_b64 s[26:27], s[18:19], s[26:27]
	v_cmp_eq_u64_e64 s[22:23], s[86:87], v[50:51]
	v_and_b32_e32 v28, 3, v14
	v_cmp_eq_u64_e64 s[30:31], 0, v[26:27]
	v_cmp_eq_u64_e64 s[38:39], 1, v[4:5]
	;; [unrolled: 1-line block ×4, first 2 shown]
	v_cndmask_b32_e64 v4, 0, 1, s[26:27]
	s_and_b64 s[26:27], s[20:21], s[28:29]
	v_cmp_eq_u64_e64 s[24:25], s[86:87], v[52:53]
	v_cmp_eq_u64_e64 s[34:35], 0, v[28:29]
	v_cndmask_b32_e64 v5, 0, 1, s[26:27]
	s_and_b64 s[26:27], s[22:23], s[30:31]
	v_cmp_eq_u64_e64 s[36:37], 1, v[18:19]
	v_cndmask_b32_e64 v8, 0, 1, s[26:27]
	s_and_b64 s[26:27], s[24:25], s[34:35]
	v_cndmask_b32_e64 v9, 0, 1, s[26:27]
	s_and_b64 s[26:27], s[18:19], s[36:37]
	v_cmp_eq_u64_e64 s[40:41], 1, v[26:27]
	v_cndmask_b32_e64 v10, 0, 1, s[26:27]
	s_and_b64 s[26:27], s[20:21], s[38:39]
	v_cmp_eq_u64_e64 s[42:43], 1, v[28:29]
	;; [unrolled: 3-line block ×3, first 2 shown]
	v_cmp_eq_u64_e64 s[52:53], 3, v[18:19]
	v_cndmask_b32_e64 v12, 0, 1, s[26:27]
	s_and_b64 s[26:27], s[24:25], s[42:43]
	v_cndmask_b32_e64 v13, 0, 1, s[26:27]
	s_and_b64 s[26:27], s[18:19], s[44:45]
	s_and_b64 s[18:19], s[18:19], s[52:53]
	v_cmp_eq_u64_e64 s[48:49], 2, v[26:27]
	v_cmp_eq_u64_e64 s[56:57], 3, v[26:27]
	v_cndmask_b32_e64 v14, 0, 1, s[26:27]
	s_and_b64 s[26:27], s[20:21], s[46:47]
	v_cndmask_b32_e64 v27, 0, 1, s[18:19]
	s_and_b64 s[18:19], s[20:21], s[54:55]
	v_cmp_eq_u64_e64 s[50:51], 2, v[28:29]
	v_cmp_eq_u64_e64 s[58:59], 3, v[28:29]
	v_cndmask_b32_e64 v15, 0, 1, s[26:27]
	s_and_b64 s[26:27], s[22:23], s[48:49]
	v_cndmask_b32_e64 v28, 0, 1, s[18:19]
	s_and_b64 s[18:19], s[22:23], s[56:57]
	;; [unrolled: 2-line block ×4, first 2 shown]
	v_cndmask_b32_e64 v26, 0, 1, s[26:27]
	v_cndmask_b32_e64 v45, 0, 1, s[18:19]
	v_cmp_ne_u32_e64 s[18:19], 0, v4
	v_cmp_ne_u32_e64 s[20:21], 0, v5
	;; [unrolled: 1-line block ×11, first 2 shown]
	s_bcnt1_i32_b64 s15, s[18:19]
	s_bcnt1_i32_b64 s18, s[20:21]
	;; [unrolled: 1-line block ×8, first 2 shown]
	v_cmp_ne_u32_e64 s[40:41], 0, v18
	v_cmp_ne_u32_e64 s[48:49], 0, v29
	s_bcnt1_i32_b64 s23, s[30:31]
	s_bcnt1_i32_b64 s26, s[38:39]
	;; [unrolled: 1-line block ×3, first 2 shown]
	s_add_i32 s14, s14, s15
	s_add_i32 s13, s13, s21
	;; [unrolled: 1-line block ×4, first 2 shown]
	v_cmp_ne_u32_e64 s[34:35], 0, v13
	v_cmp_ne_u32_e64 s[42:43], 0, v26
	;; [unrolled: 1-line block ×3, first 2 shown]
	s_bcnt1_i32_b64 s27, s[40:41]
	s_bcnt1_i32_b64 s31, s[48:49]
	s_add_i32 s14, s14, s18
	s_add_i32 s13, s13, s22
	;; [unrolled: 1-line block ×4, first 2 shown]
	v_add_u32_e32 v44, s1, v44
	s_bcnt1_i32_b64 s24, s[34:35]
	s_bcnt1_i32_b64 s28, s[42:43]
	;; [unrolled: 1-line block ×3, first 2 shown]
	s_add_i32 s14, s14, s19
	s_add_i32 s13, s13, s23
	;; [unrolled: 1-line block ×4, first 2 shown]
	v_cmp_le_i32_e32 vcc, s73, v44
	s_add_i32 s14, s14, s20
	s_add_i32 s13, s13, s24
	s_add_i32 s12, s12, s28
	s_add_i32 s10, s10, s34
	v_add_u32_e32 v2, s77, v2
	s_or_b64 s[82:83], vcc, s[82:83]
	v_mov_b32_e32 v8, s14
	v_mov_b32_e32 v9, s13
	;; [unrolled: 1-line block ×4, first 2 shown]
	s_andn2_b64 exec, exec, s[82:83]
	s_cbranch_execnz .LBB41_59
; %bb.60:                               ;   in Loop: Header=BB41_8 Depth=1
	s_or_b64 exec, exec, s[82:83]
.LBB41_61:                              ;   in Loop: Header=BB41_8 Depth=1
	s_or_b64 exec, exec, s[80:81]
	v_add_u32_e32 v2, s73, v0
	v_cmp_gt_i32_e32 vcc, s7, v2
	s_and_saveexec_b64 s[28:29], vcc
	s_cbranch_execz .LBB41_65
; %bb.62:                               ;   in Loop: Header=BB41_8 Depth=1
	s_and_b32 s10, s79, 0xfe
	s_waitcnt vmcnt(0)
	v_lshlrev_b32_e32 v4, 3, v2
	s_mov_b64 s[30:31], 0
.LBB41_63:                              ;   Parent Loop BB41_8 Depth=1
                                        ; =>  This Inner Loop Header: Depth=2
	ds_read_b64 v[12:13], v4
	v_add_u32_e32 v2, s33, v2
	v_cmp_le_i32_e32 vcc, s7, v2
	v_add_u32_e32 v4, s78, v4
	s_waitcnt lgkmcnt(0)
	v_ashrrev_i32_e32 v5, 31, v13
	v_or_b32_e32 v14, 0x80000000, v5
	v_xor_b32_e32 v5, v5, v12
	v_cmp_o_f64_e64 s[18:19], v[12:13], v[12:13]
	v_xor_b32_e32 v13, v14, v13
	v_cndmask_b32_e64 v12, -1, v5, s[18:19]
	v_cndmask_b32_e64 v13, -1, v13, s[18:19]
	v_and_b32_e32 v14, s84, v12
	v_and_b32_e32 v15, s85, v13
	v_lshrrev_b64 v[12:13], s10, v[12:13]
	v_and_b32_e32 v18, 3, v12
	v_cmp_eq_u64_e64 s[18:19], s[86:87], v[14:15]
	v_cmp_eq_u64_e64 s[20:21], 0, v[18:19]
	;; [unrolled: 1-line block ×3, first 2 shown]
	s_and_b64 s[12:13], s[18:19], s[20:21]
	v_cmp_eq_u64_e64 s[24:25], 2, v[18:19]
	v_cndmask_b32_e64 v5, 0, 1, s[12:13]
	s_and_b64 s[12:13], s[18:19], s[22:23]
	v_cmp_eq_u64_e64 s[26:27], 3, v[18:19]
	v_cndmask_b32_e64 v12, 0, 1, s[12:13]
	s_and_b64 s[12:13], s[18:19], s[24:25]
	v_cndmask_b32_e64 v13, 0, 1, s[12:13]
	s_and_b64 s[12:13], s[18:19], s[26:27]
	v_cndmask_b32_e64 v14, 0, 1, s[12:13]
	v_cmp_ne_u32_e64 s[18:19], 0, v5
	v_cmp_ne_u32_e64 s[20:21], 0, v12
	;; [unrolled: 1-line block ×4, first 2 shown]
	s_bcnt1_i32_b64 s11, s[18:19]
	s_bcnt1_i32_b64 s12, s[20:21]
	;; [unrolled: 1-line block ×4, first 2 shown]
	v_add_u32_e32 v8, s11, v8
	v_add_u32_e32 v9, s12, v9
	;; [unrolled: 1-line block ×3, first 2 shown]
	s_or_b64 s[30:31], vcc, s[30:31]
	v_add_u32_e32 v11, s14, v11
	s_andn2_b64 exec, exec, s[30:31]
	s_cbranch_execnz .LBB41_63
; %bb.64:                               ;   in Loop: Header=BB41_8 Depth=1
	s_or_b64 exec, exec, s[30:31]
	s_or_b64 s[88:89], s[88:89], exec
.LBB41_65:                              ;   in Loop: Header=BB41_8 Depth=1
	s_or_b64 exec, exec, s[28:29]
.LBB41_66:                              ;   in Loop: Header=BB41_8 Depth=1
	s_and_saveexec_b64 s[18:19], s[88:89]
	s_or_b64 exec, exec, s[18:19]
	s_lshl_b32 s7, s6, 6
	s_and_saveexec_b64 s[18:19], s[2:3]
	s_cbranch_execz .LBB41_68
; %bb.67:                               ;   in Loop: Header=BB41_8 Depth=1
	v_or_b32_e32 v2, s7, v33
	v_lshlrev_b32_e32 v2, 2, v2
	ds_write_b128 v2, v[8:11] offset:3072
.LBB41_68:                              ;   in Loop: Header=BB41_8 Depth=1
	s_or_b64 exec, exec, s[18:19]
	s_waitcnt lgkmcnt(0)
	s_barrier
	s_and_saveexec_b64 s[18:19], s[74:75]
	s_cbranch_execz .LBB41_82
; %bb.69:                               ;   in Loop: Header=BB41_8 Depth=1
	v_readlane_b32 s10, v54, 24
	v_readlane_b32 s11, v54, 25
	v_add_u32_e32 v2, s7, v23
	s_andn2_b64 vcc, exec, s[10:11]
	s_waitcnt vmcnt(0)
	v_mov_b32_e32 v4, 0
	s_cbranch_vccnz .LBB41_81
; %bb.70:                               ;   in Loop: Header=BB41_8 Depth=1
	v_readlane_b32 s12, v54, 28
	v_readlane_b32 s13, v54, 29
	s_mov_b32 s10, 0
	s_and_b64 vcc, exec, s[12:13]
	v_mov_b32_e32 v4, 0
	s_cbranch_vccz .LBB41_74
; %bb.71:                               ;   in Loop: Header=BB41_8 Depth=1
	v_readlane_b32 s10, v54, 34
	v_readlane_b32 s11, v54, 35
	v_lshl_add_u32 v8, v2, 2, v43
	s_andn2_b64 vcc, exec, s[10:11]
	s_cbranch_vccnz .LBB41_75
; %bb.72:                               ;   in Loop: Header=BB41_8 Depth=1
	s_mov_b32 s21, 1
	s_mov_b32 s20, 0
	v_mov_b32_e32 v4, 0
	v_readlane_b32 s10, v54, 36
	v_mov_b32_e32 v5, 0
.LBB41_73:                              ;   Parent Loop BB41_8 Depth=1
                                        ; =>  This Inner Loop Header: Depth=2
	v_lshl_add_u32 v9, s20, 4, v8
	v_lshl_add_u32 v18, s21, 4, v8
	ds_read2_b32 v[10:11], v9 offset1:8
	ds_read2_b32 v[12:13], v18 offset1:8
	ds_read2_b32 v[14:15], v9 offset0:16 offset1:24
	ds_read2_b32 v[26:27], v18 offset0:16 offset1:24
	ds_read2_b32 v[28:29], v9 offset0:32 offset1:40
	ds_read2_b32 v[44:45], v18 offset0:32 offset1:40
	ds_read2_b32 v[46:47], v9 offset0:48 offset1:56
	ds_read2_b32 v[48:49], v18 offset0:48 offset1:56
	s_waitcnt lgkmcnt(7)
	v_add3_u32 v4, v10, v4, v11
	s_waitcnt lgkmcnt(6)
	v_add3_u32 v5, v12, v5, v13
	s_waitcnt lgkmcnt(4)
	v_add3_u32 v5, v26, v5, v27
	v_add3_u32 v4, v14, v4, v15
	s_add_i32 s21, s21, 16
	s_add_i32 s20, s20, 16
	s_add_i32 s10, s10, -8
	s_waitcnt lgkmcnt(3)
	v_add3_u32 v4, v28, v4, v29
	s_waitcnt lgkmcnt(2)
	v_add3_u32 v5, v44, v5, v45
	s_cmp_lg_u32 s10, 0
	s_waitcnt lgkmcnt(0)
	v_add3_u32 v5, v48, v5, v49
	v_add3_u32 v4, v46, v4, v47
	s_cbranch_scc1 .LBB41_73
	s_branch .LBB41_76
.LBB41_74:                              ;   in Loop: Header=BB41_8 Depth=1
	s_cbranch_execnz .LBB41_79
	s_branch .LBB41_81
.LBB41_75:                              ;   in Loop: Header=BB41_8 Depth=1
	s_mov_b32 s73, s72
	v_pk_mov_b32 v[4:5], s[72:73], s[72:73] op_sel:[0,1]
	s_mov_b32 s73, 1
	s_mov_b64 s[20:21], s[72:73]
.LBB41_76:                              ;   in Loop: Header=BB41_8 Depth=1
	v_readlane_b32 s10, v54, 38
	v_readlane_b32 s11, v54, 39
	s_andn2_b64 vcc, exec, s[10:11]
	v_readlane_b32 s10, v54, 37
	s_cbranch_vccnz .LBB41_78
.LBB41_77:                              ;   Parent Loop BB41_8 Depth=1
                                        ; =>  This Inner Loop Header: Depth=2
	v_lshl_add_u32 v9, s20, 4, v8
	v_lshl_add_u32 v10, s21, 4, v8
	ds_read_b32 v10, v10
	ds_read_b32 v9, v9
	s_add_i32 s21, s21, 2
	s_add_i32 s20, s20, 2
	s_add_i32 s10, s10, -1
	s_cmp_lg_u32 s10, 0
	s_waitcnt lgkmcnt(1)
	v_add_u32_e32 v5, v10, v5
	s_waitcnt lgkmcnt(0)
	v_add_u32_e32 v4, v9, v4
	s_cbranch_scc1 .LBB41_77
.LBB41_78:                              ;   in Loop: Header=BB41_8 Depth=1
	v_readlane_b32 s20, v54, 42
	v_add_u32_e32 v4, v4, v5
	v_readlane_b32 s10, v54, 41
	v_readlane_b32 s21, v54, 43
	s_and_b64 vcc, exec, s[20:21]
	s_cbranch_vccz .LBB41_81
.LBB41_79:                              ;   in Loop: Header=BB41_8 Depth=1
	s_lshl_b32 s11, s6, 8
	s_lshl_b32 s12, s10, 4
	s_add_i32 s11, s11, s12
	v_add_u32_e32 v5, s11, v42
	v_readlane_b32 s11, v54, 40
	s_sub_i32 s10, s11, s10
.LBB41_80:                              ;   Parent Loop BB41_8 Depth=1
                                        ; =>  This Inner Loop Header: Depth=2
	ds_read_b32 v8, v5
	s_add_i32 s10, s10, -1
	v_add_u32_e32 v5, 16, v5
	s_cmp_eq_u32 s10, 0
	s_waitcnt lgkmcnt(0)
	v_add_u32_e32 v4, v8, v4
	s_cbranch_scc0 .LBB41_80
.LBB41_81:                              ;   in Loop: Header=BB41_8 Depth=1
	v_lshlrev_b32_e32 v2, 2, v2
	ds_write_b32 v2, v4 offset:3072
.LBB41_82:                              ;   in Loop: Header=BB41_8 Depth=1
	s_or_b64 exec, exec, s[18:19]
	s_lshl_b32 s7, s7, 2
	v_mov_b32_e32 v2, s7
	s_waitcnt lgkmcnt(0)
	s_barrier
	ds_read_b128 v[8:11], v2 offset:3072
	s_and_b32 s51, s79, 0xfe
	s_lshl_b64 s[20:21], 3, s51
	s_not_b64 s[30:31], s[20:21]
	s_mov_b64 s[24:25], -1
	s_waitcnt lgkmcnt(0)
	v_readfirstlane_b32 s38, v8
	s_cmp_eq_u32 s38, 1
	s_cselect_b64 s[10:11], -1, 0
	s_cmp_eq_u32 s61, 1
	s_cselect_b64 s[12:13], -1, 0
	s_and_b64 s[26:27], s[10:11], s[12:13]
	v_readfirstlane_b32 s42, v9
	v_readfirstlane_b32 s50, v10
	;; [unrolled: 1-line block ×3, first 2 shown]
	s_and_b64 vcc, exec, s[26:27]
	s_cbranch_vccz .LBB41_94
; %bb.83:                               ;   in Loop: Header=BB41_8 Depth=1
	ds_read_b32 v2, v19 offset:4096
	s_waitcnt lgkmcnt(0)
	s_barrier
	v_readfirstlane_b32 s10, v2
	s_and_saveexec_b64 s[18:19], s[4:5]
	s_cbranch_execz .LBB41_85
; %bb.84:                               ;   in Loop: Header=BB41_8 Depth=1
	v_mov_b32_e32 v18, v19
	ds_write_b64 v32, v[18:19]
.LBB41_85:                              ;   in Loop: Header=BB41_8 Depth=1
	s_or_b64 exec, exec, s[18:19]
	s_and_b64 s[86:87], s[86:87], s[30:31]
	s_or_b64 s[84:85], s[84:85], s[20:21]
	s_cmp_lt_i32 s10, 1
	s_waitcnt lgkmcnt(0)
	s_barrier
	s_cbranch_scc0 .LBB41_95
; %bb.86:                               ;   in Loop: Header=BB41_8 Depth=1
	s_mov_b64 s[18:19], 0
                                        ; implicit-def: $vgpr6_vgpr7
	s_mov_b64 s[22:23], exec
	v_readlane_b32 s12, v54, 51
	v_readlane_b32 s13, v54, 52
	s_and_b64 s[12:13], s[22:23], s[12:13]
	s_mov_b64 exec, s[12:13]
	s_cbranch_execz .LBB41_97
; %bb.87:                               ;   in Loop: Header=BB41_8 Depth=1
	s_mov_b64 s[34:35], 0
	v_mov_b32_e32 v8, v16
	v_mov_b32_e32 v10, v0
                                        ; implicit-def: $sgpr28_sgpr29
	s_branch .LBB41_89
.LBB41_88:                              ;   in Loop: Header=BB41_89 Depth=2
	s_or_b64 exec, exec, s[18:19]
	s_waitcnt lgkmcnt(0)
	s_barrier
	s_waitcnt vmcnt(0)
	ds_read_b128 v[4:7], v19 offset:3072
	v_add_u32_e32 v10, s33, v10
	v_cmp_le_i32_e64 s[18:19], s17, v10
	v_add_u32_e32 v8, s0, v8
	s_waitcnt lgkmcnt(0)
	v_cmp_neq_f64_e32 vcc, 0, v[4:5]
	s_or_b64 s[12:13], s[18:19], vcc
	s_and_b64 s[12:13], exec, s[12:13]
	s_or_b64 s[34:35], s[12:13], s[34:35]
	s_andn2_b64 s[12:13], s[28:29], exec
	s_and_b64 s[14:15], vcc, exec
	s_or_b64 s[28:29], s[12:13], s[14:15]
	s_barrier
	s_andn2_b64 exec, exec, s[34:35]
	s_cbranch_execz .LBB41_96
.LBB41_89:                              ;   Parent Loop BB41_8 Depth=1
                                        ; =>  This Inner Loop Header: Depth=2
	v_cmp_gt_i32_e32 vcc, s60, v10
	s_waitcnt vmcnt(0)
	v_pk_mov_b32 v[4:5], 0, 0
	s_and_saveexec_b64 s[36:37], vcc
	s_cbranch_execz .LBB41_91
; %bb.90:                               ;   in Loop: Header=BB41_89 Depth=2
	v_ashrrev_i32_e32 v9, 31, v8
	v_lshlrev_b64 v[4:5], 3, v[8:9]
	v_mov_b32_e32 v2, s16
	v_add_co_u32_e64 v4, s[18:19], s62, v4
	v_addc_co_u32_e64 v5, s[18:19], v2, v5, s[18:19]
	global_load_dwordx2 v[4:5], v[4:5], off
.LBB41_91:                              ;   in Loop: Header=BB41_89 Depth=2
	s_or_b64 exec, exec, s[36:37]
	s_and_saveexec_b64 s[18:19], vcc
	s_cbranch_execz .LBB41_88
; %bb.92:                               ;   in Loop: Header=BB41_89 Depth=2
	s_waitcnt vmcnt(0)
	v_ashrrev_i32_e32 v2, 31, v5
	v_or_b32_e32 v6, 0x80000000, v2
	v_xor_b32_e32 v6, v6, v5
	v_xor_b32_e32 v2, v2, v4
	v_cmp_o_f64_e32 vcc, v[4:5], v[4:5]
	v_cndmask_b32_e32 v6, -1, v6, vcc
	v_cndmask_b32_e32 v2, -1, v2, vcc
	v_and_b32_e32 v7, s85, v6
	v_and_b32_e32 v6, s84, v2
	v_cmp_eq_u64_e32 vcc, s[86:87], v[6:7]
	s_and_b64 exec, exec, vcc
	s_cbranch_execz .LBB41_88
; %bb.93:                               ;   in Loop: Header=BB41_89 Depth=2
	v_mov_b32_e32 v2, v19
	ds_write_b128 v19, v[2:5] offset:3072
	s_branch .LBB41_88
.LBB41_94:                              ;   in Loop: Header=BB41_8 Depth=1
	s_mov_b64 s[18:19], -1
                                        ; implicit-def: $sgpr22_sgpr23
                                        ; implicit-def: $sgpr34_sgpr35
                                        ; implicit-def: $sgpr28_sgpr29
	s_branch .LBB41_108
.LBB41_95:                              ;   in Loop: Header=BB41_8 Depth=1
	s_mov_b64 s[22:23], -1
	s_mov_b64 s[18:19], 0
                                        ; implicit-def: $sgpr28_sgpr29
                                        ; implicit-def: $vgpr6_vgpr7
	s_mov_b64 s[34:35], s[22:23]
	s_cbranch_execnz .LBB41_98
	s_branch .LBB41_108
.LBB41_96:                              ;   in Loop: Header=BB41_8 Depth=1
	s_or_b64 exec, exec, s[34:35]
	s_and_b64 s[18:19], s[28:29], exec
.LBB41_97:                              ;   in Loop: Header=BB41_8 Depth=1
	s_or_b64 exec, exec, s[22:23]
	s_mov_b64 s[28:29], -1
	s_mov_b64 s[22:23], 0
	s_mov_b64 s[34:35], s[22:23]
	s_branch .LBB41_108
.LBB41_98:                              ;   in Loop: Header=BB41_8 Depth=1
	v_readlane_b32 s11, v54, 21
	s_add_i32 s11, s10, s11
	s_abs_i32 s13, s11
	v_readlane_b32 s14, v54, 50
	s_mul_hi_u32 s14, s13, s14
	s_mul_i32 s14, s14, s33
	s_sub_i32 s13, s13, s14
	s_ashr_i32 s12, s11, 31
	s_sub_i32 s14, s13, s33
	s_cmp_ge_u32 s13, s33
	s_cselect_b32 s13, s14, s13
	s_sub_i32 s14, s13, s33
	s_cmp_ge_u32 s13, s33
	s_cselect_b32 s13, s14, s13
	s_xor_b32 s13, s13, s12
	s_sub_i32 s12, s12, s13
	s_add_i32 s11, s11, s12
	v_cmp_gt_i32_e32 vcc, s11, v0
	s_mov_b64 s[18:19], 0
                                        ; implicit-def: $vgpr6_vgpr7
	s_and_saveexec_b64 s[22:23], vcc
	s_cbranch_execz .LBB41_107
; %bb.99:                               ;   in Loop: Header=BB41_8 Depth=1
	s_mov_b64 s[34:35], 0
	v_mov_b32_e32 v8, v31
	v_mov_b32_e32 v9, v0
                                        ; implicit-def: $sgpr28_sgpr29
	s_branch .LBB41_101
.LBB41_100:                             ;   in Loop: Header=BB41_101 Depth=2
	s_or_b64 exec, exec, s[18:19]
	s_waitcnt lgkmcnt(0)
	s_barrier
	ds_read_b128 v[4:7], v19 offset:3072
	v_add_u32_e32 v9, s33, v9
	v_cmp_le_i32_e64 s[18:19], s11, v9
	v_add_u32_e32 v8, s78, v8
	s_waitcnt lgkmcnt(0)
	v_cmp_neq_f64_e32 vcc, 0, v[4:5]
	s_or_b64 s[12:13], s[18:19], vcc
	s_and_b64 s[12:13], exec, s[12:13]
	s_or_b64 s[34:35], s[12:13], s[34:35]
	s_andn2_b64 s[12:13], s[28:29], exec
	s_and_b64 s[14:15], vcc, exec
	s_or_b64 s[28:29], s[12:13], s[14:15]
	s_barrier
	s_andn2_b64 exec, exec, s[34:35]
	s_cbranch_execz .LBB41_106
.LBB41_101:                             ;   Parent Loop BB41_8 Depth=1
                                        ; =>  This Inner Loop Header: Depth=2
	v_cmp_gt_i32_e32 vcc, s10, v9
	s_waitcnt vmcnt(0)
	v_pk_mov_b32 v[4:5], 0, 0
	s_and_saveexec_b64 s[18:19], vcc
	s_cbranch_execz .LBB41_103
; %bb.102:                              ;   in Loop: Header=BB41_101 Depth=2
	ds_read_b64 v[4:5], v8
.LBB41_103:                             ;   in Loop: Header=BB41_101 Depth=2
	s_or_b64 exec, exec, s[18:19]
	s_and_saveexec_b64 s[18:19], vcc
	s_cbranch_execz .LBB41_100
; %bb.104:                              ;   in Loop: Header=BB41_101 Depth=2
	s_waitcnt lgkmcnt(0)
	v_ashrrev_i32_e32 v2, 31, v5
	v_or_b32_e32 v6, 0x80000000, v2
	v_xor_b32_e32 v6, v6, v5
	v_xor_b32_e32 v2, v2, v4
	v_cmp_o_f64_e32 vcc, v[4:5], v[4:5]
	v_cndmask_b32_e32 v6, -1, v6, vcc
	v_cndmask_b32_e32 v2, -1, v2, vcc
	v_and_b32_e32 v7, s85, v6
	v_and_b32_e32 v6, s84, v2
	v_cmp_eq_u64_e32 vcc, s[86:87], v[6:7]
	s_and_b64 exec, exec, vcc
	s_cbranch_execz .LBB41_100
; %bb.105:                              ;   in Loop: Header=BB41_101 Depth=2
	v_mov_b32_e32 v2, v19
	ds_write_b128 v19, v[2:5] offset:3072
	s_branch .LBB41_100
.LBB41_106:                             ;   in Loop: Header=BB41_8 Depth=1
	s_or_b64 exec, exec, s[34:35]
	s_and_b64 s[18:19], s[28:29], exec
.LBB41_107:                             ;   in Loop: Header=BB41_8 Depth=1
	s_or_b64 exec, exec, s[22:23]
	s_mov_b64 s[34:35], -1
	s_mov_b64 s[22:23], 0
	s_mov_b64 s[28:29], 0
.LBB41_108:                             ;   in Loop: Header=BB41_8 Depth=1
	s_andn2_b64 s[10:11], s[70:71], exec
	s_and_b64 s[12:13], s[22:23], exec
	s_or_b64 s[70:71], s[10:11], s[12:13]
	s_andn2_b64 s[10:11], s[68:69], exec
	s_and_b64 s[12:13], s[34:35], exec
	s_or_b64 s[68:69], s[10:11], s[12:13]
	;; [unrolled: 3-line block ×3, first 2 shown]
	s_and_saveexec_b64 s[22:23], s[18:19]
	s_cbranch_execz .LBB41_7
; %bb.109:                              ;   in Loop: Header=BB41_8 Depth=1
	s_xor_b64 s[10:11], s[26:27], -1
	s_mov_b64 s[18:19], 0
	s_andn2_b64 vcc, exec, s[10:11]
	s_mov_b32 s43, 1
	s_cbranch_vccnz .LBB41_120
; %bb.110:                              ;   in Loop: Header=BB41_8 Depth=1
	s_cmp_gt_i32 s61, s38
	s_mov_b64 s[18:19], -1
                                        ; implicit-def: $sgpr57
                                        ; implicit-def: $sgpr24_sgpr25
                                        ; implicit-def: $sgpr26_sgpr27
	s_cbranch_scc1 .LBB41_116
; %bb.111:                              ;   in Loop: Header=BB41_8 Depth=1
	ds_read_b32 v2, v19 offset:4096
	s_waitcnt lgkmcnt(0)
	v_cmp_ne_u32_e32 vcc, 0, v2
	s_cbranch_vccnz .LBB41_115
; %bb.112:                              ;   in Loop: Header=BB41_8 Depth=1
	s_mov_b64 s[18:19], exec
	v_readlane_b32 s10, v54, 12
	v_readlane_b32 s11, v54, 13
	s_and_b64 s[10:11], s[18:19], s[10:11]
	s_mov_b64 exec, s[10:11]
	s_cbranch_execz .LBB41_114
; %bb.113:                              ;   in Loop: Header=BB41_8 Depth=1
	v_mov_b32_e32 v2, s38
	ds_write_b32 v19, v2 offset:4100
.LBB41_114:                             ;   in Loop: Header=BB41_8 Depth=1
	s_or_b64 exec, exec, s[18:19]
	s_waitcnt lgkmcnt(0)
	s_barrier
.LBB41_115:                             ;   in Loop: Header=BB41_8 Depth=1
	s_and_b64 s[24:25], s[86:87], s[30:31]
	s_or_b64 s[26:27], s[84:85], s[20:21]
	s_mov_b64 s[18:19], 0
	s_mov_b32 s57, 8
.LBB41_116:                             ;   in Loop: Header=BB41_8 Depth=1
	s_andn2_b64 vcc, exec, s[18:19]
	s_cbranch_vccnz .LBB41_118
; %bb.117:                              ;   in Loop: Header=BB41_8 Depth=1
	s_sub_i32 s61, s61, s38
	s_mov_b64 s[18:19], -1
	s_mov_b32 s57, 0
	s_mov_b64 s[24:25], s[86:87]
	s_mov_b64 s[26:27], s[84:85]
.LBB41_118:                             ;   in Loop: Header=BB41_8 Depth=1
	s_mov_b64 s[84:85], s[26:27]
	s_mov_b64 s[86:87], s[24:25]
	s_mov_b32 s43, s61
	s_mov_b64 s[24:25], -1
	s_and_b64 vcc, exec, s[18:19]
	s_cbranch_vccnz .LBB41_121
.LBB41_119:                             ;   in Loop: Header=BB41_8 Depth=1
	s_mov_b64 s[40:41], -1
                                        ; implicit-def: $sgpr26_sgpr27
                                        ; implicit-def: $sgpr34_sgpr35
                                        ; implicit-def: $sgpr28_sgpr29
	s_and_saveexec_b64 s[10:11], s[40:41]
	s_xor_b64 s[18:19], exec, s[10:11]
	s_cbranch_execz .LBB41_6
	s_branch .LBB41_244
.LBB41_120:                             ;   in Loop: Header=BB41_8 Depth=1
	s_mov_b32 s57, 1
	s_mov_b64 s[24:25], -1
	s_and_b64 vcc, exec, s[18:19]
	s_cbranch_vccz .LBB41_119
.LBB41_121:                             ;   in Loop: Header=BB41_8 Depth=1
	s_cmp_eq_u32 s42, 1
	s_cselect_b64 s[10:11], -1, 0
	s_cmp_eq_u32 s43, 1
	s_cselect_b64 s[12:13], -1, 0
	s_and_b64 s[38:39], s[10:11], s[12:13]
	s_mov_b64 s[18:19], -1
	s_and_b64 vcc, exec, s[38:39]
	s_cbranch_vccz .LBB41_133
; %bb.122:                              ;   in Loop: Header=BB41_8 Depth=1
	ds_read_b32 v2, v19 offset:4096
	s_waitcnt lgkmcnt(0)
	s_barrier
	v_readfirstlane_b32 s10, v2
	s_and_saveexec_b64 s[18:19], s[4:5]
	s_cbranch_execz .LBB41_124
; %bb.123:                              ;   in Loop: Header=BB41_8 Depth=1
	v_mov_b32_e32 v18, v19
	ds_write_b64 v32, v[18:19]
.LBB41_124:                             ;   in Loop: Header=BB41_8 Depth=1
	s_or_b64 exec, exec, s[18:19]
	s_lshl_b64 s[12:13], 1, s51
	s_and_b64 s[14:15], s[86:87], s[30:31]
	s_or_b64 s[86:87], s[14:15], s[12:13]
	s_or_b64 s[84:85], s[84:85], s[20:21]
	s_cmp_gt_i32 s10, 0
	s_waitcnt lgkmcnt(0)
	s_barrier
	s_cbranch_scc1 .LBB41_134
; %bb.125:                              ;   in Loop: Header=BB41_8 Depth=1
	s_mov_b64 s[18:19], 0
                                        ; implicit-def: $vgpr6_vgpr7
	s_mov_b64 s[26:27], exec
	v_readlane_b32 s12, v54, 51
	v_readlane_b32 s13, v54, 52
	s_and_b64 s[12:13], s[26:27], s[12:13]
	s_mov_b64 exec, s[12:13]
	s_cbranch_execz .LBB41_136
; %bb.126:                              ;   in Loop: Header=BB41_8 Depth=1
	s_mov_b64 s[34:35], 0
	v_mov_b32_e32 v8, v16
	v_mov_b32_e32 v10, v0
                                        ; implicit-def: $sgpr28_sgpr29
	s_branch .LBB41_128
.LBB41_127:                             ;   in Loop: Header=BB41_128 Depth=2
	s_or_b64 exec, exec, s[18:19]
	s_waitcnt lgkmcnt(0)
	s_barrier
	s_waitcnt vmcnt(0)
	ds_read_b128 v[4:7], v19 offset:3072
	v_add_u32_e32 v10, s33, v10
	v_cmp_le_i32_e64 s[18:19], s17, v10
	v_add_u32_e32 v8, s0, v8
	s_waitcnt lgkmcnt(0)
	v_cmp_neq_f64_e32 vcc, 0, v[4:5]
	s_or_b64 s[12:13], s[18:19], vcc
	s_and_b64 s[12:13], exec, s[12:13]
	s_or_b64 s[34:35], s[12:13], s[34:35]
	s_andn2_b64 s[12:13], s[28:29], exec
	s_and_b64 s[14:15], vcc, exec
	s_or_b64 s[28:29], s[12:13], s[14:15]
	s_barrier
	s_andn2_b64 exec, exec, s[34:35]
	s_cbranch_execz .LBB41_135
.LBB41_128:                             ;   Parent Loop BB41_8 Depth=1
                                        ; =>  This Inner Loop Header: Depth=2
	v_cmp_gt_i32_e32 vcc, s60, v10
	s_waitcnt vmcnt(0)
	v_pk_mov_b32 v[4:5], 0, 0
	s_and_saveexec_b64 s[36:37], vcc
	s_cbranch_execz .LBB41_130
; %bb.129:                              ;   in Loop: Header=BB41_128 Depth=2
	v_ashrrev_i32_e32 v9, 31, v8
	v_lshlrev_b64 v[4:5], 3, v[8:9]
	v_mov_b32_e32 v2, s16
	v_add_co_u32_e64 v4, s[18:19], s62, v4
	v_addc_co_u32_e64 v5, s[18:19], v2, v5, s[18:19]
	global_load_dwordx2 v[4:5], v[4:5], off
.LBB41_130:                             ;   in Loop: Header=BB41_128 Depth=2
	s_or_b64 exec, exec, s[36:37]
	s_and_saveexec_b64 s[18:19], vcc
	s_cbranch_execz .LBB41_127
; %bb.131:                              ;   in Loop: Header=BB41_128 Depth=2
	s_waitcnt vmcnt(0)
	v_ashrrev_i32_e32 v2, 31, v5
	v_or_b32_e32 v6, 0x80000000, v2
	v_xor_b32_e32 v6, v6, v5
	v_xor_b32_e32 v2, v2, v4
	v_cmp_o_f64_e32 vcc, v[4:5], v[4:5]
	v_cndmask_b32_e32 v6, -1, v6, vcc
	v_cndmask_b32_e32 v2, -1, v2, vcc
	v_and_b32_e32 v7, s85, v6
	v_and_b32_e32 v6, s84, v2
	v_cmp_eq_u64_e32 vcc, s[86:87], v[6:7]
	s_and_b64 exec, exec, vcc
	s_cbranch_execz .LBB41_127
; %bb.132:                              ;   in Loop: Header=BB41_128 Depth=2
	v_mov_b32_e32 v2, v19
	ds_write_b128 v19, v[2:5] offset:3072
	s_branch .LBB41_127
.LBB41_133:                             ;   in Loop: Header=BB41_8 Depth=1
                                        ; implicit-def: $sgpr28_sgpr29
                                        ; implicit-def: $sgpr34_sgpr35
                                        ; implicit-def: $sgpr26_sgpr27
	s_branch .LBB41_147
.LBB41_134:                             ;   in Loop: Header=BB41_8 Depth=1
	s_mov_b64 s[28:29], -1
	s_mov_b64 s[18:19], 0
                                        ; implicit-def: $sgpr26_sgpr27
                                        ; implicit-def: $vgpr6_vgpr7
	s_mov_b64 s[34:35], s[28:29]
	s_cbranch_execnz .LBB41_137
	s_branch .LBB41_147
.LBB41_135:                             ;   in Loop: Header=BB41_8 Depth=1
	s_or_b64 exec, exec, s[34:35]
	s_and_b64 s[18:19], s[28:29], exec
.LBB41_136:                             ;   in Loop: Header=BB41_8 Depth=1
	s_or_b64 exec, exec, s[26:27]
	s_mov_b64 s[26:27], -1
	s_mov_b64 s[28:29], 0
	s_mov_b64 s[34:35], s[28:29]
	s_branch .LBB41_147
.LBB41_137:                             ;   in Loop: Header=BB41_8 Depth=1
	v_readlane_b32 s11, v54, 21
	s_add_i32 s11, s10, s11
	s_abs_i32 s13, s11
	v_readlane_b32 s14, v54, 50
	s_mul_hi_u32 s14, s13, s14
	s_mul_i32 s14, s14, s33
	s_sub_i32 s13, s13, s14
	s_ashr_i32 s12, s11, 31
	s_sub_i32 s14, s13, s33
	s_cmp_ge_u32 s13, s33
	s_cselect_b32 s13, s14, s13
	s_sub_i32 s14, s13, s33
	s_cmp_ge_u32 s13, s33
	s_cselect_b32 s13, s14, s13
	s_xor_b32 s13, s13, s12
	s_sub_i32 s12, s12, s13
	s_add_i32 s11, s11, s12
	v_cmp_gt_i32_e32 vcc, s11, v0
	s_mov_b64 s[18:19], 0
                                        ; implicit-def: $vgpr6_vgpr7
	s_and_saveexec_b64 s[26:27], vcc
	s_cbranch_execz .LBB41_146
; %bb.138:                              ;   in Loop: Header=BB41_8 Depth=1
	s_mov_b64 s[34:35], 0
	v_mov_b32_e32 v8, v31
	v_mov_b32_e32 v9, v0
                                        ; implicit-def: $sgpr28_sgpr29
	s_branch .LBB41_140
.LBB41_139:                             ;   in Loop: Header=BB41_140 Depth=2
	s_or_b64 exec, exec, s[18:19]
	s_waitcnt lgkmcnt(0)
	s_barrier
	ds_read_b128 v[4:7], v19 offset:3072
	v_add_u32_e32 v9, s33, v9
	v_cmp_le_i32_e64 s[18:19], s11, v9
	v_add_u32_e32 v8, s78, v8
	s_waitcnt lgkmcnt(0)
	v_cmp_neq_f64_e32 vcc, 0, v[4:5]
	s_or_b64 s[12:13], s[18:19], vcc
	s_and_b64 s[12:13], exec, s[12:13]
	s_or_b64 s[34:35], s[12:13], s[34:35]
	s_andn2_b64 s[12:13], s[28:29], exec
	s_and_b64 s[14:15], vcc, exec
	s_or_b64 s[28:29], s[12:13], s[14:15]
	s_barrier
	s_andn2_b64 exec, exec, s[34:35]
	s_cbranch_execz .LBB41_145
.LBB41_140:                             ;   Parent Loop BB41_8 Depth=1
                                        ; =>  This Inner Loop Header: Depth=2
	v_cmp_gt_i32_e32 vcc, s10, v9
	s_waitcnt vmcnt(0)
	v_pk_mov_b32 v[4:5], 0, 0
	s_and_saveexec_b64 s[18:19], vcc
	s_cbranch_execz .LBB41_142
; %bb.141:                              ;   in Loop: Header=BB41_140 Depth=2
	ds_read_b64 v[4:5], v8
.LBB41_142:                             ;   in Loop: Header=BB41_140 Depth=2
	s_or_b64 exec, exec, s[18:19]
	s_and_saveexec_b64 s[18:19], vcc
	s_cbranch_execz .LBB41_139
; %bb.143:                              ;   in Loop: Header=BB41_140 Depth=2
	s_waitcnt lgkmcnt(0)
	v_ashrrev_i32_e32 v2, 31, v5
	v_or_b32_e32 v6, 0x80000000, v2
	v_xor_b32_e32 v6, v6, v5
	v_xor_b32_e32 v2, v2, v4
	v_cmp_o_f64_e32 vcc, v[4:5], v[4:5]
	v_cndmask_b32_e32 v6, -1, v6, vcc
	v_cndmask_b32_e32 v2, -1, v2, vcc
	v_and_b32_e32 v7, s85, v6
	v_and_b32_e32 v6, s84, v2
	v_cmp_eq_u64_e32 vcc, s[86:87], v[6:7]
	s_and_b64 exec, exec, vcc
	s_cbranch_execz .LBB41_139
; %bb.144:                              ;   in Loop: Header=BB41_140 Depth=2
	v_mov_b32_e32 v2, v19
	ds_write_b128 v19, v[2:5] offset:3072
	s_branch .LBB41_139
.LBB41_145:                             ;   in Loop: Header=BB41_8 Depth=1
	s_or_b64 exec, exec, s[34:35]
	s_and_b64 s[18:19], s[28:29], exec
.LBB41_146:                             ;   in Loop: Header=BB41_8 Depth=1
	s_or_b64 exec, exec, s[26:27]
	s_mov_b64 s[34:35], -1
	s_mov_b64 s[28:29], 0
	s_mov_b64 s[26:27], 0
.LBB41_147:                             ;   in Loop: Header=BB41_8 Depth=1
	s_mov_b64 s[40:41], 0
                                        ; implicit-def: $sgpr57
	s_and_saveexec_b64 s[36:37], s[18:19]
	s_cbranch_execz .LBB41_243
; %bb.148:                              ;   in Loop: Header=BB41_8 Depth=1
	s_xor_b64 s[10:11], s[38:39], -1
	s_mov_b64 s[18:19], 0
	s_andn2_b64 vcc, exec, s[10:11]
	s_mov_b32 s52, 1
	s_cbranch_vccnz .LBB41_159
; %bb.149:                              ;   in Loop: Header=BB41_8 Depth=1
	s_cmp_gt_i32 s43, s42
	s_mov_b64 s[18:19], -1
                                        ; implicit-def: $sgpr57
                                        ; implicit-def: $sgpr38_sgpr39
                                        ; implicit-def: $sgpr40_sgpr41
	s_cbranch_scc1 .LBB41_155
; %bb.150:                              ;   in Loop: Header=BB41_8 Depth=1
	ds_read_b32 v2, v19 offset:4096
	s_waitcnt lgkmcnt(0)
	v_cmp_ne_u32_e32 vcc, 0, v2
	s_cbranch_vccnz .LBB41_154
; %bb.151:                              ;   in Loop: Header=BB41_8 Depth=1
	s_mov_b64 s[18:19], exec
	v_readlane_b32 s10, v54, 12
	v_readlane_b32 s11, v54, 13
	s_and_b64 s[10:11], s[18:19], s[10:11]
	s_mov_b64 exec, s[10:11]
	s_cbranch_execz .LBB41_153
; %bb.152:                              ;   in Loop: Header=BB41_8 Depth=1
	v_mov_b32_e32 v2, s42
	ds_write_b32 v19, v2 offset:4100
.LBB41_153:                             ;   in Loop: Header=BB41_8 Depth=1
	s_or_b64 exec, exec, s[18:19]
	s_waitcnt lgkmcnt(0)
	s_barrier
.LBB41_154:                             ;   in Loop: Header=BB41_8 Depth=1
	s_lshl_b64 s[10:11], 1, s51
	s_and_b64 s[12:13], s[86:87], s[30:31]
	s_or_b64 s[38:39], s[12:13], s[10:11]
	s_or_b64 s[40:41], s[84:85], s[20:21]
	s_mov_b64 s[18:19], 0
	s_mov_b32 s57, 8
.LBB41_155:                             ;   in Loop: Header=BB41_8 Depth=1
	s_andn2_b64 vcc, exec, s[18:19]
	s_cbranch_vccnz .LBB41_157
; %bb.156:                              ;   in Loop: Header=BB41_8 Depth=1
	s_sub_i32 s43, s43, s42
	s_mov_b64 s[18:19], -1
	s_mov_b32 s57, 0
	s_mov_b64 s[38:39], s[86:87]
	s_mov_b64 s[40:41], s[84:85]
.LBB41_157:                             ;   in Loop: Header=BB41_8 Depth=1
	s_mov_b64 s[84:85], s[40:41]
	s_mov_b64 s[86:87], s[38:39]
	s_mov_b32 s52, s43
	s_andn2_b64 vcc, exec, s[18:19]
	s_mov_b64 s[48:49], -1
	s_cbranch_vccz .LBB41_160
.LBB41_158:                             ;   in Loop: Header=BB41_8 Depth=1
                                        ; implicit-def: $sgpr40_sgpr41
                                        ; implicit-def: $sgpr42_sgpr43
                                        ; implicit-def: $sgpr38_sgpr39
	s_branch .LBB41_242
.LBB41_159:                             ;   in Loop: Header=BB41_8 Depth=1
	s_mov_b32 s57, 1
	s_andn2_b64 vcc, exec, s[18:19]
	s_mov_b64 s[48:49], -1
	s_cbranch_vccnz .LBB41_158
.LBB41_160:                             ;   in Loop: Header=BB41_8 Depth=1
	s_cmp_eq_u32 s50, 1
	s_cselect_b64 s[10:11], -1, 0
	s_cmp_eq_u32 s52, 1
	s_cselect_b64 s[12:13], -1, 0
	s_and_b64 s[46:47], s[10:11], s[12:13]
	s_mov_b64 s[18:19], -1
	s_and_b64 vcc, exec, s[46:47]
	s_cbranch_vccz .LBB41_172
; %bb.161:                              ;   in Loop: Header=BB41_8 Depth=1
	ds_read_b32 v2, v19 offset:4096
	s_waitcnt lgkmcnt(0)
	s_barrier
	v_readfirstlane_b32 s10, v2
	s_and_saveexec_b64 s[18:19], s[4:5]
	s_cbranch_execz .LBB41_163
; %bb.162:                              ;   in Loop: Header=BB41_8 Depth=1
	v_mov_b32_e32 v18, v19
	ds_write_b64 v32, v[18:19]
.LBB41_163:                             ;   in Loop: Header=BB41_8 Depth=1
	s_or_b64 exec, exec, s[18:19]
	s_lshl_b64 s[12:13], 2, s51
	s_and_b64 s[14:15], s[86:87], s[30:31]
	s_or_b64 s[86:87], s[14:15], s[12:13]
	s_or_b64 s[84:85], s[84:85], s[20:21]
	s_cmp_gt_i32 s10, 0
	s_waitcnt lgkmcnt(0)
	s_barrier
	s_cbranch_scc1 .LBB41_173
; %bb.164:                              ;   in Loop: Header=BB41_8 Depth=1
	s_mov_b64 s[18:19], 0
                                        ; implicit-def: $vgpr6_vgpr7
	s_mov_b64 s[38:39], exec
	v_readlane_b32 s12, v54, 51
	v_readlane_b32 s13, v54, 52
	s_and_b64 s[12:13], s[38:39], s[12:13]
	s_mov_b64 exec, s[12:13]
	s_cbranch_execz .LBB41_175
; %bb.165:                              ;   in Loop: Header=BB41_8 Depth=1
	s_mov_b64 s[42:43], 0
	v_mov_b32_e32 v8, v16
	v_mov_b32_e32 v10, v0
                                        ; implicit-def: $sgpr40_sgpr41
	s_branch .LBB41_167
.LBB41_166:                             ;   in Loop: Header=BB41_167 Depth=2
	s_or_b64 exec, exec, s[18:19]
	s_waitcnt lgkmcnt(0)
	s_barrier
	s_waitcnt vmcnt(0)
	ds_read_b128 v[4:7], v19 offset:3072
	v_add_u32_e32 v10, s33, v10
	v_cmp_le_i32_e64 s[18:19], s17, v10
	v_add_u32_e32 v8, s0, v8
	s_waitcnt lgkmcnt(0)
	v_cmp_neq_f64_e32 vcc, 0, v[4:5]
	s_or_b64 s[12:13], s[18:19], vcc
	s_and_b64 s[12:13], exec, s[12:13]
	s_or_b64 s[42:43], s[12:13], s[42:43]
	s_andn2_b64 s[12:13], s[40:41], exec
	s_and_b64 s[14:15], vcc, exec
	s_or_b64 s[40:41], s[12:13], s[14:15]
	s_barrier
	s_andn2_b64 exec, exec, s[42:43]
	s_cbranch_execz .LBB41_174
.LBB41_167:                             ;   Parent Loop BB41_8 Depth=1
                                        ; =>  This Inner Loop Header: Depth=2
	v_cmp_gt_i32_e32 vcc, s60, v10
	s_waitcnt vmcnt(0)
	v_pk_mov_b32 v[4:5], 0, 0
	s_and_saveexec_b64 s[44:45], vcc
	s_cbranch_execz .LBB41_169
; %bb.168:                              ;   in Loop: Header=BB41_167 Depth=2
	v_ashrrev_i32_e32 v9, 31, v8
	v_lshlrev_b64 v[4:5], 3, v[8:9]
	v_mov_b32_e32 v2, s16
	v_add_co_u32_e64 v4, s[18:19], s62, v4
	v_addc_co_u32_e64 v5, s[18:19], v2, v5, s[18:19]
	global_load_dwordx2 v[4:5], v[4:5], off
.LBB41_169:                             ;   in Loop: Header=BB41_167 Depth=2
	s_or_b64 exec, exec, s[44:45]
	s_and_saveexec_b64 s[18:19], vcc
	s_cbranch_execz .LBB41_166
; %bb.170:                              ;   in Loop: Header=BB41_167 Depth=2
	s_waitcnt vmcnt(0)
	v_ashrrev_i32_e32 v2, 31, v5
	v_or_b32_e32 v6, 0x80000000, v2
	v_xor_b32_e32 v6, v6, v5
	v_xor_b32_e32 v2, v2, v4
	v_cmp_o_f64_e32 vcc, v[4:5], v[4:5]
	v_cndmask_b32_e32 v6, -1, v6, vcc
	v_cndmask_b32_e32 v2, -1, v2, vcc
	v_and_b32_e32 v7, s85, v6
	v_and_b32_e32 v6, s84, v2
	v_cmp_eq_u64_e32 vcc, s[86:87], v[6:7]
	s_and_b64 exec, exec, vcc
	s_cbranch_execz .LBB41_166
; %bb.171:                              ;   in Loop: Header=BB41_167 Depth=2
	v_mov_b32_e32 v2, v19
	ds_write_b128 v19, v[2:5] offset:3072
	s_branch .LBB41_166
.LBB41_172:                             ;   in Loop: Header=BB41_8 Depth=1
                                        ; implicit-def: $sgpr38_sgpr39
                                        ; implicit-def: $sgpr42_sgpr43
                                        ; implicit-def: $sgpr40_sgpr41
	s_branch .LBB41_186
.LBB41_173:                             ;   in Loop: Header=BB41_8 Depth=1
	s_mov_b64 s[38:39], -1
	s_mov_b64 s[18:19], 0
                                        ; implicit-def: $sgpr40_sgpr41
                                        ; implicit-def: $vgpr6_vgpr7
	s_mov_b64 s[42:43], s[38:39]
	s_cbranch_execnz .LBB41_176
	s_branch .LBB41_186
.LBB41_174:                             ;   in Loop: Header=BB41_8 Depth=1
	s_or_b64 exec, exec, s[42:43]
	s_and_b64 s[18:19], s[40:41], exec
.LBB41_175:                             ;   in Loop: Header=BB41_8 Depth=1
	s_or_b64 exec, exec, s[38:39]
	s_mov_b64 s[40:41], -1
	s_mov_b64 s[38:39], 0
	s_mov_b64 s[42:43], s[38:39]
	s_branch .LBB41_186
.LBB41_176:                             ;   in Loop: Header=BB41_8 Depth=1
	v_readlane_b32 s11, v54, 21
	s_add_i32 s11, s10, s11
	s_abs_i32 s13, s11
	v_readlane_b32 s14, v54, 50
	s_mul_hi_u32 s14, s13, s14
	s_mul_i32 s14, s14, s33
	s_sub_i32 s13, s13, s14
	s_ashr_i32 s12, s11, 31
	s_sub_i32 s14, s13, s33
	s_cmp_ge_u32 s13, s33
	s_cselect_b32 s13, s14, s13
	s_sub_i32 s14, s13, s33
	s_cmp_ge_u32 s13, s33
	s_cselect_b32 s13, s14, s13
	s_xor_b32 s13, s13, s12
	s_sub_i32 s12, s12, s13
	s_add_i32 s11, s11, s12
	v_cmp_gt_i32_e32 vcc, s11, v0
	s_mov_b64 s[18:19], 0
                                        ; implicit-def: $vgpr6_vgpr7
	s_and_saveexec_b64 s[38:39], vcc
	s_cbranch_execz .LBB41_185
; %bb.177:                              ;   in Loop: Header=BB41_8 Depth=1
	s_mov_b64 s[42:43], 0
	v_mov_b32_e32 v8, v31
	v_mov_b32_e32 v9, v0
                                        ; implicit-def: $sgpr40_sgpr41
	s_branch .LBB41_179
.LBB41_178:                             ;   in Loop: Header=BB41_179 Depth=2
	s_or_b64 exec, exec, s[18:19]
	s_waitcnt lgkmcnt(0)
	s_barrier
	ds_read_b128 v[4:7], v19 offset:3072
	v_add_u32_e32 v9, s33, v9
	v_cmp_le_i32_e64 s[18:19], s11, v9
	v_add_u32_e32 v8, s78, v8
	s_waitcnt lgkmcnt(0)
	v_cmp_neq_f64_e32 vcc, 0, v[4:5]
	s_or_b64 s[12:13], s[18:19], vcc
	s_and_b64 s[12:13], exec, s[12:13]
	s_or_b64 s[42:43], s[12:13], s[42:43]
	s_andn2_b64 s[12:13], s[40:41], exec
	s_and_b64 s[14:15], vcc, exec
	s_or_b64 s[40:41], s[12:13], s[14:15]
	s_barrier
	s_andn2_b64 exec, exec, s[42:43]
	s_cbranch_execz .LBB41_184
.LBB41_179:                             ;   Parent Loop BB41_8 Depth=1
                                        ; =>  This Inner Loop Header: Depth=2
	v_cmp_gt_i32_e32 vcc, s10, v9
	s_waitcnt vmcnt(0)
	v_pk_mov_b32 v[4:5], 0, 0
	s_and_saveexec_b64 s[18:19], vcc
	s_cbranch_execz .LBB41_181
; %bb.180:                              ;   in Loop: Header=BB41_179 Depth=2
	ds_read_b64 v[4:5], v8
.LBB41_181:                             ;   in Loop: Header=BB41_179 Depth=2
	s_or_b64 exec, exec, s[18:19]
	s_and_saveexec_b64 s[18:19], vcc
	s_cbranch_execz .LBB41_178
; %bb.182:                              ;   in Loop: Header=BB41_179 Depth=2
	s_waitcnt lgkmcnt(0)
	v_ashrrev_i32_e32 v2, 31, v5
	v_or_b32_e32 v6, 0x80000000, v2
	v_xor_b32_e32 v6, v6, v5
	v_xor_b32_e32 v2, v2, v4
	v_cmp_o_f64_e32 vcc, v[4:5], v[4:5]
	v_cndmask_b32_e32 v6, -1, v6, vcc
	v_cndmask_b32_e32 v2, -1, v2, vcc
	v_and_b32_e32 v7, s85, v6
	v_and_b32_e32 v6, s84, v2
	v_cmp_eq_u64_e32 vcc, s[86:87], v[6:7]
	s_and_b64 exec, exec, vcc
	s_cbranch_execz .LBB41_178
; %bb.183:                              ;   in Loop: Header=BB41_179 Depth=2
	v_mov_b32_e32 v2, v19
	ds_write_b128 v19, v[2:5] offset:3072
	s_branch .LBB41_178
.LBB41_184:                             ;   in Loop: Header=BB41_8 Depth=1
	s_or_b64 exec, exec, s[42:43]
	s_and_b64 s[18:19], s[40:41], exec
.LBB41_185:                             ;   in Loop: Header=BB41_8 Depth=1
	s_or_b64 exec, exec, s[38:39]
	s_mov_b64 s[42:43], -1
	s_mov_b64 s[38:39], 0
	s_mov_b64 s[40:41], 0
.LBB41_186:                             ;   in Loop: Header=BB41_8 Depth=1
	s_mov_b64 s[48:49], 0
                                        ; implicit-def: $sgpr57
	s_and_saveexec_b64 s[44:45], s[18:19]
	s_cbranch_execz .LBB41_241
; %bb.187:                              ;   in Loop: Header=BB41_8 Depth=1
	s_xor_b64 s[10:11], s[46:47], -1
	s_mov_b64 s[18:19], 0
	s_andn2_b64 vcc, exec, s[10:11]
	s_mov_b32 s56, 1
	s_cbranch_vccnz .LBB41_198
; %bb.188:                              ;   in Loop: Header=BB41_8 Depth=1
	s_cmp_gt_i32 s52, s50
	s_mov_b64 s[18:19], -1
                                        ; implicit-def: $sgpr57
                                        ; implicit-def: $sgpr46_sgpr47
                                        ; implicit-def: $sgpr48_sgpr49
	s_cbranch_scc1 .LBB41_194
; %bb.189:                              ;   in Loop: Header=BB41_8 Depth=1
	ds_read_b32 v2, v19 offset:4096
	s_waitcnt lgkmcnt(0)
	v_cmp_ne_u32_e32 vcc, 0, v2
	s_cbranch_vccnz .LBB41_193
; %bb.190:                              ;   in Loop: Header=BB41_8 Depth=1
	s_mov_b64 s[18:19], exec
	v_readlane_b32 s10, v54, 12
	v_readlane_b32 s11, v54, 13
	s_and_b64 s[10:11], s[18:19], s[10:11]
	s_mov_b64 exec, s[10:11]
	s_cbranch_execz .LBB41_192
; %bb.191:                              ;   in Loop: Header=BB41_8 Depth=1
	v_mov_b32_e32 v2, s50
	ds_write_b32 v19, v2 offset:4100
.LBB41_192:                             ;   in Loop: Header=BB41_8 Depth=1
	s_or_b64 exec, exec, s[18:19]
	s_waitcnt lgkmcnt(0)
	s_barrier
.LBB41_193:                             ;   in Loop: Header=BB41_8 Depth=1
	s_lshl_b64 s[10:11], 2, s51
	s_and_b64 s[12:13], s[86:87], s[30:31]
	s_or_b64 s[46:47], s[12:13], s[10:11]
	s_or_b64 s[48:49], s[84:85], s[20:21]
	s_mov_b64 s[18:19], 0
	s_mov_b32 s57, 8
.LBB41_194:                             ;   in Loop: Header=BB41_8 Depth=1
	s_andn2_b64 vcc, exec, s[18:19]
	s_cbranch_vccnz .LBB41_196
; %bb.195:                              ;   in Loop: Header=BB41_8 Depth=1
	s_sub_i32 s52, s52, s50
	s_mov_b64 s[18:19], -1
	s_mov_b32 s57, 0
	s_mov_b64 s[46:47], s[86:87]
	s_mov_b64 s[48:49], s[84:85]
.LBB41_196:                             ;   in Loop: Header=BB41_8 Depth=1
	s_mov_b64 s[84:85], s[48:49]
	s_mov_b64 s[86:87], s[46:47]
	s_mov_b32 s56, s52
	s_andn2_b64 vcc, exec, s[18:19]
	s_mov_b64 s[54:55], -1
	s_cbranch_vccz .LBB41_199
.LBB41_197:                             ;   in Loop: Header=BB41_8 Depth=1
                                        ; implicit-def: $sgpr18_sgpr19
                                        ; implicit-def: $sgpr48_sgpr49
                                        ; implicit-def: $sgpr46_sgpr47
	s_branch .LBB41_240
.LBB41_198:                             ;   in Loop: Header=BB41_8 Depth=1
	s_mov_b32 s57, 1
	s_andn2_b64 vcc, exec, s[18:19]
	s_mov_b64 s[54:55], -1
	s_cbranch_vccnz .LBB41_197
.LBB41_199:                             ;   in Loop: Header=BB41_8 Depth=1
	s_cmp_eq_u32 s7, 1
	s_cselect_b64 s[10:11], -1, 0
	s_cmp_eq_u32 s56, 1
	s_cselect_b64 s[12:13], -1, 0
	s_and_b64 s[30:31], s[10:11], s[12:13]
	s_mov_b64 s[50:51], -1
	s_and_b64 vcc, exec, s[30:31]
	s_cbranch_vccz .LBB41_211
; %bb.200:                              ;   in Loop: Header=BB41_8 Depth=1
	ds_read_b32 v2, v19 offset:4096
	s_waitcnt lgkmcnt(0)
	s_barrier
	v_readfirstlane_b32 s10, v2
	s_and_saveexec_b64 s[18:19], s[4:5]
	s_cbranch_execz .LBB41_202
; %bb.201:                              ;   in Loop: Header=BB41_8 Depth=1
	v_mov_b32_e32 v18, v19
	ds_write_b64 v32, v[18:19]
.LBB41_202:                             ;   in Loop: Header=BB41_8 Depth=1
	s_or_b64 exec, exec, s[18:19]
	s_or_b64 s[86:87], s[86:87], s[20:21]
	s_or_b64 s[84:85], s[84:85], s[20:21]
	s_cmp_gt_i32 s10, 0
	s_waitcnt lgkmcnt(0)
	s_barrier
	s_cbranch_scc1 .LBB41_212
; %bb.203:                              ;   in Loop: Header=BB41_8 Depth=1
	s_mov_b64 s[50:51], 0
                                        ; implicit-def: $vgpr6_vgpr7
	s_mov_b64 s[46:47], exec
	v_readlane_b32 s12, v54, 51
	v_readlane_b32 s13, v54, 52
	s_and_b64 s[12:13], s[46:47], s[12:13]
	s_mov_b64 exec, s[12:13]
	s_cbranch_execz .LBB41_214
; %bb.204:                              ;   in Loop: Header=BB41_8 Depth=1
	v_mov_b32_e32 v8, v16
	v_mov_b32_e32 v10, v0
                                        ; implicit-def: $sgpr48_sgpr49
	s_branch .LBB41_206
.LBB41_205:                             ;   in Loop: Header=BB41_206 Depth=2
	s_or_b64 exec, exec, s[18:19]
	s_waitcnt lgkmcnt(0)
	s_barrier
	s_waitcnt vmcnt(0)
	ds_read_b128 v[4:7], v19 offset:3072
	v_add_u32_e32 v10, s33, v10
	v_cmp_le_i32_e64 s[18:19], s17, v10
	v_add_u32_e32 v8, s0, v8
	s_waitcnt lgkmcnt(0)
	v_cmp_neq_f64_e32 vcc, 0, v[4:5]
	s_or_b64 s[12:13], s[18:19], vcc
	s_and_b64 s[12:13], exec, s[12:13]
	s_or_b64 s[50:51], s[12:13], s[50:51]
	s_andn2_b64 s[12:13], s[48:49], exec
	s_and_b64 s[14:15], vcc, exec
	s_or_b64 s[48:49], s[12:13], s[14:15]
	s_barrier
	s_andn2_b64 exec, exec, s[50:51]
	s_cbranch_execz .LBB41_213
.LBB41_206:                             ;   Parent Loop BB41_8 Depth=1
                                        ; =>  This Inner Loop Header: Depth=2
	v_cmp_gt_i32_e32 vcc, s60, v10
	s_waitcnt vmcnt(0)
	v_pk_mov_b32 v[4:5], 0, 0
	s_and_saveexec_b64 s[52:53], vcc
	s_cbranch_execz .LBB41_208
; %bb.207:                              ;   in Loop: Header=BB41_206 Depth=2
	v_ashrrev_i32_e32 v9, 31, v8
	v_lshlrev_b64 v[4:5], 3, v[8:9]
	v_mov_b32_e32 v2, s16
	v_add_co_u32_e64 v4, s[18:19], s62, v4
	v_addc_co_u32_e64 v5, s[18:19], v2, v5, s[18:19]
	global_load_dwordx2 v[4:5], v[4:5], off
.LBB41_208:                             ;   in Loop: Header=BB41_206 Depth=2
	s_or_b64 exec, exec, s[52:53]
	s_and_saveexec_b64 s[18:19], vcc
	s_cbranch_execz .LBB41_205
; %bb.209:                              ;   in Loop: Header=BB41_206 Depth=2
	s_waitcnt vmcnt(0)
	v_ashrrev_i32_e32 v2, 31, v5
	v_or_b32_e32 v6, 0x80000000, v2
	v_xor_b32_e32 v6, v6, v5
	v_xor_b32_e32 v2, v2, v4
	v_cmp_o_f64_e32 vcc, v[4:5], v[4:5]
	v_cndmask_b32_e32 v6, -1, v6, vcc
	v_cndmask_b32_e32 v2, -1, v2, vcc
	v_and_b32_e32 v7, s85, v6
	v_and_b32_e32 v6, s84, v2
	v_cmp_eq_u64_e32 vcc, s[86:87], v[6:7]
	s_and_b64 exec, exec, vcc
	s_cbranch_execz .LBB41_205
; %bb.210:                              ;   in Loop: Header=BB41_206 Depth=2
	v_mov_b32_e32 v2, v19
	ds_write_b128 v19, v[2:5] offset:3072
	s_branch .LBB41_205
.LBB41_211:                             ;   in Loop: Header=BB41_8 Depth=1
                                        ; implicit-def: $sgpr18_sgpr19
                                        ; implicit-def: $sgpr48_sgpr49
                                        ; implicit-def: $sgpr46_sgpr47
	s_branch .LBB41_225
.LBB41_212:                             ;   in Loop: Header=BB41_8 Depth=1
	s_mov_b64 s[18:19], -1
	s_mov_b64 s[50:51], 0
                                        ; implicit-def: $sgpr46_sgpr47
                                        ; implicit-def: $vgpr6_vgpr7
	s_mov_b64 s[48:49], s[18:19]
	s_cbranch_execnz .LBB41_215
	s_branch .LBB41_225
.LBB41_213:                             ;   in Loop: Header=BB41_8 Depth=1
	s_or_b64 exec, exec, s[50:51]
	s_and_b64 s[50:51], s[48:49], exec
.LBB41_214:                             ;   in Loop: Header=BB41_8 Depth=1
	s_or_b64 exec, exec, s[46:47]
	s_mov_b64 s[46:47], -1
	s_mov_b64 s[18:19], 0
	s_mov_b64 s[48:49], s[18:19]
	s_branch .LBB41_225
.LBB41_215:                             ;   in Loop: Header=BB41_8 Depth=1
	v_readlane_b32 s11, v54, 21
	s_add_i32 s11, s10, s11
	s_abs_i32 s13, s11
	v_readlane_b32 s14, v54, 50
	s_mul_hi_u32 s14, s13, s14
	s_mul_i32 s14, s14, s33
	s_sub_i32 s13, s13, s14
	s_ashr_i32 s12, s11, 31
	s_sub_i32 s14, s13, s33
	s_cmp_ge_u32 s13, s33
	s_cselect_b32 s13, s14, s13
	s_sub_i32 s14, s13, s33
	s_cmp_ge_u32 s13, s33
	s_cselect_b32 s13, s14, s13
	s_xor_b32 s13, s13, s12
	s_sub_i32 s12, s12, s13
	s_add_i32 s11, s11, s12
	v_cmp_gt_i32_e32 vcc, s11, v0
	s_mov_b64 s[50:51], 0
                                        ; implicit-def: $vgpr6_vgpr7
	s_and_saveexec_b64 s[46:47], vcc
	s_cbranch_execz .LBB41_224
; %bb.216:                              ;   in Loop: Header=BB41_8 Depth=1
	v_mov_b32_e32 v8, v31
	v_mov_b32_e32 v9, v0
                                        ; implicit-def: $sgpr48_sgpr49
	s_branch .LBB41_218
.LBB41_217:                             ;   in Loop: Header=BB41_218 Depth=2
	s_or_b64 exec, exec, s[18:19]
	s_waitcnt lgkmcnt(0)
	s_barrier
	ds_read_b128 v[4:7], v19 offset:3072
	v_add_u32_e32 v9, s33, v9
	v_cmp_le_i32_e64 s[18:19], s11, v9
	v_add_u32_e32 v8, s78, v8
	s_waitcnt lgkmcnt(0)
	v_cmp_neq_f64_e32 vcc, 0, v[4:5]
	s_or_b64 s[12:13], s[18:19], vcc
	s_and_b64 s[12:13], exec, s[12:13]
	s_or_b64 s[50:51], s[12:13], s[50:51]
	s_andn2_b64 s[12:13], s[48:49], exec
	s_and_b64 s[14:15], vcc, exec
	s_or_b64 s[48:49], s[12:13], s[14:15]
	s_barrier
	s_andn2_b64 exec, exec, s[50:51]
	s_cbranch_execz .LBB41_223
.LBB41_218:                             ;   Parent Loop BB41_8 Depth=1
                                        ; =>  This Inner Loop Header: Depth=2
	v_cmp_gt_i32_e32 vcc, s10, v9
	s_waitcnt vmcnt(0)
	v_pk_mov_b32 v[4:5], 0, 0
	s_and_saveexec_b64 s[18:19], vcc
	s_cbranch_execz .LBB41_220
; %bb.219:                              ;   in Loop: Header=BB41_218 Depth=2
	ds_read_b64 v[4:5], v8
.LBB41_220:                             ;   in Loop: Header=BB41_218 Depth=2
	s_or_b64 exec, exec, s[18:19]
	s_and_saveexec_b64 s[18:19], vcc
	s_cbranch_execz .LBB41_217
; %bb.221:                              ;   in Loop: Header=BB41_218 Depth=2
	s_waitcnt lgkmcnt(0)
	v_ashrrev_i32_e32 v2, 31, v5
	v_or_b32_e32 v6, 0x80000000, v2
	v_xor_b32_e32 v6, v6, v5
	v_xor_b32_e32 v2, v2, v4
	v_cmp_o_f64_e32 vcc, v[4:5], v[4:5]
	v_cndmask_b32_e32 v6, -1, v6, vcc
	v_cndmask_b32_e32 v2, -1, v2, vcc
	v_and_b32_e32 v7, s85, v6
	v_and_b32_e32 v6, s84, v2
	v_cmp_eq_u64_e32 vcc, s[86:87], v[6:7]
	s_and_b64 exec, exec, vcc
	s_cbranch_execz .LBB41_217
; %bb.222:                              ;   in Loop: Header=BB41_218 Depth=2
	v_mov_b32_e32 v2, v19
	ds_write_b128 v19, v[2:5] offset:3072
	s_branch .LBB41_217
.LBB41_223:                             ;   in Loop: Header=BB41_8 Depth=1
	s_or_b64 exec, exec, s[50:51]
	s_and_b64 s[50:51], s[48:49], exec
.LBB41_224:                             ;   in Loop: Header=BB41_8 Depth=1
	s_or_b64 exec, exec, s[46:47]
	s_mov_b64 s[48:49], -1
	s_mov_b64 s[18:19], 0
	s_mov_b64 s[46:47], 0
.LBB41_225:                             ;   in Loop: Header=BB41_8 Depth=1
	s_mov_b64 s[54:55], 0
                                        ; implicit-def: $sgpr57
	s_and_saveexec_b64 s[52:53], s[50:51]
	s_cbranch_execz .LBB41_239
; %bb.226:                              ;   in Loop: Header=BB41_8 Depth=1
	s_xor_b64 s[10:11], s[30:31], -1
	s_andn2_b64 vcc, exec, s[10:11]
	s_mov_b32 s57, 1
	s_cbranch_vccnz .LBB41_233
; %bb.227:                              ;   in Loop: Header=BB41_8 Depth=1
	s_cmp_gt_i32 s56, s7
	s_cbranch_scc1 .LBB41_234
; %bb.228:                              ;   in Loop: Header=BB41_8 Depth=1
	ds_read_b32 v2, v19 offset:4096
	s_waitcnt lgkmcnt(0)
	v_cmp_ne_u32_e32 vcc, 0, v2
	s_cbranch_vccnz .LBB41_232
; %bb.229:                              ;   in Loop: Header=BB41_8 Depth=1
	s_mov_b64 s[30:31], exec
	v_readlane_b32 s10, v54, 12
	v_readlane_b32 s11, v54, 13
	s_and_b64 s[10:11], s[30:31], s[10:11]
	s_mov_b64 exec, s[10:11]
	s_cbranch_execz .LBB41_231
; %bb.230:                              ;   in Loop: Header=BB41_8 Depth=1
	v_mov_b32_e32 v2, s7
	ds_write_b32 v19, v2 offset:4100
.LBB41_231:                             ;   in Loop: Header=BB41_8 Depth=1
	s_or_b64 exec, exec, s[30:31]
	s_waitcnt lgkmcnt(0)
	s_barrier
.LBB41_232:                             ;   in Loop: Header=BB41_8 Depth=1
	s_or_b64 s[30:31], s[86:87], s[20:21]
	s_or_b64 s[20:21], s[84:85], s[20:21]
	s_mov_b64 s[50:51], 0
	s_mov_b32 s57, 8
	s_branch .LBB41_235
.LBB41_233:                             ;   in Loop: Header=BB41_8 Depth=1
	s_mov_b32 s56, 1
	s_branch .LBB41_238
.LBB41_234:                             ;   in Loop: Header=BB41_8 Depth=1
	s_mov_b64 s[50:51], -1
                                        ; implicit-def: $sgpr57
                                        ; implicit-def: $sgpr30_sgpr31
                                        ; implicit-def: $sgpr20_sgpr21
.LBB41_235:                             ;   in Loop: Header=BB41_8 Depth=1
	s_andn2_b64 vcc, exec, s[50:51]
	s_cbranch_vccnz .LBB41_237
; %bb.236:                              ;   in Loop: Header=BB41_8 Depth=1
	s_sub_i32 s56, s56, s7
	s_mov_b32 s57, 8
	s_mov_b64 s[30:31], s[86:87]
	s_mov_b64 s[20:21], s[84:85]
.LBB41_237:                             ;   in Loop: Header=BB41_8 Depth=1
	s_mov_b64 s[86:87], s[30:31]
	s_mov_b64 s[84:85], s[20:21]
.LBB41_238:                             ;   in Loop: Header=BB41_8 Depth=1
	s_mov_b64 s[54:55], exec
.LBB41_239:                             ;   in Loop: Header=BB41_8 Depth=1
	s_or_b64 exec, exec, s[52:53]
.LBB41_240:                             ;   in Loop: Header=BB41_8 Depth=1
	s_andn2_b64 s[10:11], s[38:39], exec
	s_and_b64 s[12:13], s[18:19], exec
	s_or_b64 s[38:39], s[10:11], s[12:13]
	s_andn2_b64 s[10:11], s[42:43], exec
	s_and_b64 s[12:13], s[48:49], exec
	s_or_b64 s[42:43], s[10:11], s[12:13]
	;; [unrolled: 3-line block ×3, first 2 shown]
	s_and_b64 s[48:49], s[54:55], exec
	s_mov_b32 s52, s56
.LBB41_241:                             ;   in Loop: Header=BB41_8 Depth=1
	s_or_b64 exec, exec, s[44:45]
.LBB41_242:                             ;   in Loop: Header=BB41_8 Depth=1
	s_andn2_b64 s[10:11], s[28:29], exec
	s_and_b64 s[12:13], s[38:39], exec
	s_or_b64 s[28:29], s[10:11], s[12:13]
	s_andn2_b64 s[10:11], s[34:35], exec
	s_and_b64 s[12:13], s[42:43], exec
	s_or_b64 s[34:35], s[10:11], s[12:13]
	;; [unrolled: 3-line block ×3, first 2 shown]
	s_and_b64 s[40:41], s[48:49], exec
	s_mov_b32 s43, s52
.LBB41_243:                             ;   in Loop: Header=BB41_8 Depth=1
	s_or_b64 exec, exec, s[36:37]
	s_and_saveexec_b64 s[10:11], s[40:41]
	s_xor_b64 s[18:19], exec, s[10:11]
	s_cbranch_execz .LBB41_6
.LBB41_244:                             ;   in Loop: Header=BB41_8 Depth=1
	s_and_b32 s7, s57, -9
	s_cmp_eq_u32 s7, 0
	s_cbranch_scc1 .LBB41_4
; %bb.245:                              ;   in Loop: Header=BB41_8 Depth=1
	s_mov_b64 s[20:21], -1
                                        ; implicit-def: $sgpr84_sgpr85
                                        ; implicit-def: $sgpr43
                                        ; implicit-def: $sgpr79
                                        ; implicit-def: $sgpr6
	s_mov_b64 s[24:25], -1
	s_branch .LBB41_5
.LBB41_246:
	s_or_b64 exec, exec, s[90:91]
	s_xor_b64 s[6:7], s[64:65], -1
	s_xor_b64 s[4:5], s[92:93], -1
	;; [unrolled: 1-line block ×3, first 2 shown]
	s_mov_b64 s[2:3], 0
	s_and_saveexec_b64 s[10:11], s[4:5]
	s_xor_b64 s[4:5], exec, s[10:11]
	s_cbranch_execnz .LBB41_251
; %bb.247:
	s_andn2_saveexec_b64 s[0:1], s[4:5]
	s_cbranch_execnz .LBB41_271
.LBB41_248:
	s_or_b64 exec, exec, s[0:1]
	s_and_saveexec_b64 s[0:1], s[2:3]
.LBB41_249:
	; divergent unreachable
.LBB41_250:
	s_endpgm
.LBB41_251:
	s_and_saveexec_b64 s[2:3], s[6:7]
	s_xor_b64 s[6:7], exec, s[2:3]
	s_cbranch_execz .LBB41_269
; %bb.252:
	s_and_saveexec_b64 s[2:3], s[8:9]
	s_xor_b64 s[2:3], exec, s[2:3]
; %bb.253:
	v_lshrrev_b32_e32 v1, 31, v5
	v_add_co_u32_e32 v1, vcc, -1, v1
	v_addc_co_u32_e64 v2, s[8:9], 0, -1, vcc
	v_or_b32_e32 v2, 0x80000000, v2
	v_xor_b32_e32 v7, v2, v5
	v_xor_b32_e32 v6, v1, v4
; %bb.254:
	s_or_b64 exec, exec, s[2:3]
	s_mov_b64 s[2:3], exec
	v_readlane_b32 s8, v54, 12
	v_readlane_b32 s9, v54, 13
	s_and_b64 s[8:9], s[2:3], s[8:9]
	v_readlane_b32 s22, v54, 20
	v_readlane_b32 s23, v54, 16
	;; [unrolled: 1-line block ×5, first 2 shown]
	s_mov_b64 exec, s[8:9]
	s_cbranch_execz .LBB41_256
; %bb.255:
	v_mov_b32_e32 v1, 0
	v_mov_b32_e32 v2, s60
	ds_write_b32 v1, v2 offset:4108
.LBB41_256:
	s_or_b64 exec, exec, s[2:3]
	v_mov_b32_e32 v1, 0
	s_waitcnt lgkmcnt(0)
	s_barrier
	ds_read_b32 v1, v1 offset:4108
	s_waitcnt lgkmcnt(0)
	v_min_i32_e32 v1, s60, v1
	v_cmp_lt_i32_e32 vcc, v0, v1
	s_and_saveexec_b64 s[8:9], vcc
	s_cbranch_execz .LBB41_266
; %bb.257:
	v_cmp_u_f64_e32 vcc, v[6:7], v[6:7]
	s_mov_b64 s[10:11], 0
	v_mov_b32_e32 v3, s16
	s_xor_b64 s[14:15], vcc, -1
                                        ; implicit-def: $sgpr12_sgpr13
                                        ; implicit-def: $sgpr18_sgpr19
                                        ; implicit-def: $sgpr16_sgpr17
	s_branch .LBB41_259
.LBB41_258:                             ;   in Loop: Header=BB41_259 Depth=1
	s_or_b64 exec, exec, s[2:3]
	s_and_b64 s[2:3], exec, s[18:19]
	s_or_b64 s[10:11], s[2:3], s[10:11]
	s_andn2_b64 s[2:3], s[12:13], exec
	s_and_b64 s[12:13], s[16:17], exec
	s_or_b64 s[12:13], s[2:3], s[12:13]
	s_andn2_b64 exec, exec, s[10:11]
	s_cbranch_execz .LBB41_261
.LBB41_259:                             ; =>This Inner Loop Header: Depth=1
	v_ashrrev_i32_e32 v17, 31, v16
	v_lshlrev_b64 v[4:5], 3, v[16:17]
	v_add_co_u32_e32 v4, vcc, s62, v4
	v_addc_co_u32_e32 v5, vcc, v3, v5, vcc
	global_load_dwordx2 v[4:5], v[4:5], off
	v_mov_b32_e32 v2, v0
	s_or_b64 s[16:17], s[16:17], exec
	s_or_b64 s[18:19], s[18:19], exec
                                        ; implicit-def: $vgpr0
	s_waitcnt vmcnt(0)
	v_cmp_o_f64_e64 s[2:3], v[4:5], v[4:5]
	v_cmp_neq_f64_e32 vcc, v[4:5], v[6:7]
	s_or_b64 s[2:3], s[2:3], s[14:15]
	s_and_b64 s[20:21], vcc, s[2:3]
	s_and_saveexec_b64 s[2:3], s[20:21]
	s_cbranch_execz .LBB41_258
; %bb.260:                              ;   in Loop: Header=BB41_259 Depth=1
	v_add_u32_e32 v0, s33, v2
	v_cmp_ge_i32_e32 vcc, v0, v1
	s_andn2_b64 s[18:19], s[18:19], exec
	s_and_b64 s[20:21], vcc, exec
	v_add_u32_e32 v16, s0, v16
	s_andn2_b64 s[16:17], s[16:17], exec
	s_or_b64 s[18:19], s[18:19], s[20:21]
	s_branch .LBB41_258
.LBB41_261:
	s_or_b64 exec, exec, s[10:11]
	s_and_saveexec_b64 s[0:1], s[12:13]
	s_xor_b64 s[0:1], exec, s[0:1]
	s_cbranch_execz .LBB41_266
; %bb.262:
	s_mov_b64 s[2:3], exec
	s_brev_b32 s0, -2
.LBB41_263:                             ; =>This Inner Loop Header: Depth=1
	s_ff1_i32_b64 s1, s[2:3]
	v_readlane_b32 s12, v2, s1
	s_lshl_b64 s[10:11], 1, s1
	s_min_i32 s0, s0, s12
	s_andn2_b64 s[2:3], s[2:3], s[10:11]
	s_cmp_lg_u64 s[2:3], 0
	s_cbranch_scc1 .LBB41_263
; %bb.264:
	v_mbcnt_lo_u32_b32 v0, exec_lo, 0
	v_mbcnt_hi_u32_b32 v0, exec_hi, v0
	v_cmp_eq_u32_e32 vcc, 0, v0
	s_and_saveexec_b64 s[2:3], vcc
	s_xor_b64 s[2:3], exec, s[2:3]
	s_cbranch_execz .LBB41_266
; %bb.265:
	v_mov_b32_e32 v0, 0
	v_mov_b32_e32 v1, s0
	ds_min_i32 v0, v1 offset:4108
.LBB41_266:
	s_or_b64 exec, exec, s[8:9]
	s_waitcnt lgkmcnt(0)
	s_barrier
	s_mov_b64 s[2:3], exec
	v_readlane_b32 s0, v54, 12
	v_readlane_b32 s1, v54, 13
	s_and_b64 s[0:1], s[2:3], s[0:1]
	s_mov_b64 exec, s[0:1]
	s_cbranch_execz .LBB41_268
; %bb.267:
	v_readlane_b32 s10, v54, 8
	v_readlane_b32 s11, v54, 9
	s_mul_i32 s1, s11, s10
	v_readlane_b32 s0, v54, 15
	s_sub_i32 s1, s25, s1
	s_xor_b32 s0, s24, s0
	s_add_i32 s8, s11, 1
	s_sub_i32 s9, s1, s10
	s_cmp_ge_u32 s1, s10
	s_cselect_b32 s8, s8, s11
	s_cselect_b32 s1, s9, s1
	s_add_i32 s9, s8, 1
	s_cmp_ge_u32 s1, s10
	s_cselect_b32 s1, s9, s8
	s_xor_b32 s1, s1, s0
	s_sub_i32 s0, s1, s0
	s_mul_i32 s1, s0, s26
	v_readlane_b32 s8, v54, 6
	s_sub_i32 s1, s22, s1
	v_readlane_b32 s9, v54, 7
	v_readlane_b32 s11, v54, 10
	;; [unrolled: 1-line block ×3, first 2 shown]
	s_mul_i32 s1, s1, s9
	s_mul_i32 s0, s0, s8
	;; [unrolled: 1-line block ×3, first 2 shown]
	s_add_i32 s0, s0, s1
	v_readlane_b32 s1, v54, 17
	s_sub_i32 s8, s25, s8
	s_xor_b32 s1, s24, s1
	s_add_i32 s9, s12, 1
	s_sub_i32 s10, s8, s11
	s_cmp_ge_u32 s8, s11
	s_cselect_b32 s9, s9, s12
	s_cselect_b32 s8, s10, s8
	s_add_i32 s10, s9, 1
	s_cmp_ge_u32 s8, s11
	s_cselect_b32 s8, s10, s9
	s_xor_b32 s8, s8, s1
	s_sub_i32 s1, s8, s1
	s_mul_i32 s8, s1, s23
	v_readlane_b32 s10, v54, 2
	s_sub_i32 s8, s22, s8
	v_readlane_b32 s11, v54, 3
	s_mul_i32 s8, s8, s11
	s_mul_i32 s1, s1, s10
	s_add_i32 s8, s1, s8
	s_ashr_i32 s1, s0, 31
	v_mov_b32_e32 v2, 0
	s_lshl_b64 s[0:1], s[0:1], 3
	v_readlane_b32 s10, v54, 0
	ds_read_b32 v0, v2 offset:4108
	v_readlane_b32 s11, v54, 1
	s_add_u32 s0, s10, s0
	s_addc_u32 s1, s11, s1
	s_ashr_i32 s9, s8, 31
	s_lshl_b64 s[8:9], s[8:9], 3
	v_readlane_b32 s10, v54, 4
	v_readlane_b32 s11, v54, 5
	s_add_u32 s8, s10, s8
	s_addc_u32 s9, s11, s9
	s_waitcnt lgkmcnt(0)
	v_ashrrev_i32_e32 v1, 31, v0
	global_store_dwordx2 v2, v[0:1], s[8:9]
	global_store_dwordx2 v2, v[6:7], s[0:1]
.LBB41_268:
	s_or_b64 exec, exec, s[2:3]
.LBB41_269:
	s_or_saveexec_b64 s[0:1], s[6:7]
	s_mov_b64 s[2:3], 0
	s_xor_b64 exec, exec, s[0:1]
	s_cbranch_execnz .LBB41_272
.LBB41_270:
	s_or_b64 exec, exec, s[0:1]
	s_and_b64 s[2:3], s[2:3], exec
	s_andn2_saveexec_b64 s[0:1], s[4:5]
	s_cbranch_execz .LBB41_248
.LBB41_271:
	s_or_b64 s[2:3], s[2:3], exec
	s_trap 2
	s_or_b64 exec, exec, s[0:1]
	s_and_saveexec_b64 s[0:1], s[2:3]
	s_cbranch_execnz .LBB41_249
	s_branch .LBB41_250
.LBB41_272:
	s_mov_b64 s[2:3], exec
	s_trap 2
	s_branch .LBB41_270
	.section	.rodata,"a",@progbits
	.p2align	6, 0x0
	.amdhsa_kernel _ZN2at6native12_GLOBAL__N_114gatherKthValueIdiLi2EEEvNS_4cuda6detail10TensorInfoIKT_T0_EES8_S8_S8_S8_NS5_IS6_S8_EENS5_IlS8_EE
		.amdhsa_group_segment_fixed_size 4112
		.amdhsa_private_segment_fixed_size 0
		.amdhsa_kernarg_size 920
		.amdhsa_user_sgpr_count 6
		.amdhsa_user_sgpr_private_segment_buffer 1
		.amdhsa_user_sgpr_dispatch_ptr 0
		.amdhsa_user_sgpr_queue_ptr 0
		.amdhsa_user_sgpr_kernarg_segment_ptr 1
		.amdhsa_user_sgpr_dispatch_id 0
		.amdhsa_user_sgpr_flat_scratch_init 0
		.amdhsa_user_sgpr_kernarg_preload_length 0
		.amdhsa_user_sgpr_kernarg_preload_offset 0
		.amdhsa_user_sgpr_private_segment_size 0
		.amdhsa_uses_dynamic_stack 0
		.amdhsa_system_sgpr_private_segment_wavefront_offset 0
		.amdhsa_system_sgpr_workgroup_id_x 1
		.amdhsa_system_sgpr_workgroup_id_y 1
		.amdhsa_system_sgpr_workgroup_id_z 1
		.amdhsa_system_sgpr_workgroup_info 0
		.amdhsa_system_vgpr_workitem_id 0
		.amdhsa_next_free_vgpr 55
		.amdhsa_next_free_sgpr 96
		.amdhsa_accum_offset 56
		.amdhsa_reserve_vcc 1
		.amdhsa_reserve_flat_scratch 0
		.amdhsa_float_round_mode_32 0
		.amdhsa_float_round_mode_16_64 0
		.amdhsa_float_denorm_mode_32 3
		.amdhsa_float_denorm_mode_16_64 3
		.amdhsa_dx10_clamp 1
		.amdhsa_ieee_mode 1
		.amdhsa_fp16_overflow 0
		.amdhsa_tg_split 0
		.amdhsa_exception_fp_ieee_invalid_op 0
		.amdhsa_exception_fp_denorm_src 0
		.amdhsa_exception_fp_ieee_div_zero 0
		.amdhsa_exception_fp_ieee_overflow 0
		.amdhsa_exception_fp_ieee_underflow 0
		.amdhsa_exception_fp_ieee_inexact 0
		.amdhsa_exception_int_div_zero 0
	.end_amdhsa_kernel
	.section	.text._ZN2at6native12_GLOBAL__N_114gatherKthValueIdiLi2EEEvNS_4cuda6detail10TensorInfoIKT_T0_EES8_S8_S8_S8_NS5_IS6_S8_EENS5_IlS8_EE,"axG",@progbits,_ZN2at6native12_GLOBAL__N_114gatherKthValueIdiLi2EEEvNS_4cuda6detail10TensorInfoIKT_T0_EES8_S8_S8_S8_NS5_IS6_S8_EENS5_IlS8_EE,comdat
.Lfunc_end41:
	.size	_ZN2at6native12_GLOBAL__N_114gatherKthValueIdiLi2EEEvNS_4cuda6detail10TensorInfoIKT_T0_EES8_S8_S8_S8_NS5_IS6_S8_EENS5_IlS8_EE, .Lfunc_end41-_ZN2at6native12_GLOBAL__N_114gatherKthValueIdiLi2EEEvNS_4cuda6detail10TensorInfoIKT_T0_EES8_S8_S8_S8_NS5_IS6_S8_EENS5_IlS8_EE
                                        ; -- End function
	.section	.AMDGPU.csdata,"",@progbits
; Kernel info:
; codeLenInByte = 11396
; NumSgprs: 100
; NumVgprs: 55
; NumAgprs: 0
; TotalNumVgprs: 55
; ScratchSize: 0
; MemoryBound: 0
; FloatMode: 240
; IeeeMode: 1
; LDSByteSize: 4112 bytes/workgroup (compile time only)
; SGPRBlocks: 12
; VGPRBlocks: 6
; NumSGPRsForWavesPerEU: 100
; NumVGPRsForWavesPerEU: 55
; AccumOffset: 56
; Occupancy: 8
; WaveLimiterHint : 1
; COMPUTE_PGM_RSRC2:SCRATCH_EN: 0
; COMPUTE_PGM_RSRC2:USER_SGPR: 6
; COMPUTE_PGM_RSRC2:TRAP_HANDLER: 0
; COMPUTE_PGM_RSRC2:TGID_X_EN: 1
; COMPUTE_PGM_RSRC2:TGID_Y_EN: 1
; COMPUTE_PGM_RSRC2:TGID_Z_EN: 1
; COMPUTE_PGM_RSRC2:TIDIG_COMP_CNT: 0
; COMPUTE_PGM_RSRC3_GFX90A:ACCUM_OFFSET: 13
; COMPUTE_PGM_RSRC3_GFX90A:TG_SPLIT: 0
	.section	.text._ZN2at6native12_GLOBAL__N_114gatherKthValueIdiLi3EEEvNS_4cuda6detail10TensorInfoIKT_T0_EES8_S8_S8_S8_NS5_IS6_S8_EENS5_IlS8_EE,"axG",@progbits,_ZN2at6native12_GLOBAL__N_114gatherKthValueIdiLi3EEEvNS_4cuda6detail10TensorInfoIKT_T0_EES8_S8_S8_S8_NS5_IS6_S8_EENS5_IlS8_EE,comdat
	.globl	_ZN2at6native12_GLOBAL__N_114gatherKthValueIdiLi3EEEvNS_4cuda6detail10TensorInfoIKT_T0_EES8_S8_S8_S8_NS5_IS6_S8_EENS5_IlS8_EE ; -- Begin function _ZN2at6native12_GLOBAL__N_114gatherKthValueIdiLi3EEEvNS_4cuda6detail10TensorInfoIKT_T0_EES8_S8_S8_S8_NS5_IS6_S8_EENS5_IlS8_EE
	.p2align	8
	.type	_ZN2at6native12_GLOBAL__N_114gatherKthValueIdiLi3EEEvNS_4cuda6detail10TensorInfoIKT_T0_EES8_S8_S8_S8_NS5_IS6_S8_EENS5_IlS8_EE,@function
_ZN2at6native12_GLOBAL__N_114gatherKthValueIdiLi3EEEvNS_4cuda6detail10TensorInfoIKT_T0_EES8_S8_S8_S8_NS5_IS6_S8_EENS5_IlS8_EE: ; @_ZN2at6native12_GLOBAL__N_114gatherKthValueIdiLi3EEEvNS_4cuda6detail10TensorInfoIKT_T0_EES8_S8_S8_S8_NS5_IS6_S8_EENS5_IlS8_EE
; %bb.0:
	s_load_dwordx2 s[14:15], s[4:5], 0x298
	s_load_dwordx4 s[68:71], s[4:5], 0xd8
	s_add_u32 s12, s4, 0x298
	s_addc_u32 s13, s5, 0
	s_waitcnt lgkmcnt(0)
	s_mul_i32 s0, s15, s8
	s_add_i32 s0, s0, s7
	s_mul_i32 s0, s0, s14
	s_add_i32 s23, s0, s6
	s_cmp_ge_i32 s23, s70
	s_cbranch_scc1 .LBB42_250
; %bb.1:
	s_load_dwordx2 s[2:3], s[4:5], 0xc
	s_load_dwordx2 s[24:25], s[4:5], 0xf4
	s_ashr_i32 s8, s23, 31
	s_abs_i32 s9, s23
	s_load_dwordx4 s[28:31], s[4:5], 0x154
	s_waitcnt lgkmcnt(0)
	s_ashr_i32 s0, s3, 31
	s_add_i32 s1, s3, s0
	s_xor_b32 s1, s1, s0
	v_cvt_f32_u32_e32 v1, s1
	s_xor_b32 s7, s8, s0
	s_sub_i32 s0, 0, s1
                                        ; implicit-def: $vgpr54 : SGPR spill to VGPR lane
                                        ; kill: killed $sgpr4 killed $sgpr5
	s_mov_b32 s80, 0
	v_rcp_iflag_f32_e32 v1, v1
	v_writelane_b32 v54, s28, 0
	v_writelane_b32 v54, s29, 1
	;; [unrolled: 1-line block ×3, first 2 shown]
	v_mul_f32_e32 v1, 0x4f7ffffe, v1
	v_cvt_u32_f32_e32 v1, v1
	v_writelane_b32 v54, s31, 3
	v_readfirstlane_b32 s10, v1
	s_mul_i32 s0, s0, s10
	s_mul_hi_u32 s0, s10, s0
	s_add_i32 s10, s10, s0
	s_mul_hi_u32 s0, s9, s10
	s_mul_i32 s10, s0, s1
	s_sub_i32 s10, s9, s10
	s_add_i32 s11, s0, 1
	s_sub_i32 s15, s10, s1
	s_cmp_ge_u32 s10, s1
	s_cselect_b32 s0, s11, s0
	s_cselect_b32 s10, s15, s10
	s_add_i32 s11, s0, 1
	s_cmp_ge_u32 s10, s1
	s_cselect_b32 s10, s11, s0
	s_abs_i32 s0, s2
	s_ashr_i32 s11, s25, 31
	v_cvt_f32_u32_e32 v1, s0
	s_add_i32 s15, s25, s11
	s_xor_b32 s19, s8, s11
	s_xor_b32 s11, s15, s11
	v_cvt_f32_u32_e32 v2, s11
	v_rcp_iflag_f32_e32 v1, v1
	s_xor_b32 s10, s10, s7
	s_sub_i32 s16, 0, s0
	v_rcp_iflag_f32_e32 v2, v2
	v_mul_f32_e32 v1, 0x4f7ffffe, v1
	v_cvt_u32_f32_e32 v1, v1
	s_sub_i32 s7, s10, s7
	v_mul_f32_e32 v2, 0x4f7ffffe, v2
	v_cvt_u32_f32_e32 v2, v2
	v_readfirstlane_b32 s10, v1
	s_mul_i32 s16, s16, s10
	s_mul_hi_u32 s16, s10, s16
	s_add_i32 s20, s10, s16
	s_sub_i32 s10, 0, s11
	v_readfirstlane_b32 s16, v2
	s_mul_i32 s10, s10, s16
	s_mul_hi_u32 s10, s16, s10
	s_add_i32 s16, s16, s10
	s_mul_hi_u32 s10, s9, s16
	s_mul_i32 s16, s10, s11
	s_sub_i32 s16, s9, s16
	s_ashr_i32 s1, s2, 31
	s_ashr_i32 s15, s7, 31
	s_abs_i32 s18, s7
	s_add_i32 s17, s10, 1
	s_sub_i32 s21, s16, s11
	s_cmp_ge_u32 s16, s11
	s_cselect_b32 s10, s17, s10
	s_cselect_b32 s16, s21, s16
	s_add_i32 s17, s10, 1
	s_cmp_ge_u32 s16, s11
	s_cselect_b32 s10, s17, s10
	s_load_dwordx2 s[16:17], s[4:5], 0x0
	s_load_dwordx4 s[28:31], s[4:5], 0x22c
	s_abs_i32 s21, s24
	v_cvt_f32_u32_e32 v1, s21
	s_xor_b32 s10, s10, s19
	s_waitcnt lgkmcnt(0)
	v_writelane_b32 v54, s28, 4
	v_writelane_b32 v54, s29, 5
	v_writelane_b32 v54, s30, 6
	v_writelane_b32 v54, s31, 7
	s_load_dwordx2 s[28:29], s[4:5], 0x1cc
	s_load_dwordx2 s[26:27], s[4:5], 0x1c0
	v_rcp_iflag_f32_e32 v1, v1
	s_waitcnt lgkmcnt(0)
	v_writelane_b32 v54, s26, 8
	v_writelane_b32 v54, s27, 9
	s_sub_i32 s26, s10, s19
	s_ashr_i32 s10, s29, 31
	s_add_i32 s11, s29, s10
	s_xor_b32 s11, s11, s10
	v_cvt_f32_u32_e32 v2, s11
	v_mul_f32_e32 v1, 0x4f7ffffe, v1
	v_cvt_u32_f32_e32 v1, v1
	v_writelane_b32 v54, s21, 10
	v_rcp_iflag_f32_e32 v2, v2
	s_sub_i32 s19, 0, s21
	v_readfirstlane_b32 s21, v1
	s_mul_i32 s19, s19, s21
	v_mul_f32_e32 v1, 0x4f7ffffe, v2
	v_cvt_u32_f32_e32 v1, v1
	s_mul_hi_u32 s19, s21, s19
	s_add_i32 s21, s21, s19
	s_xor_b32 s19, s8, s10
	s_sub_i32 s8, 0, s11
	v_readfirstlane_b32 s10, v1
	s_mul_i32 s8, s8, s10
	s_mul_hi_u32 s8, s10, s8
	s_add_i32 s10, s10, s8
	s_mul_hi_u32 s8, s9, s10
	s_mul_i32 s10, s8, s11
	s_sub_i32 s9, s9, s10
	s_abs_i32 s27, s26
	s_add_i32 s10, s8, 1
	s_sub_i32 s22, s9, s11
	s_cmp_ge_u32 s9, s11
	s_cselect_b32 s8, s10, s8
	s_cselect_b32 s9, s22, s9
	s_add_i32 s10, s8, 1
	s_cmp_ge_u32 s9, s11
	s_cselect_b32 s22, s10, s8
	s_abs_i32 s30, s28
	v_cvt_f32_u32_e32 v1, s30
	s_load_dwordx2 s[8:9], s[4:5], 0xe8
	v_rcp_iflag_f32_e32 v1, v1
	s_waitcnt lgkmcnt(0)
	v_writelane_b32 v54, s8, 11
	v_writelane_b32 v54, s9, 12
	v_mul_f32_e32 v1, 0x4f7ffffe, v1
	v_cvt_u32_f32_e32 v1, v1
	s_load_dwordx4 s[8:11], s[4:5], 0x6c
	v_writelane_b32 v54, s27, 13
	s_mul_hi_u32 s4, s27, s21
	v_writelane_b32 v54, s4, 14
	s_xor_b32 s4, s22, s19
	s_sub_i32 s19, s4, s19
	s_sub_i32 s4, 0, s30
	v_readfirstlane_b32 s5, v1
	s_mul_i32 s4, s4, s5
	s_mul_hi_u32 s4, s5, s4
	s_waitcnt lgkmcnt(0)
	s_mul_hi_u32 s11, s18, s20
	s_abs_i32 s20, s19
	v_writelane_b32 v54, s30, 15
	s_add_i32 s5, s5, s4
	v_writelane_b32 v54, s20, 16
	s_mul_hi_u32 s4, s20, s5
	v_writelane_b32 v54, s4, 17
	v_cmp_eq_u32_e64 s[20:21], 0, v0
	s_mov_b64 s[4:5], exec
	v_writelane_b32 v54, s20, 18
	v_writelane_b32 v54, s21, 19
	s_and_b64 s[20:21], s[4:5], s[20:21]
	s_mov_b64 exec, s[20:21]
	s_cbranch_execz .LBB42_3
; %bb.2:
	v_mov_b32_e32 v2, 0
	v_mov_b32_e32 v3, s68
	;; [unrolled: 1-line block ×3, first 2 shown]
	ds_write_b96 v2, v[2:4] offset:4096
.LBB42_3:
	s_or_b64 exec, exec, s[4:5]
	v_writelane_b32 v54, s26, 20
	s_ashr_i32 s4, s26, 31
	v_writelane_b32 v54, s4, 21
	v_writelane_b32 v54, s24, 22
	;; [unrolled: 1-line block ×3, first 2 shown]
	s_ashr_i32 s4, s24, 31
	v_writelane_b32 v54, s4, 24
	v_writelane_b32 v54, s19, 25
	s_ashr_i32 s4, s19, 31
	v_writelane_b32 v54, s4, 26
	v_writelane_b32 v54, s28, 27
	;; [unrolled: 1-line block ×3, first 2 shown]
	s_ashr_i32 s4, s28, 31
	v_writelane_b32 v54, s4, 29
	s_mul_i32 s3, s7, s3
	s_mul_i32 s4, s11, s0
	s_sub_i32 s3, s23, s3
	s_sub_i32 s4, s18, s4
	s_mul_i32 s3, s3, s10
	s_xor_b32 s1, s15, s1
	s_add_i32 s5, s11, 1
	s_sub_i32 s10, s4, s0
	s_cmp_ge_u32 s4, s0
	s_cselect_b32 s5, s5, s11
	s_cselect_b32 s4, s10, s4
	s_add_i32 s10, s5, 1
	s_cmp_ge_u32 s4, s0
	s_cselect_b32 s0, s10, s5
	s_xor_b32 s0, s0, s1
	s_sub_i32 s0, s0, s1
	s_mul_i32 s1, s0, s2
	s_sub_i32 s1, s7, s1
	s_mul_i32 s1, s1, s9
	s_add_i32 s1, s1, s3
	s_mul_i32 s0, s0, s8
	s_waitcnt lgkmcnt(0)
	s_barrier
	s_load_dword s2, s[12:13], 0xc
	s_add_i32 s0, s1, s0
	s_ashr_i32 s1, s0, 31
	s_lshl_b64 s[0:1], s[0:1], 3
	s_add_u32 s70, s16, s0
	v_mbcnt_lo_u32_b32 v1, -1, 0
	s_addc_u32 s16, s17, s1
	s_waitcnt lgkmcnt(0)
	s_and_b32 s33, s2, 0xffff
	v_mbcnt_hi_u32_b32 v23, -1, v1
	s_bfe_u32 s7, s2, 0xa0006
	v_cmp_gt_u32_e32 vcc, 64, v0
	v_cmp_gt_i32_e64 s[2:3], 4, v23
	s_add_i32 s0, s33, -1
	s_lshl_b32 s1, s33, 2
	s_and_b64 s[82:83], vcc, s[2:3]
	s_add_i32 s17, s0, s68
	v_writelane_b32 v54, s23, 30
	s_cmpk_gt_i32 s68, 0x180
	v_writelane_b32 v54, s0, 31
	s_cselect_b64 s[2:3], -1, 0
	v_writelane_b32 v54, s2, 32
	s_cmp_gt_u32 s33, 63
	v_writelane_b32 v54, s3, 33
	s_cselect_b64 s[2:3], -1, 0
	s_cmp_lt_u32 s6, s14
	v_writelane_b32 v54, s2, 34
	s_cselect_b32 s0, 12, 18
	v_writelane_b32 v54, s3, 35
	s_add_u32 s2, s12, s0
	s_addc_u32 s3, s13, 0
	v_writelane_b32 v54, s2, 36
	s_add_i32 s0, s7, -2
	v_writelane_b32 v54, s3, 37
	s_lshr_b32 s2, s0, 1
	s_add_i32 s6, s2, 1
	s_cmpk_gt_u32 s33, 0x7f
	v_mov_b32_e32 v19, 0
	s_cselect_b64 s[2:3], -1, 0
	v_writelane_b32 v54, s2, 38
	v_mul_lo_u32 v16, v0, s71
	v_mov_b32_e32 v17, v19
	v_writelane_b32 v54, s3, 39
	v_cmp_gt_u32_e64 s[8:9], s68, v0
	v_lshlrev_b64 v[2:3], 3, v[16:17]
	v_writelane_b32 v54, s8, 40
	v_mov_b32_e32 v17, s16
	v_add_co_u32_e32 v20, vcc, s70, v2
	v_writelane_b32 v54, s9, 41
	v_addc_co_u32_e32 v21, vcc, v17, v3, vcc
	v_cmp_gt_i32_e64 s[8:9], s68, v0
	v_lshlrev_b64 v[2:3], v23, -1
	v_writelane_b32 v54, s8, 42
	v_not_b32_e32 v22, v2
	v_cvt_f32_u32_e32 v2, s1
	v_writelane_b32 v54, s9, 43
	s_and_b32 s8, s7, 0x3fe
	s_and_b32 s9, s6, 7
	s_cmp_gt_u32 s0, 13
	s_cselect_b64 s[10:11], -1, 0
	v_writelane_b32 v54, s10, 44
	v_rcp_iflag_f32_e32 v2, v2
	v_writelane_b32 v54, s11, 45
	s_and_b32 s0, s6, -8
	v_writelane_b32 v54, s0, 46
	s_cmp_lg_u32 s9, 0
	v_writelane_b32 v54, s9, 47
	s_cselect_b64 s[10:11], -1, 0
	v_writelane_b32 v54, s10, 48
	v_mul_f32_e32 v2, 0x4f7ffffe, v2
	v_writelane_b32 v54, s11, 49
	v_cvt_u32_f32_e32 v2, v2
	v_writelane_b32 v54, s7, 50
	s_cmp_lg_u32 s8, s7
	v_writelane_b32 v54, s8, 51
	s_cselect_b64 s[6:7], -1, 0
	v_writelane_b32 v54, s6, 52
	v_writelane_b32 v54, s7, 53
	s_sub_i32 s0, 0, s1
	v_readfirstlane_b32 s6, v2
	s_mul_i32 s0, s0, s6
	s_mul_hi_u32 s0, s6, s0
	s_add_i32 s8, s6, s0
	s_mul_hi_u32 s0, s68, s8
	s_mul_i32 s0, s0, s1
	s_sub_i32 s0, s68, s0
	s_sub_i32 s6, s0, s1
	s_cmp_ge_u32 s0, s1
	s_cselect_b32 s0, s6, s0
	s_sub_i32 s6, s0, s1
	v_cvt_f32_u32_e32 v5, s33
	s_cmp_ge_u32 s0, s1
	s_cselect_b32 s6, s6, s0
	s_sub_i32 s9, s68, s6
	v_add_u32_e32 v35, s9, v0
	v_rcp_iflag_f32_e32 v5, v5
	v_lshrrev_b32_e32 v1, 4, v0
	v_mul_lo_u32 v2, v35, s71
	v_lshlrev_b32_e32 v30, 2, v0
	v_and_b32_e32 v33, 60, v1
	v_not_b32_e32 v1, v3
	v_ashrrev_i32_e32 v3, 31, v2
	v_cmp_gt_i32_e64 s[10:11], s9, v30
	v_lshlrev_b64 v[2:3], 3, v[2:3]
	v_writelane_b32 v54, s10, 54
	v_add_co_u32_e32 v24, vcc, s70, v2
	v_mul_f32_e32 v2, 0x4f7ffffe, v5
	v_writelane_b32 v54, s11, 55
	v_cmp_gt_u32_e64 s[10:11], s68, v35
	v_cvt_u32_f32_e32 v2, v2
	v_writelane_b32 v54, s10, 56
	v_writelane_b32 v54, s11, 57
	v_cmp_gt_i32_e64 s[10:11], s68, v35
	v_writelane_b32 v54, s10, 58
	v_writelane_b32 v54, s11, 59
	s_sub_i32 s10, 0, s33
	v_readfirstlane_b32 s11, v2
	s_mul_i32 s10, s10, s11
	s_mul_hi_u32 s10, s11, s10
	s_abs_i32 s7, s17
	s_add_i32 s10, s11, s10
	v_writelane_b32 v54, s10, 60
	s_mul_hi_u32 s10, s7, s10
	s_mul_i32 s10, s10, s33
	s_sub_i32 s7, s7, s10
	s_ashr_i32 s0, s17, 31
	s_sub_i32 s10, s7, s33
	s_cmp_ge_u32 s7, s33
	s_cselect_b32 s7, s10, s7
	s_sub_i32 s10, s7, s33
	s_cmp_ge_u32 s7, s33
	s_cselect_b32 s7, s10, s7
	v_mul_lo_u32 v2, s71, v30
	s_xor_b32 s7, s7, s0
	v_add_u32_e32 v36, s71, v2
	v_or_b32_e32 v2, 2, v30
	s_sub_i32 s0, s0, s7
	v_mul_lo_u32 v37, s71, v2
	v_or_b32_e32 v2, 3, v30
	s_add_i32 s7, s33, s68
	s_add_i32 s17, s17, s0
	v_mul_lo_u32 v38, s71, v2
	v_add_u32_e32 v2, s7, v0
	v_lshlrev_b32_e32 v31, 3, v0
	v_lshlrev_b32_e32 v4, 2, v23
	v_mov_b32_e32 v6, s16
	v_cmp_gt_i32_e64 s[10:11], s17, v0
	s_mul_i32 s0, s71, s33
	v_subrev_u32_e32 v2, s6, v2
	v_cmp_eq_u32_e64 s[2:3], 0, v23
	v_cmp_gt_u32_e64 s[4:5], 2, v0
	v_add_u32_e32 v32, 0xc00, v31
	v_and_b32_e32 v34, 0x100, v4
	v_addc_co_u32_e32 v25, vcc, v6, v3, vcc
	v_writelane_b32 v54, s10, 61
	s_lshl_b32 s84, s0, 2
	v_lshlrev_b32_e32 v39, 2, v16
	v_mul_lo_u32 v40, s71, v2
	v_lshlrev_b32_e32 v41, 5, v0
	s_lshl_b32 s85, s33, 5
	s_lshl_b32 s86, s33, 3
	v_or_b32_e32 v42, 0xc00, v4
	s_mov_b32 s87, 62
	s_mov_b64 s[78:79], 0
	v_pk_mov_b32 v[6:7], 0, 0
	v_mov_b32_e32 v3, 0x3ff00000
	v_mov_b32_e32 v43, 0xc00
	s_mov_b32 s6, 0
	s_mov_b64 s[94:95], 0
	s_mov_b64 s[92:93], 0
	v_writelane_b32 v54, s11, 62
                                        ; implicit-def: $sgpr60_sgpr61
                                        ; implicit-def: $sgpr64_sgpr65
                                        ; implicit-def: $sgpr62_sgpr63
                                        ; implicit-def: $sgpr66_sgpr67
                                        ; implicit-def: $sgpr72_sgpr73
                                        ; implicit-def: $sgpr76_sgpr77
	s_branch .LBB42_8
.LBB42_4:                               ;   in Loop: Header=BB42_8 Depth=1
	s_xor_b32 s6, s6, 1
	s_add_i32 s7, s87, -2
	s_cmp_eq_u32 s87, 0
	s_mov_b64 s[20:21], 0
	s_cselect_b64 s[24:25], -1, 0
	s_mov_b32 s87, s7
.LBB42_5:                               ;   in Loop: Header=BB42_8 Depth=1
	s_andn2_b64 s[10:11], s[28:29], exec
	s_and_b64 s[12:13], s[20:21], exec
	s_or_b64 s[28:29], s[10:11], s[12:13]
	s_andn2_b64 s[34:35], s[34:35], exec
	s_andn2_b64 s[26:27], s[26:27], exec
	s_orn2_b64 s[24:25], s[24:25], exec
	s_mov_b32 s69, s43
.LBB42_6:                               ;   in Loop: Header=BB42_8 Depth=1
	s_or_b64 exec, exec, s[18:19]
	s_andn2_b64 s[10:11], s[76:77], exec
	s_and_b64 s[12:13], s[28:29], exec
	s_or_b64 s[76:77], s[10:11], s[12:13]
	s_andn2_b64 s[10:11], s[72:73], exec
	s_and_b64 s[12:13], s[34:35], exec
	s_or_b64 s[72:73], s[10:11], s[12:13]
	;; [unrolled: 3-line block ×3, first 2 shown]
	s_orn2_b64 s[24:25], s[24:25], exec
.LBB42_7:                               ;   in Loop: Header=BB42_8 Depth=1
	s_or_b64 exec, exec, s[22:23]
	s_and_b64 s[10:11], exec, s[24:25]
	s_or_b64 s[78:79], s[10:11], s[78:79]
	s_andn2_b64 s[10:11], s[62:63], exec
	s_and_b64 s[12:13], s[76:77], exec
	s_or_b64 s[62:63], s[10:11], s[12:13]
	s_andn2_b64 s[10:11], s[64:65], exec
	s_and_b64 s[12:13], s[72:73], exec
	s_or_b64 s[64:65], s[10:11], s[12:13]
	s_andn2_b64 s[10:11], s[60:61], exec
	s_and_b64 s[12:13], s[66:67], exec
	s_waitcnt vmcnt(0)
	v_pk_mov_b32 v[4:5], s[94:95], s[94:95] op_sel:[0,1]
	s_or_b64 s[60:61], s[10:11], s[12:13]
	s_andn2_b64 exec, exec, s[78:79]
	s_cbranch_execz .LBB42_246
.LBB42_8:                               ; =>This Loop Header: Depth=1
                                        ;     Child Loop BB42_16 Depth 2
                                        ;     Child Loop BB42_35 Depth 2
	;; [unrolled: 1-line block ×17, first 2 shown]
	ds_read_b64 v[4:5], v19 offset:4096
	s_waitcnt lgkmcnt(0)
	v_readfirstlane_b32 s7, v4
	s_cmp_gt_i32 s7, 0
	s_cbranch_scc1 .LBB42_42
; %bb.9:                                ;   in Loop: Header=BB42_8 Depth=1
	v_readlane_b32 s10, v54, 32
	v_readlane_b32 s11, v54, 33
	s_and_b64 vcc, exec, s[10:11]
	s_cbranch_vccz .LBB42_24
; %bb.10:                               ;   in Loop: Header=BB42_8 Depth=1
	s_movk_i32 s10, 0x181
	v_cmp_gt_i32_e32 vcc, s10, v5
	s_mov_b64 s[20:21], 0
	s_mov_b64 s[18:19], 0
	s_cbranch_vccz .LBB42_29
; %bb.11:                               ;   in Loop: Header=BB42_8 Depth=1
	v_pk_mov_b32 v[4:5], 0, 0
	s_mov_b64 s[18:19], exec
	v_readlane_b32 s10, v54, 40
	v_readlane_b32 s11, v54, 41
	s_and_b64 s[10:11], s[18:19], s[10:11]
	s_mov_b64 exec, s[10:11]
	s_cbranch_execz .LBB42_13
; %bb.12:                               ;   in Loop: Header=BB42_8 Depth=1
	global_load_dwordx2 v[4:5], v[20:21], off
.LBB42_13:                              ;   in Loop: Header=BB42_8 Depth=1
	s_or_b64 exec, exec, s[18:19]
	s_mov_b64 s[22:23], exec
	v_readlane_b32 s10, v54, 40
	v_readlane_b32 s11, v54, 41
	s_and_b64 s[10:11], s[22:23], s[10:11]
	s_mov_b64 exec, s[10:11]
	s_cbranch_execz .LBB42_25
; %bb.14:                               ;   in Loop: Header=BB42_8 Depth=1
	v_readlane_b32 s10, v54, 36
	v_readlane_b32 s11, v54, 37
	s_mov_b64 s[24:25], 0
	v_mov_b32_e32 v11, v0
	s_nop 2
	global_load_ushort v2, v19, s[10:11]
	s_waitcnt vmcnt(0)
	v_add_u32_e32 v8, v0, v2
	v_mul_lo_u32 v10, s71, v2
	v_mul_lo_u32 v18, s71, v8
	s_branch .LBB42_16
.LBB42_15:                              ;   in Loop: Header=BB42_16 Depth=2
	s_or_b64 exec, exec, s[18:19]
	v_cmp_le_i32_e32 vcc, s68, v11
	v_add_u32_e32 v18, v18, v10
	s_or_b64 s[24:25], vcc, s[24:25]
	s_waitcnt vmcnt(0)
	v_pk_mov_b32 v[4:5], v[8:9], v[8:9] op_sel:[0,1]
	s_andn2_b64 exec, exec, s[24:25]
	s_cbranch_execz .LBB42_25
.LBB42_16:                              ;   Parent Loop BB42_8 Depth=1
                                        ; =>  This Inner Loop Header: Depth=2
	v_add_u32_e32 v11, v11, v2
	v_cmp_gt_u32_e32 vcc, s68, v11
	v_pk_mov_b32 v[8:9], 0, 0
	s_and_saveexec_b64 s[18:19], vcc
	s_cbranch_execz .LBB42_18
; %bb.17:                               ;   in Loop: Header=BB42_16 Depth=2
	v_lshlrev_b64 v[8:9], 3, v[18:19]
	v_add_co_u32_e32 v8, vcc, s70, v8
	v_addc_co_u32_e32 v9, vcc, v17, v9, vcc
	global_load_dwordx2 v[8:9], v[8:9], off
.LBB42_18:                              ;   in Loop: Header=BB42_16 Depth=2
	s_or_b64 exec, exec, s[18:19]
	s_waitcnt lgkmcnt(0)
	v_ashrrev_i32_e32 v12, 31, v5
	v_or_b32_e32 v13, 0x80000000, v12
	v_xor_b32_e32 v13, v13, v5
	v_xor_b32_e32 v12, v12, v4
	v_cmp_o_f64_e32 vcc, v[4:5], v[4:5]
	v_cndmask_b32_e32 v13, -1, v13, vcc
	v_cndmask_b32_e32 v12, -1, v12, vcc
	v_and_b32_e32 v13, s93, v13
	v_and_b32_e32 v12, s92, v12
	v_cmp_eq_u64_e32 vcc, s[94:95], v[12:13]
	s_cmp_lg_u64 vcc, 0
	s_cselect_b64 s[10:11], -1, 0
	s_and_b64 s[10:11], s[2:3], s[10:11]
	v_mov_b32_e32 v12, 0
	s_and_saveexec_b64 s[26:27], s[10:11]
	s_cbranch_execz .LBB42_22
; %bb.19:                               ;   in Loop: Header=BB42_16 Depth=2
	s_mov_b64 s[30:31], exec
	v_mbcnt_lo_u32_b32 v12, s30, 0
	v_mbcnt_hi_u32_b32 v12, s31, v12
	s_bcnt1_i32_b64 s7, vcc
	v_cmp_eq_u32_e64 s[18:19], 0, v12
                                        ; implicit-def: $vgpr13
	s_and_saveexec_b64 s[28:29], s[18:19]
	s_cbranch_execz .LBB42_21
; %bb.20:                               ;   in Loop: Header=BB42_16 Depth=2
	s_bcnt1_i32_b64 s10, s[30:31]
	s_mul_i32 s10, s7, s10
	v_mov_b32_e32 v13, s10
	ds_add_rtn_u32 v13, v19, v13 offset:4104
.LBB42_21:                              ;   in Loop: Header=BB42_16 Depth=2
	s_or_b64 exec, exec, s[28:29]
	s_waitcnt lgkmcnt(0)
	v_readfirstlane_b32 s10, v13
	v_mov_b32_e32 v13, s10
	v_mad_u32_u24 v12, s7, v12, v13
.LBB42_22:                              ;   in Loop: Header=BB42_16 Depth=2
	s_or_b64 exec, exec, s[26:27]
	ds_bpermute_b32 v12, v34, v12
	s_and_saveexec_b64 s[18:19], vcc
	s_cbranch_execz .LBB42_15
; %bb.23:                               ;   in Loop: Header=BB42_16 Depth=2
	v_and_b32_e32 v14, vcc_lo, v22
	v_and_b32_e32 v13, vcc_hi, v1
	v_bcnt_u32_b32 v14, v14, 0
	v_bcnt_u32_b32 v13, v13, v14
	v_lshlrev_b32_e32 v13, 3, v13
	s_waitcnt lgkmcnt(0)
	v_lshl_add_u32 v12, v12, 3, v13
	ds_write_b64 v12, v[4:5]
	s_branch .LBB42_15
.LBB42_24:                              ;   in Loop: Header=BB42_8 Depth=1
	s_mov_b64 s[20:21], -1
	s_mov_b64 s[18:19], 0
	s_branch .LBB42_28
.LBB42_25:                              ;   in Loop: Header=BB42_8 Depth=1
	s_or_b64 exec, exec, s[22:23]
	s_waitcnt lgkmcnt(0)
	s_barrier
	s_mov_b64 s[18:19], exec
	v_readlane_b32 s10, v54, 18
	v_readlane_b32 s11, v54, 19
	s_and_b64 s[10:11], s[18:19], s[10:11]
	s_mov_b64 exec, s[10:11]
	s_cbranch_execz .LBB42_27
; %bb.26:                               ;   in Loop: Header=BB42_8 Depth=1
	ds_read_b32 v2, v19 offset:4104
	s_waitcnt lgkmcnt(0)
	ds_write_b32 v19, v2 offset:4096
.LBB42_27:                              ;   in Loop: Header=BB42_8 Depth=1
	s_or_b64 exec, exec, s[18:19]
	s_waitcnt lgkmcnt(0)
	s_barrier
	s_mov_b64 s[18:19], -1
.LBB42_28:                              ;   in Loop: Header=BB42_8 Depth=1
                                        ; implicit-def: $sgpr7
.LBB42_29:                              ;   in Loop: Header=BB42_8 Depth=1
	s_and_b64 vcc, exec, s[20:21]
	s_cbranch_vccz .LBB42_40
; %bb.30:                               ;   in Loop: Header=BB42_8 Depth=1
	s_waitcnt vmcnt(0)
	v_pk_mov_b32 v[4:5], 0, 0
	s_mov_b64 s[18:19], exec
	v_readlane_b32 s10, v54, 40
	v_readlane_b32 s11, v54, 41
	s_and_b64 s[10:11], s[18:19], s[10:11]
	s_mov_b64 exec, s[10:11]
	s_cbranch_execz .LBB42_32
; %bb.31:                               ;   in Loop: Header=BB42_8 Depth=1
	global_load_dwordx2 v[4:5], v[20:21], off
.LBB42_32:                              ;   in Loop: Header=BB42_8 Depth=1
	s_or_b64 exec, exec, s[18:19]
	s_mov_b64 s[18:19], exec
	v_readlane_b32 s10, v54, 42
	v_readlane_b32 s11, v54, 43
	s_and_b64 s[10:11], s[18:19], s[10:11]
	s_mov_b64 exec, s[10:11]
	s_cbranch_execz .LBB42_37
; %bb.33:                               ;   in Loop: Header=BB42_8 Depth=1
	v_readlane_b32 s10, v54, 36
	v_readlane_b32 s11, v54, 37
	s_mov_b64 s[20:21], 0
	v_mov_b32_e32 v10, v31
	v_mov_b32_e32 v13, v0
	s_nop 1
	global_load_ushort v2, v19, s[10:11]
	s_waitcnt vmcnt(0)
	v_add_u32_e32 v8, v0, v2
	v_lshlrev_b32_e32 v11, 3, v2
	v_mul_lo_u32 v12, s71, v2
	v_mul_lo_u32 v18, s71, v8
	s_branch .LBB42_35
.LBB42_34:                              ;   in Loop: Header=BB42_35 Depth=2
	s_or_b64 exec, exec, s[22:23]
	v_cmp_le_i32_e32 vcc, s68, v13
	ds_write_b64 v10, v[4:5]
	v_add_u32_e32 v10, v10, v11
	v_add_u32_e32 v18, v18, v12
	s_or_b64 s[20:21], vcc, s[20:21]
	s_waitcnt vmcnt(0)
	v_pk_mov_b32 v[4:5], v[8:9], v[8:9] op_sel:[0,1]
	s_andn2_b64 exec, exec, s[20:21]
	s_cbranch_execz .LBB42_37
.LBB42_35:                              ;   Parent Loop BB42_8 Depth=1
                                        ; =>  This Inner Loop Header: Depth=2
	v_add_u32_e32 v13, v13, v2
	v_cmp_gt_u32_e32 vcc, s68, v13
	v_pk_mov_b32 v[8:9], 0, 0
	s_and_saveexec_b64 s[22:23], vcc
	s_cbranch_execz .LBB42_34
; %bb.36:                               ;   in Loop: Header=BB42_35 Depth=2
	v_lshlrev_b64 v[8:9], 3, v[18:19]
	v_mov_b32_e32 v14, s16
	v_add_co_u32_e32 v8, vcc, s70, v8
	v_addc_co_u32_e32 v9, vcc, v14, v9, vcc
	global_load_dwordx2 v[8:9], v[8:9], off
	s_branch .LBB42_34
.LBB42_37:                              ;   in Loop: Header=BB42_8 Depth=1
	s_or_b64 exec, exec, s[18:19]
	s_waitcnt lgkmcnt(0)
	s_barrier
	s_mov_b64 s[18:19], exec
	v_readlane_b32 s10, v54, 18
	v_readlane_b32 s11, v54, 19
	s_and_b64 s[10:11], s[18:19], s[10:11]
	s_mov_b64 exec, s[10:11]
	s_cbranch_execz .LBB42_39
; %bb.38:                               ;   in Loop: Header=BB42_8 Depth=1
	v_mov_b32_e32 v2, s68
	ds_write_b32 v19, v2 offset:4096
.LBB42_39:                              ;   in Loop: Header=BB42_8 Depth=1
	s_or_b64 exec, exec, s[18:19]
	s_mov_b64 s[18:19], -1
	s_waitcnt lgkmcnt(0)
	s_barrier
                                        ; implicit-def: $sgpr7
.LBB42_40:                              ;   in Loop: Header=BB42_8 Depth=1
	s_and_b64 vcc, exec, s[18:19]
	s_cbranch_vccz .LBB42_42
; %bb.41:                               ;   in Loop: Header=BB42_8 Depth=1
	ds_read_b32 v2, v19 offset:4096
	s_waitcnt lgkmcnt(0)
	v_readfirstlane_b32 s7, v2
.LBB42_42:                              ;   in Loop: Header=BB42_8 Depth=1
	s_cmp_lt_i32 s7, 1
	s_cbranch_scc0 .LBB42_54
; %bb.43:                               ;   in Loop: Header=BB42_8 Depth=1
	v_mov_b32_e32 v8, 0
	s_mov_b32 s81, 0
	v_mov_b32_e32 v9, 0
	v_mov_b32_e32 v10, v8
	;; [unrolled: 1-line block ×3, first 2 shown]
	s_mov_b64 s[74:75], exec
	v_readlane_b32 s10, v54, 54
	v_readlane_b32 s11, v54, 55
	s_and_b64 s[10:11], s[74:75], s[10:11]
	s_mov_b64 exec, s[10:11]
	s_cbranch_execz .LBB42_47
; %bb.44:                               ;   in Loop: Header=BB42_8 Depth=1
	s_and_b32 s90, s87, 0xfe
	s_mov_b64 s[88:89], 0
	s_mov_b32 s91, 0
	s_mov_b32 s10, 0
	;; [unrolled: 1-line block ×4, first 2 shown]
	v_mov_b32_e32 v2, v30
.LBB42_45:                              ;   Parent Loop BB42_8 Depth=1
                                        ; =>  This Inner Loop Header: Depth=2
	v_add_u32_e32 v12, s81, v39
	v_ashrrev_i32_e32 v13, 31, v12
	v_add_u32_e32 v14, s81, v36
	v_lshlrev_b64 v[12:13], 3, v[12:13]
	s_waitcnt vmcnt(0)
	v_mov_b32_e32 v4, s16
	v_ashrrev_i32_e32 v15, 31, v14
	v_add_co_u32_e64 v12, s[18:19], s70, v12
	v_add_u32_e32 v26, s81, v37
	v_lshlrev_b64 v[14:15], 3, v[14:15]
	v_addc_co_u32_e64 v13, s[18:19], v4, v13, s[18:19]
	v_ashrrev_i32_e32 v27, 31, v26
	v_add_co_u32_e64 v14, s[18:19], s70, v14
	v_add_u32_e32 v28, s81, v38
	v_lshlrev_b64 v[26:27], 3, v[26:27]
	v_addc_co_u32_e64 v15, s[18:19], v4, v15, s[18:19]
	v_ashrrev_i32_e32 v29, 31, v28
	v_add_co_u32_e64 v26, s[18:19], s70, v26
	v_lshlrev_b64 v[28:29], 3, v[28:29]
	v_addc_co_u32_e64 v27, s[18:19], v4, v27, s[18:19]
	v_add_co_u32_e64 v28, s[18:19], s70, v28
	v_addc_co_u32_e64 v29, s[18:19], v4, v29, s[18:19]
	global_load_dwordx2 v[12:13], v[12:13], off
	s_nop 0
	global_load_dwordx2 v[14:15], v[14:15], off
	s_nop 0
	;; [unrolled: 2-line block ×3, first 2 shown]
	global_load_dwordx2 v[28:29], v[28:29], off
	v_mov_b32_e32 v5, v19
	v_mov_b32_e32 v9, v19
	v_mov_b32_e32 v11, v19
	v_add_u32_e32 v2, s1, v2
	s_add_i32 s81, s81, s84
	v_cmp_le_i32_e32 vcc, s9, v2
	s_waitcnt vmcnt(3)
	v_ashrrev_i32_e32 v4, 31, v13
	s_waitcnt vmcnt(2)
	v_ashrrev_i32_e32 v8, 31, v15
	v_xor_b32_e32 v44, v8, v14
	v_cmp_o_f64_e64 s[18:19], v[14:15], v[14:15]
	v_or_b32_e32 v14, 0x80000000, v4
	s_waitcnt vmcnt(1)
	v_ashrrev_i32_e32 v10, 31, v27
	s_waitcnt vmcnt(0)
	v_ashrrev_i32_e32 v18, 31, v29
	v_xor_b32_e32 v4, v4, v12
	v_or_b32_e32 v8, 0x80000000, v8
	v_cmp_o_f64_e64 s[24:25], v[12:13], v[12:13]
	v_xor_b32_e32 v13, v14, v13
	v_xor_b32_e32 v45, v10, v26
	v_cmp_o_f64_e64 s[20:21], v[26:27], v[26:27]
	v_xor_b32_e32 v46, v18, v28
	v_or_b32_e32 v10, 0x80000000, v10
	v_or_b32_e32 v18, 0x80000000, v18
	v_xor_b32_e32 v8, v8, v15
	v_cndmask_b32_e64 v12, -1, v4, s[24:25]
	v_cndmask_b32_e64 v13, -1, v13, s[24:25]
	v_cmp_o_f64_e64 s[22:23], v[28:29], v[28:29]
	v_xor_b32_e32 v10, v10, v27
	v_xor_b32_e32 v18, v18, v29
	v_cndmask_b32_e64 v14, -1, v44, s[18:19]
	v_cndmask_b32_e64 v26, -1, v45, s[20:21]
	;; [unrolled: 1-line block ×3, first 2 shown]
	v_and_b32_e32 v44, s92, v12
	v_and_b32_e32 v45, s93, v13
	v_lshrrev_b64 v[12:13], s90, v[12:13]
	v_cndmask_b32_e64 v28, -1, v46, s[22:23]
	v_cndmask_b32_e64 v27, -1, v10, s[20:21]
	;; [unrolled: 1-line block ×3, first 2 shown]
	v_and_b32_e32 v46, s92, v14
	v_and_b32_e32 v47, s93, v15
	v_lshrrev_b64 v[14:15], s90, v[14:15]
	v_and_b32_e32 v18, 3, v12
	v_and_b32_e32 v48, s92, v26
	;; [unrolled: 1-line block ×3, first 2 shown]
	v_lshrrev_b64 v[26:27], s90, v[26:27]
	v_cmp_eq_u64_e64 s[18:19], s[94:95], v[44:45]
	v_and_b32_e32 v4, 3, v14
	v_cmp_eq_u64_e64 s[26:27], 0, v[18:19]
	v_and_b32_e32 v50, s92, v28
	v_and_b32_e32 v51, s93, v29
	v_lshrrev_b64 v[28:29], s90, v[28:29]
	v_cmp_eq_u64_e64 s[20:21], s[94:95], v[46:47]
	v_and_b32_e32 v8, 3, v26
	v_cmp_eq_u64_e64 s[28:29], 0, v[4:5]
	s_and_b64 s[14:15], s[18:19], s[26:27]
	v_cmp_eq_u64_e64 s[22:23], s[94:95], v[48:49]
	v_and_b32_e32 v10, 3, v28
	v_cmp_eq_u64_e64 s[30:31], 0, v[8:9]
	v_cmp_eq_u64_e64 s[38:39], 1, v[4:5]
	;; [unrolled: 1-line block ×4, first 2 shown]
	v_cndmask_b32_e64 v4, 0, 1, s[14:15]
	s_and_b64 s[14:15], s[20:21], s[28:29]
	v_cmp_eq_u64_e64 s[24:25], s[94:95], v[50:51]
	v_cmp_eq_u64_e64 s[34:35], 0, v[10:11]
	v_cndmask_b32_e64 v5, 0, 1, s[14:15]
	s_and_b64 s[14:15], s[22:23], s[30:31]
	v_cmp_eq_u64_e64 s[36:37], 1, v[18:19]
	v_cmp_eq_u64_e64 s[40:41], 1, v[8:9]
	;; [unrolled: 1-line block ×4, first 2 shown]
	v_cndmask_b32_e64 v8, 0, 1, s[14:15]
	s_and_b64 s[14:15], s[24:25], s[34:35]
	v_cndmask_b32_e64 v9, 0, 1, s[14:15]
	s_and_b64 s[14:15], s[18:19], s[36:37]
	v_cmp_eq_u64_e64 s[42:43], 1, v[10:11]
	v_cmp_eq_u64_e64 s[50:51], 2, v[10:11]
	;; [unrolled: 1-line block ×3, first 2 shown]
	v_cndmask_b32_e64 v10, 0, 1, s[14:15]
	s_and_b64 s[14:15], s[20:21], s[38:39]
	v_cndmask_b32_e64 v11, 0, 1, s[14:15]
	s_and_b64 s[14:15], s[22:23], s[40:41]
	v_cmp_eq_u64_e64 s[44:45], 2, v[18:19]
	v_cndmask_b32_e64 v12, 0, 1, s[14:15]
	s_and_b64 s[14:15], s[24:25], s[42:43]
	v_cndmask_b32_e64 v13, 0, 1, s[14:15]
	s_and_b64 s[14:15], s[18:19], s[44:45]
	;; [unrolled: 2-line block ×4, first 2 shown]
	v_cmp_eq_u64_e64 s[52:53], 3, v[18:19]
	v_cndmask_b32_e64 v18, 0, 1, s[14:15]
	s_and_b64 s[14:15], s[24:25], s[50:51]
	v_cndmask_b32_e64 v26, 0, 1, s[14:15]
	s_and_b64 s[14:15], s[18:19], s[52:53]
	;; [unrolled: 2-line block ×5, first 2 shown]
	v_cmp_ne_u32_e64 s[18:19], 0, v4
	v_cmp_ne_u32_e64 s[22:23], 0, v8
	v_cmp_ne_u32_e64 s[26:27], 0, v10
	v_cmp_ne_u32_e64 s[36:37], 0, v14
	v_cmp_ne_u32_e64 s[44:45], 0, v27
	v_cndmask_b32_e64 v44, 0, 1, s[14:15]
	v_cmp_ne_u32_e64 s[20:21], 0, v5
	v_cmp_ne_u32_e64 s[24:25], 0, v9
	;; [unrolled: 1-line block ×5, first 2 shown]
	s_bcnt1_i32_b64 s13, s[18:19]
	s_bcnt1_i32_b64 s15, s[22:23]
	;; [unrolled: 1-line block ×5, first 2 shown]
	v_cmp_ne_u32_e64 s[30:31], 0, v12
	v_cmp_ne_u32_e64 s[40:41], 0, v18
	;; [unrolled: 1-line block ×3, first 2 shown]
	s_bcnt1_i32_b64 s14, s[20:21]
	s_bcnt1_i32_b64 s18, s[24:25]
	;; [unrolled: 1-line block ×5, first 2 shown]
	s_add_i32 s12, s12, s13
	s_add_i32 s11, s11, s19
	s_add_i32 s10, s10, s23
	s_add_i32 s13, s91, s27
	v_cmp_ne_u32_e64 s[34:35], 0, v13
	v_cmp_ne_u32_e64 s[42:43], 0, v26
	v_cmp_ne_u32_e64 s[50:51], 0, v44
	s_bcnt1_i32_b64 s21, s[30:31]
	s_bcnt1_i32_b64 s25, s[40:41]
	;; [unrolled: 1-line block ×3, first 2 shown]
	s_add_i32 s12, s12, s14
	s_add_i32 s11, s11, s20
	;; [unrolled: 1-line block ×4, first 2 shown]
	s_bcnt1_i32_b64 s22, s[34:35]
	s_bcnt1_i32_b64 s26, s[42:43]
	;; [unrolled: 1-line block ×3, first 2 shown]
	s_add_i32 s12, s12, s15
	s_add_i32 s11, s11, s21
	;; [unrolled: 1-line block ×8, first 2 shown]
	s_or_b64 s[88:89], vcc, s[88:89]
	v_mov_b32_e32 v8, s12
	v_mov_b32_e32 v9, s11
	;; [unrolled: 1-line block ×4, first 2 shown]
	s_andn2_b64 exec, exec, s[88:89]
	s_cbranch_execnz .LBB42_45
; %bb.46:                               ;   in Loop: Header=BB42_8 Depth=1
	s_or_b64 exec, exec, s[88:89]
.LBB42_47:                              ;   in Loop: Header=BB42_8 Depth=1
	s_or_b64 exec, exec, s[74:75]
	v_pk_mov_b32 v[12:13], 0, 0
	s_mov_b64 s[18:19], exec
	v_readlane_b32 s10, v54, 56
	v_readlane_b32 s11, v54, 57
	s_and_b64 s[10:11], s[18:19], s[10:11]
	s_mov_b64 exec, s[10:11]
	s_cbranch_execz .LBB42_49
; %bb.48:                               ;   in Loop: Header=BB42_8 Depth=1
	global_load_dwordx2 v[12:13], v[24:25], off
.LBB42_49:                              ;   in Loop: Header=BB42_8 Depth=1
	s_or_b64 exec, exec, s[18:19]
	s_mov_b64 s[20:21], 0
	s_mov_b64 s[74:75], 0
	s_mov_b64 s[22:23], exec
	v_readlane_b32 s10, v54, 58
	v_readlane_b32 s11, v54, 59
	s_and_b64 s[10:11], s[22:23], s[10:11]
	s_mov_b64 exec, s[10:11]
	s_cbranch_execz .LBB42_56
; %bb.50:                               ;   in Loop: Header=BB42_8 Depth=1
	s_and_b32 s10, s87, 0xfe
	s_mov_b64 s[24:25], 0
	s_waitcnt vmcnt(0)
	v_mov_b32_e32 v4, v40
	v_mov_b32_e32 v2, v35
	s_branch .LBB42_52
.LBB42_51:                              ;   in Loop: Header=BB42_52 Depth=2
	s_or_b64 exec, exec, s[18:19]
	v_ashrrev_i32_e32 v5, 31, v13
	v_or_b32_e32 v18, 0x80000000, v5
	v_xor_b32_e32 v18, v18, v13
	v_xor_b32_e32 v5, v5, v12
	v_cmp_o_f64_e32 vcc, v[12:13], v[12:13]
	v_cndmask_b32_e32 v13, -1, v18, vcc
	v_cndmask_b32_e32 v12, -1, v5, vcc
	v_and_b32_e32 v27, s93, v13
	v_and_b32_e32 v26, s92, v12
	v_lshrrev_b64 v[12:13], s10, v[12:13]
	v_and_b32_e32 v18, 3, v12
	v_cmp_eq_u64_e32 vcc, s[94:95], v[26:27]
	v_cmp_eq_u64_e64 s[18:19], 0, v[18:19]
	s_and_b64 s[12:13], vcc, s[18:19]
	v_cndmask_b32_e64 v5, 0, 1, s[12:13]
	v_cmp_ne_u32_e64 s[18:19], 0, v5
	s_bcnt1_i32_b64 s11, s[18:19]
	v_cmp_eq_u64_e64 s[18:19], 1, v[18:19]
	s_and_b64 s[12:13], vcc, s[18:19]
	v_cndmask_b32_e64 v5, 0, 1, s[12:13]
	v_cmp_ne_u32_e64 s[18:19], 0, v5
	v_add_u32_e32 v8, s11, v8
	s_bcnt1_i32_b64 s11, s[18:19]
	v_cmp_eq_u64_e64 s[18:19], 2, v[18:19]
	s_and_b64 s[12:13], vcc, s[18:19]
	v_cndmask_b32_e64 v5, 0, 1, s[12:13]
	v_cmp_ne_u32_e64 s[18:19], 0, v5
	v_add_u32_e32 v9, s11, v9
	s_bcnt1_i32_b64 s11, s[18:19]
	v_cmp_eq_u64_e64 s[18:19], 3, v[18:19]
	s_and_b64 s[12:13], vcc, s[18:19]
	v_cndmask_b32_e64 v5, 0, 1, s[12:13]
	v_cmp_ne_u32_e32 vcc, 0, v5
	v_add_u32_e32 v10, s11, v10
	s_bcnt1_i32_b64 s11, vcc
	v_cmp_le_i32_e32 vcc, s68, v2
	v_add_u32_e32 v11, s11, v11
	v_add_u32_e32 v4, s0, v4
	s_or_b64 s[24:25], vcc, s[24:25]
	s_waitcnt vmcnt(0)
	v_pk_mov_b32 v[12:13], v[14:15], v[14:15] op_sel:[0,1]
	s_andn2_b64 exec, exec, s[24:25]
	s_cbranch_execz .LBB42_55
.LBB42_52:                              ;   Parent Loop BB42_8 Depth=1
                                        ; =>  This Inner Loop Header: Depth=2
	v_add_u32_e32 v2, s33, v2
	v_cmp_gt_u32_e32 vcc, s68, v2
	v_pk_mov_b32 v[14:15], 0, 0
	s_and_saveexec_b64 s[18:19], vcc
	s_cbranch_execz .LBB42_51
; %bb.53:                               ;   in Loop: Header=BB42_52 Depth=2
	v_ashrrev_i32_e32 v5, 31, v4
	v_lshlrev_b64 v[14:15], 3, v[4:5]
	v_mov_b32_e32 v5, s16
	v_add_co_u32_e32 v14, vcc, s70, v14
	v_addc_co_u32_e32 v15, vcc, v5, v15, vcc
	global_load_dwordx2 v[14:15], v[14:15], off
	s_branch .LBB42_51
.LBB42_54:                              ;   in Loop: Header=BB42_8 Depth=1
	s_mov_b64 s[74:75], 0
                                        ; implicit-def: $vgpr11
	s_cbranch_execnz .LBB42_57
	s_branch .LBB42_66
.LBB42_55:                              ;   in Loop: Header=BB42_8 Depth=1
	s_or_b64 exec, exec, s[24:25]
	s_mov_b64 s[74:75], exec
.LBB42_56:                              ;   in Loop: Header=BB42_8 Depth=1
	s_or_b64 exec, exec, s[22:23]
	s_and_b64 vcc, exec, s[20:21]
	s_cbranch_vccz .LBB42_66
.LBB42_57:                              ;   in Loop: Header=BB42_8 Depth=1
	s_mul_hi_u32 s10, s7, s8
	s_mul_i32 s10, s10, s1
	s_sub_i32 s10, s7, s10
	s_sub_i32 s11, s10, s1
	s_cmp_ge_u32 s10, s1
	s_cselect_b32 s10, s11, s10
	s_sub_i32 s11, s10, s1
	s_cmp_ge_u32 s10, s1
	s_cselect_b32 s10, s11, s10
	s_sub_i32 s81, s7, s10
	v_cmp_gt_u32_e32 vcc, s81, v30
	s_mov_b32 s10, 0
	v_mov_b32_e32 v8, 0
	v_mov_b32_e32 v9, 0
	v_mov_b32_e32 v10, 0
	v_mov_b32_e32 v11, 0
	s_and_saveexec_b64 s[88:89], vcc
	s_cbranch_execz .LBB42_61
; %bb.58:                               ;   in Loop: Header=BB42_8 Depth=1
	s_and_b32 s11, s87, 0xfe
	s_mov_b64 s[90:91], 0
	v_mov_b32_e32 v2, v41
	s_mov_b32 s12, 0
	s_mov_b32 s13, 0
	;; [unrolled: 1-line block ×3, first 2 shown]
	v_mov_b32_e32 v44, v30
.LBB42_59:                              ;   Parent Loop BB42_8 Depth=1
                                        ; =>  This Inner Loop Header: Depth=2
	s_waitcnt vmcnt(0)
	ds_read_b128 v[12:15], v2
	ds_read_b128 v[8:11], v2 offset:16
	v_mov_b32_e32 v5, v19
	v_mov_b32_e32 v27, v19
	;; [unrolled: 1-line block ×3, first 2 shown]
	s_waitcnt lgkmcnt(1)
	v_ashrrev_i32_e32 v4, 31, v13
	v_ashrrev_i32_e32 v18, 31, v15
	s_waitcnt lgkmcnt(0)
	v_ashrrev_i32_e32 v26, 31, v9
	v_ashrrev_i32_e32 v28, 31, v11
	v_xor_b32_e32 v45, v18, v14
	v_cmp_o_f64_e64 s[18:19], v[14:15], v[14:15]
	v_xor_b32_e32 v14, v26, v8
	v_cmp_o_f64_e64 s[20:21], v[8:9], v[8:9]
	v_or_b32_e32 v8, 0x80000000, v4
	v_xor_b32_e32 v46, v28, v10
	v_cmp_o_f64_e64 s[22:23], v[10:11], v[10:11]
	v_xor_b32_e32 v4, v4, v12
	v_or_b32_e32 v10, 0x80000000, v18
	v_or_b32_e32 v18, 0x80000000, v26
	v_cmp_o_f64_e64 s[24:25], v[12:13], v[12:13]
	v_xor_b32_e32 v13, v8, v13
	v_or_b32_e32 v26, 0x80000000, v28
	v_xor_b32_e32 v15, v10, v15
	v_xor_b32_e32 v18, v18, v9
	v_cndmask_b32_e64 v8, -1, v4, s[24:25]
	v_cndmask_b32_e64 v9, -1, v13, s[24:25]
	v_xor_b32_e32 v26, v26, v11
	v_cndmask_b32_e64 v10, -1, v45, s[18:19]
	v_cndmask_b32_e64 v12, -1, v14, s[20:21]
	;; [unrolled: 1-line block ×4, first 2 shown]
	v_and_b32_e32 v46, s92, v8
	v_and_b32_e32 v47, s93, v9
	v_lshrrev_b64 v[8:9], s11, v[8:9]
	v_cndmask_b32_e64 v13, -1, v18, s[20:21]
	v_and_b32_e32 v48, s92, v10
	v_and_b32_e32 v49, s93, v11
	v_lshrrev_b64 v[10:11], s11, v[10:11]
	v_and_b32_e32 v18, 3, v8
	v_cndmask_b32_e64 v15, -1, v26, s[22:23]
	v_and_b32_e32 v50, s92, v12
	v_and_b32_e32 v51, s93, v13
	v_lshrrev_b64 v[12:13], s11, v[12:13]
	v_cmp_eq_u64_e64 s[18:19], s[94:95], v[46:47]
	v_and_b32_e32 v4, 3, v10
	v_cmp_eq_u64_e64 s[26:27], 0, v[18:19]
	v_and_b32_e32 v52, s92, v14
	v_and_b32_e32 v53, s93, v15
	v_lshrrev_b64 v[14:15], s11, v[14:15]
	v_cmp_eq_u64_e64 s[20:21], s[94:95], v[48:49]
	v_and_b32_e32 v26, 3, v12
	v_cmp_eq_u64_e64 s[28:29], 0, v[4:5]
	s_and_b64 s[26:27], s[18:19], s[26:27]
	v_cmp_eq_u64_e64 s[22:23], s[94:95], v[50:51]
	v_and_b32_e32 v28, 3, v14
	v_cmp_eq_u64_e64 s[30:31], 0, v[26:27]
	v_cmp_eq_u64_e64 s[38:39], 1, v[4:5]
	;; [unrolled: 1-line block ×4, first 2 shown]
	v_cndmask_b32_e64 v4, 0, 1, s[26:27]
	s_and_b64 s[26:27], s[20:21], s[28:29]
	v_cmp_eq_u64_e64 s[24:25], s[94:95], v[52:53]
	v_cmp_eq_u64_e64 s[34:35], 0, v[28:29]
	v_cndmask_b32_e64 v5, 0, 1, s[26:27]
	s_and_b64 s[26:27], s[22:23], s[30:31]
	v_cmp_eq_u64_e64 s[36:37], 1, v[18:19]
	v_cndmask_b32_e64 v8, 0, 1, s[26:27]
	s_and_b64 s[26:27], s[24:25], s[34:35]
	v_cndmask_b32_e64 v9, 0, 1, s[26:27]
	s_and_b64 s[26:27], s[18:19], s[36:37]
	v_cmp_eq_u64_e64 s[40:41], 1, v[26:27]
	v_cndmask_b32_e64 v10, 0, 1, s[26:27]
	s_and_b64 s[26:27], s[20:21], s[38:39]
	v_cmp_eq_u64_e64 s[42:43], 1, v[28:29]
	;; [unrolled: 3-line block ×3, first 2 shown]
	v_cmp_eq_u64_e64 s[52:53], 3, v[18:19]
	v_cndmask_b32_e64 v12, 0, 1, s[26:27]
	s_and_b64 s[26:27], s[24:25], s[42:43]
	v_cndmask_b32_e64 v13, 0, 1, s[26:27]
	s_and_b64 s[26:27], s[18:19], s[44:45]
	s_and_b64 s[18:19], s[18:19], s[52:53]
	v_cmp_eq_u64_e64 s[48:49], 2, v[26:27]
	v_cmp_eq_u64_e64 s[56:57], 3, v[26:27]
	v_cndmask_b32_e64 v14, 0, 1, s[26:27]
	s_and_b64 s[26:27], s[20:21], s[46:47]
	v_cndmask_b32_e64 v27, 0, 1, s[18:19]
	s_and_b64 s[18:19], s[20:21], s[54:55]
	v_cmp_eq_u64_e64 s[50:51], 2, v[28:29]
	v_cmp_eq_u64_e64 s[58:59], 3, v[28:29]
	v_cndmask_b32_e64 v15, 0, 1, s[26:27]
	s_and_b64 s[26:27], s[22:23], s[48:49]
	v_cndmask_b32_e64 v28, 0, 1, s[18:19]
	s_and_b64 s[18:19], s[22:23], s[56:57]
	;; [unrolled: 2-line block ×4, first 2 shown]
	v_cndmask_b32_e64 v26, 0, 1, s[26:27]
	v_cndmask_b32_e64 v45, 0, 1, s[18:19]
	v_cmp_ne_u32_e64 s[18:19], 0, v4
	v_cmp_ne_u32_e64 s[20:21], 0, v5
	;; [unrolled: 1-line block ×11, first 2 shown]
	s_bcnt1_i32_b64 s15, s[18:19]
	s_bcnt1_i32_b64 s18, s[20:21]
	;; [unrolled: 1-line block ×8, first 2 shown]
	v_cmp_ne_u32_e64 s[40:41], 0, v18
	v_cmp_ne_u32_e64 s[48:49], 0, v29
	s_bcnt1_i32_b64 s23, s[30:31]
	s_bcnt1_i32_b64 s26, s[38:39]
	;; [unrolled: 1-line block ×3, first 2 shown]
	s_add_i32 s14, s14, s15
	s_add_i32 s13, s13, s21
	;; [unrolled: 1-line block ×4, first 2 shown]
	v_cmp_ne_u32_e64 s[34:35], 0, v13
	v_cmp_ne_u32_e64 s[42:43], 0, v26
	;; [unrolled: 1-line block ×3, first 2 shown]
	s_bcnt1_i32_b64 s27, s[40:41]
	s_bcnt1_i32_b64 s31, s[48:49]
	s_add_i32 s14, s14, s18
	s_add_i32 s13, s13, s22
	;; [unrolled: 1-line block ×4, first 2 shown]
	v_add_u32_e32 v44, s1, v44
	s_bcnt1_i32_b64 s24, s[34:35]
	s_bcnt1_i32_b64 s28, s[42:43]
	;; [unrolled: 1-line block ×3, first 2 shown]
	s_add_i32 s14, s14, s19
	s_add_i32 s13, s13, s23
	;; [unrolled: 1-line block ×4, first 2 shown]
	v_cmp_le_i32_e32 vcc, s81, v44
	s_add_i32 s14, s14, s20
	s_add_i32 s13, s13, s24
	;; [unrolled: 1-line block ×4, first 2 shown]
	v_add_u32_e32 v2, s85, v2
	s_or_b64 s[90:91], vcc, s[90:91]
	v_mov_b32_e32 v8, s14
	v_mov_b32_e32 v9, s13
	;; [unrolled: 1-line block ×4, first 2 shown]
	s_andn2_b64 exec, exec, s[90:91]
	s_cbranch_execnz .LBB42_59
; %bb.60:                               ;   in Loop: Header=BB42_8 Depth=1
	s_or_b64 exec, exec, s[90:91]
.LBB42_61:                              ;   in Loop: Header=BB42_8 Depth=1
	s_or_b64 exec, exec, s[88:89]
	v_add_u32_e32 v2, s81, v0
	v_cmp_gt_i32_e32 vcc, s7, v2
	s_and_saveexec_b64 s[28:29], vcc
	s_cbranch_execz .LBB42_65
; %bb.62:                               ;   in Loop: Header=BB42_8 Depth=1
	s_and_b32 s10, s87, 0xfe
	s_waitcnt vmcnt(0)
	v_lshlrev_b32_e32 v4, 3, v2
	s_mov_b64 s[30:31], 0
.LBB42_63:                              ;   Parent Loop BB42_8 Depth=1
                                        ; =>  This Inner Loop Header: Depth=2
	ds_read_b64 v[12:13], v4
	v_add_u32_e32 v2, s33, v2
	v_cmp_le_i32_e32 vcc, s7, v2
	v_add_u32_e32 v4, s86, v4
	s_waitcnt lgkmcnt(0)
	v_ashrrev_i32_e32 v5, 31, v13
	v_or_b32_e32 v14, 0x80000000, v5
	v_xor_b32_e32 v5, v5, v12
	v_cmp_o_f64_e64 s[18:19], v[12:13], v[12:13]
	v_xor_b32_e32 v13, v14, v13
	v_cndmask_b32_e64 v12, -1, v5, s[18:19]
	v_cndmask_b32_e64 v13, -1, v13, s[18:19]
	v_and_b32_e32 v14, s92, v12
	v_and_b32_e32 v15, s93, v13
	v_lshrrev_b64 v[12:13], s10, v[12:13]
	v_and_b32_e32 v18, 3, v12
	v_cmp_eq_u64_e64 s[18:19], s[94:95], v[14:15]
	v_cmp_eq_u64_e64 s[20:21], 0, v[18:19]
	;; [unrolled: 1-line block ×3, first 2 shown]
	s_and_b64 s[12:13], s[18:19], s[20:21]
	v_cmp_eq_u64_e64 s[24:25], 2, v[18:19]
	v_cndmask_b32_e64 v5, 0, 1, s[12:13]
	s_and_b64 s[12:13], s[18:19], s[22:23]
	v_cmp_eq_u64_e64 s[26:27], 3, v[18:19]
	v_cndmask_b32_e64 v12, 0, 1, s[12:13]
	s_and_b64 s[12:13], s[18:19], s[24:25]
	v_cndmask_b32_e64 v13, 0, 1, s[12:13]
	s_and_b64 s[12:13], s[18:19], s[26:27]
	v_cndmask_b32_e64 v14, 0, 1, s[12:13]
	v_cmp_ne_u32_e64 s[18:19], 0, v5
	v_cmp_ne_u32_e64 s[20:21], 0, v12
	;; [unrolled: 1-line block ×4, first 2 shown]
	s_bcnt1_i32_b64 s11, s[18:19]
	s_bcnt1_i32_b64 s12, s[20:21]
	;; [unrolled: 1-line block ×4, first 2 shown]
	v_add_u32_e32 v8, s11, v8
	v_add_u32_e32 v9, s12, v9
	;; [unrolled: 1-line block ×3, first 2 shown]
	s_or_b64 s[30:31], vcc, s[30:31]
	v_add_u32_e32 v11, s14, v11
	s_andn2_b64 exec, exec, s[30:31]
	s_cbranch_execnz .LBB42_63
; %bb.64:                               ;   in Loop: Header=BB42_8 Depth=1
	s_or_b64 exec, exec, s[30:31]
	s_or_b64 s[74:75], s[74:75], exec
.LBB42_65:                              ;   in Loop: Header=BB42_8 Depth=1
	s_or_b64 exec, exec, s[28:29]
.LBB42_66:                              ;   in Loop: Header=BB42_8 Depth=1
	s_and_saveexec_b64 s[18:19], s[74:75]
	s_or_b64 exec, exec, s[18:19]
	s_lshl_b32 s7, s6, 6
	s_and_saveexec_b64 s[18:19], s[2:3]
	s_cbranch_execz .LBB42_68
; %bb.67:                               ;   in Loop: Header=BB42_8 Depth=1
	v_or_b32_e32 v2, s7, v33
	v_lshlrev_b32_e32 v2, 2, v2
	ds_write_b128 v2, v[8:11] offset:3072
.LBB42_68:                              ;   in Loop: Header=BB42_8 Depth=1
	s_or_b64 exec, exec, s[18:19]
	s_waitcnt lgkmcnt(0)
	s_barrier
	s_and_saveexec_b64 s[18:19], s[82:83]
	s_cbranch_execz .LBB42_82
; %bb.69:                               ;   in Loop: Header=BB42_8 Depth=1
	v_readlane_b32 s10, v54, 34
	v_readlane_b32 s11, v54, 35
	v_add_u32_e32 v2, s7, v23
	s_andn2_b64 vcc, exec, s[10:11]
	s_waitcnt vmcnt(0)
	v_mov_b32_e32 v4, 0
	s_cbranch_vccnz .LBB42_81
; %bb.70:                               ;   in Loop: Header=BB42_8 Depth=1
	v_readlane_b32 s12, v54, 38
	v_readlane_b32 s13, v54, 39
	s_mov_b32 s10, 0
	s_and_b64 vcc, exec, s[12:13]
	v_mov_b32_e32 v4, 0
	s_cbranch_vccz .LBB42_74
; %bb.71:                               ;   in Loop: Header=BB42_8 Depth=1
	v_readlane_b32 s10, v54, 44
	v_readlane_b32 s11, v54, 45
	v_lshl_add_u32 v8, v2, 2, v43
	s_andn2_b64 vcc, exec, s[10:11]
	s_cbranch_vccnz .LBB42_75
; %bb.72:                               ;   in Loop: Header=BB42_8 Depth=1
	s_mov_b32 s21, 1
	s_mov_b32 s20, 0
	v_mov_b32_e32 v4, 0
	v_readlane_b32 s10, v54, 46
	v_mov_b32_e32 v5, 0
.LBB42_73:                              ;   Parent Loop BB42_8 Depth=1
                                        ; =>  This Inner Loop Header: Depth=2
	v_lshl_add_u32 v9, s20, 4, v8
	v_lshl_add_u32 v18, s21, 4, v8
	ds_read2_b32 v[10:11], v9 offset1:8
	ds_read2_b32 v[12:13], v18 offset1:8
	ds_read2_b32 v[14:15], v9 offset0:16 offset1:24
	ds_read2_b32 v[26:27], v18 offset0:16 offset1:24
	;; [unrolled: 1-line block ×6, first 2 shown]
	s_waitcnt lgkmcnt(7)
	v_add3_u32 v4, v10, v4, v11
	s_waitcnt lgkmcnt(6)
	v_add3_u32 v5, v12, v5, v13
	;; [unrolled: 2-line block ×3, first 2 shown]
	v_add3_u32 v4, v14, v4, v15
	s_add_i32 s21, s21, 16
	s_add_i32 s20, s20, 16
	s_add_i32 s10, s10, -8
	s_waitcnt lgkmcnt(3)
	v_add3_u32 v4, v28, v4, v29
	s_waitcnt lgkmcnt(2)
	v_add3_u32 v5, v44, v5, v45
	s_cmp_lg_u32 s10, 0
	s_waitcnt lgkmcnt(0)
	v_add3_u32 v5, v48, v5, v49
	v_add3_u32 v4, v46, v4, v47
	s_cbranch_scc1 .LBB42_73
	s_branch .LBB42_76
.LBB42_74:                              ;   in Loop: Header=BB42_8 Depth=1
	s_cbranch_execnz .LBB42_79
	s_branch .LBB42_81
.LBB42_75:                              ;   in Loop: Header=BB42_8 Depth=1
	s_mov_b32 s81, s80
	v_pk_mov_b32 v[4:5], s[80:81], s[80:81] op_sel:[0,1]
	s_mov_b32 s81, 1
	s_mov_b64 s[20:21], s[80:81]
.LBB42_76:                              ;   in Loop: Header=BB42_8 Depth=1
	v_readlane_b32 s10, v54, 48
	v_readlane_b32 s11, v54, 49
	s_andn2_b64 vcc, exec, s[10:11]
	v_readlane_b32 s10, v54, 47
	s_cbranch_vccnz .LBB42_78
.LBB42_77:                              ;   Parent Loop BB42_8 Depth=1
                                        ; =>  This Inner Loop Header: Depth=2
	v_lshl_add_u32 v9, s20, 4, v8
	v_lshl_add_u32 v10, s21, 4, v8
	ds_read_b32 v10, v10
	ds_read_b32 v9, v9
	s_add_i32 s21, s21, 2
	s_add_i32 s20, s20, 2
	s_add_i32 s10, s10, -1
	s_cmp_lg_u32 s10, 0
	s_waitcnt lgkmcnt(1)
	v_add_u32_e32 v5, v10, v5
	s_waitcnt lgkmcnt(0)
	v_add_u32_e32 v4, v9, v4
	s_cbranch_scc1 .LBB42_77
.LBB42_78:                              ;   in Loop: Header=BB42_8 Depth=1
	v_readlane_b32 s20, v54, 52
	v_add_u32_e32 v4, v4, v5
	v_readlane_b32 s10, v54, 51
	v_readlane_b32 s21, v54, 53
	s_and_b64 vcc, exec, s[20:21]
	s_cbranch_vccz .LBB42_81
.LBB42_79:                              ;   in Loop: Header=BB42_8 Depth=1
	s_lshl_b32 s11, s6, 8
	s_lshl_b32 s12, s10, 4
	s_add_i32 s11, s11, s12
	v_add_u32_e32 v5, s11, v42
	v_readlane_b32 s11, v54, 50
	s_sub_i32 s10, s11, s10
.LBB42_80:                              ;   Parent Loop BB42_8 Depth=1
                                        ; =>  This Inner Loop Header: Depth=2
	ds_read_b32 v8, v5
	s_add_i32 s10, s10, -1
	v_add_u32_e32 v5, 16, v5
	s_cmp_eq_u32 s10, 0
	s_waitcnt lgkmcnt(0)
	v_add_u32_e32 v4, v8, v4
	s_cbranch_scc0 .LBB42_80
.LBB42_81:                              ;   in Loop: Header=BB42_8 Depth=1
	v_lshlrev_b32_e32 v2, 2, v2
	ds_write_b32 v2, v4 offset:3072
.LBB42_82:                              ;   in Loop: Header=BB42_8 Depth=1
	s_or_b64 exec, exec, s[18:19]
	s_lshl_b32 s7, s7, 2
	v_mov_b32_e32 v2, s7
	s_waitcnt lgkmcnt(0)
	s_barrier
	ds_read_b128 v[8:11], v2 offset:3072
	s_and_b32 s51, s87, 0xfe
	s_lshl_b64 s[20:21], 3, s51
	s_not_b64 s[30:31], s[20:21]
	s_mov_b64 s[24:25], -1
	s_waitcnt lgkmcnt(0)
	v_readfirstlane_b32 s38, v8
	s_cmp_eq_u32 s38, 1
	s_cselect_b64 s[10:11], -1, 0
	s_cmp_eq_u32 s69, 1
	s_cselect_b64 s[12:13], -1, 0
	s_and_b64 s[26:27], s[10:11], s[12:13]
	v_readfirstlane_b32 s42, v9
	v_readfirstlane_b32 s50, v10
	;; [unrolled: 1-line block ×3, first 2 shown]
	s_and_b64 vcc, exec, s[26:27]
	s_cbranch_vccz .LBB42_94
; %bb.83:                               ;   in Loop: Header=BB42_8 Depth=1
	ds_read_b32 v2, v19 offset:4096
	s_waitcnt lgkmcnt(0)
	s_barrier
	v_readfirstlane_b32 s10, v2
	s_and_saveexec_b64 s[18:19], s[4:5]
	s_cbranch_execz .LBB42_85
; %bb.84:                               ;   in Loop: Header=BB42_8 Depth=1
	v_mov_b32_e32 v18, v19
	ds_write_b64 v32, v[18:19]
.LBB42_85:                              ;   in Loop: Header=BB42_8 Depth=1
	s_or_b64 exec, exec, s[18:19]
	s_and_b64 s[94:95], s[94:95], s[30:31]
	s_or_b64 s[92:93], s[92:93], s[20:21]
	s_cmp_lt_i32 s10, 1
	s_waitcnt lgkmcnt(0)
	s_barrier
	s_cbranch_scc0 .LBB42_95
; %bb.86:                               ;   in Loop: Header=BB42_8 Depth=1
	s_mov_b64 s[18:19], 0
                                        ; implicit-def: $vgpr6_vgpr7
	s_mov_b64 s[22:23], exec
	v_readlane_b32 s12, v54, 61
	v_readlane_b32 s13, v54, 62
	s_and_b64 s[12:13], s[22:23], s[12:13]
	s_mov_b64 exec, s[12:13]
	s_cbranch_execz .LBB42_97
; %bb.87:                               ;   in Loop: Header=BB42_8 Depth=1
	s_mov_b64 s[34:35], 0
	v_mov_b32_e32 v8, v16
	v_mov_b32_e32 v10, v0
                                        ; implicit-def: $sgpr28_sgpr29
	s_branch .LBB42_89
.LBB42_88:                              ;   in Loop: Header=BB42_89 Depth=2
	s_or_b64 exec, exec, s[18:19]
	s_waitcnt lgkmcnt(0)
	s_barrier
	s_waitcnt vmcnt(0)
	ds_read_b128 v[4:7], v19 offset:3072
	v_add_u32_e32 v10, s33, v10
	v_cmp_le_i32_e64 s[18:19], s17, v10
	v_add_u32_e32 v8, s0, v8
	s_waitcnt lgkmcnt(0)
	v_cmp_neq_f64_e32 vcc, 0, v[4:5]
	s_or_b64 s[12:13], s[18:19], vcc
	s_and_b64 s[12:13], exec, s[12:13]
	s_or_b64 s[34:35], s[12:13], s[34:35]
	s_andn2_b64 s[12:13], s[28:29], exec
	s_and_b64 s[14:15], vcc, exec
	s_or_b64 s[28:29], s[12:13], s[14:15]
	s_barrier
	s_andn2_b64 exec, exec, s[34:35]
	s_cbranch_execz .LBB42_96
.LBB42_89:                              ;   Parent Loop BB42_8 Depth=1
                                        ; =>  This Inner Loop Header: Depth=2
	v_cmp_gt_i32_e32 vcc, s68, v10
	s_waitcnt vmcnt(0)
	v_pk_mov_b32 v[4:5], 0, 0
	s_and_saveexec_b64 s[36:37], vcc
	s_cbranch_execz .LBB42_91
; %bb.90:                               ;   in Loop: Header=BB42_89 Depth=2
	v_ashrrev_i32_e32 v9, 31, v8
	v_lshlrev_b64 v[4:5], 3, v[8:9]
	v_mov_b32_e32 v2, s16
	v_add_co_u32_e64 v4, s[18:19], s70, v4
	v_addc_co_u32_e64 v5, s[18:19], v2, v5, s[18:19]
	global_load_dwordx2 v[4:5], v[4:5], off
.LBB42_91:                              ;   in Loop: Header=BB42_89 Depth=2
	s_or_b64 exec, exec, s[36:37]
	s_and_saveexec_b64 s[18:19], vcc
	s_cbranch_execz .LBB42_88
; %bb.92:                               ;   in Loop: Header=BB42_89 Depth=2
	s_waitcnt vmcnt(0)
	v_ashrrev_i32_e32 v2, 31, v5
	v_or_b32_e32 v6, 0x80000000, v2
	v_xor_b32_e32 v6, v6, v5
	v_xor_b32_e32 v2, v2, v4
	v_cmp_o_f64_e32 vcc, v[4:5], v[4:5]
	v_cndmask_b32_e32 v6, -1, v6, vcc
	v_cndmask_b32_e32 v2, -1, v2, vcc
	v_and_b32_e32 v7, s93, v6
	v_and_b32_e32 v6, s92, v2
	v_cmp_eq_u64_e32 vcc, s[94:95], v[6:7]
	s_and_b64 exec, exec, vcc
	s_cbranch_execz .LBB42_88
; %bb.93:                               ;   in Loop: Header=BB42_89 Depth=2
	v_mov_b32_e32 v2, v19
	ds_write_b128 v19, v[2:5] offset:3072
	s_branch .LBB42_88
.LBB42_94:                              ;   in Loop: Header=BB42_8 Depth=1
	s_mov_b64 s[18:19], -1
                                        ; implicit-def: $sgpr22_sgpr23
                                        ; implicit-def: $sgpr34_sgpr35
                                        ; implicit-def: $sgpr28_sgpr29
	s_branch .LBB42_108
.LBB42_95:                              ;   in Loop: Header=BB42_8 Depth=1
	s_mov_b64 s[22:23], -1
	s_mov_b64 s[18:19], 0
                                        ; implicit-def: $sgpr28_sgpr29
                                        ; implicit-def: $vgpr6_vgpr7
	s_mov_b64 s[34:35], s[22:23]
	s_cbranch_execnz .LBB42_98
	s_branch .LBB42_108
.LBB42_96:                              ;   in Loop: Header=BB42_8 Depth=1
	s_or_b64 exec, exec, s[34:35]
	s_and_b64 s[18:19], s[28:29], exec
.LBB42_97:                              ;   in Loop: Header=BB42_8 Depth=1
	s_or_b64 exec, exec, s[22:23]
	s_mov_b64 s[28:29], -1
	s_mov_b64 s[22:23], 0
	s_mov_b64 s[34:35], s[22:23]
	s_branch .LBB42_108
.LBB42_98:                              ;   in Loop: Header=BB42_8 Depth=1
	v_readlane_b32 s11, v54, 31
	s_add_i32 s11, s10, s11
	s_abs_i32 s13, s11
	v_readlane_b32 s14, v54, 60
	s_mul_hi_u32 s14, s13, s14
	s_mul_i32 s14, s14, s33
	s_sub_i32 s13, s13, s14
	s_ashr_i32 s12, s11, 31
	s_sub_i32 s14, s13, s33
	s_cmp_ge_u32 s13, s33
	s_cselect_b32 s13, s14, s13
	s_sub_i32 s14, s13, s33
	s_cmp_ge_u32 s13, s33
	s_cselect_b32 s13, s14, s13
	s_xor_b32 s13, s13, s12
	s_sub_i32 s12, s12, s13
	s_add_i32 s11, s11, s12
	v_cmp_gt_i32_e32 vcc, s11, v0
	s_mov_b64 s[18:19], 0
                                        ; implicit-def: $vgpr6_vgpr7
	s_and_saveexec_b64 s[22:23], vcc
	s_cbranch_execz .LBB42_107
; %bb.99:                               ;   in Loop: Header=BB42_8 Depth=1
	s_mov_b64 s[34:35], 0
	v_mov_b32_e32 v8, v31
	v_mov_b32_e32 v9, v0
                                        ; implicit-def: $sgpr28_sgpr29
	s_branch .LBB42_101
.LBB42_100:                             ;   in Loop: Header=BB42_101 Depth=2
	s_or_b64 exec, exec, s[18:19]
	s_waitcnt lgkmcnt(0)
	s_barrier
	ds_read_b128 v[4:7], v19 offset:3072
	v_add_u32_e32 v9, s33, v9
	v_cmp_le_i32_e64 s[18:19], s11, v9
	v_add_u32_e32 v8, s86, v8
	s_waitcnt lgkmcnt(0)
	v_cmp_neq_f64_e32 vcc, 0, v[4:5]
	s_or_b64 s[12:13], s[18:19], vcc
	s_and_b64 s[12:13], exec, s[12:13]
	s_or_b64 s[34:35], s[12:13], s[34:35]
	s_andn2_b64 s[12:13], s[28:29], exec
	s_and_b64 s[14:15], vcc, exec
	s_or_b64 s[28:29], s[12:13], s[14:15]
	s_barrier
	s_andn2_b64 exec, exec, s[34:35]
	s_cbranch_execz .LBB42_106
.LBB42_101:                             ;   Parent Loop BB42_8 Depth=1
                                        ; =>  This Inner Loop Header: Depth=2
	v_cmp_gt_i32_e32 vcc, s10, v9
	s_waitcnt vmcnt(0)
	v_pk_mov_b32 v[4:5], 0, 0
	s_and_saveexec_b64 s[18:19], vcc
	s_cbranch_execz .LBB42_103
; %bb.102:                              ;   in Loop: Header=BB42_101 Depth=2
	ds_read_b64 v[4:5], v8
.LBB42_103:                             ;   in Loop: Header=BB42_101 Depth=2
	s_or_b64 exec, exec, s[18:19]
	s_and_saveexec_b64 s[18:19], vcc
	s_cbranch_execz .LBB42_100
; %bb.104:                              ;   in Loop: Header=BB42_101 Depth=2
	s_waitcnt lgkmcnt(0)
	v_ashrrev_i32_e32 v2, 31, v5
	v_or_b32_e32 v6, 0x80000000, v2
	v_xor_b32_e32 v6, v6, v5
	v_xor_b32_e32 v2, v2, v4
	v_cmp_o_f64_e32 vcc, v[4:5], v[4:5]
	v_cndmask_b32_e32 v6, -1, v6, vcc
	v_cndmask_b32_e32 v2, -1, v2, vcc
	v_and_b32_e32 v7, s93, v6
	v_and_b32_e32 v6, s92, v2
	v_cmp_eq_u64_e32 vcc, s[94:95], v[6:7]
	s_and_b64 exec, exec, vcc
	s_cbranch_execz .LBB42_100
; %bb.105:                              ;   in Loop: Header=BB42_101 Depth=2
	v_mov_b32_e32 v2, v19
	ds_write_b128 v19, v[2:5] offset:3072
	s_branch .LBB42_100
.LBB42_106:                             ;   in Loop: Header=BB42_8 Depth=1
	s_or_b64 exec, exec, s[34:35]
	s_and_b64 s[18:19], s[28:29], exec
.LBB42_107:                             ;   in Loop: Header=BB42_8 Depth=1
	s_or_b64 exec, exec, s[22:23]
	s_mov_b64 s[34:35], -1
	s_mov_b64 s[22:23], 0
	s_mov_b64 s[28:29], 0
.LBB42_108:                             ;   in Loop: Header=BB42_8 Depth=1
	s_andn2_b64 s[10:11], s[76:77], exec
	s_and_b64 s[12:13], s[22:23], exec
	s_or_b64 s[76:77], s[10:11], s[12:13]
	s_andn2_b64 s[10:11], s[72:73], exec
	s_and_b64 s[12:13], s[34:35], exec
	s_or_b64 s[72:73], s[10:11], s[12:13]
	;; [unrolled: 3-line block ×3, first 2 shown]
	s_and_saveexec_b64 s[22:23], s[18:19]
	s_cbranch_execz .LBB42_7
; %bb.109:                              ;   in Loop: Header=BB42_8 Depth=1
	s_xor_b64 s[10:11], s[26:27], -1
	s_mov_b64 s[18:19], 0
	s_andn2_b64 vcc, exec, s[10:11]
	s_mov_b32 s43, 1
	s_cbranch_vccnz .LBB42_120
; %bb.110:                              ;   in Loop: Header=BB42_8 Depth=1
	s_cmp_gt_i32 s69, s38
	s_mov_b64 s[18:19], -1
                                        ; implicit-def: $sgpr57
                                        ; implicit-def: $sgpr24_sgpr25
                                        ; implicit-def: $sgpr26_sgpr27
	s_cbranch_scc1 .LBB42_116
; %bb.111:                              ;   in Loop: Header=BB42_8 Depth=1
	ds_read_b32 v2, v19 offset:4096
	s_waitcnt lgkmcnt(0)
	v_cmp_ne_u32_e32 vcc, 0, v2
	s_cbranch_vccnz .LBB42_115
; %bb.112:                              ;   in Loop: Header=BB42_8 Depth=1
	s_mov_b64 s[18:19], exec
	v_readlane_b32 s10, v54, 18
	v_readlane_b32 s11, v54, 19
	s_and_b64 s[10:11], s[18:19], s[10:11]
	s_mov_b64 exec, s[10:11]
	s_cbranch_execz .LBB42_114
; %bb.113:                              ;   in Loop: Header=BB42_8 Depth=1
	v_mov_b32_e32 v2, s38
	ds_write_b32 v19, v2 offset:4100
.LBB42_114:                             ;   in Loop: Header=BB42_8 Depth=1
	s_or_b64 exec, exec, s[18:19]
	s_waitcnt lgkmcnt(0)
	s_barrier
.LBB42_115:                             ;   in Loop: Header=BB42_8 Depth=1
	s_and_b64 s[24:25], s[94:95], s[30:31]
	s_or_b64 s[26:27], s[92:93], s[20:21]
	s_mov_b64 s[18:19], 0
	s_mov_b32 s57, 8
.LBB42_116:                             ;   in Loop: Header=BB42_8 Depth=1
	s_andn2_b64 vcc, exec, s[18:19]
	s_cbranch_vccnz .LBB42_118
; %bb.117:                              ;   in Loop: Header=BB42_8 Depth=1
	s_sub_i32 s69, s69, s38
	s_mov_b64 s[18:19], -1
	s_mov_b32 s57, 0
	s_mov_b64 s[24:25], s[94:95]
	s_mov_b64 s[26:27], s[92:93]
.LBB42_118:                             ;   in Loop: Header=BB42_8 Depth=1
	s_mov_b64 s[92:93], s[26:27]
	s_mov_b64 s[94:95], s[24:25]
	s_mov_b32 s43, s69
	s_mov_b64 s[24:25], -1
	s_and_b64 vcc, exec, s[18:19]
	s_cbranch_vccnz .LBB42_121
.LBB42_119:                             ;   in Loop: Header=BB42_8 Depth=1
	s_mov_b64 s[40:41], -1
                                        ; implicit-def: $sgpr26_sgpr27
                                        ; implicit-def: $sgpr34_sgpr35
                                        ; implicit-def: $sgpr28_sgpr29
	s_and_saveexec_b64 s[10:11], s[40:41]
	s_xor_b64 s[18:19], exec, s[10:11]
	s_cbranch_execz .LBB42_6
	s_branch .LBB42_244
.LBB42_120:                             ;   in Loop: Header=BB42_8 Depth=1
	s_mov_b32 s57, 1
	s_mov_b64 s[24:25], -1
	s_and_b64 vcc, exec, s[18:19]
	s_cbranch_vccz .LBB42_119
.LBB42_121:                             ;   in Loop: Header=BB42_8 Depth=1
	s_cmp_eq_u32 s42, 1
	s_cselect_b64 s[10:11], -1, 0
	s_cmp_eq_u32 s43, 1
	s_cselect_b64 s[12:13], -1, 0
	s_and_b64 s[38:39], s[10:11], s[12:13]
	s_mov_b64 s[18:19], -1
	s_and_b64 vcc, exec, s[38:39]
	s_cbranch_vccz .LBB42_133
; %bb.122:                              ;   in Loop: Header=BB42_8 Depth=1
	ds_read_b32 v2, v19 offset:4096
	s_waitcnt lgkmcnt(0)
	s_barrier
	v_readfirstlane_b32 s10, v2
	s_and_saveexec_b64 s[18:19], s[4:5]
	s_cbranch_execz .LBB42_124
; %bb.123:                              ;   in Loop: Header=BB42_8 Depth=1
	v_mov_b32_e32 v18, v19
	ds_write_b64 v32, v[18:19]
.LBB42_124:                             ;   in Loop: Header=BB42_8 Depth=1
	s_or_b64 exec, exec, s[18:19]
	s_lshl_b64 s[12:13], 1, s51
	s_and_b64 s[14:15], s[94:95], s[30:31]
	s_or_b64 s[94:95], s[14:15], s[12:13]
	s_or_b64 s[92:93], s[92:93], s[20:21]
	s_cmp_gt_i32 s10, 0
	s_waitcnt lgkmcnt(0)
	s_barrier
	s_cbranch_scc1 .LBB42_134
; %bb.125:                              ;   in Loop: Header=BB42_8 Depth=1
	s_mov_b64 s[18:19], 0
                                        ; implicit-def: $vgpr6_vgpr7
	s_mov_b64 s[26:27], exec
	v_readlane_b32 s12, v54, 61
	v_readlane_b32 s13, v54, 62
	s_and_b64 s[12:13], s[26:27], s[12:13]
	s_mov_b64 exec, s[12:13]
	s_cbranch_execz .LBB42_136
; %bb.126:                              ;   in Loop: Header=BB42_8 Depth=1
	s_mov_b64 s[34:35], 0
	v_mov_b32_e32 v8, v16
	v_mov_b32_e32 v10, v0
                                        ; implicit-def: $sgpr28_sgpr29
	s_branch .LBB42_128
.LBB42_127:                             ;   in Loop: Header=BB42_128 Depth=2
	s_or_b64 exec, exec, s[18:19]
	s_waitcnt lgkmcnt(0)
	s_barrier
	s_waitcnt vmcnt(0)
	ds_read_b128 v[4:7], v19 offset:3072
	v_add_u32_e32 v10, s33, v10
	v_cmp_le_i32_e64 s[18:19], s17, v10
	v_add_u32_e32 v8, s0, v8
	s_waitcnt lgkmcnt(0)
	v_cmp_neq_f64_e32 vcc, 0, v[4:5]
	s_or_b64 s[12:13], s[18:19], vcc
	s_and_b64 s[12:13], exec, s[12:13]
	s_or_b64 s[34:35], s[12:13], s[34:35]
	s_andn2_b64 s[12:13], s[28:29], exec
	s_and_b64 s[14:15], vcc, exec
	s_or_b64 s[28:29], s[12:13], s[14:15]
	s_barrier
	s_andn2_b64 exec, exec, s[34:35]
	s_cbranch_execz .LBB42_135
.LBB42_128:                             ;   Parent Loop BB42_8 Depth=1
                                        ; =>  This Inner Loop Header: Depth=2
	v_cmp_gt_i32_e32 vcc, s68, v10
	s_waitcnt vmcnt(0)
	v_pk_mov_b32 v[4:5], 0, 0
	s_and_saveexec_b64 s[36:37], vcc
	s_cbranch_execz .LBB42_130
; %bb.129:                              ;   in Loop: Header=BB42_128 Depth=2
	v_ashrrev_i32_e32 v9, 31, v8
	v_lshlrev_b64 v[4:5], 3, v[8:9]
	v_mov_b32_e32 v2, s16
	v_add_co_u32_e64 v4, s[18:19], s70, v4
	v_addc_co_u32_e64 v5, s[18:19], v2, v5, s[18:19]
	global_load_dwordx2 v[4:5], v[4:5], off
.LBB42_130:                             ;   in Loop: Header=BB42_128 Depth=2
	s_or_b64 exec, exec, s[36:37]
	s_and_saveexec_b64 s[18:19], vcc
	s_cbranch_execz .LBB42_127
; %bb.131:                              ;   in Loop: Header=BB42_128 Depth=2
	s_waitcnt vmcnt(0)
	v_ashrrev_i32_e32 v2, 31, v5
	v_or_b32_e32 v6, 0x80000000, v2
	v_xor_b32_e32 v6, v6, v5
	v_xor_b32_e32 v2, v2, v4
	v_cmp_o_f64_e32 vcc, v[4:5], v[4:5]
	v_cndmask_b32_e32 v6, -1, v6, vcc
	v_cndmask_b32_e32 v2, -1, v2, vcc
	v_and_b32_e32 v7, s93, v6
	v_and_b32_e32 v6, s92, v2
	v_cmp_eq_u64_e32 vcc, s[94:95], v[6:7]
	s_and_b64 exec, exec, vcc
	s_cbranch_execz .LBB42_127
; %bb.132:                              ;   in Loop: Header=BB42_128 Depth=2
	v_mov_b32_e32 v2, v19
	ds_write_b128 v19, v[2:5] offset:3072
	s_branch .LBB42_127
.LBB42_133:                             ;   in Loop: Header=BB42_8 Depth=1
                                        ; implicit-def: $sgpr28_sgpr29
                                        ; implicit-def: $sgpr34_sgpr35
                                        ; implicit-def: $sgpr26_sgpr27
	s_branch .LBB42_147
.LBB42_134:                             ;   in Loop: Header=BB42_8 Depth=1
	s_mov_b64 s[28:29], -1
	s_mov_b64 s[18:19], 0
                                        ; implicit-def: $sgpr26_sgpr27
                                        ; implicit-def: $vgpr6_vgpr7
	s_mov_b64 s[34:35], s[28:29]
	s_cbranch_execnz .LBB42_137
	s_branch .LBB42_147
.LBB42_135:                             ;   in Loop: Header=BB42_8 Depth=1
	s_or_b64 exec, exec, s[34:35]
	s_and_b64 s[18:19], s[28:29], exec
.LBB42_136:                             ;   in Loop: Header=BB42_8 Depth=1
	s_or_b64 exec, exec, s[26:27]
	s_mov_b64 s[26:27], -1
	s_mov_b64 s[28:29], 0
	s_mov_b64 s[34:35], s[28:29]
	s_branch .LBB42_147
.LBB42_137:                             ;   in Loop: Header=BB42_8 Depth=1
	v_readlane_b32 s11, v54, 31
	s_add_i32 s11, s10, s11
	s_abs_i32 s13, s11
	v_readlane_b32 s14, v54, 60
	s_mul_hi_u32 s14, s13, s14
	s_mul_i32 s14, s14, s33
	s_sub_i32 s13, s13, s14
	s_ashr_i32 s12, s11, 31
	s_sub_i32 s14, s13, s33
	s_cmp_ge_u32 s13, s33
	s_cselect_b32 s13, s14, s13
	s_sub_i32 s14, s13, s33
	s_cmp_ge_u32 s13, s33
	s_cselect_b32 s13, s14, s13
	s_xor_b32 s13, s13, s12
	s_sub_i32 s12, s12, s13
	s_add_i32 s11, s11, s12
	v_cmp_gt_i32_e32 vcc, s11, v0
	s_mov_b64 s[18:19], 0
                                        ; implicit-def: $vgpr6_vgpr7
	s_and_saveexec_b64 s[26:27], vcc
	s_cbranch_execz .LBB42_146
; %bb.138:                              ;   in Loop: Header=BB42_8 Depth=1
	s_mov_b64 s[34:35], 0
	v_mov_b32_e32 v8, v31
	v_mov_b32_e32 v9, v0
                                        ; implicit-def: $sgpr28_sgpr29
	s_branch .LBB42_140
.LBB42_139:                             ;   in Loop: Header=BB42_140 Depth=2
	s_or_b64 exec, exec, s[18:19]
	s_waitcnt lgkmcnt(0)
	s_barrier
	ds_read_b128 v[4:7], v19 offset:3072
	v_add_u32_e32 v9, s33, v9
	v_cmp_le_i32_e64 s[18:19], s11, v9
	v_add_u32_e32 v8, s86, v8
	s_waitcnt lgkmcnt(0)
	v_cmp_neq_f64_e32 vcc, 0, v[4:5]
	s_or_b64 s[12:13], s[18:19], vcc
	s_and_b64 s[12:13], exec, s[12:13]
	s_or_b64 s[34:35], s[12:13], s[34:35]
	s_andn2_b64 s[12:13], s[28:29], exec
	s_and_b64 s[14:15], vcc, exec
	s_or_b64 s[28:29], s[12:13], s[14:15]
	s_barrier
	s_andn2_b64 exec, exec, s[34:35]
	s_cbranch_execz .LBB42_145
.LBB42_140:                             ;   Parent Loop BB42_8 Depth=1
                                        ; =>  This Inner Loop Header: Depth=2
	v_cmp_gt_i32_e32 vcc, s10, v9
	s_waitcnt vmcnt(0)
	v_pk_mov_b32 v[4:5], 0, 0
	s_and_saveexec_b64 s[18:19], vcc
	s_cbranch_execz .LBB42_142
; %bb.141:                              ;   in Loop: Header=BB42_140 Depth=2
	ds_read_b64 v[4:5], v8
.LBB42_142:                             ;   in Loop: Header=BB42_140 Depth=2
	s_or_b64 exec, exec, s[18:19]
	s_and_saveexec_b64 s[18:19], vcc
	s_cbranch_execz .LBB42_139
; %bb.143:                              ;   in Loop: Header=BB42_140 Depth=2
	s_waitcnt lgkmcnt(0)
	v_ashrrev_i32_e32 v2, 31, v5
	v_or_b32_e32 v6, 0x80000000, v2
	v_xor_b32_e32 v6, v6, v5
	v_xor_b32_e32 v2, v2, v4
	v_cmp_o_f64_e32 vcc, v[4:5], v[4:5]
	v_cndmask_b32_e32 v6, -1, v6, vcc
	v_cndmask_b32_e32 v2, -1, v2, vcc
	v_and_b32_e32 v7, s93, v6
	v_and_b32_e32 v6, s92, v2
	v_cmp_eq_u64_e32 vcc, s[94:95], v[6:7]
	s_and_b64 exec, exec, vcc
	s_cbranch_execz .LBB42_139
; %bb.144:                              ;   in Loop: Header=BB42_140 Depth=2
	v_mov_b32_e32 v2, v19
	ds_write_b128 v19, v[2:5] offset:3072
	s_branch .LBB42_139
.LBB42_145:                             ;   in Loop: Header=BB42_8 Depth=1
	s_or_b64 exec, exec, s[34:35]
	s_and_b64 s[18:19], s[28:29], exec
.LBB42_146:                             ;   in Loop: Header=BB42_8 Depth=1
	s_or_b64 exec, exec, s[26:27]
	s_mov_b64 s[34:35], -1
	s_mov_b64 s[28:29], 0
	s_mov_b64 s[26:27], 0
.LBB42_147:                             ;   in Loop: Header=BB42_8 Depth=1
	s_mov_b64 s[40:41], 0
                                        ; implicit-def: $sgpr57
	s_and_saveexec_b64 s[36:37], s[18:19]
	s_cbranch_execz .LBB42_243
; %bb.148:                              ;   in Loop: Header=BB42_8 Depth=1
	s_xor_b64 s[10:11], s[38:39], -1
	s_mov_b64 s[18:19], 0
	s_andn2_b64 vcc, exec, s[10:11]
	s_mov_b32 s52, 1
	s_cbranch_vccnz .LBB42_159
; %bb.149:                              ;   in Loop: Header=BB42_8 Depth=1
	s_cmp_gt_i32 s43, s42
	s_mov_b64 s[18:19], -1
                                        ; implicit-def: $sgpr57
                                        ; implicit-def: $sgpr38_sgpr39
                                        ; implicit-def: $sgpr40_sgpr41
	s_cbranch_scc1 .LBB42_155
; %bb.150:                              ;   in Loop: Header=BB42_8 Depth=1
	ds_read_b32 v2, v19 offset:4096
	s_waitcnt lgkmcnt(0)
	v_cmp_ne_u32_e32 vcc, 0, v2
	s_cbranch_vccnz .LBB42_154
; %bb.151:                              ;   in Loop: Header=BB42_8 Depth=1
	s_mov_b64 s[18:19], exec
	v_readlane_b32 s10, v54, 18
	v_readlane_b32 s11, v54, 19
	s_and_b64 s[10:11], s[18:19], s[10:11]
	s_mov_b64 exec, s[10:11]
	s_cbranch_execz .LBB42_153
; %bb.152:                              ;   in Loop: Header=BB42_8 Depth=1
	v_mov_b32_e32 v2, s42
	ds_write_b32 v19, v2 offset:4100
.LBB42_153:                             ;   in Loop: Header=BB42_8 Depth=1
	s_or_b64 exec, exec, s[18:19]
	s_waitcnt lgkmcnt(0)
	s_barrier
.LBB42_154:                             ;   in Loop: Header=BB42_8 Depth=1
	s_lshl_b64 s[10:11], 1, s51
	s_and_b64 s[12:13], s[94:95], s[30:31]
	s_or_b64 s[38:39], s[12:13], s[10:11]
	s_or_b64 s[40:41], s[92:93], s[20:21]
	s_mov_b64 s[18:19], 0
	s_mov_b32 s57, 8
.LBB42_155:                             ;   in Loop: Header=BB42_8 Depth=1
	s_andn2_b64 vcc, exec, s[18:19]
	s_cbranch_vccnz .LBB42_157
; %bb.156:                              ;   in Loop: Header=BB42_8 Depth=1
	s_sub_i32 s43, s43, s42
	s_mov_b64 s[18:19], -1
	s_mov_b32 s57, 0
	s_mov_b64 s[38:39], s[94:95]
	s_mov_b64 s[40:41], s[92:93]
.LBB42_157:                             ;   in Loop: Header=BB42_8 Depth=1
	s_mov_b64 s[92:93], s[40:41]
	s_mov_b64 s[94:95], s[38:39]
	s_mov_b32 s52, s43
	s_andn2_b64 vcc, exec, s[18:19]
	s_mov_b64 s[48:49], -1
	s_cbranch_vccz .LBB42_160
.LBB42_158:                             ;   in Loop: Header=BB42_8 Depth=1
                                        ; implicit-def: $sgpr40_sgpr41
                                        ; implicit-def: $sgpr42_sgpr43
                                        ; implicit-def: $sgpr38_sgpr39
	s_branch .LBB42_242
.LBB42_159:                             ;   in Loop: Header=BB42_8 Depth=1
	s_mov_b32 s57, 1
	s_andn2_b64 vcc, exec, s[18:19]
	s_mov_b64 s[48:49], -1
	s_cbranch_vccnz .LBB42_158
.LBB42_160:                             ;   in Loop: Header=BB42_8 Depth=1
	s_cmp_eq_u32 s50, 1
	s_cselect_b64 s[10:11], -1, 0
	s_cmp_eq_u32 s52, 1
	s_cselect_b64 s[12:13], -1, 0
	s_and_b64 s[46:47], s[10:11], s[12:13]
	s_mov_b64 s[18:19], -1
	s_and_b64 vcc, exec, s[46:47]
	s_cbranch_vccz .LBB42_172
; %bb.161:                              ;   in Loop: Header=BB42_8 Depth=1
	ds_read_b32 v2, v19 offset:4096
	s_waitcnt lgkmcnt(0)
	s_barrier
	v_readfirstlane_b32 s10, v2
	s_and_saveexec_b64 s[18:19], s[4:5]
	s_cbranch_execz .LBB42_163
; %bb.162:                              ;   in Loop: Header=BB42_8 Depth=1
	v_mov_b32_e32 v18, v19
	ds_write_b64 v32, v[18:19]
.LBB42_163:                             ;   in Loop: Header=BB42_8 Depth=1
	s_or_b64 exec, exec, s[18:19]
	s_lshl_b64 s[12:13], 2, s51
	s_and_b64 s[14:15], s[94:95], s[30:31]
	s_or_b64 s[94:95], s[14:15], s[12:13]
	s_or_b64 s[92:93], s[92:93], s[20:21]
	s_cmp_gt_i32 s10, 0
	s_waitcnt lgkmcnt(0)
	s_barrier
	s_cbranch_scc1 .LBB42_173
; %bb.164:                              ;   in Loop: Header=BB42_8 Depth=1
	s_mov_b64 s[18:19], 0
                                        ; implicit-def: $vgpr6_vgpr7
	s_mov_b64 s[38:39], exec
	v_readlane_b32 s12, v54, 61
	v_readlane_b32 s13, v54, 62
	s_and_b64 s[12:13], s[38:39], s[12:13]
	s_mov_b64 exec, s[12:13]
	s_cbranch_execz .LBB42_175
; %bb.165:                              ;   in Loop: Header=BB42_8 Depth=1
	s_mov_b64 s[42:43], 0
	v_mov_b32_e32 v8, v16
	v_mov_b32_e32 v10, v0
                                        ; implicit-def: $sgpr40_sgpr41
	s_branch .LBB42_167
.LBB42_166:                             ;   in Loop: Header=BB42_167 Depth=2
	s_or_b64 exec, exec, s[18:19]
	s_waitcnt lgkmcnt(0)
	s_barrier
	s_waitcnt vmcnt(0)
	ds_read_b128 v[4:7], v19 offset:3072
	v_add_u32_e32 v10, s33, v10
	v_cmp_le_i32_e64 s[18:19], s17, v10
	v_add_u32_e32 v8, s0, v8
	s_waitcnt lgkmcnt(0)
	v_cmp_neq_f64_e32 vcc, 0, v[4:5]
	s_or_b64 s[12:13], s[18:19], vcc
	s_and_b64 s[12:13], exec, s[12:13]
	s_or_b64 s[42:43], s[12:13], s[42:43]
	s_andn2_b64 s[12:13], s[40:41], exec
	s_and_b64 s[14:15], vcc, exec
	s_or_b64 s[40:41], s[12:13], s[14:15]
	s_barrier
	s_andn2_b64 exec, exec, s[42:43]
	s_cbranch_execz .LBB42_174
.LBB42_167:                             ;   Parent Loop BB42_8 Depth=1
                                        ; =>  This Inner Loop Header: Depth=2
	v_cmp_gt_i32_e32 vcc, s68, v10
	s_waitcnt vmcnt(0)
	v_pk_mov_b32 v[4:5], 0, 0
	s_and_saveexec_b64 s[44:45], vcc
	s_cbranch_execz .LBB42_169
; %bb.168:                              ;   in Loop: Header=BB42_167 Depth=2
	v_ashrrev_i32_e32 v9, 31, v8
	v_lshlrev_b64 v[4:5], 3, v[8:9]
	v_mov_b32_e32 v2, s16
	v_add_co_u32_e64 v4, s[18:19], s70, v4
	v_addc_co_u32_e64 v5, s[18:19], v2, v5, s[18:19]
	global_load_dwordx2 v[4:5], v[4:5], off
.LBB42_169:                             ;   in Loop: Header=BB42_167 Depth=2
	s_or_b64 exec, exec, s[44:45]
	s_and_saveexec_b64 s[18:19], vcc
	s_cbranch_execz .LBB42_166
; %bb.170:                              ;   in Loop: Header=BB42_167 Depth=2
	s_waitcnt vmcnt(0)
	v_ashrrev_i32_e32 v2, 31, v5
	v_or_b32_e32 v6, 0x80000000, v2
	v_xor_b32_e32 v6, v6, v5
	v_xor_b32_e32 v2, v2, v4
	v_cmp_o_f64_e32 vcc, v[4:5], v[4:5]
	v_cndmask_b32_e32 v6, -1, v6, vcc
	v_cndmask_b32_e32 v2, -1, v2, vcc
	v_and_b32_e32 v7, s93, v6
	v_and_b32_e32 v6, s92, v2
	v_cmp_eq_u64_e32 vcc, s[94:95], v[6:7]
	s_and_b64 exec, exec, vcc
	s_cbranch_execz .LBB42_166
; %bb.171:                              ;   in Loop: Header=BB42_167 Depth=2
	v_mov_b32_e32 v2, v19
	ds_write_b128 v19, v[2:5] offset:3072
	s_branch .LBB42_166
.LBB42_172:                             ;   in Loop: Header=BB42_8 Depth=1
                                        ; implicit-def: $sgpr38_sgpr39
                                        ; implicit-def: $sgpr42_sgpr43
                                        ; implicit-def: $sgpr40_sgpr41
	s_branch .LBB42_186
.LBB42_173:                             ;   in Loop: Header=BB42_8 Depth=1
	s_mov_b64 s[38:39], -1
	s_mov_b64 s[18:19], 0
                                        ; implicit-def: $sgpr40_sgpr41
                                        ; implicit-def: $vgpr6_vgpr7
	s_mov_b64 s[42:43], s[38:39]
	s_cbranch_execnz .LBB42_176
	s_branch .LBB42_186
.LBB42_174:                             ;   in Loop: Header=BB42_8 Depth=1
	s_or_b64 exec, exec, s[42:43]
	s_and_b64 s[18:19], s[40:41], exec
.LBB42_175:                             ;   in Loop: Header=BB42_8 Depth=1
	s_or_b64 exec, exec, s[38:39]
	s_mov_b64 s[40:41], -1
	s_mov_b64 s[38:39], 0
	s_mov_b64 s[42:43], s[38:39]
	s_branch .LBB42_186
.LBB42_176:                             ;   in Loop: Header=BB42_8 Depth=1
	v_readlane_b32 s11, v54, 31
	s_add_i32 s11, s10, s11
	s_abs_i32 s13, s11
	v_readlane_b32 s14, v54, 60
	s_mul_hi_u32 s14, s13, s14
	s_mul_i32 s14, s14, s33
	s_sub_i32 s13, s13, s14
	s_ashr_i32 s12, s11, 31
	s_sub_i32 s14, s13, s33
	s_cmp_ge_u32 s13, s33
	s_cselect_b32 s13, s14, s13
	s_sub_i32 s14, s13, s33
	s_cmp_ge_u32 s13, s33
	s_cselect_b32 s13, s14, s13
	s_xor_b32 s13, s13, s12
	s_sub_i32 s12, s12, s13
	s_add_i32 s11, s11, s12
	v_cmp_gt_i32_e32 vcc, s11, v0
	s_mov_b64 s[18:19], 0
                                        ; implicit-def: $vgpr6_vgpr7
	s_and_saveexec_b64 s[38:39], vcc
	s_cbranch_execz .LBB42_185
; %bb.177:                              ;   in Loop: Header=BB42_8 Depth=1
	s_mov_b64 s[42:43], 0
	v_mov_b32_e32 v8, v31
	v_mov_b32_e32 v9, v0
                                        ; implicit-def: $sgpr40_sgpr41
	s_branch .LBB42_179
.LBB42_178:                             ;   in Loop: Header=BB42_179 Depth=2
	s_or_b64 exec, exec, s[18:19]
	s_waitcnt lgkmcnt(0)
	s_barrier
	ds_read_b128 v[4:7], v19 offset:3072
	v_add_u32_e32 v9, s33, v9
	v_cmp_le_i32_e64 s[18:19], s11, v9
	v_add_u32_e32 v8, s86, v8
	s_waitcnt lgkmcnt(0)
	v_cmp_neq_f64_e32 vcc, 0, v[4:5]
	s_or_b64 s[12:13], s[18:19], vcc
	s_and_b64 s[12:13], exec, s[12:13]
	s_or_b64 s[42:43], s[12:13], s[42:43]
	s_andn2_b64 s[12:13], s[40:41], exec
	s_and_b64 s[14:15], vcc, exec
	s_or_b64 s[40:41], s[12:13], s[14:15]
	s_barrier
	s_andn2_b64 exec, exec, s[42:43]
	s_cbranch_execz .LBB42_184
.LBB42_179:                             ;   Parent Loop BB42_8 Depth=1
                                        ; =>  This Inner Loop Header: Depth=2
	v_cmp_gt_i32_e32 vcc, s10, v9
	s_waitcnt vmcnt(0)
	v_pk_mov_b32 v[4:5], 0, 0
	s_and_saveexec_b64 s[18:19], vcc
	s_cbranch_execz .LBB42_181
; %bb.180:                              ;   in Loop: Header=BB42_179 Depth=2
	ds_read_b64 v[4:5], v8
.LBB42_181:                             ;   in Loop: Header=BB42_179 Depth=2
	s_or_b64 exec, exec, s[18:19]
	s_and_saveexec_b64 s[18:19], vcc
	s_cbranch_execz .LBB42_178
; %bb.182:                              ;   in Loop: Header=BB42_179 Depth=2
	s_waitcnt lgkmcnt(0)
	v_ashrrev_i32_e32 v2, 31, v5
	v_or_b32_e32 v6, 0x80000000, v2
	v_xor_b32_e32 v6, v6, v5
	v_xor_b32_e32 v2, v2, v4
	v_cmp_o_f64_e32 vcc, v[4:5], v[4:5]
	v_cndmask_b32_e32 v6, -1, v6, vcc
	v_cndmask_b32_e32 v2, -1, v2, vcc
	v_and_b32_e32 v7, s93, v6
	v_and_b32_e32 v6, s92, v2
	v_cmp_eq_u64_e32 vcc, s[94:95], v[6:7]
	s_and_b64 exec, exec, vcc
	s_cbranch_execz .LBB42_178
; %bb.183:                              ;   in Loop: Header=BB42_179 Depth=2
	v_mov_b32_e32 v2, v19
	ds_write_b128 v19, v[2:5] offset:3072
	s_branch .LBB42_178
.LBB42_184:                             ;   in Loop: Header=BB42_8 Depth=1
	s_or_b64 exec, exec, s[42:43]
	s_and_b64 s[18:19], s[40:41], exec
.LBB42_185:                             ;   in Loop: Header=BB42_8 Depth=1
	s_or_b64 exec, exec, s[38:39]
	s_mov_b64 s[42:43], -1
	s_mov_b64 s[38:39], 0
	s_mov_b64 s[40:41], 0
.LBB42_186:                             ;   in Loop: Header=BB42_8 Depth=1
	s_mov_b64 s[48:49], 0
                                        ; implicit-def: $sgpr57
	s_and_saveexec_b64 s[44:45], s[18:19]
	s_cbranch_execz .LBB42_241
; %bb.187:                              ;   in Loop: Header=BB42_8 Depth=1
	s_xor_b64 s[10:11], s[46:47], -1
	s_mov_b64 s[18:19], 0
	s_andn2_b64 vcc, exec, s[10:11]
	s_mov_b32 s56, 1
	s_cbranch_vccnz .LBB42_198
; %bb.188:                              ;   in Loop: Header=BB42_8 Depth=1
	s_cmp_gt_i32 s52, s50
	s_mov_b64 s[18:19], -1
                                        ; implicit-def: $sgpr57
                                        ; implicit-def: $sgpr46_sgpr47
                                        ; implicit-def: $sgpr48_sgpr49
	s_cbranch_scc1 .LBB42_194
; %bb.189:                              ;   in Loop: Header=BB42_8 Depth=1
	ds_read_b32 v2, v19 offset:4096
	s_waitcnt lgkmcnt(0)
	v_cmp_ne_u32_e32 vcc, 0, v2
	s_cbranch_vccnz .LBB42_193
; %bb.190:                              ;   in Loop: Header=BB42_8 Depth=1
	s_mov_b64 s[18:19], exec
	v_readlane_b32 s10, v54, 18
	v_readlane_b32 s11, v54, 19
	s_and_b64 s[10:11], s[18:19], s[10:11]
	s_mov_b64 exec, s[10:11]
	s_cbranch_execz .LBB42_192
; %bb.191:                              ;   in Loop: Header=BB42_8 Depth=1
	v_mov_b32_e32 v2, s50
	ds_write_b32 v19, v2 offset:4100
.LBB42_192:                             ;   in Loop: Header=BB42_8 Depth=1
	s_or_b64 exec, exec, s[18:19]
	s_waitcnt lgkmcnt(0)
	s_barrier
.LBB42_193:                             ;   in Loop: Header=BB42_8 Depth=1
	s_lshl_b64 s[10:11], 2, s51
	s_and_b64 s[12:13], s[94:95], s[30:31]
	s_or_b64 s[46:47], s[12:13], s[10:11]
	s_or_b64 s[48:49], s[92:93], s[20:21]
	s_mov_b64 s[18:19], 0
	s_mov_b32 s57, 8
.LBB42_194:                             ;   in Loop: Header=BB42_8 Depth=1
	s_andn2_b64 vcc, exec, s[18:19]
	s_cbranch_vccnz .LBB42_196
; %bb.195:                              ;   in Loop: Header=BB42_8 Depth=1
	s_sub_i32 s52, s52, s50
	s_mov_b64 s[18:19], -1
	s_mov_b32 s57, 0
	s_mov_b64 s[46:47], s[94:95]
	s_mov_b64 s[48:49], s[92:93]
.LBB42_196:                             ;   in Loop: Header=BB42_8 Depth=1
	s_mov_b64 s[92:93], s[48:49]
	s_mov_b64 s[94:95], s[46:47]
	s_mov_b32 s56, s52
	s_andn2_b64 vcc, exec, s[18:19]
	s_mov_b64 s[54:55], -1
	s_cbranch_vccz .LBB42_199
.LBB42_197:                             ;   in Loop: Header=BB42_8 Depth=1
                                        ; implicit-def: $sgpr18_sgpr19
                                        ; implicit-def: $sgpr48_sgpr49
                                        ; implicit-def: $sgpr46_sgpr47
	s_branch .LBB42_240
.LBB42_198:                             ;   in Loop: Header=BB42_8 Depth=1
	s_mov_b32 s57, 1
	s_andn2_b64 vcc, exec, s[18:19]
	s_mov_b64 s[54:55], -1
	s_cbranch_vccnz .LBB42_197
.LBB42_199:                             ;   in Loop: Header=BB42_8 Depth=1
	s_cmp_eq_u32 s7, 1
	s_cselect_b64 s[10:11], -1, 0
	s_cmp_eq_u32 s56, 1
	s_cselect_b64 s[12:13], -1, 0
	s_and_b64 s[30:31], s[10:11], s[12:13]
	s_mov_b64 s[50:51], -1
	s_and_b64 vcc, exec, s[30:31]
	s_cbranch_vccz .LBB42_211
; %bb.200:                              ;   in Loop: Header=BB42_8 Depth=1
	ds_read_b32 v2, v19 offset:4096
	s_waitcnt lgkmcnt(0)
	s_barrier
	v_readfirstlane_b32 s10, v2
	s_and_saveexec_b64 s[18:19], s[4:5]
	s_cbranch_execz .LBB42_202
; %bb.201:                              ;   in Loop: Header=BB42_8 Depth=1
	v_mov_b32_e32 v18, v19
	ds_write_b64 v32, v[18:19]
.LBB42_202:                             ;   in Loop: Header=BB42_8 Depth=1
	s_or_b64 exec, exec, s[18:19]
	s_or_b64 s[94:95], s[94:95], s[20:21]
	s_or_b64 s[92:93], s[92:93], s[20:21]
	s_cmp_gt_i32 s10, 0
	s_waitcnt lgkmcnt(0)
	s_barrier
	s_cbranch_scc1 .LBB42_212
; %bb.203:                              ;   in Loop: Header=BB42_8 Depth=1
	s_mov_b64 s[50:51], 0
                                        ; implicit-def: $vgpr6_vgpr7
	s_mov_b64 s[46:47], exec
	v_readlane_b32 s12, v54, 61
	v_readlane_b32 s13, v54, 62
	s_and_b64 s[12:13], s[46:47], s[12:13]
	s_mov_b64 exec, s[12:13]
	s_cbranch_execz .LBB42_214
; %bb.204:                              ;   in Loop: Header=BB42_8 Depth=1
	v_mov_b32_e32 v8, v16
	v_mov_b32_e32 v10, v0
                                        ; implicit-def: $sgpr48_sgpr49
	s_branch .LBB42_206
.LBB42_205:                             ;   in Loop: Header=BB42_206 Depth=2
	s_or_b64 exec, exec, s[18:19]
	s_waitcnt lgkmcnt(0)
	s_barrier
	s_waitcnt vmcnt(0)
	ds_read_b128 v[4:7], v19 offset:3072
	v_add_u32_e32 v10, s33, v10
	v_cmp_le_i32_e64 s[18:19], s17, v10
	v_add_u32_e32 v8, s0, v8
	s_waitcnt lgkmcnt(0)
	v_cmp_neq_f64_e32 vcc, 0, v[4:5]
	s_or_b64 s[12:13], s[18:19], vcc
	s_and_b64 s[12:13], exec, s[12:13]
	s_or_b64 s[50:51], s[12:13], s[50:51]
	s_andn2_b64 s[12:13], s[48:49], exec
	s_and_b64 s[14:15], vcc, exec
	s_or_b64 s[48:49], s[12:13], s[14:15]
	s_barrier
	s_andn2_b64 exec, exec, s[50:51]
	s_cbranch_execz .LBB42_213
.LBB42_206:                             ;   Parent Loop BB42_8 Depth=1
                                        ; =>  This Inner Loop Header: Depth=2
	v_cmp_gt_i32_e32 vcc, s68, v10
	s_waitcnt vmcnt(0)
	v_pk_mov_b32 v[4:5], 0, 0
	s_and_saveexec_b64 s[52:53], vcc
	s_cbranch_execz .LBB42_208
; %bb.207:                              ;   in Loop: Header=BB42_206 Depth=2
	v_ashrrev_i32_e32 v9, 31, v8
	v_lshlrev_b64 v[4:5], 3, v[8:9]
	v_mov_b32_e32 v2, s16
	v_add_co_u32_e64 v4, s[18:19], s70, v4
	v_addc_co_u32_e64 v5, s[18:19], v2, v5, s[18:19]
	global_load_dwordx2 v[4:5], v[4:5], off
.LBB42_208:                             ;   in Loop: Header=BB42_206 Depth=2
	s_or_b64 exec, exec, s[52:53]
	s_and_saveexec_b64 s[18:19], vcc
	s_cbranch_execz .LBB42_205
; %bb.209:                              ;   in Loop: Header=BB42_206 Depth=2
	s_waitcnt vmcnt(0)
	v_ashrrev_i32_e32 v2, 31, v5
	v_or_b32_e32 v6, 0x80000000, v2
	v_xor_b32_e32 v6, v6, v5
	v_xor_b32_e32 v2, v2, v4
	v_cmp_o_f64_e32 vcc, v[4:5], v[4:5]
	v_cndmask_b32_e32 v6, -1, v6, vcc
	v_cndmask_b32_e32 v2, -1, v2, vcc
	v_and_b32_e32 v7, s93, v6
	v_and_b32_e32 v6, s92, v2
	v_cmp_eq_u64_e32 vcc, s[94:95], v[6:7]
	s_and_b64 exec, exec, vcc
	s_cbranch_execz .LBB42_205
; %bb.210:                              ;   in Loop: Header=BB42_206 Depth=2
	v_mov_b32_e32 v2, v19
	ds_write_b128 v19, v[2:5] offset:3072
	s_branch .LBB42_205
.LBB42_211:                             ;   in Loop: Header=BB42_8 Depth=1
                                        ; implicit-def: $sgpr18_sgpr19
                                        ; implicit-def: $sgpr48_sgpr49
                                        ; implicit-def: $sgpr46_sgpr47
	s_branch .LBB42_225
.LBB42_212:                             ;   in Loop: Header=BB42_8 Depth=1
	s_mov_b64 s[18:19], -1
	s_mov_b64 s[50:51], 0
                                        ; implicit-def: $sgpr46_sgpr47
                                        ; implicit-def: $vgpr6_vgpr7
	s_mov_b64 s[48:49], s[18:19]
	s_cbranch_execnz .LBB42_215
	s_branch .LBB42_225
.LBB42_213:                             ;   in Loop: Header=BB42_8 Depth=1
	s_or_b64 exec, exec, s[50:51]
	s_and_b64 s[50:51], s[48:49], exec
.LBB42_214:                             ;   in Loop: Header=BB42_8 Depth=1
	s_or_b64 exec, exec, s[46:47]
	s_mov_b64 s[46:47], -1
	s_mov_b64 s[18:19], 0
	s_mov_b64 s[48:49], s[18:19]
	s_branch .LBB42_225
.LBB42_215:                             ;   in Loop: Header=BB42_8 Depth=1
	v_readlane_b32 s11, v54, 31
	s_add_i32 s11, s10, s11
	s_abs_i32 s13, s11
	v_readlane_b32 s14, v54, 60
	s_mul_hi_u32 s14, s13, s14
	s_mul_i32 s14, s14, s33
	s_sub_i32 s13, s13, s14
	s_ashr_i32 s12, s11, 31
	s_sub_i32 s14, s13, s33
	s_cmp_ge_u32 s13, s33
	s_cselect_b32 s13, s14, s13
	s_sub_i32 s14, s13, s33
	s_cmp_ge_u32 s13, s33
	s_cselect_b32 s13, s14, s13
	s_xor_b32 s13, s13, s12
	s_sub_i32 s12, s12, s13
	s_add_i32 s11, s11, s12
	v_cmp_gt_i32_e32 vcc, s11, v0
	s_mov_b64 s[50:51], 0
                                        ; implicit-def: $vgpr6_vgpr7
	s_and_saveexec_b64 s[46:47], vcc
	s_cbranch_execz .LBB42_224
; %bb.216:                              ;   in Loop: Header=BB42_8 Depth=1
	v_mov_b32_e32 v8, v31
	v_mov_b32_e32 v9, v0
                                        ; implicit-def: $sgpr48_sgpr49
	s_branch .LBB42_218
.LBB42_217:                             ;   in Loop: Header=BB42_218 Depth=2
	s_or_b64 exec, exec, s[18:19]
	s_waitcnt lgkmcnt(0)
	s_barrier
	ds_read_b128 v[4:7], v19 offset:3072
	v_add_u32_e32 v9, s33, v9
	v_cmp_le_i32_e64 s[18:19], s11, v9
	v_add_u32_e32 v8, s86, v8
	s_waitcnt lgkmcnt(0)
	v_cmp_neq_f64_e32 vcc, 0, v[4:5]
	s_or_b64 s[12:13], s[18:19], vcc
	s_and_b64 s[12:13], exec, s[12:13]
	s_or_b64 s[50:51], s[12:13], s[50:51]
	s_andn2_b64 s[12:13], s[48:49], exec
	s_and_b64 s[14:15], vcc, exec
	s_or_b64 s[48:49], s[12:13], s[14:15]
	s_barrier
	s_andn2_b64 exec, exec, s[50:51]
	s_cbranch_execz .LBB42_223
.LBB42_218:                             ;   Parent Loop BB42_8 Depth=1
                                        ; =>  This Inner Loop Header: Depth=2
	v_cmp_gt_i32_e32 vcc, s10, v9
	s_waitcnt vmcnt(0)
	v_pk_mov_b32 v[4:5], 0, 0
	s_and_saveexec_b64 s[18:19], vcc
	s_cbranch_execz .LBB42_220
; %bb.219:                              ;   in Loop: Header=BB42_218 Depth=2
	ds_read_b64 v[4:5], v8
.LBB42_220:                             ;   in Loop: Header=BB42_218 Depth=2
	s_or_b64 exec, exec, s[18:19]
	s_and_saveexec_b64 s[18:19], vcc
	s_cbranch_execz .LBB42_217
; %bb.221:                              ;   in Loop: Header=BB42_218 Depth=2
	s_waitcnt lgkmcnt(0)
	v_ashrrev_i32_e32 v2, 31, v5
	v_or_b32_e32 v6, 0x80000000, v2
	v_xor_b32_e32 v6, v6, v5
	v_xor_b32_e32 v2, v2, v4
	v_cmp_o_f64_e32 vcc, v[4:5], v[4:5]
	v_cndmask_b32_e32 v6, -1, v6, vcc
	v_cndmask_b32_e32 v2, -1, v2, vcc
	v_and_b32_e32 v7, s93, v6
	v_and_b32_e32 v6, s92, v2
	v_cmp_eq_u64_e32 vcc, s[94:95], v[6:7]
	s_and_b64 exec, exec, vcc
	s_cbranch_execz .LBB42_217
; %bb.222:                              ;   in Loop: Header=BB42_218 Depth=2
	v_mov_b32_e32 v2, v19
	ds_write_b128 v19, v[2:5] offset:3072
	s_branch .LBB42_217
.LBB42_223:                             ;   in Loop: Header=BB42_8 Depth=1
	s_or_b64 exec, exec, s[50:51]
	s_and_b64 s[50:51], s[48:49], exec
.LBB42_224:                             ;   in Loop: Header=BB42_8 Depth=1
	s_or_b64 exec, exec, s[46:47]
	s_mov_b64 s[48:49], -1
	s_mov_b64 s[18:19], 0
	s_mov_b64 s[46:47], 0
.LBB42_225:                             ;   in Loop: Header=BB42_8 Depth=1
	s_mov_b64 s[54:55], 0
                                        ; implicit-def: $sgpr57
	s_and_saveexec_b64 s[52:53], s[50:51]
	s_cbranch_execz .LBB42_239
; %bb.226:                              ;   in Loop: Header=BB42_8 Depth=1
	s_xor_b64 s[10:11], s[30:31], -1
	s_andn2_b64 vcc, exec, s[10:11]
	s_mov_b32 s57, 1
	s_cbranch_vccnz .LBB42_233
; %bb.227:                              ;   in Loop: Header=BB42_8 Depth=1
	s_cmp_gt_i32 s56, s7
	s_cbranch_scc1 .LBB42_234
; %bb.228:                              ;   in Loop: Header=BB42_8 Depth=1
	ds_read_b32 v2, v19 offset:4096
	s_waitcnt lgkmcnt(0)
	v_cmp_ne_u32_e32 vcc, 0, v2
	s_cbranch_vccnz .LBB42_232
; %bb.229:                              ;   in Loop: Header=BB42_8 Depth=1
	s_mov_b64 s[30:31], exec
	v_readlane_b32 s10, v54, 18
	v_readlane_b32 s11, v54, 19
	s_and_b64 s[10:11], s[30:31], s[10:11]
	s_mov_b64 exec, s[10:11]
	s_cbranch_execz .LBB42_231
; %bb.230:                              ;   in Loop: Header=BB42_8 Depth=1
	v_mov_b32_e32 v2, s7
	ds_write_b32 v19, v2 offset:4100
.LBB42_231:                             ;   in Loop: Header=BB42_8 Depth=1
	s_or_b64 exec, exec, s[30:31]
	s_waitcnt lgkmcnt(0)
	s_barrier
.LBB42_232:                             ;   in Loop: Header=BB42_8 Depth=1
	s_or_b64 s[30:31], s[94:95], s[20:21]
	s_or_b64 s[20:21], s[92:93], s[20:21]
	s_mov_b64 s[50:51], 0
	s_mov_b32 s57, 8
	s_branch .LBB42_235
.LBB42_233:                             ;   in Loop: Header=BB42_8 Depth=1
	s_mov_b32 s56, 1
	s_branch .LBB42_238
.LBB42_234:                             ;   in Loop: Header=BB42_8 Depth=1
	s_mov_b64 s[50:51], -1
                                        ; implicit-def: $sgpr57
                                        ; implicit-def: $sgpr30_sgpr31
                                        ; implicit-def: $sgpr20_sgpr21
.LBB42_235:                             ;   in Loop: Header=BB42_8 Depth=1
	s_andn2_b64 vcc, exec, s[50:51]
	s_cbranch_vccnz .LBB42_237
; %bb.236:                              ;   in Loop: Header=BB42_8 Depth=1
	s_sub_i32 s56, s56, s7
	s_mov_b32 s57, 8
	s_mov_b64 s[30:31], s[94:95]
	s_mov_b64 s[20:21], s[92:93]
.LBB42_237:                             ;   in Loop: Header=BB42_8 Depth=1
	s_mov_b64 s[94:95], s[30:31]
	s_mov_b64 s[92:93], s[20:21]
.LBB42_238:                             ;   in Loop: Header=BB42_8 Depth=1
	s_mov_b64 s[54:55], exec
.LBB42_239:                             ;   in Loop: Header=BB42_8 Depth=1
	s_or_b64 exec, exec, s[52:53]
.LBB42_240:                             ;   in Loop: Header=BB42_8 Depth=1
	s_andn2_b64 s[10:11], s[38:39], exec
	s_and_b64 s[12:13], s[18:19], exec
	s_or_b64 s[38:39], s[10:11], s[12:13]
	s_andn2_b64 s[10:11], s[42:43], exec
	s_and_b64 s[12:13], s[48:49], exec
	s_or_b64 s[42:43], s[10:11], s[12:13]
	;; [unrolled: 3-line block ×3, first 2 shown]
	s_and_b64 s[48:49], s[54:55], exec
	s_mov_b32 s52, s56
.LBB42_241:                             ;   in Loop: Header=BB42_8 Depth=1
	s_or_b64 exec, exec, s[44:45]
.LBB42_242:                             ;   in Loop: Header=BB42_8 Depth=1
	s_andn2_b64 s[10:11], s[28:29], exec
	s_and_b64 s[12:13], s[38:39], exec
	s_or_b64 s[28:29], s[10:11], s[12:13]
	s_andn2_b64 s[10:11], s[34:35], exec
	s_and_b64 s[12:13], s[42:43], exec
	s_or_b64 s[34:35], s[10:11], s[12:13]
	s_andn2_b64 s[10:11], s[26:27], exec
	s_and_b64 s[12:13], s[40:41], exec
	s_or_b64 s[26:27], s[10:11], s[12:13]
	s_and_b64 s[40:41], s[48:49], exec
	s_mov_b32 s43, s52
.LBB42_243:                             ;   in Loop: Header=BB42_8 Depth=1
	s_or_b64 exec, exec, s[36:37]
	s_and_saveexec_b64 s[10:11], s[40:41]
	s_xor_b64 s[18:19], exec, s[10:11]
	s_cbranch_execz .LBB42_6
.LBB42_244:                             ;   in Loop: Header=BB42_8 Depth=1
	s_and_b32 s7, s57, -9
	s_cmp_eq_u32 s7, 0
	s_cbranch_scc1 .LBB42_4
; %bb.245:                              ;   in Loop: Header=BB42_8 Depth=1
	s_mov_b64 s[20:21], -1
                                        ; implicit-def: $sgpr92_sgpr93
                                        ; implicit-def: $sgpr43
                                        ; implicit-def: $sgpr87
                                        ; implicit-def: $sgpr6
	s_mov_b64 s[24:25], -1
	s_branch .LBB42_5
.LBB42_246:
	s_or_b64 exec, exec, s[78:79]
	s_xor_b64 s[6:7], s[64:65], -1
	s_xor_b64 s[4:5], s[60:61], -1
	;; [unrolled: 1-line block ×3, first 2 shown]
	s_mov_b64 s[2:3], 0
	s_and_saveexec_b64 s[10:11], s[4:5]
	s_xor_b64 s[4:5], exec, s[10:11]
	s_cbranch_execnz .LBB42_251
; %bb.247:
	s_andn2_saveexec_b64 s[0:1], s[4:5]
	s_cbranch_execnz .LBB42_271
.LBB42_248:
	s_or_b64 exec, exec, s[0:1]
	s_and_saveexec_b64 s[0:1], s[2:3]
.LBB42_249:
	; divergent unreachable
.LBB42_250:
	s_endpgm
.LBB42_251:
	s_and_saveexec_b64 s[2:3], s[6:7]
	s_xor_b64 s[6:7], exec, s[2:3]
	s_cbranch_execz .LBB42_269
; %bb.252:
	s_and_saveexec_b64 s[2:3], s[8:9]
	s_xor_b64 s[2:3], exec, s[2:3]
; %bb.253:
	v_lshrrev_b32_e32 v1, 31, v5
	v_add_co_u32_e32 v1, vcc, -1, v1
	v_addc_co_u32_e64 v2, s[8:9], 0, -1, vcc
	v_or_b32_e32 v2, 0x80000000, v2
	v_xor_b32_e32 v7, v2, v5
	v_xor_b32_e32 v6, v1, v4
; %bb.254:
	s_or_b64 exec, exec, s[2:3]
	s_mov_b64 s[2:3], exec
	v_readlane_b32 s8, v54, 18
	v_readlane_b32 s9, v54, 19
	;; [unrolled: 1-line block ×4, first 2 shown]
	s_and_b64 s[8:9], s[2:3], s[8:9]
	v_readlane_b32 s22, v54, 30
	v_readlane_b32 s25, v54, 23
	;; [unrolled: 1-line block ×5, first 2 shown]
	s_mov_b64 exec, s[8:9]
	s_cbranch_execz .LBB42_256
; %bb.255:
	v_mov_b32_e32 v1, 0
	v_mov_b32_e32 v2, s68
	ds_write_b32 v1, v2 offset:4108
.LBB42_256:
	s_or_b64 exec, exec, s[2:3]
	v_mov_b32_e32 v1, 0
	s_waitcnt lgkmcnt(0)
	s_barrier
	ds_read_b32 v1, v1 offset:4108
	s_waitcnt lgkmcnt(0)
	v_min_i32_e32 v1, s68, v1
	v_cmp_lt_i32_e32 vcc, v0, v1
	s_and_saveexec_b64 s[8:9], vcc
	s_cbranch_execz .LBB42_266
; %bb.257:
	v_cmp_u_f64_e32 vcc, v[6:7], v[6:7]
	s_mov_b64 s[10:11], 0
	v_mov_b32_e32 v3, s16
	s_xor_b64 s[14:15], vcc, -1
                                        ; implicit-def: $sgpr12_sgpr13
                                        ; implicit-def: $sgpr18_sgpr19
                                        ; implicit-def: $sgpr16_sgpr17
	s_branch .LBB42_259
.LBB42_258:                             ;   in Loop: Header=BB42_259 Depth=1
	s_or_b64 exec, exec, s[2:3]
	s_and_b64 s[2:3], exec, s[18:19]
	s_or_b64 s[10:11], s[2:3], s[10:11]
	s_andn2_b64 s[2:3], s[12:13], exec
	s_and_b64 s[12:13], s[16:17], exec
	s_or_b64 s[12:13], s[2:3], s[12:13]
	s_andn2_b64 exec, exec, s[10:11]
	s_cbranch_execz .LBB42_261
.LBB42_259:                             ; =>This Inner Loop Header: Depth=1
	v_ashrrev_i32_e32 v17, 31, v16
	v_lshlrev_b64 v[4:5], 3, v[16:17]
	v_add_co_u32_e32 v4, vcc, s70, v4
	v_addc_co_u32_e32 v5, vcc, v3, v5, vcc
	global_load_dwordx2 v[4:5], v[4:5], off
	v_mov_b32_e32 v2, v0
	s_or_b64 s[16:17], s[16:17], exec
	s_or_b64 s[18:19], s[18:19], exec
                                        ; implicit-def: $vgpr0
	s_waitcnt vmcnt(0)
	v_cmp_o_f64_e64 s[2:3], v[4:5], v[4:5]
	v_cmp_neq_f64_e32 vcc, v[4:5], v[6:7]
	s_or_b64 s[2:3], s[2:3], s[14:15]
	s_and_b64 s[20:21], vcc, s[2:3]
	s_and_saveexec_b64 s[2:3], s[20:21]
	s_cbranch_execz .LBB42_258
; %bb.260:                              ;   in Loop: Header=BB42_259 Depth=1
	v_add_u32_e32 v0, s33, v2
	v_cmp_ge_i32_e32 vcc, v0, v1
	s_andn2_b64 s[18:19], s[18:19], exec
	s_and_b64 s[20:21], vcc, exec
	v_add_u32_e32 v16, s0, v16
	s_andn2_b64 s[16:17], s[16:17], exec
	s_or_b64 s[18:19], s[18:19], s[20:21]
	s_branch .LBB42_258
.LBB42_261:
	s_or_b64 exec, exec, s[10:11]
	s_and_saveexec_b64 s[0:1], s[12:13]
	s_xor_b64 s[0:1], exec, s[0:1]
	s_cbranch_execz .LBB42_266
; %bb.262:
	s_mov_b64 s[2:3], exec
	s_brev_b32 s0, -2
.LBB42_263:                             ; =>This Inner Loop Header: Depth=1
	s_ff1_i32_b64 s1, s[2:3]
	v_readlane_b32 s12, v2, s1
	s_lshl_b64 s[10:11], 1, s1
	s_min_i32 s0, s0, s12
	s_andn2_b64 s[2:3], s[2:3], s[10:11]
	s_cmp_lg_u64 s[2:3], 0
	s_cbranch_scc1 .LBB42_263
; %bb.264:
	v_mbcnt_lo_u32_b32 v0, exec_lo, 0
	v_mbcnt_hi_u32_b32 v0, exec_hi, v0
	v_cmp_eq_u32_e32 vcc, 0, v0
	s_and_saveexec_b64 s[2:3], vcc
	s_xor_b64 s[2:3], exec, s[2:3]
	s_cbranch_execz .LBB42_266
; %bb.265:
	v_mov_b32_e32 v0, 0
	v_mov_b32_e32 v1, s0
	ds_min_i32 v0, v1 offset:4108
.LBB42_266:
	s_or_b64 exec, exec, s[8:9]
	s_waitcnt lgkmcnt(0)
	s_barrier
	s_mov_b64 s[2:3], exec
	v_readlane_b32 s0, v54, 18
	v_readlane_b32 s1, v54, 19
	s_and_b64 s[0:1], s[2:3], s[0:1]
	s_mov_b64 exec, s[0:1]
	s_cbranch_execz .LBB42_268
; %bb.267:
	v_readlane_b32 s8, v54, 0
	s_mul_i32 s0, s23, s25
	v_readlane_b32 s10, v54, 2
	s_sub_i32 s0, s22, s0
	v_readlane_b32 s9, v54, 1
	v_readlane_b32 s11, v54, 3
	s_mov_b32 s14, s10
	s_mov_b64 s[12:13], s[8:9]
	s_mul_i32 s0, s0, s14
	v_readlane_b32 s1, v54, 21
	v_readlane_b32 s8, v54, 24
	;; [unrolled: 1-line block ×4, first 2 shown]
	s_xor_b32 s1, s1, s8
	s_mul_i32 s8, s14, s11
	v_readlane_b32 s9, v54, 13
	s_sub_i32 s8, s9, s8
	s_add_i32 s9, s14, 1
	s_sub_i32 s10, s8, s11
	s_cmp_ge_u32 s8, s11
	s_cselect_b32 s9, s9, s14
	s_cselect_b32 s8, s10, s8
	s_add_i32 s10, s9, 1
	s_cmp_ge_u32 s8, s11
	s_cselect_b32 s8, s10, s9
	s_xor_b32 s8, s8, s1
	s_sub_i32 s1, s8, s1
	s_mul_i32 s8, s1, s24
	s_sub_i32 s8, s23, s8
	s_mul_i32 s8, s8, s13
	s_add_i32 s0, s8, s0
	s_mul_i32 s1, s1, s12
	v_readlane_b32 s8, v54, 4
	s_add_i32 s0, s0, s1
	s_mul_i32 s1, s28, s27
	v_readlane_b32 s10, v54, 6
	s_sub_i32 s1, s22, s1
	v_readlane_b32 s9, v54, 5
	s_mov_b32 s14, s10
	s_mov_b64 s[12:13], s[8:9]
	s_mul_i32 s1, s1, s14
	v_readlane_b32 s8, v54, 26
	v_readlane_b32 s9, v54, 29
	;; [unrolled: 1-line block ×4, first 2 shown]
	s_xor_b32 s8, s8, s9
	s_mul_i32 s9, s15, s14
	v_readlane_b32 s10, v54, 16
	v_readlane_b32 s11, v54, 7
	s_sub_i32 s9, s10, s9
	s_add_i32 s10, s15, 1
	s_sub_i32 s11, s9, s14
	s_cmp_ge_u32 s9, s14
	s_cselect_b32 s10, s10, s15
	s_cselect_b32 s9, s11, s9
	s_add_i32 s11, s10, 1
	s_cmp_ge_u32 s9, s14
	s_cselect_b32 s9, s11, s10
	s_xor_b32 s9, s9, s8
	s_sub_i32 s8, s9, s8
	s_mul_i32 s9, s8, s26
	s_sub_i32 s9, s28, s9
	s_mul_i32 s9, s9, s13
	s_add_i32 s1, s9, s1
	s_mul_i32 s8, s8, s12
	s_add_i32 s8, s1, s8
	s_ashr_i32 s1, s0, 31
	v_mov_b32_e32 v2, 0
	s_lshl_b64 s[0:1], s[0:1], 3
	v_readlane_b32 s10, v54, 11
	ds_read_b32 v0, v2 offset:4108
	v_readlane_b32 s11, v54, 12
	s_add_u32 s0, s10, s0
	s_addc_u32 s1, s11, s1
	s_ashr_i32 s9, s8, 31
	s_lshl_b64 s[8:9], s[8:9], 3
	v_readlane_b32 s10, v54, 8
	v_readlane_b32 s11, v54, 9
	s_add_u32 s8, s10, s8
	s_addc_u32 s9, s11, s9
	s_waitcnt lgkmcnt(0)
	v_ashrrev_i32_e32 v1, 31, v0
	global_store_dwordx2 v2, v[0:1], s[8:9]
	global_store_dwordx2 v2, v[6:7], s[0:1]
.LBB42_268:
	s_or_b64 exec, exec, s[2:3]
.LBB42_269:
	s_or_saveexec_b64 s[0:1], s[6:7]
	s_mov_b64 s[2:3], 0
	s_xor_b64 exec, exec, s[0:1]
	s_cbranch_execnz .LBB42_272
.LBB42_270:
	s_or_b64 exec, exec, s[0:1]
	s_and_b64 s[2:3], s[2:3], exec
	s_andn2_saveexec_b64 s[0:1], s[4:5]
	s_cbranch_execz .LBB42_248
.LBB42_271:
	s_or_b64 s[2:3], s[2:3], exec
	s_trap 2
	s_or_b64 exec, exec, s[0:1]
	s_and_saveexec_b64 s[0:1], s[2:3]
	s_cbranch_execnz .LBB42_249
	s_branch .LBB42_250
.LBB42_272:
	s_mov_b64 s[2:3], exec
	s_trap 2
	s_branch .LBB42_270
	.section	.rodata,"a",@progbits
	.p2align	6, 0x0
	.amdhsa_kernel _ZN2at6native12_GLOBAL__N_114gatherKthValueIdiLi3EEEvNS_4cuda6detail10TensorInfoIKT_T0_EES8_S8_S8_S8_NS5_IS6_S8_EENS5_IlS8_EE
		.amdhsa_group_segment_fixed_size 4112
		.amdhsa_private_segment_fixed_size 0
		.amdhsa_kernarg_size 920
		.amdhsa_user_sgpr_count 6
		.amdhsa_user_sgpr_private_segment_buffer 1
		.amdhsa_user_sgpr_dispatch_ptr 0
		.amdhsa_user_sgpr_queue_ptr 0
		.amdhsa_user_sgpr_kernarg_segment_ptr 1
		.amdhsa_user_sgpr_dispatch_id 0
		.amdhsa_user_sgpr_flat_scratch_init 0
		.amdhsa_user_sgpr_kernarg_preload_length 0
		.amdhsa_user_sgpr_kernarg_preload_offset 0
		.amdhsa_user_sgpr_private_segment_size 0
		.amdhsa_uses_dynamic_stack 0
		.amdhsa_system_sgpr_private_segment_wavefront_offset 0
		.amdhsa_system_sgpr_workgroup_id_x 1
		.amdhsa_system_sgpr_workgroup_id_y 1
		.amdhsa_system_sgpr_workgroup_id_z 1
		.amdhsa_system_sgpr_workgroup_info 0
		.amdhsa_system_vgpr_workitem_id 0
		.amdhsa_next_free_vgpr 55
		.amdhsa_next_free_sgpr 96
		.amdhsa_accum_offset 56
		.amdhsa_reserve_vcc 1
		.amdhsa_reserve_flat_scratch 0
		.amdhsa_float_round_mode_32 0
		.amdhsa_float_round_mode_16_64 0
		.amdhsa_float_denorm_mode_32 3
		.amdhsa_float_denorm_mode_16_64 3
		.amdhsa_dx10_clamp 1
		.amdhsa_ieee_mode 1
		.amdhsa_fp16_overflow 0
		.amdhsa_tg_split 0
		.amdhsa_exception_fp_ieee_invalid_op 0
		.amdhsa_exception_fp_denorm_src 0
		.amdhsa_exception_fp_ieee_div_zero 0
		.amdhsa_exception_fp_ieee_overflow 0
		.amdhsa_exception_fp_ieee_underflow 0
		.amdhsa_exception_fp_ieee_inexact 0
		.amdhsa_exception_int_div_zero 0
	.end_amdhsa_kernel
	.section	.text._ZN2at6native12_GLOBAL__N_114gatherKthValueIdiLi3EEEvNS_4cuda6detail10TensorInfoIKT_T0_EES8_S8_S8_S8_NS5_IS6_S8_EENS5_IlS8_EE,"axG",@progbits,_ZN2at6native12_GLOBAL__N_114gatherKthValueIdiLi3EEEvNS_4cuda6detail10TensorInfoIKT_T0_EES8_S8_S8_S8_NS5_IS6_S8_EENS5_IlS8_EE,comdat
.Lfunc_end42:
	.size	_ZN2at6native12_GLOBAL__N_114gatherKthValueIdiLi3EEEvNS_4cuda6detail10TensorInfoIKT_T0_EES8_S8_S8_S8_NS5_IS6_S8_EENS5_IlS8_EE, .Lfunc_end42-_ZN2at6native12_GLOBAL__N_114gatherKthValueIdiLi3EEEvNS_4cuda6detail10TensorInfoIKT_T0_EES8_S8_S8_S8_NS5_IS6_S8_EENS5_IlS8_EE
                                        ; -- End function
	.section	.AMDGPU.csdata,"",@progbits
; Kernel info:
; codeLenInByte = 11972
; NumSgprs: 100
; NumVgprs: 55
; NumAgprs: 0
; TotalNumVgprs: 55
; ScratchSize: 0
; MemoryBound: 0
; FloatMode: 240
; IeeeMode: 1
; LDSByteSize: 4112 bytes/workgroup (compile time only)
; SGPRBlocks: 12
; VGPRBlocks: 6
; NumSGPRsForWavesPerEU: 100
; NumVGPRsForWavesPerEU: 55
; AccumOffset: 56
; Occupancy: 8
; WaveLimiterHint : 1
; COMPUTE_PGM_RSRC2:SCRATCH_EN: 0
; COMPUTE_PGM_RSRC2:USER_SGPR: 6
; COMPUTE_PGM_RSRC2:TRAP_HANDLER: 0
; COMPUTE_PGM_RSRC2:TGID_X_EN: 1
; COMPUTE_PGM_RSRC2:TGID_Y_EN: 1
; COMPUTE_PGM_RSRC2:TGID_Z_EN: 1
; COMPUTE_PGM_RSRC2:TIDIG_COMP_CNT: 0
; COMPUTE_PGM_RSRC3_GFX90A:ACCUM_OFFSET: 13
; COMPUTE_PGM_RSRC3_GFX90A:TG_SPLIT: 0
	.section	.text._ZN2at6native12_GLOBAL__N_114gatherKthValueIdiLin1EEEvNS_4cuda6detail10TensorInfoIKT_T0_EES8_S8_S8_S8_NS5_IS6_S8_EENS5_IlS8_EE,"axG",@progbits,_ZN2at6native12_GLOBAL__N_114gatherKthValueIdiLin1EEEvNS_4cuda6detail10TensorInfoIKT_T0_EES8_S8_S8_S8_NS5_IS6_S8_EENS5_IlS8_EE,comdat
	.globl	_ZN2at6native12_GLOBAL__N_114gatherKthValueIdiLin1EEEvNS_4cuda6detail10TensorInfoIKT_T0_EES8_S8_S8_S8_NS5_IS6_S8_EENS5_IlS8_EE ; -- Begin function _ZN2at6native12_GLOBAL__N_114gatherKthValueIdiLin1EEEvNS_4cuda6detail10TensorInfoIKT_T0_EES8_S8_S8_S8_NS5_IS6_S8_EENS5_IlS8_EE
	.p2align	8
	.type	_ZN2at6native12_GLOBAL__N_114gatherKthValueIdiLin1EEEvNS_4cuda6detail10TensorInfoIKT_T0_EES8_S8_S8_S8_NS5_IS6_S8_EENS5_IlS8_EE,@function
_ZN2at6native12_GLOBAL__N_114gatherKthValueIdiLin1EEEvNS_4cuda6detail10TensorInfoIKT_T0_EES8_S8_S8_S8_NS5_IS6_S8_EENS5_IlS8_EE: ; @_ZN2at6native12_GLOBAL__N_114gatherKthValueIdiLin1EEEvNS_4cuda6detail10TensorInfoIKT_T0_EES8_S8_S8_S8_NS5_IS6_S8_EENS5_IlS8_EE
; %bb.0:
	s_load_dwordx2 s[12:13], s[4:5], 0x298
	s_load_dwordx4 s[60:63], s[4:5], 0xd8
	s_add_u32 s10, s4, 0x298
	s_addc_u32 s11, s5, 0
	s_waitcnt lgkmcnt(0)
	s_mul_i32 s0, s13, s8
	s_add_i32 s0, s0, s7
	s_mul_i32 s0, s0, s12
	s_add_i32 s33, s0, s6
	s_cmp_ge_i32 s33, s62
	s_cbranch_scc1 .LBB43_259
; %bb.1:
	s_load_dword s0, s[4:5], 0xd0
	s_mov_b32 s3, 0
	s_mov_b32 s2, s33
	s_waitcnt lgkmcnt(0)
	s_cmp_lt_i32 s0, 2
	s_cbranch_scc1 .LBB43_4
; %bb.2:
	s_add_i32 s2, s0, -1
	s_add_i32 s7, s0, 1
	s_lshl_b64 s[0:1], s[2:3], 2
	s_add_u32 s0, s0, s4
	s_addc_u32 s1, s1, s5
	s_add_u32 s0, s0, 8
	s_addc_u32 s1, s1, 0
	s_mov_b32 s2, s33
.LBB43_3:                               ; =>This Inner Loop Header: Depth=1
	s_load_dword s8, s[0:1], 0x0
	s_load_dword s13, s[0:1], 0x64
	s_mov_b32 s9, s2
	s_abs_i32 s2, s2
	s_waitcnt lgkmcnt(0)
	s_abs_i32 s15, s8
	v_cvt_f32_u32_e32 v1, s15
	s_sub_i32 s16, 0, s15
	s_xor_b32 s14, s9, s8
	s_ashr_i32 s14, s14, 31
	v_rcp_iflag_f32_e32 v1, v1
	v_mul_f32_e32 v1, 0x4f7ffffe, v1
	v_cvt_u32_f32_e32 v1, v1
	v_readfirstlane_b32 s17, v1
	s_mul_i32 s16, s16, s17
	s_mul_hi_u32 s16, s17, s16
	s_add_i32 s17, s17, s16
	s_mul_hi_u32 s16, s2, s17
	s_mul_i32 s17, s16, s15
	s_sub_i32 s2, s2, s17
	s_add_i32 s18, s16, 1
	s_sub_i32 s17, s2, s15
	s_cmp_ge_u32 s2, s15
	s_cselect_b32 s16, s18, s16
	s_cselect_b32 s2, s17, s2
	s_add_i32 s17, s16, 1
	s_cmp_ge_u32 s2, s15
	s_cselect_b32 s2, s17, s16
	s_xor_b32 s2, s2, s14
	s_sub_i32 s2, s2, s14
	s_mul_i32 s8, s2, s8
	s_sub_i32 s8, s9, s8
	s_mul_i32 s8, s13, s8
	s_add_i32 s7, s7, -1
	s_add_i32 s3, s8, s3
	s_add_u32 s0, s0, -4
	s_addc_u32 s1, s1, -1
	s_cmp_gt_u32 s7, 2
	s_cbranch_scc1 .LBB43_3
.LBB43_4:
	s_load_dword s8, s[4:5], 0x1b8
	s_add_u32 s0, s4, 0xe8
	s_addc_u32 s1, s5, 0
	s_mov_b32 s65, 0
	s_mov_b32 s62, s33
	s_waitcnt lgkmcnt(0)
	s_cmp_lt_i32 s8, 2
	s_cbranch_scc1 .LBB43_7
; %bb.5:
	s_add_i32 s64, s8, -1
	s_add_i32 s7, s8, 1
	s_lshl_b64 s[8:9], s[64:65], 2
	s_add_u32 s8, s8, s0
	s_addc_u32 s9, s9, s1
	s_add_u32 s8, s8, 8
	s_addc_u32 s9, s9, 0
	s_mov_b32 s62, s33
.LBB43_6:                               ; =>This Inner Loop Header: Depth=1
	s_load_dword s13, s[8:9], 0x0
	s_load_dword s15, s[8:9], 0x64
	s_abs_i32 s16, s62
	s_mov_b32 s14, s62
	s_waitcnt lgkmcnt(0)
	s_abs_i32 s18, s13
	v_cvt_f32_u32_e32 v1, s18
	s_sub_i32 s19, 0, s18
	s_xor_b32 s17, s62, s13
	s_ashr_i32 s17, s17, 31
	v_rcp_iflag_f32_e32 v1, v1
	v_mul_f32_e32 v1, 0x4f7ffffe, v1
	v_cvt_u32_f32_e32 v1, v1
	v_readfirstlane_b32 s20, v1
	s_mul_i32 s19, s19, s20
	s_mul_hi_u32 s19, s20, s19
	s_add_i32 s20, s20, s19
	s_mul_hi_u32 s19, s16, s20
	s_mul_i32 s20, s19, s18
	s_sub_i32 s16, s16, s20
	s_add_i32 s21, s19, 1
	s_sub_i32 s20, s16, s18
	s_cmp_ge_u32 s16, s18
	s_cselect_b32 s19, s21, s19
	s_cselect_b32 s16, s20, s16
	s_add_i32 s20, s19, 1
	s_cmp_ge_u32 s16, s18
	s_cselect_b32 s16, s20, s19
	s_xor_b32 s16, s16, s17
	s_sub_i32 s62, s16, s17
	s_mul_i32 s13, s62, s13
	s_sub_i32 s13, s14, s13
	s_mul_i32 s13, s15, s13
	s_add_i32 s7, s7, -1
	s_add_i32 s65, s13, s65
	s_add_u32 s8, s8, -4
	s_addc_u32 s9, s9, -1
	s_cmp_gt_u32 s7, 2
	s_cbranch_scc1 .LBB43_6
.LBB43_7:
	s_load_dword s7, s[4:5], 0x6c
	s_load_dword s14, s[4:5], 0x290
	s_add_u32 s8, s4, 0x1c0
	s_addc_u32 s9, s5, 0
	s_mov_b32 s67, 0
	s_waitcnt lgkmcnt(0)
	s_cmp_lt_i32 s14, 2
	s_cbranch_scc1 .LBB43_10
; %bb.8:
	s_add_i32 s66, s14, -1
	s_add_i32 s13, s14, 1
	s_lshl_b64 s[14:15], s[66:67], 2
	s_add_u32 s8, s14, s8
	s_addc_u32 s9, s15, s9
	s_add_u32 s8, s8, 8
	s_addc_u32 s9, s9, 0
.LBB43_9:                               ; =>This Inner Loop Header: Depth=1
	s_load_dword s14, s[8:9], 0x0
	s_load_dword s16, s[8:9], 0x64
	s_abs_i32 s17, s33
	s_mov_b32 s15, s33
	s_waitcnt lgkmcnt(0)
	s_abs_i32 s19, s14
	v_cvt_f32_u32_e32 v1, s19
	s_sub_i32 s20, 0, s19
	s_xor_b32 s18, s33, s14
	s_ashr_i32 s18, s18, 31
	v_rcp_iflag_f32_e32 v1, v1
	v_mul_f32_e32 v1, 0x4f7ffffe, v1
	v_cvt_u32_f32_e32 v1, v1
	v_readfirstlane_b32 s21, v1
	s_mul_i32 s20, s20, s21
	s_mul_hi_u32 s20, s21, s20
	s_add_i32 s21, s21, s20
	s_mul_hi_u32 s20, s17, s21
	s_mul_i32 s21, s20, s19
	s_sub_i32 s17, s17, s21
	s_add_i32 s22, s20, 1
	s_sub_i32 s21, s17, s19
	s_cmp_ge_u32 s17, s19
	s_cselect_b32 s20, s22, s20
	s_cselect_b32 s17, s21, s17
	s_add_i32 s21, s20, 1
	s_cmp_ge_u32 s17, s19
	s_cselect_b32 s17, s21, s20
	s_xor_b32 s17, s17, s18
	s_sub_i32 s33, s17, s18
	s_mul_i32 s14, s33, s14
	s_sub_i32 s14, s15, s14
	s_mul_i32 s14, s16, s14
	s_add_i32 s13, s13, -1
	s_add_i32 s67, s14, s67
	s_add_u32 s8, s8, -4
	s_addc_u32 s9, s9, -1
	s_cmp_gt_u32 s13, 2
	s_cbranch_scc1 .LBB43_9
.LBB43_10:
	s_load_dword s0, s[0:1], 0x6c
                                        ; implicit-def: $vgpr54 : SGPR spill to VGPR lane
	s_mov_b32 s54, 0
	s_waitcnt lgkmcnt(0)
	v_writelane_b32 v54, s0, 0
	s_load_dwordx2 s[8:9], s[4:5], 0x0
	s_load_dwordx2 s[0:1], s[4:5], 0xe8
	s_waitcnt lgkmcnt(0)
	v_writelane_b32 v54, s0, 1
	v_writelane_b32 v54, s1, 2
	s_load_dwordx2 s[0:1], s[4:5], 0x1c0
	s_waitcnt lgkmcnt(0)
	v_writelane_b32 v54, s0, 3
	v_writelane_b32 v54, s1, 4
	v_cmp_eq_u32_e64 s[0:1], 0, v0
	s_mov_b64 s[14:15], exec
	v_writelane_b32 v54, s0, 5
	v_writelane_b32 v54, s1, 6
	s_and_b64 s[0:1], s[14:15], s[0:1]
	s_mov_b64 exec, s[0:1]
	s_cbranch_execz .LBB43_12
; %bb.11:
	v_mov_b32_e32 v2, 0
	v_mov_b32_e32 v3, s60
	;; [unrolled: 1-line block ×3, first 2 shown]
	ds_write_b96 v2, v[2:4] offset:4096
.LBB43_12:
	s_or_b64 exec, exec, s[14:15]
	s_load_dword s0, s[4:5], 0x22c
	s_waitcnt lgkmcnt(0)
	s_barrier
	v_mbcnt_lo_u32_b32 v1, -1, 0
	v_writelane_b32 v54, s0, 7
	s_mul_i32 s0, s7, s2
	s_load_dword s2, s[10:11], 0xc
	s_add_i32 s0, s0, s3
	s_ashr_i32 s1, s0, 31
	s_lshl_b64 s[0:1], s[0:1], 3
	s_add_u32 s64, s8, s0
	s_addc_u32 s0, s9, s1
	s_waitcnt lgkmcnt(0)
	s_and_b32 s66, s2, 0xffff
	v_mbcnt_hi_u32_b32 v23, -1, v1
	s_bfe_u32 s5, s2, 0xa0006
	v_cmp_gt_u32_e32 vcc, 64, v0
	v_cmp_gt_i32_e64 s[2:3], 4, v23
	s_add_i32 s1, s66, -1
	s_lshl_b32 s76, s66, 2
	s_and_b64 s[56:57], vcc, s[2:3]
	s_add_i32 s79, s1, s60
	s_cmpk_gt_i32 s60, 0x180
	v_writelane_b32 v54, s1, 8
	s_cselect_b64 s[2:3], -1, 0
	v_writelane_b32 v54, s2, 9
	s_cmp_gt_u32 s66, 63
	v_writelane_b32 v54, s3, 10
	s_cselect_b64 s[2:3], -1, 0
	s_cmp_lt_u32 s6, s12
	v_writelane_b32 v54, s2, 11
	s_cselect_b32 s1, 12, 18
	v_writelane_b32 v54, s3, 12
	s_add_u32 s2, s10, s1
	s_addc_u32 s3, s11, 0
	v_writelane_b32 v54, s2, 13
	s_add_i32 s1, s5, -2
	v_writelane_b32 v54, s3, 14
	s_lshr_b32 s2, s1, 1
	s_add_i32 s4, s2, 1
	s_cmpk_gt_u32 s66, 0x7f
	s_cselect_b64 s[2:3], -1, 0
	v_writelane_b32 v54, s2, 15
	v_mov_b32_e32 v19, 0
	v_writelane_b32 v54, s3, 16
	v_cmp_gt_u32_e64 s[6:7], 2, v0
	v_writelane_b32 v54, s6, 17
	v_mul_lo_u32 v16, v0, s63
	v_mov_b32_e32 v17, v19
	v_writelane_b32 v54, s7, 18
	v_cmp_gt_u32_e64 s[6:7], s60, v0
	v_lshlrev_b64 v[2:3], 3, v[16:17]
	v_writelane_b32 v54, s6, 19
	v_mov_b32_e32 v17, s0
	v_add_co_u32_e32 v20, vcc, s64, v2
	v_writelane_b32 v54, s7, 20
	v_addc_co_u32_e32 v21, vcc, v17, v3, vcc
	v_cmp_gt_i32_e64 s[6:7], s60, v0
	v_lshlrev_b64 v[2:3], v23, -1
	v_writelane_b32 v54, s6, 21
	v_not_b32_e32 v22, v2
	v_cvt_f32_u32_e32 v2, s76
	v_writelane_b32 v54, s7, 22
	s_and_b32 s6, s5, 0x3fe
	s_and_b32 s7, s4, 7
	s_cmp_gt_u32 s1, 13
	s_cselect_b64 s[8:9], -1, 0
	v_writelane_b32 v54, s8, 23
	v_rcp_iflag_f32_e32 v2, v2
	v_writelane_b32 v54, s9, 24
	s_and_b32 s1, s4, -8
	v_writelane_b32 v54, s1, 25
	s_cmp_lg_u32 s7, 0
	v_writelane_b32 v54, s7, 26
	s_cselect_b64 s[8:9], -1, 0
	v_writelane_b32 v54, s8, 27
	v_mul_f32_e32 v2, 0x4f7ffffe, v2
	v_writelane_b32 v54, s9, 28
	v_cvt_u32_f32_e32 v2, v2
	v_writelane_b32 v54, s5, 29
	s_cmp_lg_u32 s6, s5
	v_writelane_b32 v54, s6, 30
	s_cselect_b64 s[4:5], -1, 0
	v_writelane_b32 v54, s4, 31
	v_writelane_b32 v54, s5, 32
	s_sub_i32 s1, 0, s76
	v_readfirstlane_b32 s4, v2
	s_mul_i32 s1, s1, s4
	s_mul_hi_u32 s1, s4, s1
	s_add_i32 s1, s4, s1
	s_mov_b32 s75, s1
	s_mul_hi_u32 s1, s60, s1
	s_mul_i32 s1, s1, s76
	s_sub_i32 s1, s60, s1
	s_sub_i32 s4, s1, s76
	s_cmp_ge_u32 s1, s76
	s_cselect_b32 s1, s4, s1
	s_sub_i32 s4, s1, s76
	v_cvt_f32_u32_e32 v5, s66
	s_cmp_ge_u32 s1, s76
	s_cselect_b32 s4, s4, s1
	s_sub_i32 s78, s60, s4
	v_add_u32_e32 v35, s78, v0
	v_rcp_iflag_f32_e32 v5, v5
	v_lshrrev_b32_e32 v1, 4, v0
	v_mul_lo_u32 v2, v35, s63
	v_lshlrev_b32_e32 v30, 2, v0
	v_and_b32_e32 v33, 60, v1
	v_not_b32_e32 v1, v3
	v_ashrrev_i32_e32 v3, 31, v2
	v_cmp_gt_i32_e64 s[6:7], s78, v30
	v_lshlrev_b64 v[2:3], 3, v[2:3]
	v_writelane_b32 v54, s6, 33
	v_add_co_u32_e32 v24, vcc, s64, v2
	v_mul_f32_e32 v2, 0x4f7ffffe, v5
	v_writelane_b32 v54, s7, 34
	v_cmp_gt_u32_e64 s[6:7], s60, v35
	v_cvt_u32_f32_e32 v2, v2
	v_writelane_b32 v54, s6, 35
	v_writelane_b32 v54, s7, 36
	v_cmp_gt_i32_e64 s[6:7], s60, v35
	v_writelane_b32 v54, s6, 37
	v_writelane_b32 v54, s7, 38
	s_sub_i32 s6, 0, s66
	v_readfirstlane_b32 s7, v2
	s_mul_i32 s6, s6, s7
	s_mul_hi_u32 s6, s7, s6
	s_abs_i32 s5, s79
	s_add_i32 s6, s7, s6
	v_writelane_b32 v54, s6, 39
	s_mul_hi_u32 s6, s5, s6
	s_mul_i32 s6, s6, s66
	s_sub_i32 s5, s5, s6
	s_ashr_i32 s1, s79, 31
	s_sub_i32 s6, s5, s66
	s_cmp_ge_u32 s5, s66
	s_cselect_b32 s5, s6, s5
	s_sub_i32 s6, s5, s66
	s_cmp_ge_u32 s5, s66
	s_cselect_b32 s5, s6, s5
	s_xor_b32 s5, s5, s1
	s_sub_i32 s1, s1, s5
	v_mul_lo_u32 v2, s63, v30
	s_add_i32 s79, s79, s1
	v_add_u32_e32 v36, s63, v2
	v_or_b32_e32 v2, 2, v30
	v_cmp_gt_i32_e64 s[6:7], s79, v0
	v_mul_lo_u32 v37, s63, v2
	v_or_b32_e32 v2, 3, v30
	s_add_i32 s5, s66, s60
	v_writelane_b32 v54, s6, 40
	v_mul_lo_u32 v38, s63, v2
	v_add_u32_e32 v2, s5, v0
	v_lshlrev_b32_e32 v31, 3, v0
	v_lshlrev_b32_e32 v4, 2, v23
	v_mov_b32_e32 v6, s0
	v_writelane_b32 v54, s7, 41
	s_mul_i32 s1, s63, s66
	v_subrev_u32_e32 v2, s4, v2
	v_cmp_eq_u32_e64 s[2:3], 0, v23
	v_add_u32_e32 v32, 0xc00, v31
	v_and_b32_e32 v34, 0x100, v4
	v_addc_co_u32_e32 v25, vcc, v6, v3, vcc
	s_lshl_b32 s6, s1, 2
	v_lshlrev_b32_e32 v39, 2, v16
	v_mul_lo_u32 v40, s63, v2
	v_lshlrev_b32_e32 v41, 5, v0
	s_lshl_b32 s7, s66, 5
	s_lshl_b32 s10, s66, 3
	v_or_b32_e32 v42, 0xc00, v4
	s_mov_b32 s11, 62
	s_mov_b64 s[90:91], 0
	v_pk_mov_b32 v[6:7], 0, 0
	v_mov_b32_e32 v3, 0x3ff00000
	v_mov_b32_e32 v43, 0xc00
	s_mov_b32 s12, 0
	s_mov_b64 s[80:81], 0
	s_mov_b64 s[88:89], 0
	v_writelane_b32 v54, s56, 42
                                        ; implicit-def: $sgpr92_sgpr93
                                        ; implicit-def: $sgpr68_sgpr69
                                        ; implicit-def: $sgpr94_sgpr95
                                        ; implicit-def: $sgpr70_sgpr71
                                        ; implicit-def: $sgpr84_sgpr85
                                        ; implicit-def: $sgpr86_sgpr87
	v_writelane_b32 v54, s57, 43
	s_branch .LBB43_17
.LBB43_13:                              ;   in Loop: Header=BB43_17 Depth=1
	s_xor_b32 s12, s12, 1
	s_add_i32 s4, s11, -2
	s_cmp_eq_u32 s11, 0
	s_mov_b64 s[16:17], 0
	s_cselect_b64 s[18:19], -1, 0
	s_mov_b32 s11, s4
.LBB43_14:                              ;   in Loop: Header=BB43_17 Depth=1
	s_andn2_b64 s[4:5], s[28:29], exec
	s_and_b64 s[14:15], s[16:17], exec
	s_or_b64 s[28:29], s[4:5], s[14:15]
	s_andn2_b64 s[34:35], s[34:35], exec
	s_andn2_b64 s[26:27], s[26:27], exec
	s_orn2_b64 s[24:25], s[18:19], exec
	s_mov_b32 s61, s39
.LBB43_15:                              ;   in Loop: Header=BB43_17 Depth=1
	s_or_b64 exec, exec, s[8:9]
	s_andn2_b64 s[4:5], s[86:87], exec
	s_and_b64 s[8:9], s[28:29], exec
	s_or_b64 s[86:87], s[4:5], s[8:9]
	s_andn2_b64 s[4:5], s[84:85], exec
	s_and_b64 s[8:9], s[34:35], exec
	s_or_b64 s[84:85], s[4:5], s[8:9]
	;; [unrolled: 3-line block ×3, first 2 shown]
	s_orn2_b64 s[8:9], s[24:25], exec
.LBB43_16:                              ;   in Loop: Header=BB43_17 Depth=1
	s_or_b64 exec, exec, s[22:23]
	s_and_b64 s[4:5], exec, s[8:9]
	s_or_b64 s[90:91], s[4:5], s[90:91]
	s_andn2_b64 s[4:5], s[94:95], exec
	s_and_b64 s[8:9], s[86:87], exec
	s_or_b64 s[94:95], s[4:5], s[8:9]
	s_andn2_b64 s[4:5], s[68:69], exec
	s_and_b64 s[8:9], s[84:85], exec
	;; [unrolled: 3-line block ×3, first 2 shown]
	s_waitcnt vmcnt(0)
	v_pk_mov_b32 v[4:5], s[80:81], s[80:81] op_sel:[0,1]
	s_or_b64 s[92:93], s[4:5], s[8:9]
	s_andn2_b64 exec, exec, s[90:91]
	s_cbranch_execz .LBB43_255
.LBB43_17:                              ; =>This Loop Header: Depth=1
                                        ;     Child Loop BB43_25 Depth 2
                                        ;     Child Loop BB43_44 Depth 2
	;; [unrolled: 1-line block ×17, first 2 shown]
	ds_read_b64 v[4:5], v19 offset:4096
	s_waitcnt lgkmcnt(0)
	v_readfirstlane_b32 s13, v4
	s_cmp_gt_i32 s13, 0
	s_cbranch_scc1 .LBB43_51
; %bb.18:                               ;   in Loop: Header=BB43_17 Depth=1
	v_readlane_b32 s4, v54, 9
	v_readlane_b32 s5, v54, 10
	s_and_b64 vcc, exec, s[4:5]
	s_cbranch_vccz .LBB43_33
; %bb.19:                               ;   in Loop: Header=BB43_17 Depth=1
	s_movk_i32 s4, 0x181
	v_cmp_gt_i32_e32 vcc, s4, v5
	s_mov_b64 s[8:9], 0
	s_mov_b64 s[16:17], 0
	s_cbranch_vccz .LBB43_38
; %bb.20:                               ;   in Loop: Header=BB43_17 Depth=1
	v_pk_mov_b32 v[4:5], 0, 0
	s_mov_b64 s[16:17], exec
	v_readlane_b32 s4, v54, 19
	v_readlane_b32 s5, v54, 20
	s_and_b64 s[4:5], s[16:17], s[4:5]
	s_mov_b64 exec, s[4:5]
	s_cbranch_execz .LBB43_22
; %bb.21:                               ;   in Loop: Header=BB43_17 Depth=1
	global_load_dwordx2 v[4:5], v[20:21], off
.LBB43_22:                              ;   in Loop: Header=BB43_17 Depth=1
	s_or_b64 exec, exec, s[16:17]
	s_mov_b64 s[16:17], exec
	v_readlane_b32 s4, v54, 19
	v_readlane_b32 s5, v54, 20
	s_and_b64 s[4:5], s[16:17], s[4:5]
	s_mov_b64 exec, s[4:5]
	s_cbranch_execz .LBB43_34
; %bb.23:                               ;   in Loop: Header=BB43_17 Depth=1
	v_readlane_b32 s4, v54, 13
	v_readlane_b32 s5, v54, 14
	s_mov_b64 s[20:21], 0
	v_mov_b32_e32 v11, v0
	s_nop 2
	global_load_ushort v2, v19, s[4:5]
	s_waitcnt vmcnt(0)
	v_add_u32_e32 v8, v0, v2
	v_mul_lo_u32 v10, s63, v2
	v_mul_lo_u32 v18, s63, v8
	s_branch .LBB43_25
.LBB43_24:                              ;   in Loop: Header=BB43_25 Depth=2
	s_or_b64 exec, exec, s[18:19]
	v_cmp_le_i32_e32 vcc, s60, v11
	v_add_u32_e32 v18, v18, v10
	s_or_b64 s[20:21], vcc, s[20:21]
	s_waitcnt vmcnt(0)
	v_pk_mov_b32 v[4:5], v[8:9], v[8:9] op_sel:[0,1]
	s_andn2_b64 exec, exec, s[20:21]
	s_cbranch_execz .LBB43_34
.LBB43_25:                              ;   Parent Loop BB43_17 Depth=1
                                        ; =>  This Inner Loop Header: Depth=2
	v_add_u32_e32 v11, v11, v2
	v_cmp_gt_u32_e32 vcc, s60, v11
	v_pk_mov_b32 v[8:9], 0, 0
	s_and_saveexec_b64 s[18:19], vcc
	s_cbranch_execz .LBB43_27
; %bb.26:                               ;   in Loop: Header=BB43_25 Depth=2
	v_lshlrev_b64 v[8:9], 3, v[18:19]
	v_add_co_u32_e32 v8, vcc, s64, v8
	v_addc_co_u32_e32 v9, vcc, v17, v9, vcc
	global_load_dwordx2 v[8:9], v[8:9], off
.LBB43_27:                              ;   in Loop: Header=BB43_25 Depth=2
	s_or_b64 exec, exec, s[18:19]
	s_waitcnt lgkmcnt(0)
	v_ashrrev_i32_e32 v12, 31, v5
	v_or_b32_e32 v13, 0x80000000, v12
	v_xor_b32_e32 v13, v13, v5
	v_xor_b32_e32 v12, v12, v4
	v_cmp_o_f64_e32 vcc, v[4:5], v[4:5]
	v_cndmask_b32_e32 v13, -1, v13, vcc
	v_cndmask_b32_e32 v12, -1, v12, vcc
	v_and_b32_e32 v13, s89, v13
	v_and_b32_e32 v12, s88, v12
	v_cmp_eq_u64_e32 vcc, s[80:81], v[12:13]
	s_cmp_lg_u64 vcc, 0
	s_cselect_b64 s[4:5], -1, 0
	s_and_b64 s[4:5], s[2:3], s[4:5]
	v_mov_b32_e32 v12, 0
	s_and_saveexec_b64 s[22:23], s[4:5]
	s_cbranch_execz .LBB43_31
; %bb.28:                               ;   in Loop: Header=BB43_25 Depth=2
	s_mov_b64 s[26:27], exec
	v_mbcnt_lo_u32_b32 v12, s26, 0
	v_mbcnt_hi_u32_b32 v12, s27, v12
	s_bcnt1_i32_b64 s4, vcc
	v_cmp_eq_u32_e64 s[18:19], 0, v12
                                        ; implicit-def: $vgpr13
	s_and_saveexec_b64 s[24:25], s[18:19]
	s_cbranch_execz .LBB43_30
; %bb.29:                               ;   in Loop: Header=BB43_25 Depth=2
	s_bcnt1_i32_b64 s5, s[26:27]
	s_mul_i32 s5, s4, s5
	v_mov_b32_e32 v13, s5
	ds_add_rtn_u32 v13, v19, v13 offset:4104
.LBB43_30:                              ;   in Loop: Header=BB43_25 Depth=2
	s_or_b64 exec, exec, s[24:25]
	s_waitcnt lgkmcnt(0)
	v_readfirstlane_b32 s5, v13
	v_mov_b32_e32 v13, s5
	v_mad_u32_u24 v12, s4, v12, v13
.LBB43_31:                              ;   in Loop: Header=BB43_25 Depth=2
	s_or_b64 exec, exec, s[22:23]
	ds_bpermute_b32 v12, v34, v12
	s_and_saveexec_b64 s[18:19], vcc
	s_cbranch_execz .LBB43_24
; %bb.32:                               ;   in Loop: Header=BB43_25 Depth=2
	v_and_b32_e32 v14, vcc_lo, v22
	v_and_b32_e32 v13, vcc_hi, v1
	v_bcnt_u32_b32 v14, v14, 0
	v_bcnt_u32_b32 v13, v13, v14
	v_lshlrev_b32_e32 v13, 3, v13
	s_waitcnt lgkmcnt(0)
	v_lshl_add_u32 v12, v12, 3, v13
	ds_write_b64 v12, v[4:5]
	s_branch .LBB43_24
.LBB43_33:                              ;   in Loop: Header=BB43_17 Depth=1
	s_mov_b64 s[8:9], -1
	s_mov_b64 s[16:17], 0
	s_branch .LBB43_37
.LBB43_34:                              ;   in Loop: Header=BB43_17 Depth=1
	s_or_b64 exec, exec, s[16:17]
	s_waitcnt lgkmcnt(0)
	s_barrier
	s_mov_b64 s[16:17], exec
	v_readlane_b32 s4, v54, 5
	v_readlane_b32 s5, v54, 6
	s_and_b64 s[4:5], s[16:17], s[4:5]
	s_mov_b64 exec, s[4:5]
	s_cbranch_execz .LBB43_36
; %bb.35:                               ;   in Loop: Header=BB43_17 Depth=1
	ds_read_b32 v2, v19 offset:4104
	s_waitcnt lgkmcnt(0)
	ds_write_b32 v19, v2 offset:4096
.LBB43_36:                              ;   in Loop: Header=BB43_17 Depth=1
	s_or_b64 exec, exec, s[16:17]
	s_waitcnt lgkmcnt(0)
	s_barrier
	s_mov_b64 s[16:17], -1
.LBB43_37:                              ;   in Loop: Header=BB43_17 Depth=1
                                        ; implicit-def: $sgpr13
.LBB43_38:                              ;   in Loop: Header=BB43_17 Depth=1
	s_and_b64 vcc, exec, s[8:9]
	s_cbranch_vccz .LBB43_49
; %bb.39:                               ;   in Loop: Header=BB43_17 Depth=1
	s_waitcnt vmcnt(0)
	v_pk_mov_b32 v[4:5], 0, 0
	s_mov_b64 s[8:9], exec
	v_readlane_b32 s4, v54, 19
	v_readlane_b32 s5, v54, 20
	s_and_b64 s[4:5], s[8:9], s[4:5]
	s_mov_b64 exec, s[4:5]
	s_cbranch_execz .LBB43_41
; %bb.40:                               ;   in Loop: Header=BB43_17 Depth=1
	global_load_dwordx2 v[4:5], v[20:21], off
.LBB43_41:                              ;   in Loop: Header=BB43_17 Depth=1
	s_or_b64 exec, exec, s[8:9]
	s_mov_b64 s[8:9], exec
	v_readlane_b32 s4, v54, 21
	v_readlane_b32 s5, v54, 22
	s_and_b64 s[4:5], s[8:9], s[4:5]
	s_mov_b64 exec, s[4:5]
	s_cbranch_execz .LBB43_46
; %bb.42:                               ;   in Loop: Header=BB43_17 Depth=1
	v_readlane_b32 s4, v54, 13
	v_readlane_b32 s5, v54, 14
	s_mov_b64 s[16:17], 0
	v_mov_b32_e32 v10, v31
	v_mov_b32_e32 v13, v0
	s_nop 1
	global_load_ushort v2, v19, s[4:5]
	s_waitcnt vmcnt(0)
	v_add_u32_e32 v8, v0, v2
	v_lshlrev_b32_e32 v11, 3, v2
	v_mul_lo_u32 v12, s63, v2
	v_mul_lo_u32 v18, s63, v8
	s_branch .LBB43_44
.LBB43_43:                              ;   in Loop: Header=BB43_44 Depth=2
	s_or_b64 exec, exec, s[18:19]
	v_cmp_le_i32_e32 vcc, s60, v13
	ds_write_b64 v10, v[4:5]
	v_add_u32_e32 v10, v10, v11
	v_add_u32_e32 v18, v18, v12
	s_or_b64 s[16:17], vcc, s[16:17]
	s_waitcnt vmcnt(0)
	v_pk_mov_b32 v[4:5], v[8:9], v[8:9] op_sel:[0,1]
	s_andn2_b64 exec, exec, s[16:17]
	s_cbranch_execz .LBB43_46
.LBB43_44:                              ;   Parent Loop BB43_17 Depth=1
                                        ; =>  This Inner Loop Header: Depth=2
	v_add_u32_e32 v13, v13, v2
	v_cmp_gt_u32_e32 vcc, s60, v13
	v_pk_mov_b32 v[8:9], 0, 0
	s_and_saveexec_b64 s[18:19], vcc
	s_cbranch_execz .LBB43_43
; %bb.45:                               ;   in Loop: Header=BB43_44 Depth=2
	v_lshlrev_b64 v[8:9], 3, v[18:19]
	v_mov_b32_e32 v14, s0
	v_add_co_u32_e32 v8, vcc, s64, v8
	v_addc_co_u32_e32 v9, vcc, v14, v9, vcc
	global_load_dwordx2 v[8:9], v[8:9], off
	s_branch .LBB43_43
.LBB43_46:                              ;   in Loop: Header=BB43_17 Depth=1
	s_or_b64 exec, exec, s[8:9]
	s_waitcnt lgkmcnt(0)
	s_barrier
	s_mov_b64 s[8:9], exec
	v_readlane_b32 s4, v54, 5
	v_readlane_b32 s5, v54, 6
	s_and_b64 s[4:5], s[8:9], s[4:5]
	s_mov_b64 exec, s[4:5]
	s_cbranch_execz .LBB43_48
; %bb.47:                               ;   in Loop: Header=BB43_17 Depth=1
	v_mov_b32_e32 v2, s60
	ds_write_b32 v19, v2 offset:4096
.LBB43_48:                              ;   in Loop: Header=BB43_17 Depth=1
	s_or_b64 exec, exec, s[8:9]
	s_mov_b64 s[16:17], -1
	s_waitcnt lgkmcnt(0)
	s_barrier
                                        ; implicit-def: $sgpr13
.LBB43_49:                              ;   in Loop: Header=BB43_17 Depth=1
	s_and_b64 vcc, exec, s[16:17]
	s_cbranch_vccz .LBB43_51
; %bb.50:                               ;   in Loop: Header=BB43_17 Depth=1
	ds_read_b32 v2, v19 offset:4096
	s_waitcnt lgkmcnt(0)
	v_readfirstlane_b32 s13, v2
.LBB43_51:                              ;   in Loop: Header=BB43_17 Depth=1
	s_cmp_lt_i32 s13, 1
	s_cbranch_scc0 .LBB43_63
; %bb.52:                               ;   in Loop: Header=BB43_17 Depth=1
	v_mov_b32_e32 v8, 0
	s_mov_b32 s16, 0
	v_mov_b32_e32 v9, 0
	v_mov_b32_e32 v10, v8
	v_mov_b32_e32 v11, 0
	s_mov_b64 s[82:83], exec
	v_readlane_b32 s4, v54, 33
	v_readlane_b32 s5, v54, 34
	s_and_b64 s[4:5], s[82:83], s[4:5]
	s_mov_b64 exec, s[4:5]
	s_cbranch_execz .LBB43_56
; %bb.53:                               ;   in Loop: Header=BB43_17 Depth=1
	s_mov_b32 s72, s54
	s_and_b32 s17, s11, 0xfe
	s_mov_b64 s[8:9], 0
	s_mov_b32 s73, 0
	s_mov_b32 s14, 0
	;; [unrolled: 1-line block ×4, first 2 shown]
	v_mov_b32_e32 v2, v30
.LBB43_54:                              ;   Parent Loop BB43_17 Depth=1
                                        ; =>  This Inner Loop Header: Depth=2
	v_add_u32_e32 v12, s16, v39
	v_ashrrev_i32_e32 v13, 31, v12
	v_add_u32_e32 v14, s16, v36
	v_lshlrev_b64 v[12:13], 3, v[12:13]
	s_waitcnt vmcnt(0)
	v_mov_b32_e32 v4, s0
	v_ashrrev_i32_e32 v15, 31, v14
	v_add_co_u32_e64 v12, s[18:19], s64, v12
	v_add_u32_e32 v26, s16, v37
	v_lshlrev_b64 v[14:15], 3, v[14:15]
	v_addc_co_u32_e64 v13, s[18:19], v4, v13, s[18:19]
	v_ashrrev_i32_e32 v27, 31, v26
	v_add_co_u32_e64 v14, s[18:19], s64, v14
	v_add_u32_e32 v28, s16, v38
	v_lshlrev_b64 v[26:27], 3, v[26:27]
	v_addc_co_u32_e64 v15, s[18:19], v4, v15, s[18:19]
	v_ashrrev_i32_e32 v29, 31, v28
	v_add_co_u32_e64 v26, s[18:19], s64, v26
	v_lshlrev_b64 v[28:29], 3, v[28:29]
	v_addc_co_u32_e64 v27, s[18:19], v4, v27, s[18:19]
	v_add_co_u32_e64 v28, s[18:19], s64, v28
	v_addc_co_u32_e64 v29, s[18:19], v4, v29, s[18:19]
	global_load_dwordx2 v[12:13], v[12:13], off
	s_nop 0
	global_load_dwordx2 v[14:15], v[14:15], off
	s_nop 0
	;; [unrolled: 2-line block ×3, first 2 shown]
	global_load_dwordx2 v[28:29], v[28:29], off
	v_mov_b32_e32 v5, v19
	v_mov_b32_e32 v9, v19
	;; [unrolled: 1-line block ×3, first 2 shown]
	v_add_u32_e32 v2, s76, v2
	s_add_i32 s16, s16, s6
	v_cmp_le_i32_e32 vcc, s78, v2
	s_waitcnt vmcnt(3)
	v_ashrrev_i32_e32 v4, 31, v13
	s_waitcnt vmcnt(2)
	v_ashrrev_i32_e32 v8, 31, v15
	v_xor_b32_e32 v44, v8, v14
	v_cmp_o_f64_e64 s[18:19], v[14:15], v[14:15]
	v_or_b32_e32 v14, 0x80000000, v4
	s_waitcnt vmcnt(1)
	v_ashrrev_i32_e32 v10, 31, v27
	s_waitcnt vmcnt(0)
	v_ashrrev_i32_e32 v18, 31, v29
	v_xor_b32_e32 v4, v4, v12
	v_or_b32_e32 v8, 0x80000000, v8
	v_cmp_o_f64_e64 s[24:25], v[12:13], v[12:13]
	v_xor_b32_e32 v13, v14, v13
	v_xor_b32_e32 v45, v10, v26
	v_cmp_o_f64_e64 s[20:21], v[26:27], v[26:27]
	v_xor_b32_e32 v46, v18, v28
	v_or_b32_e32 v10, 0x80000000, v10
	v_or_b32_e32 v18, 0x80000000, v18
	v_xor_b32_e32 v8, v8, v15
	v_cndmask_b32_e64 v12, -1, v4, s[24:25]
	v_cndmask_b32_e64 v13, -1, v13, s[24:25]
	v_cmp_o_f64_e64 s[22:23], v[28:29], v[28:29]
	v_xor_b32_e32 v10, v10, v27
	v_xor_b32_e32 v18, v18, v29
	v_cndmask_b32_e64 v14, -1, v44, s[18:19]
	v_cndmask_b32_e64 v26, -1, v45, s[20:21]
	;; [unrolled: 1-line block ×3, first 2 shown]
	v_and_b32_e32 v44, s88, v12
	v_and_b32_e32 v45, s89, v13
	v_lshrrev_b64 v[12:13], s17, v[12:13]
	v_cndmask_b32_e64 v28, -1, v46, s[22:23]
	v_cndmask_b32_e64 v27, -1, v10, s[20:21]
	;; [unrolled: 1-line block ×3, first 2 shown]
	v_and_b32_e32 v46, s88, v14
	v_and_b32_e32 v47, s89, v15
	v_lshrrev_b64 v[14:15], s17, v[14:15]
	v_and_b32_e32 v18, 3, v12
	v_and_b32_e32 v48, s88, v26
	v_and_b32_e32 v49, s89, v27
	v_lshrrev_b64 v[26:27], s17, v[26:27]
	v_cmp_eq_u64_e64 s[18:19], s[80:81], v[44:45]
	v_and_b32_e32 v4, 3, v14
	v_cmp_eq_u64_e64 s[26:27], 0, v[18:19]
	v_and_b32_e32 v50, s88, v28
	v_and_b32_e32 v51, s89, v29
	v_lshrrev_b64 v[28:29], s17, v[28:29]
	v_cmp_eq_u64_e64 s[20:21], s[80:81], v[46:47]
	v_and_b32_e32 v8, 3, v26
	v_cmp_eq_u64_e64 s[28:29], 0, v[4:5]
	s_and_b64 s[4:5], s[18:19], s[26:27]
	v_cmp_eq_u64_e64 s[22:23], s[80:81], v[48:49]
	v_and_b32_e32 v10, 3, v28
	v_cmp_eq_u64_e64 s[30:31], 0, v[8:9]
	v_cmp_eq_u64_e64 s[38:39], 1, v[4:5]
	;; [unrolled: 1-line block ×4, first 2 shown]
	v_cndmask_b32_e64 v4, 0, 1, s[4:5]
	s_and_b64 s[4:5], s[20:21], s[28:29]
	v_cmp_eq_u64_e64 s[24:25], s[80:81], v[50:51]
	v_cmp_eq_u64_e64 s[34:35], 0, v[10:11]
	v_cndmask_b32_e64 v5, 0, 1, s[4:5]
	s_and_b64 s[4:5], s[22:23], s[30:31]
	v_cmp_eq_u64_e64 s[36:37], 1, v[18:19]
	v_cmp_eq_u64_e64 s[40:41], 1, v[8:9]
	;; [unrolled: 1-line block ×4, first 2 shown]
	v_cndmask_b32_e64 v8, 0, 1, s[4:5]
	s_and_b64 s[4:5], s[24:25], s[34:35]
	v_cndmask_b32_e64 v9, 0, 1, s[4:5]
	s_and_b64 s[4:5], s[18:19], s[36:37]
	v_cmp_eq_u64_e64 s[42:43], 1, v[10:11]
	v_cmp_eq_u64_e64 s[50:51], 2, v[10:11]
	;; [unrolled: 1-line block ×3, first 2 shown]
	v_cndmask_b32_e64 v10, 0, 1, s[4:5]
	s_and_b64 s[4:5], s[20:21], s[38:39]
	v_cndmask_b32_e64 v11, 0, 1, s[4:5]
	s_and_b64 s[4:5], s[22:23], s[40:41]
	v_cmp_eq_u64_e64 s[44:45], 2, v[18:19]
	v_cndmask_b32_e64 v12, 0, 1, s[4:5]
	s_and_b64 s[4:5], s[24:25], s[42:43]
	v_cndmask_b32_e64 v13, 0, 1, s[4:5]
	s_and_b64 s[4:5], s[18:19], s[44:45]
	;; [unrolled: 2-line block ×4, first 2 shown]
	v_cmp_eq_u64_e64 s[52:53], 3, v[18:19]
	v_cndmask_b32_e64 v18, 0, 1, s[4:5]
	s_and_b64 s[4:5], s[24:25], s[50:51]
	v_cndmask_b32_e64 v26, 0, 1, s[4:5]
	s_and_b64 s[4:5], s[18:19], s[52:53]
	v_cndmask_b32_e64 v27, 0, 1, s[4:5]
	s_and_b64 s[4:5], s[20:21], s[54:55]
	v_cndmask_b32_e64 v28, 0, 1, s[4:5]
	s_and_b64 s[4:5], s[22:23], s[56:57]
	v_cndmask_b32_e64 v29, 0, 1, s[4:5]
	s_and_b64 s[4:5], s[24:25], s[58:59]
	v_cmp_ne_u32_e64 s[18:19], 0, v4
	v_cmp_ne_u32_e64 s[20:21], 0, v5
	;; [unrolled: 1-line block ×7, first 2 shown]
	v_cndmask_b32_e64 v44, 0, 1, s[4:5]
	v_cmp_ne_u32_e64 s[38:39], 0, v15
	v_cmp_ne_u32_e64 s[46:47], 0, v28
	s_bcnt1_i32_b64 s4, s[18:19]
	s_bcnt1_i32_b64 s5, s[20:21]
	;; [unrolled: 1-line block ×7, first 2 shown]
	v_cmp_ne_u32_e64 s[22:23], 0, v8
	v_cmp_ne_u32_e64 s[30:31], 0, v12
	;; [unrolled: 1-line block ×4, first 2 shown]
	s_bcnt1_i32_b64 s25, s[38:39]
	s_bcnt1_i32_b64 s29, s[46:47]
	s_add_i32 s4, s77, s4
	s_add_i32 s15, s15, s20
	s_add_i32 s14, s14, s24
	s_add_i32 s20, s73, s28
	v_cmp_ne_u32_e64 s[34:35], 0, v13
	v_cmp_ne_u32_e64 s[42:43], 0, v26
	;; [unrolled: 1-line block ×3, first 2 shown]
	s_bcnt1_i32_b64 s18, s[22:23]
	s_bcnt1_i32_b64 s22, s[30:31]
	;; [unrolled: 1-line block ×4, first 2 shown]
	s_add_i32 s4, s4, s5
	s_add_i32 s5, s15, s21
	;; [unrolled: 1-line block ×4, first 2 shown]
	s_bcnt1_i32_b64 s23, s[34:35]
	s_bcnt1_i32_b64 s27, s[42:43]
	;; [unrolled: 1-line block ×3, first 2 shown]
	s_add_i32 s4, s4, s18
	s_add_i32 s5, s5, s22
	;; [unrolled: 1-line block ×8, first 2 shown]
	s_or_b64 s[8:9], vcc, s[8:9]
	v_mov_b32_e32 v8, s77
	v_mov_b32_e32 v9, s15
	;; [unrolled: 1-line block ×4, first 2 shown]
	s_andn2_b64 exec, exec, s[8:9]
	s_cbranch_execnz .LBB43_54
; %bb.55:                               ;   in Loop: Header=BB43_17 Depth=1
	s_or_b64 exec, exec, s[8:9]
	v_readlane_b32 s56, v54, 42
	s_mov_b32 s54, s72
	v_readlane_b32 s57, v54, 43
.LBB43_56:                              ;   in Loop: Header=BB43_17 Depth=1
	s_or_b64 exec, exec, s[82:83]
	v_pk_mov_b32 v[12:13], 0, 0
	s_mov_b64 s[8:9], exec
	v_readlane_b32 s4, v54, 35
	v_readlane_b32 s5, v54, 36
	s_and_b64 s[4:5], s[8:9], s[4:5]
	s_mov_b64 exec, s[4:5]
	s_cbranch_execz .LBB43_58
; %bb.57:                               ;   in Loop: Header=BB43_17 Depth=1
	global_load_dwordx2 v[12:13], v[24:25], off
.LBB43_58:                              ;   in Loop: Header=BB43_17 Depth=1
	s_or_b64 exec, exec, s[8:9]
	s_mov_b64 s[8:9], 0
	s_mov_b64 s[82:83], 0
	s_mov_b64 s[16:17], exec
	v_readlane_b32 s4, v54, 37
	v_readlane_b32 s5, v54, 38
	s_and_b64 s[4:5], s[16:17], s[4:5]
	s_mov_b64 exec, s[4:5]
	s_cbranch_execz .LBB43_65
; %bb.59:                               ;   in Loop: Header=BB43_17 Depth=1
	s_and_b32 s4, s11, 0xfe
	s_mov_b64 s[20:21], 0
	s_waitcnt vmcnt(0)
	v_mov_b32_e32 v4, v40
	v_mov_b32_e32 v2, v35
	s_branch .LBB43_61
.LBB43_60:                              ;   in Loop: Header=BB43_61 Depth=2
	s_or_b64 exec, exec, s[18:19]
	v_ashrrev_i32_e32 v5, 31, v13
	v_or_b32_e32 v18, 0x80000000, v5
	v_xor_b32_e32 v18, v18, v13
	v_xor_b32_e32 v5, v5, v12
	v_cmp_o_f64_e32 vcc, v[12:13], v[12:13]
	v_cndmask_b32_e32 v13, -1, v18, vcc
	v_cndmask_b32_e32 v12, -1, v5, vcc
	v_and_b32_e32 v27, s89, v13
	v_and_b32_e32 v26, s88, v12
	v_lshrrev_b64 v[12:13], s4, v[12:13]
	v_and_b32_e32 v18, 3, v12
	v_cmp_eq_u64_e32 vcc, s[80:81], v[26:27]
	v_cmp_eq_u64_e64 s[18:19], 0, v[18:19]
	s_and_b64 s[14:15], vcc, s[18:19]
	v_cndmask_b32_e64 v5, 0, 1, s[14:15]
	v_cmp_ne_u32_e64 s[18:19], 0, v5
	s_bcnt1_i32_b64 s5, s[18:19]
	v_cmp_eq_u64_e64 s[18:19], 1, v[18:19]
	s_and_b64 s[14:15], vcc, s[18:19]
	v_cndmask_b32_e64 v5, 0, 1, s[14:15]
	v_cmp_ne_u32_e64 s[18:19], 0, v5
	v_add_u32_e32 v8, s5, v8
	s_bcnt1_i32_b64 s5, s[18:19]
	v_cmp_eq_u64_e64 s[18:19], 2, v[18:19]
	s_and_b64 s[14:15], vcc, s[18:19]
	v_cndmask_b32_e64 v5, 0, 1, s[14:15]
	v_cmp_ne_u32_e64 s[18:19], 0, v5
	v_add_u32_e32 v9, s5, v9
	s_bcnt1_i32_b64 s5, s[18:19]
	v_cmp_eq_u64_e64 s[18:19], 3, v[18:19]
	s_and_b64 s[14:15], vcc, s[18:19]
	v_cndmask_b32_e64 v5, 0, 1, s[14:15]
	v_cmp_ne_u32_e32 vcc, 0, v5
	v_add_u32_e32 v10, s5, v10
	s_bcnt1_i32_b64 s5, vcc
	v_cmp_le_i32_e32 vcc, s60, v2
	v_add_u32_e32 v11, s5, v11
	v_add_u32_e32 v4, s1, v4
	s_or_b64 s[20:21], vcc, s[20:21]
	s_waitcnt vmcnt(0)
	v_pk_mov_b32 v[12:13], v[14:15], v[14:15] op_sel:[0,1]
	s_andn2_b64 exec, exec, s[20:21]
	s_cbranch_execz .LBB43_64
.LBB43_61:                              ;   Parent Loop BB43_17 Depth=1
                                        ; =>  This Inner Loop Header: Depth=2
	v_add_u32_e32 v2, s66, v2
	v_cmp_gt_u32_e32 vcc, s60, v2
	v_pk_mov_b32 v[14:15], 0, 0
	s_and_saveexec_b64 s[18:19], vcc
	s_cbranch_execz .LBB43_60
; %bb.62:                               ;   in Loop: Header=BB43_61 Depth=2
	v_ashrrev_i32_e32 v5, 31, v4
	v_lshlrev_b64 v[14:15], 3, v[4:5]
	v_mov_b32_e32 v5, s0
	v_add_co_u32_e32 v14, vcc, s64, v14
	v_addc_co_u32_e32 v15, vcc, v5, v15, vcc
	global_load_dwordx2 v[14:15], v[14:15], off
	s_branch .LBB43_60
.LBB43_63:                              ;   in Loop: Header=BB43_17 Depth=1
	s_mov_b64 s[82:83], 0
                                        ; implicit-def: $vgpr11
	s_cbranch_execnz .LBB43_66
	s_branch .LBB43_75
.LBB43_64:                              ;   in Loop: Header=BB43_17 Depth=1
	s_or_b64 exec, exec, s[20:21]
	s_mov_b64 s[82:83], exec
.LBB43_65:                              ;   in Loop: Header=BB43_17 Depth=1
	s_or_b64 exec, exec, s[16:17]
	s_and_b64 vcc, exec, s[8:9]
	s_cbranch_vccz .LBB43_75
.LBB43_66:                              ;   in Loop: Header=BB43_17 Depth=1
	s_mul_hi_u32 s4, s13, s75
	s_mul_i32 s4, s4, s76
	s_sub_i32 s4, s13, s4
	s_sub_i32 s5, s4, s76
	s_cmp_ge_u32 s4, s76
	s_cselect_b32 s4, s5, s4
	s_sub_i32 s5, s4, s76
	s_cmp_ge_u32 s4, s76
	s_cselect_b32 s4, s5, s4
	s_sub_i32 s73, s13, s4
	v_cmp_gt_u32_e32 vcc, s73, v30
	s_mov_b32 s14, 0
	v_mov_b32_e32 v8, 0
	v_mov_b32_e32 v9, 0
	;; [unrolled: 1-line block ×4, first 2 shown]
	s_and_saveexec_b64 s[8:9], vcc
	s_cbranch_execz .LBB43_70
; %bb.67:                               ;   in Loop: Header=BB43_17 Depth=1
	s_mov_b32 s74, s54
	s_and_b32 s15, s11, 0xfe
	s_mov_b64 s[16:17], 0
	v_mov_b32_e32 v2, v41
	s_mov_b32 s77, 0
	s_mov_b32 s72, 0
	s_mov_b32 s4, 0
	v_mov_b32_e32 v44, v30
.LBB43_68:                              ;   Parent Loop BB43_17 Depth=1
                                        ; =>  This Inner Loop Header: Depth=2
	s_waitcnt vmcnt(0)
	ds_read_b128 v[12:15], v2
	ds_read_b128 v[8:11], v2 offset:16
	v_mov_b32_e32 v5, v19
	v_mov_b32_e32 v27, v19
	;; [unrolled: 1-line block ×3, first 2 shown]
	s_waitcnt lgkmcnt(1)
	v_ashrrev_i32_e32 v4, 31, v13
	v_ashrrev_i32_e32 v18, 31, v15
	s_waitcnt lgkmcnt(0)
	v_ashrrev_i32_e32 v26, 31, v9
	v_ashrrev_i32_e32 v28, 31, v11
	v_xor_b32_e32 v45, v18, v14
	v_cmp_o_f64_e64 s[18:19], v[14:15], v[14:15]
	v_xor_b32_e32 v14, v26, v8
	v_cmp_o_f64_e64 s[20:21], v[8:9], v[8:9]
	v_or_b32_e32 v8, 0x80000000, v4
	v_xor_b32_e32 v46, v28, v10
	v_cmp_o_f64_e64 s[22:23], v[10:11], v[10:11]
	v_xor_b32_e32 v4, v4, v12
	v_or_b32_e32 v10, 0x80000000, v18
	v_or_b32_e32 v18, 0x80000000, v26
	v_cmp_o_f64_e64 s[24:25], v[12:13], v[12:13]
	v_xor_b32_e32 v13, v8, v13
	v_or_b32_e32 v26, 0x80000000, v28
	v_xor_b32_e32 v15, v10, v15
	v_xor_b32_e32 v18, v18, v9
	v_cndmask_b32_e64 v8, -1, v4, s[24:25]
	v_cndmask_b32_e64 v9, -1, v13, s[24:25]
	v_xor_b32_e32 v26, v26, v11
	v_cndmask_b32_e64 v10, -1, v45, s[18:19]
	v_cndmask_b32_e64 v12, -1, v14, s[20:21]
	;; [unrolled: 1-line block ×4, first 2 shown]
	v_and_b32_e32 v46, s88, v8
	v_and_b32_e32 v47, s89, v9
	v_lshrrev_b64 v[8:9], s15, v[8:9]
	v_cndmask_b32_e64 v13, -1, v18, s[20:21]
	v_and_b32_e32 v48, s88, v10
	v_and_b32_e32 v49, s89, v11
	v_lshrrev_b64 v[10:11], s15, v[10:11]
	v_and_b32_e32 v18, 3, v8
	v_cndmask_b32_e64 v15, -1, v26, s[22:23]
	v_and_b32_e32 v50, s88, v12
	v_and_b32_e32 v51, s89, v13
	v_lshrrev_b64 v[12:13], s15, v[12:13]
	v_cmp_eq_u64_e64 s[18:19], s[80:81], v[46:47]
	v_and_b32_e32 v4, 3, v10
	v_cmp_eq_u64_e64 s[26:27], 0, v[18:19]
	v_and_b32_e32 v52, s88, v14
	v_and_b32_e32 v53, s89, v15
	v_lshrrev_b64 v[14:15], s15, v[14:15]
	v_cmp_eq_u64_e64 s[20:21], s[80:81], v[48:49]
	v_and_b32_e32 v26, 3, v12
	v_cmp_eq_u64_e64 s[28:29], 0, v[4:5]
	s_and_b64 s[26:27], s[18:19], s[26:27]
	v_cmp_eq_u64_e64 s[22:23], s[80:81], v[50:51]
	v_and_b32_e32 v28, 3, v14
	v_cmp_eq_u64_e64 s[30:31], 0, v[26:27]
	v_cmp_eq_u64_e64 s[38:39], 1, v[4:5]
	v_cmp_eq_u64_e64 s[46:47], 2, v[4:5]
	v_cmp_eq_u64_e64 s[54:55], 3, v[4:5]
	v_cndmask_b32_e64 v4, 0, 1, s[26:27]
	s_and_b64 s[26:27], s[20:21], s[28:29]
	v_cmp_eq_u64_e64 s[24:25], s[80:81], v[52:53]
	v_cmp_eq_u64_e64 s[34:35], 0, v[28:29]
	v_cndmask_b32_e64 v5, 0, 1, s[26:27]
	s_and_b64 s[26:27], s[22:23], s[30:31]
	v_cmp_eq_u64_e64 s[36:37], 1, v[18:19]
	v_cndmask_b32_e64 v8, 0, 1, s[26:27]
	s_and_b64 s[26:27], s[24:25], s[34:35]
	v_cndmask_b32_e64 v9, 0, 1, s[26:27]
	s_and_b64 s[26:27], s[18:19], s[36:37]
	v_cmp_eq_u64_e64 s[40:41], 1, v[26:27]
	v_cndmask_b32_e64 v10, 0, 1, s[26:27]
	s_and_b64 s[26:27], s[20:21], s[38:39]
	v_cmp_eq_u64_e64 s[42:43], 1, v[28:29]
	;; [unrolled: 3-line block ×3, first 2 shown]
	v_cmp_eq_u64_e64 s[52:53], 3, v[18:19]
	v_cndmask_b32_e64 v12, 0, 1, s[26:27]
	s_and_b64 s[26:27], s[24:25], s[42:43]
	v_cndmask_b32_e64 v13, 0, 1, s[26:27]
	s_and_b64 s[26:27], s[18:19], s[44:45]
	s_and_b64 s[18:19], s[18:19], s[52:53]
	v_cmp_eq_u64_e64 s[48:49], 2, v[26:27]
	v_cmp_eq_u64_e64 s[56:57], 3, v[26:27]
	v_cndmask_b32_e64 v14, 0, 1, s[26:27]
	s_and_b64 s[26:27], s[20:21], s[46:47]
	v_cndmask_b32_e64 v27, 0, 1, s[18:19]
	s_and_b64 s[18:19], s[20:21], s[54:55]
	v_cmp_eq_u64_e64 s[50:51], 2, v[28:29]
	v_cmp_eq_u64_e64 s[58:59], 3, v[28:29]
	v_cndmask_b32_e64 v15, 0, 1, s[26:27]
	s_and_b64 s[26:27], s[22:23], s[48:49]
	v_cndmask_b32_e64 v28, 0, 1, s[18:19]
	s_and_b64 s[18:19], s[22:23], s[56:57]
	v_cndmask_b32_e64 v18, 0, 1, s[26:27]
	s_and_b64 s[26:27], s[24:25], s[50:51]
	v_cndmask_b32_e64 v29, 0, 1, s[18:19]
	s_and_b64 s[18:19], s[24:25], s[58:59]
	v_cndmask_b32_e64 v26, 0, 1, s[26:27]
	v_cndmask_b32_e64 v45, 0, 1, s[18:19]
	v_cmp_ne_u32_e64 s[18:19], 0, v4
	v_cmp_ne_u32_e64 s[20:21], 0, v5
	;; [unrolled: 1-line block ×11, first 2 shown]
	s_bcnt1_i32_b64 s5, s[18:19]
	s_bcnt1_i32_b64 s18, s[20:21]
	;; [unrolled: 1-line block ×8, first 2 shown]
	v_cmp_ne_u32_e64 s[40:41], 0, v18
	v_cmp_ne_u32_e64 s[48:49], 0, v29
	s_bcnt1_i32_b64 s23, s[30:31]
	s_bcnt1_i32_b64 s26, s[38:39]
	;; [unrolled: 1-line block ×3, first 2 shown]
	s_add_i32 s4, s4, s5
	s_add_i32 s5, s72, s21
	;; [unrolled: 1-line block ×4, first 2 shown]
	v_cmp_ne_u32_e64 s[34:35], 0, v13
	v_cmp_ne_u32_e64 s[42:43], 0, v26
	;; [unrolled: 1-line block ×3, first 2 shown]
	s_bcnt1_i32_b64 s27, s[40:41]
	s_bcnt1_i32_b64 s31, s[48:49]
	s_add_i32 s4, s4, s18
	s_add_i32 s5, s5, s22
	;; [unrolled: 1-line block ×4, first 2 shown]
	v_add_u32_e32 v44, s76, v44
	s_bcnt1_i32_b64 s24, s[34:35]
	s_bcnt1_i32_b64 s28, s[42:43]
	;; [unrolled: 1-line block ×3, first 2 shown]
	s_add_i32 s4, s4, s19
	s_add_i32 s5, s5, s23
	;; [unrolled: 1-line block ×4, first 2 shown]
	v_cmp_le_i32_e32 vcc, s73, v44
	s_add_i32 s4, s4, s20
	s_add_i32 s72, s5, s24
	;; [unrolled: 1-line block ×4, first 2 shown]
	v_add_u32_e32 v2, s7, v2
	s_or_b64 s[16:17], vcc, s[16:17]
	v_mov_b32_e32 v8, s4
	v_mov_b32_e32 v9, s72
	;; [unrolled: 1-line block ×4, first 2 shown]
	s_andn2_b64 exec, exec, s[16:17]
	s_cbranch_execnz .LBB43_68
; %bb.69:                               ;   in Loop: Header=BB43_17 Depth=1
	s_or_b64 exec, exec, s[16:17]
	v_readlane_b32 s56, v54, 42
	s_mov_b32 s54, s74
	v_readlane_b32 s57, v54, 43
.LBB43_70:                              ;   in Loop: Header=BB43_17 Depth=1
	s_or_b64 exec, exec, s[8:9]
	v_add_u32_e32 v2, s73, v0
	v_cmp_gt_i32_e32 vcc, s13, v2
	s_and_saveexec_b64 s[8:9], vcc
	s_cbranch_execz .LBB43_74
; %bb.71:                               ;   in Loop: Header=BB43_17 Depth=1
	s_and_b32 s4, s11, 0xfe
	s_waitcnt vmcnt(0)
	v_lshlrev_b32_e32 v4, 3, v2
	s_mov_b64 s[16:17], 0
.LBB43_72:                              ;   Parent Loop BB43_17 Depth=1
                                        ; =>  This Inner Loop Header: Depth=2
	ds_read_b64 v[12:13], v4
	v_add_u32_e32 v2, s66, v2
	v_cmp_le_i32_e32 vcc, s13, v2
	v_add_u32_e32 v4, s10, v4
	s_waitcnt lgkmcnt(0)
	v_ashrrev_i32_e32 v5, 31, v13
	v_or_b32_e32 v14, 0x80000000, v5
	v_xor_b32_e32 v5, v5, v12
	v_cmp_o_f64_e64 s[18:19], v[12:13], v[12:13]
	v_xor_b32_e32 v13, v14, v13
	v_cndmask_b32_e64 v12, -1, v5, s[18:19]
	v_cndmask_b32_e64 v13, -1, v13, s[18:19]
	v_and_b32_e32 v14, s88, v12
	v_and_b32_e32 v15, s89, v13
	v_lshrrev_b64 v[12:13], s4, v[12:13]
	v_and_b32_e32 v18, 3, v12
	v_cmp_eq_u64_e64 s[18:19], s[80:81], v[14:15]
	v_cmp_eq_u64_e64 s[20:21], 0, v[18:19]
	;; [unrolled: 1-line block ×3, first 2 shown]
	s_and_b64 s[14:15], s[18:19], s[20:21]
	v_cmp_eq_u64_e64 s[24:25], 2, v[18:19]
	v_cndmask_b32_e64 v5, 0, 1, s[14:15]
	s_and_b64 s[14:15], s[18:19], s[22:23]
	v_cmp_eq_u64_e64 s[26:27], 3, v[18:19]
	v_cndmask_b32_e64 v12, 0, 1, s[14:15]
	s_and_b64 s[14:15], s[18:19], s[24:25]
	v_cndmask_b32_e64 v13, 0, 1, s[14:15]
	s_and_b64 s[14:15], s[18:19], s[26:27]
	v_cndmask_b32_e64 v14, 0, 1, s[14:15]
	v_cmp_ne_u32_e64 s[18:19], 0, v5
	v_cmp_ne_u32_e64 s[20:21], 0, v12
	;; [unrolled: 1-line block ×4, first 2 shown]
	s_bcnt1_i32_b64 s5, s[18:19]
	s_bcnt1_i32_b64 s14, s[20:21]
	;; [unrolled: 1-line block ×4, first 2 shown]
	v_add_u32_e32 v8, s5, v8
	v_add_u32_e32 v9, s14, v9
	;; [unrolled: 1-line block ×3, first 2 shown]
	s_or_b64 s[16:17], vcc, s[16:17]
	v_add_u32_e32 v11, s18, v11
	s_andn2_b64 exec, exec, s[16:17]
	s_cbranch_execnz .LBB43_72
; %bb.73:                               ;   in Loop: Header=BB43_17 Depth=1
	s_or_b64 exec, exec, s[16:17]
	s_or_b64 s[82:83], s[82:83], exec
.LBB43_74:                              ;   in Loop: Header=BB43_17 Depth=1
	s_or_b64 exec, exec, s[8:9]
.LBB43_75:                              ;   in Loop: Header=BB43_17 Depth=1
	s_and_saveexec_b64 s[8:9], s[82:83]
	s_or_b64 exec, exec, s[8:9]
	s_lshl_b32 s4, s12, 6
	s_and_saveexec_b64 s[8:9], s[2:3]
	s_cbranch_execz .LBB43_77
; %bb.76:                               ;   in Loop: Header=BB43_17 Depth=1
	v_or_b32_e32 v2, s4, v33
	v_lshlrev_b32_e32 v2, 2, v2
	ds_write_b128 v2, v[8:11] offset:3072
.LBB43_77:                              ;   in Loop: Header=BB43_17 Depth=1
	s_or_b64 exec, exec, s[8:9]
	s_waitcnt lgkmcnt(0)
	s_barrier
	s_and_saveexec_b64 s[8:9], s[56:57]
	s_cbranch_execz .LBB43_91
; %bb.78:                               ;   in Loop: Header=BB43_17 Depth=1
	v_readlane_b32 s14, v54, 11
	v_readlane_b32 s15, v54, 12
	v_add_u32_e32 v2, s4, v23
	s_andn2_b64 vcc, exec, s[14:15]
	s_waitcnt vmcnt(0)
	v_mov_b32_e32 v4, 0
	s_cbranch_vccnz .LBB43_90
; %bb.79:                               ;   in Loop: Header=BB43_17 Depth=1
	v_readlane_b32 s14, v54, 15
	v_readlane_b32 s15, v54, 16
	s_mov_b32 s5, 0
	s_and_b64 vcc, exec, s[14:15]
	v_mov_b32_e32 v4, 0
	s_cbranch_vccz .LBB43_83
; %bb.80:                               ;   in Loop: Header=BB43_17 Depth=1
	v_readlane_b32 s14, v54, 23
	v_readlane_b32 s15, v54, 24
	v_lshl_add_u32 v8, v2, 2, v43
	s_andn2_b64 vcc, exec, s[14:15]
	s_cbranch_vccnz .LBB43_84
; %bb.81:                               ;   in Loop: Header=BB43_17 Depth=1
	s_mov_b32 s17, 1
	s_mov_b32 s16, 0
	v_mov_b32_e32 v4, 0
	v_readlane_b32 s5, v54, 25
	v_mov_b32_e32 v5, 0
.LBB43_82:                              ;   Parent Loop BB43_17 Depth=1
                                        ; =>  This Inner Loop Header: Depth=2
	v_lshl_add_u32 v9, s16, 4, v8
	v_lshl_add_u32 v18, s17, 4, v8
	ds_read2_b32 v[10:11], v9 offset1:8
	ds_read2_b32 v[12:13], v18 offset1:8
	ds_read2_b32 v[14:15], v9 offset0:16 offset1:24
	ds_read2_b32 v[26:27], v18 offset0:16 offset1:24
	;; [unrolled: 1-line block ×6, first 2 shown]
	s_waitcnt lgkmcnt(7)
	v_add3_u32 v4, v10, v4, v11
	s_waitcnt lgkmcnt(6)
	v_add3_u32 v5, v12, v5, v13
	;; [unrolled: 2-line block ×3, first 2 shown]
	v_add3_u32 v4, v14, v4, v15
	s_add_i32 s17, s17, 16
	s_add_i32 s16, s16, 16
	s_add_i32 s5, s5, -8
	s_waitcnt lgkmcnt(3)
	v_add3_u32 v4, v28, v4, v29
	s_waitcnt lgkmcnt(2)
	v_add3_u32 v5, v44, v5, v45
	s_cmp_lg_u32 s5, 0
	s_waitcnt lgkmcnt(0)
	v_add3_u32 v5, v48, v5, v49
	v_add3_u32 v4, v46, v4, v47
	s_cbranch_scc1 .LBB43_82
	s_branch .LBB43_85
.LBB43_83:                              ;   in Loop: Header=BB43_17 Depth=1
	s_cbranch_execnz .LBB43_88
	s_branch .LBB43_90
.LBB43_84:                              ;   in Loop: Header=BB43_17 Depth=1
	s_mov_b32 s55, s54
	v_pk_mov_b32 v[4:5], s[54:55], s[54:55] op_sel:[0,1]
	s_mov_b32 s55, 1
	s_mov_b64 s[16:17], s[54:55]
.LBB43_85:                              ;   in Loop: Header=BB43_17 Depth=1
	v_readlane_b32 s14, v54, 27
	v_readlane_b32 s15, v54, 28
	s_andn2_b64 vcc, exec, s[14:15]
	v_readlane_b32 s5, v54, 26
	s_cbranch_vccnz .LBB43_87
.LBB43_86:                              ;   Parent Loop BB43_17 Depth=1
                                        ; =>  This Inner Loop Header: Depth=2
	v_lshl_add_u32 v9, s16, 4, v8
	v_lshl_add_u32 v10, s17, 4, v8
	ds_read_b32 v10, v10
	ds_read_b32 v9, v9
	s_add_i32 s17, s17, 2
	s_add_i32 s16, s16, 2
	s_add_i32 s5, s5, -1
	s_cmp_lg_u32 s5, 0
	s_waitcnt lgkmcnt(1)
	v_add_u32_e32 v5, v10, v5
	s_waitcnt lgkmcnt(0)
	v_add_u32_e32 v4, v9, v4
	s_cbranch_scc1 .LBB43_86
.LBB43_87:                              ;   in Loop: Header=BB43_17 Depth=1
	v_readlane_b32 s16, v54, 31
	v_add_u32_e32 v4, v4, v5
	v_readlane_b32 s5, v54, 30
	v_readlane_b32 s17, v54, 32
	s_and_b64 vcc, exec, s[16:17]
	s_cbranch_vccz .LBB43_90
.LBB43_88:                              ;   in Loop: Header=BB43_17 Depth=1
	s_lshl_b32 s13, s12, 8
	s_lshl_b32 s14, s5, 4
	s_add_i32 s13, s13, s14
	v_add_u32_e32 v5, s13, v42
	v_readlane_b32 s13, v54, 29
	s_sub_i32 s5, s13, s5
.LBB43_89:                              ;   Parent Loop BB43_17 Depth=1
                                        ; =>  This Inner Loop Header: Depth=2
	ds_read_b32 v8, v5
	s_add_i32 s5, s5, -1
	v_add_u32_e32 v5, 16, v5
	s_cmp_eq_u32 s5, 0
	s_waitcnt lgkmcnt(0)
	v_add_u32_e32 v4, v8, v4
	s_cbranch_scc0 .LBB43_89
.LBB43_90:                              ;   in Loop: Header=BB43_17 Depth=1
	v_lshlrev_b32_e32 v2, 2, v2
	ds_write_b32 v2, v4 offset:3072
.LBB43_91:                              ;   in Loop: Header=BB43_17 Depth=1
	s_or_b64 exec, exec, s[8:9]
	s_lshl_b32 s4, s4, 2
	v_mov_b32_e32 v2, s4
	s_waitcnt lgkmcnt(0)
	s_barrier
	ds_read_b128 v[8:11], v2 offset:3072
	s_and_b32 s47, s11, 0xfe
	s_lshl_b64 s[20:21], 3, s47
	s_not_b64 s[30:31], s[20:21]
	s_waitcnt lgkmcnt(0)
	v_readfirstlane_b32 s34, v8
	s_cmp_eq_u32 s34, 1
	s_cselect_b64 s[4:5], -1, 0
	s_cmp_eq_u32 s61, 1
	s_cselect_b64 s[8:9], -1, 0
	s_and_b64 s[16:17], s[4:5], s[8:9]
	v_readfirstlane_b32 s38, v9
	v_readfirstlane_b32 s46, v10
	;; [unrolled: 1-line block ×3, first 2 shown]
	s_mov_b64 s[8:9], -1
	s_and_b64 vcc, exec, s[16:17]
	s_cbranch_vccz .LBB43_103
; %bb.92:                               ;   in Loop: Header=BB43_17 Depth=1
	ds_read_b32 v2, v19 offset:4096
	s_waitcnt lgkmcnt(0)
	s_barrier
	v_readfirstlane_b32 s4, v2
	s_mov_b64 s[18:19], exec
	v_readlane_b32 s14, v54, 17
	v_readlane_b32 s15, v54, 18
	s_and_b64 s[14:15], s[18:19], s[14:15]
	s_mov_b64 exec, s[14:15]
	s_cbranch_execz .LBB43_94
; %bb.93:                               ;   in Loop: Header=BB43_17 Depth=1
	v_mov_b32_e32 v18, v19
	ds_write_b64 v32, v[18:19]
.LBB43_94:                              ;   in Loop: Header=BB43_17 Depth=1
	s_or_b64 exec, exec, s[18:19]
	s_and_b64 s[80:81], s[80:81], s[30:31]
	s_or_b64 s[88:89], s[88:89], s[20:21]
	s_cmp_lt_i32 s4, 1
	s_waitcnt lgkmcnt(0)
	s_barrier
	s_cbranch_scc0 .LBB43_104
; %bb.95:                               ;   in Loop: Header=BB43_17 Depth=1
	s_mov_b64 s[18:19], 0
                                        ; implicit-def: $vgpr6_vgpr7
	s_mov_b64 s[22:23], exec
	v_readlane_b32 s14, v54, 40
	v_readlane_b32 s15, v54, 41
	s_and_b64 s[14:15], s[22:23], s[14:15]
	s_mov_b64 exec, s[14:15]
	s_cbranch_execz .LBB43_106
; %bb.96:                               ;   in Loop: Header=BB43_17 Depth=1
	s_mov_b64 s[26:27], 0
	v_mov_b32_e32 v8, v16
	v_mov_b32_e32 v10, v0
                                        ; implicit-def: $sgpr24_sgpr25
	s_branch .LBB43_98
.LBB43_97:                              ;   in Loop: Header=BB43_98 Depth=2
	s_or_b64 exec, exec, s[18:19]
	s_waitcnt lgkmcnt(0)
	s_barrier
	s_waitcnt vmcnt(0)
	ds_read_b128 v[4:7], v19 offset:3072
	v_add_u32_e32 v10, s66, v10
	v_cmp_le_i32_e64 s[18:19], s79, v10
	v_add_u32_e32 v8, s1, v8
	s_waitcnt lgkmcnt(0)
	v_cmp_neq_f64_e32 vcc, 0, v[4:5]
	s_or_b64 s[14:15], s[18:19], vcc
	s_and_b64 s[14:15], exec, s[14:15]
	s_or_b64 s[26:27], s[14:15], s[26:27]
	s_andn2_b64 s[14:15], s[24:25], exec
	s_and_b64 s[18:19], vcc, exec
	s_or_b64 s[24:25], s[14:15], s[18:19]
	s_barrier
	s_andn2_b64 exec, exec, s[26:27]
	s_cbranch_execz .LBB43_105
.LBB43_98:                              ;   Parent Loop BB43_17 Depth=1
                                        ; =>  This Inner Loop Header: Depth=2
	v_cmp_gt_i32_e32 vcc, s60, v10
	s_waitcnt vmcnt(0)
	v_pk_mov_b32 v[4:5], 0, 0
	s_and_saveexec_b64 s[28:29], vcc
	s_cbranch_execz .LBB43_100
; %bb.99:                               ;   in Loop: Header=BB43_98 Depth=2
	v_ashrrev_i32_e32 v9, 31, v8
	v_lshlrev_b64 v[4:5], 3, v[8:9]
	v_mov_b32_e32 v2, s0
	v_add_co_u32_e64 v4, s[18:19], s64, v4
	v_addc_co_u32_e64 v5, s[18:19], v2, v5, s[18:19]
	global_load_dwordx2 v[4:5], v[4:5], off
.LBB43_100:                             ;   in Loop: Header=BB43_98 Depth=2
	s_or_b64 exec, exec, s[28:29]
	s_and_saveexec_b64 s[18:19], vcc
	s_cbranch_execz .LBB43_97
; %bb.101:                              ;   in Loop: Header=BB43_98 Depth=2
	s_waitcnt vmcnt(0)
	v_ashrrev_i32_e32 v2, 31, v5
	v_or_b32_e32 v6, 0x80000000, v2
	v_xor_b32_e32 v6, v6, v5
	v_xor_b32_e32 v2, v2, v4
	v_cmp_o_f64_e32 vcc, v[4:5], v[4:5]
	v_cndmask_b32_e32 v6, -1, v6, vcc
	v_cndmask_b32_e32 v2, -1, v2, vcc
	v_and_b32_e32 v7, s89, v6
	v_and_b32_e32 v6, s88, v2
	v_cmp_eq_u64_e32 vcc, s[80:81], v[6:7]
	s_and_b64 exec, exec, vcc
	s_cbranch_execz .LBB43_97
; %bb.102:                              ;   in Loop: Header=BB43_98 Depth=2
	v_mov_b32_e32 v2, v19
	ds_write_b128 v19, v[2:5] offset:3072
	s_branch .LBB43_97
.LBB43_103:                             ;   in Loop: Header=BB43_17 Depth=1
	s_mov_b64 s[18:19], -1
                                        ; implicit-def: $sgpr22_sgpr23
                                        ; implicit-def: $sgpr26_sgpr27
                                        ; implicit-def: $sgpr24_sgpr25
	s_branch .LBB43_117
.LBB43_104:                             ;   in Loop: Header=BB43_17 Depth=1
	s_mov_b64 s[22:23], -1
	s_mov_b64 s[18:19], 0
                                        ; implicit-def: $sgpr24_sgpr25
                                        ; implicit-def: $vgpr6_vgpr7
	s_mov_b64 s[26:27], s[22:23]
	s_cbranch_execnz .LBB43_107
	s_branch .LBB43_117
.LBB43_105:                             ;   in Loop: Header=BB43_17 Depth=1
	s_or_b64 exec, exec, s[26:27]
	s_and_b64 s[18:19], s[24:25], exec
.LBB43_106:                             ;   in Loop: Header=BB43_17 Depth=1
	s_or_b64 exec, exec, s[22:23]
	s_mov_b64 s[24:25], -1
	s_mov_b64 s[22:23], 0
	s_mov_b64 s[26:27], s[22:23]
	s_branch .LBB43_117
.LBB43_107:                             ;   in Loop: Header=BB43_17 Depth=1
	v_readlane_b32 s5, v54, 8
	s_add_i32 s5, s4, s5
	s_abs_i32 s15, s5
	v_readlane_b32 s18, v54, 39
	s_mul_hi_u32 s18, s15, s18
	s_mul_i32 s18, s18, s66
	s_sub_i32 s15, s15, s18
	s_ashr_i32 s14, s5, 31
	s_sub_i32 s18, s15, s66
	s_cmp_ge_u32 s15, s66
	s_cselect_b32 s15, s18, s15
	s_sub_i32 s18, s15, s66
	s_cmp_ge_u32 s15, s66
	s_cselect_b32 s15, s18, s15
	s_xor_b32 s15, s15, s14
	s_sub_i32 s14, s14, s15
	s_add_i32 s5, s5, s14
	v_cmp_gt_i32_e32 vcc, s5, v0
	s_mov_b64 s[18:19], 0
                                        ; implicit-def: $vgpr6_vgpr7
	s_and_saveexec_b64 s[22:23], vcc
	s_cbranch_execz .LBB43_116
; %bb.108:                              ;   in Loop: Header=BB43_17 Depth=1
	s_mov_b64 s[26:27], 0
	v_mov_b32_e32 v8, v31
	v_mov_b32_e32 v9, v0
                                        ; implicit-def: $sgpr24_sgpr25
	s_branch .LBB43_110
.LBB43_109:                             ;   in Loop: Header=BB43_110 Depth=2
	s_or_b64 exec, exec, s[18:19]
	s_waitcnt lgkmcnt(0)
	s_barrier
	ds_read_b128 v[4:7], v19 offset:3072
	v_add_u32_e32 v9, s66, v9
	v_cmp_le_i32_e64 s[18:19], s5, v9
	v_add_u32_e32 v8, s10, v8
	s_waitcnt lgkmcnt(0)
	v_cmp_neq_f64_e32 vcc, 0, v[4:5]
	s_or_b64 s[14:15], s[18:19], vcc
	s_and_b64 s[14:15], exec, s[14:15]
	s_or_b64 s[26:27], s[14:15], s[26:27]
	s_andn2_b64 s[14:15], s[24:25], exec
	s_and_b64 s[18:19], vcc, exec
	s_or_b64 s[24:25], s[14:15], s[18:19]
	s_barrier
	s_andn2_b64 exec, exec, s[26:27]
	s_cbranch_execz .LBB43_115
.LBB43_110:                             ;   Parent Loop BB43_17 Depth=1
                                        ; =>  This Inner Loop Header: Depth=2
	v_cmp_gt_i32_e32 vcc, s4, v9
	s_waitcnt vmcnt(0)
	v_pk_mov_b32 v[4:5], 0, 0
	s_and_saveexec_b64 s[18:19], vcc
	s_cbranch_execz .LBB43_112
; %bb.111:                              ;   in Loop: Header=BB43_110 Depth=2
	ds_read_b64 v[4:5], v8
.LBB43_112:                             ;   in Loop: Header=BB43_110 Depth=2
	s_or_b64 exec, exec, s[18:19]
	s_and_saveexec_b64 s[18:19], vcc
	s_cbranch_execz .LBB43_109
; %bb.113:                              ;   in Loop: Header=BB43_110 Depth=2
	s_waitcnt lgkmcnt(0)
	v_ashrrev_i32_e32 v2, 31, v5
	v_or_b32_e32 v6, 0x80000000, v2
	v_xor_b32_e32 v6, v6, v5
	v_xor_b32_e32 v2, v2, v4
	v_cmp_o_f64_e32 vcc, v[4:5], v[4:5]
	v_cndmask_b32_e32 v6, -1, v6, vcc
	v_cndmask_b32_e32 v2, -1, v2, vcc
	v_and_b32_e32 v7, s89, v6
	v_and_b32_e32 v6, s88, v2
	v_cmp_eq_u64_e32 vcc, s[80:81], v[6:7]
	s_and_b64 exec, exec, vcc
	s_cbranch_execz .LBB43_109
; %bb.114:                              ;   in Loop: Header=BB43_110 Depth=2
	v_mov_b32_e32 v2, v19
	ds_write_b128 v19, v[2:5] offset:3072
	s_branch .LBB43_109
.LBB43_115:                             ;   in Loop: Header=BB43_17 Depth=1
	s_or_b64 exec, exec, s[26:27]
	s_and_b64 s[18:19], s[24:25], exec
.LBB43_116:                             ;   in Loop: Header=BB43_17 Depth=1
	s_or_b64 exec, exec, s[22:23]
	s_mov_b64 s[26:27], -1
	s_mov_b64 s[22:23], 0
	s_mov_b64 s[24:25], 0
.LBB43_117:                             ;   in Loop: Header=BB43_17 Depth=1
	s_andn2_b64 s[4:5], s[86:87], exec
	s_and_b64 s[14:15], s[22:23], exec
	s_or_b64 s[86:87], s[4:5], s[14:15]
	s_andn2_b64 s[4:5], s[84:85], exec
	s_and_b64 s[14:15], s[26:27], exec
	s_or_b64 s[84:85], s[4:5], s[14:15]
	;; [unrolled: 3-line block ×3, first 2 shown]
	s_and_saveexec_b64 s[22:23], s[18:19]
	s_cbranch_execz .LBB43_16
; %bb.118:                              ;   in Loop: Header=BB43_17 Depth=1
	s_xor_b64 s[4:5], s[16:17], -1
	s_mov_b64 s[8:9], 0
	s_andn2_b64 vcc, exec, s[4:5]
	s_mov_b32 s39, 1
	s_cbranch_vccnz .LBB43_129
; %bb.119:                              ;   in Loop: Header=BB43_17 Depth=1
	s_cmp_gt_i32 s61, s34
	s_mov_b64 s[8:9], -1
                                        ; implicit-def: $sgpr53
                                        ; implicit-def: $sgpr16_sgpr17
                                        ; implicit-def: $sgpr18_sgpr19
	s_cbranch_scc1 .LBB43_125
; %bb.120:                              ;   in Loop: Header=BB43_17 Depth=1
	ds_read_b32 v2, v19 offset:4096
	s_waitcnt lgkmcnt(0)
	v_cmp_ne_u32_e32 vcc, 0, v2
	s_cbranch_vccnz .LBB43_124
; %bb.121:                              ;   in Loop: Header=BB43_17 Depth=1
	s_mov_b64 s[8:9], exec
	v_readlane_b32 s4, v54, 5
	v_readlane_b32 s5, v54, 6
	s_and_b64 s[4:5], s[8:9], s[4:5]
	s_mov_b64 exec, s[4:5]
	s_cbranch_execz .LBB43_123
; %bb.122:                              ;   in Loop: Header=BB43_17 Depth=1
	v_mov_b32_e32 v2, s34
	ds_write_b32 v19, v2 offset:4100
.LBB43_123:                             ;   in Loop: Header=BB43_17 Depth=1
	s_or_b64 exec, exec, s[8:9]
	s_waitcnt lgkmcnt(0)
	s_barrier
.LBB43_124:                             ;   in Loop: Header=BB43_17 Depth=1
	s_and_b64 s[16:17], s[80:81], s[30:31]
	s_or_b64 s[18:19], s[88:89], s[20:21]
	s_mov_b64 s[8:9], 0
	s_mov_b32 s53, 8
.LBB43_125:                             ;   in Loop: Header=BB43_17 Depth=1
	s_andn2_b64 vcc, exec, s[8:9]
	s_cbranch_vccnz .LBB43_127
; %bb.126:                              ;   in Loop: Header=BB43_17 Depth=1
	s_sub_i32 s61, s61, s34
	s_mov_b64 s[8:9], -1
	s_mov_b32 s53, 0
	s_mov_b64 s[16:17], s[80:81]
	s_mov_b64 s[18:19], s[88:89]
.LBB43_127:                             ;   in Loop: Header=BB43_17 Depth=1
	s_mov_b64 s[88:89], s[18:19]
	s_mov_b64 s[80:81], s[16:17]
	s_mov_b32 s39, s61
	s_mov_b64 s[24:25], -1
	s_and_b64 vcc, exec, s[8:9]
	s_cbranch_vccnz .LBB43_130
.LBB43_128:                             ;   in Loop: Header=BB43_17 Depth=1
	s_mov_b64 s[18:19], -1
                                        ; implicit-def: $sgpr26_sgpr27
                                        ; implicit-def: $sgpr34_sgpr35
                                        ; implicit-def: $sgpr28_sgpr29
	s_and_saveexec_b64 s[4:5], s[18:19]
	s_xor_b64 s[8:9], exec, s[4:5]
	s_cbranch_execz .LBB43_15
	s_branch .LBB43_253
.LBB43_129:                             ;   in Loop: Header=BB43_17 Depth=1
	s_mov_b32 s53, 1
	s_mov_b64 s[24:25], -1
	s_and_b64 vcc, exec, s[8:9]
	s_cbranch_vccz .LBB43_128
.LBB43_130:                             ;   in Loop: Header=BB43_17 Depth=1
	s_cmp_eq_u32 s38, 1
	s_cselect_b64 s[4:5], -1, 0
	s_cmp_eq_u32 s39, 1
	s_cselect_b64 s[8:9], -1, 0
	s_and_b64 s[8:9], s[4:5], s[8:9]
	s_mov_b64 s[16:17], -1
	s_and_b64 vcc, exec, s[8:9]
	s_cbranch_vccz .LBB43_142
; %bb.131:                              ;   in Loop: Header=BB43_17 Depth=1
	ds_read_b32 v2, v19 offset:4096
	s_waitcnt lgkmcnt(0)
	s_barrier
	v_readfirstlane_b32 s4, v2
	s_mov_b64 s[16:17], exec
	v_readlane_b32 s14, v54, 17
	v_readlane_b32 s15, v54, 18
	s_and_b64 s[14:15], s[16:17], s[14:15]
	s_mov_b64 exec, s[14:15]
	s_cbranch_execz .LBB43_133
; %bb.132:                              ;   in Loop: Header=BB43_17 Depth=1
	v_mov_b32_e32 v18, v19
	ds_write_b64 v32, v[18:19]
.LBB43_133:                             ;   in Loop: Header=BB43_17 Depth=1
	s_or_b64 exec, exec, s[16:17]
	s_lshl_b64 s[14:15], 1, s47
	s_and_b64 s[16:17], s[80:81], s[30:31]
	s_or_b64 s[80:81], s[16:17], s[14:15]
	s_or_b64 s[88:89], s[88:89], s[20:21]
	s_cmp_gt_i32 s4, 0
	s_waitcnt lgkmcnt(0)
	s_barrier
	s_cbranch_scc1 .LBB43_143
; %bb.134:                              ;   in Loop: Header=BB43_17 Depth=1
	s_mov_b64 s[16:17], 0
                                        ; implicit-def: $vgpr6_vgpr7
	s_mov_b64 s[26:27], exec
	v_readlane_b32 s14, v54, 40
	v_readlane_b32 s15, v54, 41
	s_and_b64 s[14:15], s[26:27], s[14:15]
	s_mov_b64 exec, s[14:15]
	s_cbranch_execz .LBB43_145
; %bb.135:                              ;   in Loop: Header=BB43_17 Depth=1
	s_mov_b64 s[28:29], 0
	v_mov_b32_e32 v8, v16
	v_mov_b32_e32 v10, v0
                                        ; implicit-def: $sgpr16_sgpr17
	s_branch .LBB43_137
.LBB43_136:                             ;   in Loop: Header=BB43_137 Depth=2
	s_or_b64 exec, exec, s[18:19]
	s_waitcnt lgkmcnt(0)
	s_barrier
	s_waitcnt vmcnt(0)
	ds_read_b128 v[4:7], v19 offset:3072
	v_add_u32_e32 v10, s66, v10
	v_cmp_le_i32_e64 s[18:19], s79, v10
	v_add_u32_e32 v8, s1, v8
	s_waitcnt lgkmcnt(0)
	v_cmp_neq_f64_e32 vcc, 0, v[4:5]
	s_or_b64 s[14:15], s[18:19], vcc
	s_and_b64 s[14:15], exec, s[14:15]
	s_or_b64 s[28:29], s[14:15], s[28:29]
	s_andn2_b64 s[14:15], s[16:17], exec
	s_and_b64 s[16:17], vcc, exec
	s_or_b64 s[16:17], s[14:15], s[16:17]
	s_barrier
	s_andn2_b64 exec, exec, s[28:29]
	s_cbranch_execz .LBB43_144
.LBB43_137:                             ;   Parent Loop BB43_17 Depth=1
                                        ; =>  This Inner Loop Header: Depth=2
	v_cmp_gt_i32_e32 vcc, s60, v10
	s_waitcnt vmcnt(0)
	v_pk_mov_b32 v[4:5], 0, 0
	s_and_saveexec_b64 s[34:35], vcc
	s_cbranch_execz .LBB43_139
; %bb.138:                              ;   in Loop: Header=BB43_137 Depth=2
	v_ashrrev_i32_e32 v9, 31, v8
	v_lshlrev_b64 v[4:5], 3, v[8:9]
	v_mov_b32_e32 v2, s0
	v_add_co_u32_e64 v4, s[18:19], s64, v4
	v_addc_co_u32_e64 v5, s[18:19], v2, v5, s[18:19]
	global_load_dwordx2 v[4:5], v[4:5], off
.LBB43_139:                             ;   in Loop: Header=BB43_137 Depth=2
	s_or_b64 exec, exec, s[34:35]
	s_and_saveexec_b64 s[18:19], vcc
	s_cbranch_execz .LBB43_136
; %bb.140:                              ;   in Loop: Header=BB43_137 Depth=2
	s_waitcnt vmcnt(0)
	v_ashrrev_i32_e32 v2, 31, v5
	v_or_b32_e32 v6, 0x80000000, v2
	v_xor_b32_e32 v6, v6, v5
	v_xor_b32_e32 v2, v2, v4
	v_cmp_o_f64_e32 vcc, v[4:5], v[4:5]
	v_cndmask_b32_e32 v6, -1, v6, vcc
	v_cndmask_b32_e32 v2, -1, v2, vcc
	v_and_b32_e32 v7, s89, v6
	v_and_b32_e32 v6, s88, v2
	v_cmp_eq_u64_e32 vcc, s[80:81], v[6:7]
	s_and_b64 exec, exec, vcc
	s_cbranch_execz .LBB43_136
; %bb.141:                              ;   in Loop: Header=BB43_137 Depth=2
	v_mov_b32_e32 v2, v19
	ds_write_b128 v19, v[2:5] offset:3072
	s_branch .LBB43_136
.LBB43_142:                             ;   in Loop: Header=BB43_17 Depth=1
                                        ; implicit-def: $sgpr28_sgpr29
                                        ; implicit-def: $sgpr34_sgpr35
                                        ; implicit-def: $sgpr26_sgpr27
	s_branch .LBB43_156
.LBB43_143:                             ;   in Loop: Header=BB43_17 Depth=1
	s_mov_b64 s[28:29], -1
	s_mov_b64 s[16:17], 0
                                        ; implicit-def: $sgpr26_sgpr27
                                        ; implicit-def: $vgpr6_vgpr7
	s_mov_b64 s[34:35], s[28:29]
	s_cbranch_execnz .LBB43_146
	s_branch .LBB43_156
.LBB43_144:                             ;   in Loop: Header=BB43_17 Depth=1
	s_or_b64 exec, exec, s[28:29]
	s_and_b64 s[16:17], s[16:17], exec
.LBB43_145:                             ;   in Loop: Header=BB43_17 Depth=1
	s_or_b64 exec, exec, s[26:27]
	s_mov_b64 s[26:27], -1
	s_mov_b64 s[28:29], 0
	s_mov_b64 s[34:35], s[28:29]
	s_branch .LBB43_156
.LBB43_146:                             ;   in Loop: Header=BB43_17 Depth=1
	v_readlane_b32 s5, v54, 8
	s_add_i32 s5, s4, s5
	s_abs_i32 s15, s5
	v_readlane_b32 s16, v54, 39
	s_mul_hi_u32 s16, s15, s16
	s_mul_i32 s16, s16, s66
	s_sub_i32 s15, s15, s16
	s_ashr_i32 s14, s5, 31
	s_sub_i32 s16, s15, s66
	s_cmp_ge_u32 s15, s66
	s_cselect_b32 s15, s16, s15
	s_sub_i32 s16, s15, s66
	s_cmp_ge_u32 s15, s66
	s_cselect_b32 s15, s16, s15
	s_xor_b32 s15, s15, s14
	s_sub_i32 s14, s14, s15
	s_add_i32 s5, s5, s14
	v_cmp_gt_i32_e32 vcc, s5, v0
	s_mov_b64 s[16:17], 0
                                        ; implicit-def: $vgpr6_vgpr7
	s_and_saveexec_b64 s[26:27], vcc
	s_cbranch_execz .LBB43_155
; %bb.147:                              ;   in Loop: Header=BB43_17 Depth=1
	s_mov_b64 s[28:29], 0
	v_mov_b32_e32 v8, v31
	v_mov_b32_e32 v9, v0
                                        ; implicit-def: $sgpr16_sgpr17
	s_branch .LBB43_149
.LBB43_148:                             ;   in Loop: Header=BB43_149 Depth=2
	s_or_b64 exec, exec, s[18:19]
	s_waitcnt lgkmcnt(0)
	s_barrier
	ds_read_b128 v[4:7], v19 offset:3072
	v_add_u32_e32 v9, s66, v9
	v_cmp_le_i32_e64 s[18:19], s5, v9
	v_add_u32_e32 v8, s10, v8
	s_waitcnt lgkmcnt(0)
	v_cmp_neq_f64_e32 vcc, 0, v[4:5]
	s_or_b64 s[14:15], s[18:19], vcc
	s_and_b64 s[14:15], exec, s[14:15]
	s_or_b64 s[28:29], s[14:15], s[28:29]
	s_andn2_b64 s[14:15], s[16:17], exec
	s_and_b64 s[16:17], vcc, exec
	s_or_b64 s[16:17], s[14:15], s[16:17]
	s_barrier
	s_andn2_b64 exec, exec, s[28:29]
	s_cbranch_execz .LBB43_154
.LBB43_149:                             ;   Parent Loop BB43_17 Depth=1
                                        ; =>  This Inner Loop Header: Depth=2
	v_cmp_gt_i32_e32 vcc, s4, v9
	s_waitcnt vmcnt(0)
	v_pk_mov_b32 v[4:5], 0, 0
	s_and_saveexec_b64 s[18:19], vcc
	s_cbranch_execz .LBB43_151
; %bb.150:                              ;   in Loop: Header=BB43_149 Depth=2
	ds_read_b64 v[4:5], v8
.LBB43_151:                             ;   in Loop: Header=BB43_149 Depth=2
	s_or_b64 exec, exec, s[18:19]
	s_and_saveexec_b64 s[18:19], vcc
	s_cbranch_execz .LBB43_148
; %bb.152:                              ;   in Loop: Header=BB43_149 Depth=2
	s_waitcnt lgkmcnt(0)
	v_ashrrev_i32_e32 v2, 31, v5
	v_or_b32_e32 v6, 0x80000000, v2
	v_xor_b32_e32 v6, v6, v5
	v_xor_b32_e32 v2, v2, v4
	v_cmp_o_f64_e32 vcc, v[4:5], v[4:5]
	v_cndmask_b32_e32 v6, -1, v6, vcc
	v_cndmask_b32_e32 v2, -1, v2, vcc
	v_and_b32_e32 v7, s89, v6
	v_and_b32_e32 v6, s88, v2
	v_cmp_eq_u64_e32 vcc, s[80:81], v[6:7]
	s_and_b64 exec, exec, vcc
	s_cbranch_execz .LBB43_148
; %bb.153:                              ;   in Loop: Header=BB43_149 Depth=2
	v_mov_b32_e32 v2, v19
	ds_write_b128 v19, v[2:5] offset:3072
	s_branch .LBB43_148
.LBB43_154:                             ;   in Loop: Header=BB43_17 Depth=1
	s_or_b64 exec, exec, s[28:29]
	s_and_b64 s[16:17], s[16:17], exec
.LBB43_155:                             ;   in Loop: Header=BB43_17 Depth=1
	s_or_b64 exec, exec, s[26:27]
	s_mov_b64 s[34:35], -1
	s_mov_b64 s[28:29], 0
	s_mov_b64 s[26:27], 0
.LBB43_156:                             ;   in Loop: Header=BB43_17 Depth=1
	s_mov_b64 s[18:19], 0
                                        ; implicit-def: $sgpr53
	s_and_saveexec_b64 s[36:37], s[16:17]
	s_cbranch_execz .LBB43_252
; %bb.157:                              ;   in Loop: Header=BB43_17 Depth=1
	s_xor_b64 s[4:5], s[8:9], -1
	s_mov_b64 s[16:17], 0
	s_andn2_b64 vcc, exec, s[4:5]
	s_mov_b32 s48, 1
	s_cbranch_vccnz .LBB43_168
; %bb.158:                              ;   in Loop: Header=BB43_17 Depth=1
	s_cmp_gt_i32 s39, s38
	s_mov_b64 s[16:17], -1
                                        ; implicit-def: $sgpr53
                                        ; implicit-def: $sgpr8_sgpr9
                                        ; implicit-def: $sgpr18_sgpr19
	s_cbranch_scc1 .LBB43_164
; %bb.159:                              ;   in Loop: Header=BB43_17 Depth=1
	ds_read_b32 v2, v19 offset:4096
	s_waitcnt lgkmcnt(0)
	v_cmp_ne_u32_e32 vcc, 0, v2
	s_cbranch_vccnz .LBB43_163
; %bb.160:                              ;   in Loop: Header=BB43_17 Depth=1
	s_mov_b64 s[8:9], exec
	v_readlane_b32 s4, v54, 5
	v_readlane_b32 s5, v54, 6
	s_and_b64 s[4:5], s[8:9], s[4:5]
	s_mov_b64 exec, s[4:5]
	s_cbranch_execz .LBB43_162
; %bb.161:                              ;   in Loop: Header=BB43_17 Depth=1
	v_mov_b32_e32 v2, s38
	ds_write_b32 v19, v2 offset:4100
.LBB43_162:                             ;   in Loop: Header=BB43_17 Depth=1
	s_or_b64 exec, exec, s[8:9]
	s_waitcnt lgkmcnt(0)
	s_barrier
.LBB43_163:                             ;   in Loop: Header=BB43_17 Depth=1
	s_lshl_b64 s[4:5], 1, s47
	s_and_b64 s[8:9], s[80:81], s[30:31]
	s_or_b64 s[8:9], s[8:9], s[4:5]
	s_or_b64 s[18:19], s[88:89], s[20:21]
	s_mov_b64 s[16:17], 0
	s_mov_b32 s53, 8
.LBB43_164:                             ;   in Loop: Header=BB43_17 Depth=1
	s_andn2_b64 vcc, exec, s[16:17]
	s_cbranch_vccnz .LBB43_166
; %bb.165:                              ;   in Loop: Header=BB43_17 Depth=1
	s_sub_i32 s39, s39, s38
	s_mov_b64 s[16:17], -1
	s_mov_b32 s53, 0
	s_mov_b64 s[8:9], s[80:81]
	s_mov_b64 s[18:19], s[88:89]
.LBB43_166:                             ;   in Loop: Header=BB43_17 Depth=1
	s_mov_b64 s[88:89], s[18:19]
	s_mov_b64 s[80:81], s[8:9]
	s_mov_b32 s48, s39
	s_andn2_b64 vcc, exec, s[16:17]
	s_mov_b64 s[18:19], -1
	s_cbranch_vccz .LBB43_169
.LBB43_167:                             ;   in Loop: Header=BB43_17 Depth=1
                                        ; implicit-def: $sgpr40_sgpr41
                                        ; implicit-def: $sgpr42_sgpr43
                                        ; implicit-def: $sgpr38_sgpr39
	s_branch .LBB43_251
.LBB43_168:                             ;   in Loop: Header=BB43_17 Depth=1
	s_mov_b32 s53, 1
	s_andn2_b64 vcc, exec, s[16:17]
	s_mov_b64 s[18:19], -1
	s_cbranch_vccnz .LBB43_167
.LBB43_169:                             ;   in Loop: Header=BB43_17 Depth=1
	s_cmp_eq_u32 s46, 1
	s_cselect_b64 s[4:5], -1, 0
	s_cmp_eq_u32 s48, 1
	s_cselect_b64 s[8:9], -1, 0
	s_and_b64 s[8:9], s[4:5], s[8:9]
	s_mov_b64 s[16:17], -1
	s_and_b64 vcc, exec, s[8:9]
	s_cbranch_vccz .LBB43_181
; %bb.170:                              ;   in Loop: Header=BB43_17 Depth=1
	ds_read_b32 v2, v19 offset:4096
	s_waitcnt lgkmcnt(0)
	s_barrier
	v_readfirstlane_b32 s4, v2
	s_mov_b64 s[16:17], exec
	v_readlane_b32 s14, v54, 17
	v_readlane_b32 s15, v54, 18
	s_and_b64 s[14:15], s[16:17], s[14:15]
	s_mov_b64 exec, s[14:15]
	s_cbranch_execz .LBB43_172
; %bb.171:                              ;   in Loop: Header=BB43_17 Depth=1
	v_mov_b32_e32 v18, v19
	ds_write_b64 v32, v[18:19]
.LBB43_172:                             ;   in Loop: Header=BB43_17 Depth=1
	s_or_b64 exec, exec, s[16:17]
	s_lshl_b64 s[14:15], 2, s47
	s_and_b64 s[16:17], s[80:81], s[30:31]
	s_or_b64 s[80:81], s[16:17], s[14:15]
	s_or_b64 s[88:89], s[88:89], s[20:21]
	s_cmp_gt_i32 s4, 0
	s_waitcnt lgkmcnt(0)
	s_barrier
	s_cbranch_scc1 .LBB43_182
; %bb.173:                              ;   in Loop: Header=BB43_17 Depth=1
	s_mov_b64 s[16:17], 0
                                        ; implicit-def: $vgpr6_vgpr7
	s_mov_b64 s[38:39], exec
	v_readlane_b32 s14, v54, 40
	v_readlane_b32 s15, v54, 41
	s_and_b64 s[14:15], s[38:39], s[14:15]
	s_mov_b64 exec, s[14:15]
	s_cbranch_execz .LBB43_184
; %bb.174:                              ;   in Loop: Header=BB43_17 Depth=1
	s_mov_b64 s[40:41], 0
	v_mov_b32_e32 v8, v16
	v_mov_b32_e32 v10, v0
                                        ; implicit-def: $sgpr16_sgpr17
	s_branch .LBB43_176
.LBB43_175:                             ;   in Loop: Header=BB43_176 Depth=2
	s_or_b64 exec, exec, s[18:19]
	s_waitcnt lgkmcnt(0)
	s_barrier
	s_waitcnt vmcnt(0)
	ds_read_b128 v[4:7], v19 offset:3072
	v_add_u32_e32 v10, s66, v10
	v_cmp_le_i32_e64 s[18:19], s79, v10
	v_add_u32_e32 v8, s1, v8
	s_waitcnt lgkmcnt(0)
	v_cmp_neq_f64_e32 vcc, 0, v[4:5]
	s_or_b64 s[14:15], s[18:19], vcc
	s_and_b64 s[14:15], exec, s[14:15]
	s_or_b64 s[40:41], s[14:15], s[40:41]
	s_andn2_b64 s[14:15], s[16:17], exec
	s_and_b64 s[16:17], vcc, exec
	s_or_b64 s[16:17], s[14:15], s[16:17]
	s_barrier
	s_andn2_b64 exec, exec, s[40:41]
	s_cbranch_execz .LBB43_183
.LBB43_176:                             ;   Parent Loop BB43_17 Depth=1
                                        ; =>  This Inner Loop Header: Depth=2
	v_cmp_gt_i32_e32 vcc, s60, v10
	s_waitcnt vmcnt(0)
	v_pk_mov_b32 v[4:5], 0, 0
	s_and_saveexec_b64 s[42:43], vcc
	s_cbranch_execz .LBB43_178
; %bb.177:                              ;   in Loop: Header=BB43_176 Depth=2
	v_ashrrev_i32_e32 v9, 31, v8
	v_lshlrev_b64 v[4:5], 3, v[8:9]
	v_mov_b32_e32 v2, s0
	v_add_co_u32_e64 v4, s[18:19], s64, v4
	v_addc_co_u32_e64 v5, s[18:19], v2, v5, s[18:19]
	global_load_dwordx2 v[4:5], v[4:5], off
.LBB43_178:                             ;   in Loop: Header=BB43_176 Depth=2
	s_or_b64 exec, exec, s[42:43]
	s_and_saveexec_b64 s[18:19], vcc
	s_cbranch_execz .LBB43_175
; %bb.179:                              ;   in Loop: Header=BB43_176 Depth=2
	s_waitcnt vmcnt(0)
	v_ashrrev_i32_e32 v2, 31, v5
	v_or_b32_e32 v6, 0x80000000, v2
	v_xor_b32_e32 v6, v6, v5
	v_xor_b32_e32 v2, v2, v4
	v_cmp_o_f64_e32 vcc, v[4:5], v[4:5]
	v_cndmask_b32_e32 v6, -1, v6, vcc
	v_cndmask_b32_e32 v2, -1, v2, vcc
	v_and_b32_e32 v7, s89, v6
	v_and_b32_e32 v6, s88, v2
	v_cmp_eq_u64_e32 vcc, s[80:81], v[6:7]
	s_and_b64 exec, exec, vcc
	s_cbranch_execz .LBB43_175
; %bb.180:                              ;   in Loop: Header=BB43_176 Depth=2
	v_mov_b32_e32 v2, v19
	ds_write_b128 v19, v[2:5] offset:3072
	s_branch .LBB43_175
.LBB43_181:                             ;   in Loop: Header=BB43_17 Depth=1
                                        ; implicit-def: $sgpr38_sgpr39
                                        ; implicit-def: $sgpr42_sgpr43
                                        ; implicit-def: $sgpr40_sgpr41
	s_branch .LBB43_195
.LBB43_182:                             ;   in Loop: Header=BB43_17 Depth=1
	s_mov_b64 s[38:39], -1
	s_mov_b64 s[16:17], 0
                                        ; implicit-def: $sgpr40_sgpr41
                                        ; implicit-def: $vgpr6_vgpr7
	s_mov_b64 s[42:43], s[38:39]
	s_cbranch_execnz .LBB43_185
	s_branch .LBB43_195
.LBB43_183:                             ;   in Loop: Header=BB43_17 Depth=1
	s_or_b64 exec, exec, s[40:41]
	s_and_b64 s[16:17], s[16:17], exec
.LBB43_184:                             ;   in Loop: Header=BB43_17 Depth=1
	s_or_b64 exec, exec, s[38:39]
	s_mov_b64 s[40:41], -1
	s_mov_b64 s[38:39], 0
	s_mov_b64 s[42:43], s[38:39]
	s_branch .LBB43_195
.LBB43_185:                             ;   in Loop: Header=BB43_17 Depth=1
	v_readlane_b32 s5, v54, 8
	s_add_i32 s5, s4, s5
	s_abs_i32 s15, s5
	v_readlane_b32 s16, v54, 39
	s_mul_hi_u32 s16, s15, s16
	s_mul_i32 s16, s16, s66
	s_sub_i32 s15, s15, s16
	s_ashr_i32 s14, s5, 31
	s_sub_i32 s16, s15, s66
	s_cmp_ge_u32 s15, s66
	s_cselect_b32 s15, s16, s15
	s_sub_i32 s16, s15, s66
	s_cmp_ge_u32 s15, s66
	s_cselect_b32 s15, s16, s15
	s_xor_b32 s15, s15, s14
	s_sub_i32 s14, s14, s15
	s_add_i32 s5, s5, s14
	v_cmp_gt_i32_e32 vcc, s5, v0
	s_mov_b64 s[16:17], 0
                                        ; implicit-def: $vgpr6_vgpr7
	s_and_saveexec_b64 s[38:39], vcc
	s_cbranch_execz .LBB43_194
; %bb.186:                              ;   in Loop: Header=BB43_17 Depth=1
	s_mov_b64 s[40:41], 0
	v_mov_b32_e32 v8, v31
	v_mov_b32_e32 v9, v0
                                        ; implicit-def: $sgpr16_sgpr17
	s_branch .LBB43_188
.LBB43_187:                             ;   in Loop: Header=BB43_188 Depth=2
	s_or_b64 exec, exec, s[18:19]
	s_waitcnt lgkmcnt(0)
	s_barrier
	ds_read_b128 v[4:7], v19 offset:3072
	v_add_u32_e32 v9, s66, v9
	v_cmp_le_i32_e64 s[18:19], s5, v9
	v_add_u32_e32 v8, s10, v8
	s_waitcnt lgkmcnt(0)
	v_cmp_neq_f64_e32 vcc, 0, v[4:5]
	s_or_b64 s[14:15], s[18:19], vcc
	s_and_b64 s[14:15], exec, s[14:15]
	s_or_b64 s[40:41], s[14:15], s[40:41]
	s_andn2_b64 s[14:15], s[16:17], exec
	s_and_b64 s[16:17], vcc, exec
	s_or_b64 s[16:17], s[14:15], s[16:17]
	s_barrier
	s_andn2_b64 exec, exec, s[40:41]
	s_cbranch_execz .LBB43_193
.LBB43_188:                             ;   Parent Loop BB43_17 Depth=1
                                        ; =>  This Inner Loop Header: Depth=2
	v_cmp_gt_i32_e32 vcc, s4, v9
	s_waitcnt vmcnt(0)
	v_pk_mov_b32 v[4:5], 0, 0
	s_and_saveexec_b64 s[18:19], vcc
	s_cbranch_execz .LBB43_190
; %bb.189:                              ;   in Loop: Header=BB43_188 Depth=2
	ds_read_b64 v[4:5], v8
.LBB43_190:                             ;   in Loop: Header=BB43_188 Depth=2
	s_or_b64 exec, exec, s[18:19]
	s_and_saveexec_b64 s[18:19], vcc
	s_cbranch_execz .LBB43_187
; %bb.191:                              ;   in Loop: Header=BB43_188 Depth=2
	s_waitcnt lgkmcnt(0)
	v_ashrrev_i32_e32 v2, 31, v5
	v_or_b32_e32 v6, 0x80000000, v2
	v_xor_b32_e32 v6, v6, v5
	v_xor_b32_e32 v2, v2, v4
	v_cmp_o_f64_e32 vcc, v[4:5], v[4:5]
	v_cndmask_b32_e32 v6, -1, v6, vcc
	v_cndmask_b32_e32 v2, -1, v2, vcc
	v_and_b32_e32 v7, s89, v6
	v_and_b32_e32 v6, s88, v2
	v_cmp_eq_u64_e32 vcc, s[80:81], v[6:7]
	s_and_b64 exec, exec, vcc
	s_cbranch_execz .LBB43_187
; %bb.192:                              ;   in Loop: Header=BB43_188 Depth=2
	v_mov_b32_e32 v2, v19
	ds_write_b128 v19, v[2:5] offset:3072
	s_branch .LBB43_187
.LBB43_193:                             ;   in Loop: Header=BB43_17 Depth=1
	s_or_b64 exec, exec, s[40:41]
	s_and_b64 s[16:17], s[16:17], exec
.LBB43_194:                             ;   in Loop: Header=BB43_17 Depth=1
	s_or_b64 exec, exec, s[38:39]
	s_mov_b64 s[42:43], -1
	s_mov_b64 s[38:39], 0
	s_mov_b64 s[40:41], 0
.LBB43_195:                             ;   in Loop: Header=BB43_17 Depth=1
	s_mov_b64 s[18:19], 0
                                        ; implicit-def: $sgpr53
	s_and_saveexec_b64 s[44:45], s[16:17]
	s_cbranch_execz .LBB43_250
; %bb.196:                              ;   in Loop: Header=BB43_17 Depth=1
	s_xor_b64 s[4:5], s[8:9], -1
	s_mov_b64 s[16:17], 0
	s_andn2_b64 vcc, exec, s[4:5]
	s_mov_b32 s52, 1
	s_cbranch_vccnz .LBB43_207
; %bb.197:                              ;   in Loop: Header=BB43_17 Depth=1
	s_cmp_gt_i32 s48, s46
	s_mov_b64 s[16:17], -1
                                        ; implicit-def: $sgpr53
                                        ; implicit-def: $sgpr8_sgpr9
                                        ; implicit-def: $sgpr18_sgpr19
	s_cbranch_scc1 .LBB43_203
; %bb.198:                              ;   in Loop: Header=BB43_17 Depth=1
	ds_read_b32 v2, v19 offset:4096
	s_waitcnt lgkmcnt(0)
	v_cmp_ne_u32_e32 vcc, 0, v2
	s_cbranch_vccnz .LBB43_202
; %bb.199:                              ;   in Loop: Header=BB43_17 Depth=1
	s_mov_b64 s[8:9], exec
	v_readlane_b32 s4, v54, 5
	v_readlane_b32 s5, v54, 6
	s_and_b64 s[4:5], s[8:9], s[4:5]
	s_mov_b64 exec, s[4:5]
	s_cbranch_execz .LBB43_201
; %bb.200:                              ;   in Loop: Header=BB43_17 Depth=1
	v_mov_b32_e32 v2, s46
	ds_write_b32 v19, v2 offset:4100
.LBB43_201:                             ;   in Loop: Header=BB43_17 Depth=1
	s_or_b64 exec, exec, s[8:9]
	s_waitcnt lgkmcnt(0)
	s_barrier
.LBB43_202:                             ;   in Loop: Header=BB43_17 Depth=1
	s_lshl_b64 s[4:5], 2, s47
	s_and_b64 s[8:9], s[80:81], s[30:31]
	s_or_b64 s[8:9], s[8:9], s[4:5]
	s_or_b64 s[18:19], s[88:89], s[20:21]
	s_mov_b64 s[16:17], 0
	s_mov_b32 s53, 8
.LBB43_203:                             ;   in Loop: Header=BB43_17 Depth=1
	s_andn2_b64 vcc, exec, s[16:17]
	s_cbranch_vccnz .LBB43_205
; %bb.204:                              ;   in Loop: Header=BB43_17 Depth=1
	s_sub_i32 s48, s48, s46
	s_mov_b64 s[16:17], -1
	s_mov_b32 s53, 0
	s_mov_b64 s[8:9], s[80:81]
	s_mov_b64 s[18:19], s[88:89]
.LBB43_205:                             ;   in Loop: Header=BB43_17 Depth=1
	s_mov_b64 s[88:89], s[18:19]
	s_mov_b64 s[80:81], s[8:9]
	s_mov_b32 s52, s48
	s_andn2_b64 vcc, exec, s[16:17]
	s_mov_b64 s[50:51], -1
	s_cbranch_vccz .LBB43_208
.LBB43_206:                             ;   in Loop: Header=BB43_17 Depth=1
                                        ; implicit-def: $sgpr16_sgpr17
                                        ; implicit-def: $sgpr30_sgpr31
                                        ; implicit-def: $sgpr18_sgpr19
	s_branch .LBB43_249
.LBB43_207:                             ;   in Loop: Header=BB43_17 Depth=1
	s_mov_b32 s53, 1
	s_andn2_b64 vcc, exec, s[16:17]
	s_mov_b64 s[50:51], -1
	s_cbranch_vccnz .LBB43_206
.LBB43_208:                             ;   in Loop: Header=BB43_17 Depth=1
	s_cmp_eq_u32 s13, 1
	s_cselect_b64 s[4:5], -1, 0
	s_cmp_eq_u32 s52, 1
	s_cselect_b64 s[8:9], -1, 0
	s_and_b64 s[8:9], s[4:5], s[8:9]
	s_mov_b64 s[46:47], -1
	s_and_b64 vcc, exec, s[8:9]
	s_cbranch_vccz .LBB43_220
; %bb.209:                              ;   in Loop: Header=BB43_17 Depth=1
	ds_read_b32 v2, v19 offset:4096
	s_waitcnt lgkmcnt(0)
	s_barrier
	v_readfirstlane_b32 s4, v2
	s_mov_b64 s[16:17], exec
	v_readlane_b32 s14, v54, 17
	v_readlane_b32 s15, v54, 18
	s_and_b64 s[14:15], s[16:17], s[14:15]
	s_mov_b64 exec, s[14:15]
	s_cbranch_execz .LBB43_211
; %bb.210:                              ;   in Loop: Header=BB43_17 Depth=1
	v_mov_b32_e32 v18, v19
	ds_write_b64 v32, v[18:19]
.LBB43_211:                             ;   in Loop: Header=BB43_17 Depth=1
	s_or_b64 exec, exec, s[16:17]
	s_or_b64 s[80:81], s[80:81], s[20:21]
	s_or_b64 s[88:89], s[88:89], s[20:21]
	s_cmp_gt_i32 s4, 0
	s_waitcnt lgkmcnt(0)
	s_barrier
	s_cbranch_scc1 .LBB43_221
; %bb.212:                              ;   in Loop: Header=BB43_17 Depth=1
	s_mov_b64 s[46:47], 0
                                        ; implicit-def: $vgpr6_vgpr7
	s_mov_b64 s[16:17], exec
	v_readlane_b32 s14, v54, 40
	v_readlane_b32 s15, v54, 41
	s_and_b64 s[14:15], s[16:17], s[14:15]
	s_mov_b64 exec, s[14:15]
	s_cbranch_execz .LBB43_223
; %bb.213:                              ;   in Loop: Header=BB43_17 Depth=1
	v_mov_b32_e32 v8, v16
	v_mov_b32_e32 v10, v0
                                        ; implicit-def: $sgpr30_sgpr31
	s_branch .LBB43_215
.LBB43_214:                             ;   in Loop: Header=BB43_215 Depth=2
	s_or_b64 exec, exec, s[18:19]
	s_waitcnt lgkmcnt(0)
	s_barrier
	s_waitcnt vmcnt(0)
	ds_read_b128 v[4:7], v19 offset:3072
	v_add_u32_e32 v10, s66, v10
	v_cmp_le_i32_e64 s[18:19], s79, v10
	v_add_u32_e32 v8, s1, v8
	s_waitcnt lgkmcnt(0)
	v_cmp_neq_f64_e32 vcc, 0, v[4:5]
	s_or_b64 s[14:15], s[18:19], vcc
	s_and_b64 s[14:15], exec, s[14:15]
	s_or_b64 s[46:47], s[14:15], s[46:47]
	s_andn2_b64 s[14:15], s[30:31], exec
	s_and_b64 s[18:19], vcc, exec
	s_or_b64 s[30:31], s[14:15], s[18:19]
	s_barrier
	s_andn2_b64 exec, exec, s[46:47]
	s_cbranch_execz .LBB43_222
.LBB43_215:                             ;   Parent Loop BB43_17 Depth=1
                                        ; =>  This Inner Loop Header: Depth=2
	v_cmp_gt_i32_e32 vcc, s60, v10
	s_waitcnt vmcnt(0)
	v_pk_mov_b32 v[4:5], 0, 0
	s_and_saveexec_b64 s[48:49], vcc
	s_cbranch_execz .LBB43_217
; %bb.216:                              ;   in Loop: Header=BB43_215 Depth=2
	v_ashrrev_i32_e32 v9, 31, v8
	v_lshlrev_b64 v[4:5], 3, v[8:9]
	v_mov_b32_e32 v2, s0
	v_add_co_u32_e64 v4, s[18:19], s64, v4
	v_addc_co_u32_e64 v5, s[18:19], v2, v5, s[18:19]
	global_load_dwordx2 v[4:5], v[4:5], off
.LBB43_217:                             ;   in Loop: Header=BB43_215 Depth=2
	s_or_b64 exec, exec, s[48:49]
	s_and_saveexec_b64 s[18:19], vcc
	s_cbranch_execz .LBB43_214
; %bb.218:                              ;   in Loop: Header=BB43_215 Depth=2
	s_waitcnt vmcnt(0)
	v_ashrrev_i32_e32 v2, 31, v5
	v_or_b32_e32 v6, 0x80000000, v2
	v_xor_b32_e32 v6, v6, v5
	v_xor_b32_e32 v2, v2, v4
	v_cmp_o_f64_e32 vcc, v[4:5], v[4:5]
	v_cndmask_b32_e32 v6, -1, v6, vcc
	v_cndmask_b32_e32 v2, -1, v2, vcc
	v_and_b32_e32 v7, s89, v6
	v_and_b32_e32 v6, s88, v2
	v_cmp_eq_u64_e32 vcc, s[80:81], v[6:7]
	s_and_b64 exec, exec, vcc
	s_cbranch_execz .LBB43_214
; %bb.219:                              ;   in Loop: Header=BB43_215 Depth=2
	v_mov_b32_e32 v2, v19
	ds_write_b128 v19, v[2:5] offset:3072
	s_branch .LBB43_214
.LBB43_220:                             ;   in Loop: Header=BB43_17 Depth=1
                                        ; implicit-def: $sgpr16_sgpr17
                                        ; implicit-def: $sgpr30_sgpr31
                                        ; implicit-def: $sgpr18_sgpr19
	s_branch .LBB43_234
.LBB43_221:                             ;   in Loop: Header=BB43_17 Depth=1
	s_mov_b64 s[16:17], -1
	s_mov_b64 s[46:47], 0
                                        ; implicit-def: $sgpr18_sgpr19
                                        ; implicit-def: $vgpr6_vgpr7
	s_mov_b64 s[30:31], s[16:17]
	s_cbranch_execnz .LBB43_224
	s_branch .LBB43_234
.LBB43_222:                             ;   in Loop: Header=BB43_17 Depth=1
	s_or_b64 exec, exec, s[46:47]
	s_and_b64 s[46:47], s[30:31], exec
.LBB43_223:                             ;   in Loop: Header=BB43_17 Depth=1
	s_or_b64 exec, exec, s[16:17]
	s_mov_b64 s[18:19], -1
	s_mov_b64 s[16:17], 0
	s_mov_b64 s[30:31], s[16:17]
	s_branch .LBB43_234
.LBB43_224:                             ;   in Loop: Header=BB43_17 Depth=1
	v_readlane_b32 s5, v54, 8
	s_add_i32 s5, s4, s5
	s_abs_i32 s15, s5
	v_readlane_b32 s16, v54, 39
	s_mul_hi_u32 s16, s15, s16
	s_mul_i32 s16, s16, s66
	s_sub_i32 s15, s15, s16
	s_ashr_i32 s14, s5, 31
	s_sub_i32 s16, s15, s66
	s_cmp_ge_u32 s15, s66
	s_cselect_b32 s15, s16, s15
	s_sub_i32 s16, s15, s66
	s_cmp_ge_u32 s15, s66
	s_cselect_b32 s15, s16, s15
	s_xor_b32 s15, s15, s14
	s_sub_i32 s14, s14, s15
	s_add_i32 s5, s5, s14
	v_cmp_gt_i32_e32 vcc, s5, v0
	s_mov_b64 s[46:47], 0
                                        ; implicit-def: $vgpr6_vgpr7
	s_and_saveexec_b64 s[16:17], vcc
	s_cbranch_execz .LBB43_233
; %bb.225:                              ;   in Loop: Header=BB43_17 Depth=1
	v_mov_b32_e32 v8, v31
	v_mov_b32_e32 v9, v0
                                        ; implicit-def: $sgpr30_sgpr31
	s_branch .LBB43_227
.LBB43_226:                             ;   in Loop: Header=BB43_227 Depth=2
	s_or_b64 exec, exec, s[18:19]
	s_waitcnt lgkmcnt(0)
	s_barrier
	ds_read_b128 v[4:7], v19 offset:3072
	v_add_u32_e32 v9, s66, v9
	v_cmp_le_i32_e64 s[18:19], s5, v9
	v_add_u32_e32 v8, s10, v8
	s_waitcnt lgkmcnt(0)
	v_cmp_neq_f64_e32 vcc, 0, v[4:5]
	s_or_b64 s[14:15], s[18:19], vcc
	s_and_b64 s[14:15], exec, s[14:15]
	s_or_b64 s[46:47], s[14:15], s[46:47]
	s_andn2_b64 s[14:15], s[30:31], exec
	s_and_b64 s[18:19], vcc, exec
	s_or_b64 s[30:31], s[14:15], s[18:19]
	s_barrier
	s_andn2_b64 exec, exec, s[46:47]
	s_cbranch_execz .LBB43_232
.LBB43_227:                             ;   Parent Loop BB43_17 Depth=1
                                        ; =>  This Inner Loop Header: Depth=2
	v_cmp_gt_i32_e32 vcc, s4, v9
	s_waitcnt vmcnt(0)
	v_pk_mov_b32 v[4:5], 0, 0
	s_and_saveexec_b64 s[18:19], vcc
	s_cbranch_execz .LBB43_229
; %bb.228:                              ;   in Loop: Header=BB43_227 Depth=2
	ds_read_b64 v[4:5], v8
.LBB43_229:                             ;   in Loop: Header=BB43_227 Depth=2
	s_or_b64 exec, exec, s[18:19]
	s_and_saveexec_b64 s[18:19], vcc
	s_cbranch_execz .LBB43_226
; %bb.230:                              ;   in Loop: Header=BB43_227 Depth=2
	s_waitcnt lgkmcnt(0)
	v_ashrrev_i32_e32 v2, 31, v5
	v_or_b32_e32 v6, 0x80000000, v2
	v_xor_b32_e32 v6, v6, v5
	v_xor_b32_e32 v2, v2, v4
	v_cmp_o_f64_e32 vcc, v[4:5], v[4:5]
	v_cndmask_b32_e32 v6, -1, v6, vcc
	v_cndmask_b32_e32 v2, -1, v2, vcc
	v_and_b32_e32 v7, s89, v6
	v_and_b32_e32 v6, s88, v2
	v_cmp_eq_u64_e32 vcc, s[80:81], v[6:7]
	s_and_b64 exec, exec, vcc
	s_cbranch_execz .LBB43_226
; %bb.231:                              ;   in Loop: Header=BB43_227 Depth=2
	v_mov_b32_e32 v2, v19
	ds_write_b128 v19, v[2:5] offset:3072
	s_branch .LBB43_226
.LBB43_232:                             ;   in Loop: Header=BB43_17 Depth=1
	s_or_b64 exec, exec, s[46:47]
	s_and_b64 s[46:47], s[30:31], exec
.LBB43_233:                             ;   in Loop: Header=BB43_17 Depth=1
	s_or_b64 exec, exec, s[16:17]
	s_mov_b64 s[30:31], -1
	s_mov_b64 s[16:17], 0
	s_mov_b64 s[18:19], 0
.LBB43_234:                             ;   in Loop: Header=BB43_17 Depth=1
	s_mov_b64 s[50:51], 0
                                        ; implicit-def: $sgpr53
	s_and_saveexec_b64 s[48:49], s[46:47]
	s_cbranch_execz .LBB43_248
; %bb.235:                              ;   in Loop: Header=BB43_17 Depth=1
	s_xor_b64 s[4:5], s[8:9], -1
	s_andn2_b64 vcc, exec, s[4:5]
	s_mov_b32 s53, 1
	s_cbranch_vccnz .LBB43_242
; %bb.236:                              ;   in Loop: Header=BB43_17 Depth=1
	s_cmp_gt_i32 s52, s13
	s_cbranch_scc1 .LBB43_243
; %bb.237:                              ;   in Loop: Header=BB43_17 Depth=1
	ds_read_b32 v2, v19 offset:4096
	s_waitcnt lgkmcnt(0)
	v_cmp_ne_u32_e32 vcc, 0, v2
	s_cbranch_vccnz .LBB43_241
; %bb.238:                              ;   in Loop: Header=BB43_17 Depth=1
	s_mov_b64 s[8:9], exec
	v_readlane_b32 s4, v54, 5
	v_readlane_b32 s5, v54, 6
	s_and_b64 s[4:5], s[8:9], s[4:5]
	s_mov_b64 exec, s[4:5]
	s_cbranch_execz .LBB43_240
; %bb.239:                              ;   in Loop: Header=BB43_17 Depth=1
	v_mov_b32_e32 v2, s13
	ds_write_b32 v19, v2 offset:4100
.LBB43_240:                             ;   in Loop: Header=BB43_17 Depth=1
	s_or_b64 exec, exec, s[8:9]
	s_waitcnt lgkmcnt(0)
	s_barrier
.LBB43_241:                             ;   in Loop: Header=BB43_17 Depth=1
	s_or_b64 s[8:9], s[80:81], s[20:21]
	s_or_b64 s[20:21], s[88:89], s[20:21]
	s_mov_b64 s[46:47], 0
	s_mov_b32 s53, 8
	s_branch .LBB43_244
.LBB43_242:                             ;   in Loop: Header=BB43_17 Depth=1
	s_mov_b32 s52, 1
	s_branch .LBB43_247
.LBB43_243:                             ;   in Loop: Header=BB43_17 Depth=1
	s_mov_b64 s[46:47], -1
                                        ; implicit-def: $sgpr53
                                        ; implicit-def: $sgpr8_sgpr9
                                        ; implicit-def: $sgpr20_sgpr21
.LBB43_244:                             ;   in Loop: Header=BB43_17 Depth=1
	s_andn2_b64 vcc, exec, s[46:47]
	s_cbranch_vccnz .LBB43_246
; %bb.245:                              ;   in Loop: Header=BB43_17 Depth=1
	s_sub_i32 s52, s52, s13
	s_mov_b32 s53, 8
	s_mov_b64 s[8:9], s[80:81]
	s_mov_b64 s[20:21], s[88:89]
.LBB43_246:                             ;   in Loop: Header=BB43_17 Depth=1
	s_mov_b64 s[80:81], s[8:9]
	s_mov_b64 s[88:89], s[20:21]
.LBB43_247:                             ;   in Loop: Header=BB43_17 Depth=1
	s_mov_b64 s[50:51], exec
.LBB43_248:                             ;   in Loop: Header=BB43_17 Depth=1
	s_or_b64 exec, exec, s[48:49]
.LBB43_249:                             ;   in Loop: Header=BB43_17 Depth=1
	s_andn2_b64 s[4:5], s[38:39], exec
	s_and_b64 s[8:9], s[16:17], exec
	s_or_b64 s[38:39], s[4:5], s[8:9]
	s_andn2_b64 s[4:5], s[42:43], exec
	s_and_b64 s[8:9], s[30:31], exec
	s_or_b64 s[42:43], s[4:5], s[8:9]
	;; [unrolled: 3-line block ×3, first 2 shown]
	s_and_b64 s[18:19], s[50:51], exec
	s_mov_b32 s48, s52
.LBB43_250:                             ;   in Loop: Header=BB43_17 Depth=1
	s_or_b64 exec, exec, s[44:45]
.LBB43_251:                             ;   in Loop: Header=BB43_17 Depth=1
	s_andn2_b64 s[4:5], s[28:29], exec
	s_and_b64 s[8:9], s[38:39], exec
	s_or_b64 s[28:29], s[4:5], s[8:9]
	s_andn2_b64 s[4:5], s[34:35], exec
	s_and_b64 s[8:9], s[42:43], exec
	s_or_b64 s[34:35], s[4:5], s[8:9]
	;; [unrolled: 3-line block ×3, first 2 shown]
	s_and_b64 s[18:19], s[18:19], exec
	s_mov_b32 s39, s48
.LBB43_252:                             ;   in Loop: Header=BB43_17 Depth=1
	s_or_b64 exec, exec, s[36:37]
	s_and_saveexec_b64 s[4:5], s[18:19]
	s_xor_b64 s[8:9], exec, s[4:5]
	s_cbranch_execz .LBB43_15
.LBB43_253:                             ;   in Loop: Header=BB43_17 Depth=1
	s_and_b32 s4, s53, -9
	s_cmp_eq_u32 s4, 0
	s_cbranch_scc1 .LBB43_13
; %bb.254:                              ;   in Loop: Header=BB43_17 Depth=1
	s_mov_b64 s[16:17], -1
                                        ; implicit-def: $sgpr88_sgpr89
                                        ; implicit-def: $sgpr39
                                        ; implicit-def: $sgpr11
                                        ; implicit-def: $sgpr12
	s_mov_b64 s[18:19], -1
	s_branch .LBB43_14
.LBB43_255:
	s_or_b64 exec, exec, s[90:91]
	s_xor_b64 s[6:7], s[68:69], -1
	s_xor_b64 s[4:5], s[92:93], -1
	;; [unrolled: 1-line block ×3, first 2 shown]
	s_mov_b64 s[2:3], 0
	s_and_saveexec_b64 s[10:11], s[4:5]
	s_xor_b64 s[4:5], exec, s[10:11]
	s_cbranch_execnz .LBB43_260
; %bb.256:
	s_andn2_saveexec_b64 s[0:1], s[4:5]
	s_cbranch_execnz .LBB43_280
.LBB43_257:
	s_or_b64 exec, exec, s[0:1]
	s_and_saveexec_b64 s[0:1], s[2:3]
.LBB43_258:
	; divergent unreachable
.LBB43_259:
	s_endpgm
.LBB43_260:
	s_and_saveexec_b64 s[2:3], s[6:7]
	s_xor_b64 s[6:7], exec, s[2:3]
	s_cbranch_execz .LBB43_278
; %bb.261:
	s_and_saveexec_b64 s[2:3], s[8:9]
	s_xor_b64 s[2:3], exec, s[2:3]
; %bb.262:
	v_lshrrev_b32_e32 v1, 31, v5
	v_add_co_u32_e32 v1, vcc, -1, v1
	v_addc_co_u32_e64 v2, s[8:9], 0, -1, vcc
	v_or_b32_e32 v2, 0x80000000, v2
	v_xor_b32_e32 v7, v2, v5
	v_xor_b32_e32 v6, v1, v4
; %bb.263:
	s_or_b64 exec, exec, s[2:3]
	s_mov_b64 s[2:3], exec
	v_readlane_b32 s8, v54, 5
	v_readlane_b32 s9, v54, 6
	s_and_b64 s[8:9], s[2:3], s[8:9]
	s_mov_b64 exec, s[8:9]
	s_cbranch_execz .LBB43_265
; %bb.264:
	v_mov_b32_e32 v1, 0
	v_mov_b32_e32 v2, s60
	ds_write_b32 v1, v2 offset:4108
.LBB43_265:
	s_or_b64 exec, exec, s[2:3]
	v_mov_b32_e32 v1, 0
	s_waitcnt lgkmcnt(0)
	s_barrier
	ds_read_b32 v1, v1 offset:4108
	s_waitcnt lgkmcnt(0)
	v_min_i32_e32 v1, s60, v1
	v_cmp_lt_i32_e32 vcc, v0, v1
	s_and_saveexec_b64 s[8:9], vcc
	s_cbranch_execz .LBB43_275
; %bb.266:
	v_cmp_u_f64_e32 vcc, v[6:7], v[6:7]
	s_mov_b64 s[10:11], 0
	v_mov_b32_e32 v3, s0
	s_xor_b64 s[14:15], vcc, -1
                                        ; implicit-def: $sgpr12_sgpr13
                                        ; implicit-def: $sgpr18_sgpr19
                                        ; implicit-def: $sgpr16_sgpr17
	s_branch .LBB43_268
.LBB43_267:                             ;   in Loop: Header=BB43_268 Depth=1
	s_or_b64 exec, exec, s[2:3]
	s_and_b64 s[2:3], exec, s[18:19]
	s_or_b64 s[10:11], s[2:3], s[10:11]
	s_andn2_b64 s[2:3], s[12:13], exec
	s_and_b64 s[12:13], s[16:17], exec
	s_or_b64 s[12:13], s[2:3], s[12:13]
	s_andn2_b64 exec, exec, s[10:11]
	s_cbranch_execz .LBB43_270
.LBB43_268:                             ; =>This Inner Loop Header: Depth=1
	v_ashrrev_i32_e32 v17, 31, v16
	v_lshlrev_b64 v[4:5], 3, v[16:17]
	v_add_co_u32_e32 v4, vcc, s64, v4
	v_addc_co_u32_e32 v5, vcc, v3, v5, vcc
	global_load_dwordx2 v[4:5], v[4:5], off
	v_mov_b32_e32 v2, v0
	s_or_b64 s[16:17], s[16:17], exec
	s_or_b64 s[18:19], s[18:19], exec
                                        ; implicit-def: $vgpr0
	s_waitcnt vmcnt(0)
	v_cmp_o_f64_e64 s[2:3], v[4:5], v[4:5]
	v_cmp_neq_f64_e32 vcc, v[4:5], v[6:7]
	s_or_b64 s[2:3], s[2:3], s[14:15]
	s_and_b64 s[20:21], vcc, s[2:3]
	s_and_saveexec_b64 s[2:3], s[20:21]
	s_cbranch_execz .LBB43_267
; %bb.269:                              ;   in Loop: Header=BB43_268 Depth=1
	v_add_u32_e32 v0, s66, v2
	v_cmp_ge_i32_e32 vcc, v0, v1
	s_andn2_b64 s[18:19], s[18:19], exec
	s_and_b64 s[20:21], vcc, exec
	v_add_u32_e32 v16, s1, v16
	s_andn2_b64 s[16:17], s[16:17], exec
	s_or_b64 s[18:19], s[18:19], s[20:21]
	s_branch .LBB43_267
.LBB43_270:
	s_or_b64 exec, exec, s[10:11]
	s_and_saveexec_b64 s[0:1], s[12:13]
	s_xor_b64 s[0:1], exec, s[0:1]
	s_cbranch_execz .LBB43_275
; %bb.271:
	s_mov_b64 s[2:3], exec
	s_brev_b32 s0, -2
.LBB43_272:                             ; =>This Inner Loop Header: Depth=1
	s_ff1_i32_b64 s1, s[2:3]
	v_readlane_b32 s12, v2, s1
	s_lshl_b64 s[10:11], 1, s1
	s_min_i32 s0, s0, s12
	s_andn2_b64 s[2:3], s[2:3], s[10:11]
	s_cmp_lg_u64 s[2:3], 0
	s_cbranch_scc1 .LBB43_272
; %bb.273:
	v_mbcnt_lo_u32_b32 v0, exec_lo, 0
	v_mbcnt_hi_u32_b32 v0, exec_hi, v0
	v_cmp_eq_u32_e32 vcc, 0, v0
	s_and_saveexec_b64 s[2:3], vcc
	s_xor_b64 s[2:3], exec, s[2:3]
	s_cbranch_execz .LBB43_275
; %bb.274:
	v_mov_b32_e32 v0, 0
	v_mov_b32_e32 v1, s0
	ds_min_i32 v0, v1 offset:4108
.LBB43_275:
	s_or_b64 exec, exec, s[8:9]
	s_waitcnt lgkmcnt(0)
	s_barrier
	s_mov_b64 s[2:3], exec
	v_readlane_b32 s0, v54, 5
	v_readlane_b32 s1, v54, 6
	s_and_b64 s[0:1], s[2:3], s[0:1]
	s_mov_b64 exec, s[0:1]
	s_cbranch_execz .LBB43_277
; %bb.276:
	v_readlane_b32 s0, v54, 0
	s_mul_i32 s0, s0, s62
	v_readlane_b32 s1, v54, 7
	s_add_i32 s0, s0, s65
	s_mul_i32 s1, s1, s33
	s_add_i32 s8, s1, s67
	s_ashr_i32 s1, s0, 31
	v_mov_b32_e32 v2, 0
	s_lshl_b64 s[0:1], s[0:1], 3
	v_readlane_b32 s10, v54, 1
	ds_read_b32 v0, v2 offset:4108
	v_readlane_b32 s11, v54, 2
	s_add_u32 s0, s10, s0
	s_addc_u32 s1, s11, s1
	s_ashr_i32 s9, s8, 31
	s_lshl_b64 s[8:9], s[8:9], 3
	v_readlane_b32 s10, v54, 3
	v_readlane_b32 s11, v54, 4
	s_add_u32 s8, s10, s8
	s_addc_u32 s9, s11, s9
	s_waitcnt lgkmcnt(0)
	v_ashrrev_i32_e32 v1, 31, v0
	global_store_dwordx2 v2, v[0:1], s[8:9]
	global_store_dwordx2 v2, v[6:7], s[0:1]
.LBB43_277:
	s_or_b64 exec, exec, s[2:3]
.LBB43_278:
	s_or_saveexec_b64 s[0:1], s[6:7]
	s_mov_b64 s[2:3], 0
	s_xor_b64 exec, exec, s[0:1]
	s_cbranch_execnz .LBB43_281
.LBB43_279:
	s_or_b64 exec, exec, s[0:1]
	s_and_b64 s[2:3], s[2:3], exec
	s_andn2_saveexec_b64 s[0:1], s[4:5]
	s_cbranch_execz .LBB43_257
.LBB43_280:
	s_or_b64 s[2:3], s[2:3], exec
	s_trap 2
	s_or_b64 exec, exec, s[0:1]
	s_and_saveexec_b64 s[0:1], s[2:3]
	s_cbranch_execnz .LBB43_258
	s_branch .LBB43_259
.LBB43_281:
	s_mov_b64 s[2:3], exec
	s_trap 2
	s_branch .LBB43_279
	.section	.rodata,"a",@progbits
	.p2align	6, 0x0
	.amdhsa_kernel _ZN2at6native12_GLOBAL__N_114gatherKthValueIdiLin1EEEvNS_4cuda6detail10TensorInfoIKT_T0_EES8_S8_S8_S8_NS5_IS6_S8_EENS5_IlS8_EE
		.amdhsa_group_segment_fixed_size 4112
		.amdhsa_private_segment_fixed_size 0
		.amdhsa_kernarg_size 920
		.amdhsa_user_sgpr_count 6
		.amdhsa_user_sgpr_private_segment_buffer 1
		.amdhsa_user_sgpr_dispatch_ptr 0
		.amdhsa_user_sgpr_queue_ptr 0
		.amdhsa_user_sgpr_kernarg_segment_ptr 1
		.amdhsa_user_sgpr_dispatch_id 0
		.amdhsa_user_sgpr_flat_scratch_init 0
		.amdhsa_user_sgpr_kernarg_preload_length 0
		.amdhsa_user_sgpr_kernarg_preload_offset 0
		.amdhsa_user_sgpr_private_segment_size 0
		.amdhsa_uses_dynamic_stack 0
		.amdhsa_system_sgpr_private_segment_wavefront_offset 0
		.amdhsa_system_sgpr_workgroup_id_x 1
		.amdhsa_system_sgpr_workgroup_id_y 1
		.amdhsa_system_sgpr_workgroup_id_z 1
		.amdhsa_system_sgpr_workgroup_info 0
		.amdhsa_system_vgpr_workitem_id 0
		.amdhsa_next_free_vgpr 55
		.amdhsa_next_free_sgpr 96
		.amdhsa_accum_offset 56
		.amdhsa_reserve_vcc 1
		.amdhsa_reserve_flat_scratch 0
		.amdhsa_float_round_mode_32 0
		.amdhsa_float_round_mode_16_64 0
		.amdhsa_float_denorm_mode_32 3
		.amdhsa_float_denorm_mode_16_64 3
		.amdhsa_dx10_clamp 1
		.amdhsa_ieee_mode 1
		.amdhsa_fp16_overflow 0
		.amdhsa_tg_split 0
		.amdhsa_exception_fp_ieee_invalid_op 0
		.amdhsa_exception_fp_denorm_src 0
		.amdhsa_exception_fp_ieee_div_zero 0
		.amdhsa_exception_fp_ieee_overflow 0
		.amdhsa_exception_fp_ieee_underflow 0
		.amdhsa_exception_fp_ieee_inexact 0
		.amdhsa_exception_int_div_zero 0
	.end_amdhsa_kernel
	.section	.text._ZN2at6native12_GLOBAL__N_114gatherKthValueIdiLin1EEEvNS_4cuda6detail10TensorInfoIKT_T0_EES8_S8_S8_S8_NS5_IS6_S8_EENS5_IlS8_EE,"axG",@progbits,_ZN2at6native12_GLOBAL__N_114gatherKthValueIdiLin1EEEvNS_4cuda6detail10TensorInfoIKT_T0_EES8_S8_S8_S8_NS5_IS6_S8_EENS5_IlS8_EE,comdat
.Lfunc_end43:
	.size	_ZN2at6native12_GLOBAL__N_114gatherKthValueIdiLin1EEEvNS_4cuda6detail10TensorInfoIKT_T0_EES8_S8_S8_S8_NS5_IS6_S8_EENS5_IlS8_EE, .Lfunc_end43-_ZN2at6native12_GLOBAL__N_114gatherKthValueIdiLin1EEEvNS_4cuda6detail10TensorInfoIKT_T0_EES8_S8_S8_S8_NS5_IS6_S8_EENS5_IlS8_EE
                                        ; -- End function
	.section	.AMDGPU.csdata,"",@progbits
; Kernel info:
; codeLenInByte = 11684
; NumSgprs: 100
; NumVgprs: 55
; NumAgprs: 0
; TotalNumVgprs: 55
; ScratchSize: 0
; MemoryBound: 0
; FloatMode: 240
; IeeeMode: 1
; LDSByteSize: 4112 bytes/workgroup (compile time only)
; SGPRBlocks: 12
; VGPRBlocks: 6
; NumSGPRsForWavesPerEU: 100
; NumVGPRsForWavesPerEU: 55
; AccumOffset: 56
; Occupancy: 8
; WaveLimiterHint : 1
; COMPUTE_PGM_RSRC2:SCRATCH_EN: 0
; COMPUTE_PGM_RSRC2:USER_SGPR: 6
; COMPUTE_PGM_RSRC2:TRAP_HANDLER: 0
; COMPUTE_PGM_RSRC2:TGID_X_EN: 1
; COMPUTE_PGM_RSRC2:TGID_Y_EN: 1
; COMPUTE_PGM_RSRC2:TGID_Z_EN: 1
; COMPUTE_PGM_RSRC2:TIDIG_COMP_CNT: 0
; COMPUTE_PGM_RSRC3_GFX90A:ACCUM_OFFSET: 13
; COMPUTE_PGM_RSRC3_GFX90A:TG_SPLIT: 0
	.section	.text._ZN2at6native12_GLOBAL__N_114gatherKthValueIdlLi1EEEvNS_4cuda6detail10TensorInfoIKT_T0_EES8_S8_S8_S8_NS5_IS6_S8_EENS5_IlS8_EE,"axG",@progbits,_ZN2at6native12_GLOBAL__N_114gatherKthValueIdlLi1EEEvNS_4cuda6detail10TensorInfoIKT_T0_EES8_S8_S8_S8_NS5_IS6_S8_EENS5_IlS8_EE,comdat
	.globl	_ZN2at6native12_GLOBAL__N_114gatherKthValueIdlLi1EEEvNS_4cuda6detail10TensorInfoIKT_T0_EES8_S8_S8_S8_NS5_IS6_S8_EENS5_IlS8_EE ; -- Begin function _ZN2at6native12_GLOBAL__N_114gatherKthValueIdlLi1EEEvNS_4cuda6detail10TensorInfoIKT_T0_EES8_S8_S8_S8_NS5_IS6_S8_EENS5_IlS8_EE
	.p2align	8
	.type	_ZN2at6native12_GLOBAL__N_114gatherKthValueIdlLi1EEEvNS_4cuda6detail10TensorInfoIKT_T0_EES8_S8_S8_S8_NS5_IS6_S8_EENS5_IlS8_EE,@function
_ZN2at6native12_GLOBAL__N_114gatherKthValueIdlLi1EEEvNS_4cuda6detail10TensorInfoIKT_T0_EES8_S8_S8_S8_NS5_IS6_S8_EENS5_IlS8_EE: ; @_ZN2at6native12_GLOBAL__N_114gatherKthValueIdlLi1EEEvNS_4cuda6detail10TensorInfoIKT_T0_EES8_S8_S8_S8_NS5_IS6_S8_EENS5_IlS8_EE
; %bb.0:
	s_load_dwordx8 s[56:63], s[4:5], 0x1a0
	s_load_dwordx2 s[10:11], s[4:5], 0x500
	s_add_u32 s0, s4, 0x500
	s_addc_u32 s1, s5, 0
	s_mov_b32 s15, 0
	s_waitcnt lgkmcnt(0)
	v_mov_b32_e32 v2, s60
	s_mul_i32 s2, s11, s8
	s_add_i32 s2, s2, s7
	s_mul_i32 s2, s2, s10
	v_mov_b32_e32 v3, s61
	s_add_i32 s14, s2, s6
	v_cmp_ge_i64_e32 vcc, s[14:15], v[2:3]
	s_cbranch_vccnz .LBB44_282
; %bb.1:
	s_load_dwordx2 s[2:3], s[4:5], 0x430
                                        ; implicit-def: $vgpr60 : SGPR spill to VGPR lane
	v_cmp_eq_u32_e64 s[12:13], 0, v0
	s_waitcnt lgkmcnt(0)
	v_writelane_b32 v60, s2, 0
	v_writelane_b32 v60, s3, 1
	s_load_dwordx2 s[2:3], s[4:5], 0x360
	s_waitcnt lgkmcnt(0)
	v_writelane_b32 v60, s2, 2
	v_writelane_b32 v60, s3, 3
	s_load_dwordx2 s[2:3], s[4:5], 0x290
	;; [unrolled: 4-line block ×4, first 2 shown]
	s_load_dwordx2 s[2:3], s[4:5], 0x0
	s_mov_b64 s[4:5], exec
	v_writelane_b32 v60, s12, 8
	v_writelane_b32 v60, s13, 9
	s_and_b64 s[12:13], s[4:5], s[12:13]
	s_mov_b64 exec, s[12:13]
	s_cbranch_execz .LBB44_3
; %bb.2:
	v_mov_b32_e32 v2, 0
	v_mov_b32_e32 v4, s56
	;; [unrolled: 1-line block ×4, first 2 shown]
	ds_write_b32 v2, v2 offset:5136
	ds_write_b128 v2, v[2:5] offset:5120
.LBB44_3:
	s_or_b64 exec, exec, s[4:5]
	s_waitcnt lgkmcnt(0)
	s_mul_i32 s4, s9, s14
	s_mul_hi_u32 s5, s8, s14
	s_add_i32 s5, s5, s4
	s_mov_b32 s4, s14
	v_writelane_b32 v60, s4, 10
	v_writelane_b32 v60, s5, 11
	s_mul_i32 s4, s8, s14
	s_lshl_b64 s[4:5], s[4:5], 3
	v_mbcnt_lo_u32_b32 v1, -1, 0
	s_add_u32 s90, s2, s4
	v_mbcnt_hi_u32_b32 v40, -1, v1
	s_addc_u32 s91, s3, s5
	v_cmp_gt_u32_e32 vcc, 64, v0
	v_cmp_gt_i32_e64 s[2:3], 4, v40
	s_and_b64 s[48:49], vcc, s[2:3]
	v_cmp_gt_u32_e64 s[2:3], 2, v0
	v_mov_b32_e32 v2, 0x180
	v_writelane_b32 v60, s2, 12
	v_mov_b32_e32 v3, 0
	v_mov_b32_e32 v19, 0
	v_writelane_b32 v60, s3, 13
	v_cmp_gt_i64_e64 s[2:3], s[56:57], v[2:3]
	v_mov_b32_e32 v1, v19
	v_writelane_b32 v60, s2, 14
	v_writelane_b32 v60, s3, 15
	v_cmp_gt_u64_e64 s[2:3], s[56:57], v[0:1]
	v_writelane_b32 v60, s2, 16
	v_writelane_b32 v60, s3, 17
	v_mad_u64_u32 v[2:3], s[2:3], v0, s62, 0
	v_mov_b32_e32 v4, v3
	v_mad_u64_u32 v[4:5], s[2:3], v0, s63, v[4:5]
	s_barrier
	s_load_dword s2, s[0:1], 0xc
	v_mov_b32_e32 v3, v4
	v_lshlrev_b64 v[4:5], 3, v[2:3]
	v_add_co_u32_e32 v16, vcc, s90, v4
	s_waitcnt lgkmcnt(0)
	s_and_b32 s33, s2, 0xffff
	s_bfe_u32 s3, s2, 0xa0006
	v_cmp_gt_u16_e64 s[8:9], s2, 63
	v_writelane_b32 v60, s8, 18
	s_add_u32 s2, s33, -1
	v_writelane_b32 v60, s9, 19
	s_addc_u32 s7, 0, -1
	v_writelane_b32 v60, s2, 20
	s_add_u32 s2, s2, s56
	s_addc_u32 s47, s7, s57
	s_cmp_lt_u32 s6, s10
	v_writelane_b32 v60, s2, 21
	s_cselect_b32 s2, 12, 18
	s_add_u32 s50, s0, s2
	s_addc_u32 s51, s1, 0
	s_add_i32 s0, s3, -1
	s_bfe_u32 s2, s33, 0x30006
	s_cmp_gt_u32 s0, 6
	v_writelane_b32 v60, s7, 22
	s_cselect_b64 s[0:1], -1, 0
	v_writelane_b32 v60, s0, 23
	s_and_b32 s76, s3, 0x3f8
	v_writelane_b32 v60, s1, 24
	s_cmp_lg_u32 s2, 0
	v_lshrrev_b32_e32 v4, 4, v0
	v_writelane_b32 v60, s2, 25
	s_cselect_b64 s[0:1], -1, 0
	v_mov_b32_e32 v6, s91
	v_and_b32_e32 v43, 60, v4
	v_lshlrev_b32_e32 v4, 2, v40
	v_writelane_b32 v60, s0, 26
	v_addc_co_u32_e32 v17, vcc, v6, v5, vcc
	v_and_b32_e32 v44, 0x100, v4
	v_lshlrev_b64 v[4:5], v40, -1
	v_writelane_b32 v60, s1, 27
	s_lshl_b64 s[0:1], s[62:63], 3
	v_lshlrev_b32_e32 v45, 5, v0
	v_not_b32_e32 v23, v5
	v_writelane_b32 v60, s0, 28
	v_or_b32_e32 v5, 24, v45
	v_writelane_b32 v60, s1, 29
	v_mad_u64_u32 v[24:25], s[0:1], s62, v5, 0
	v_not_b32_e32 v22, v4
	v_mov_b32_e32 v4, v25
	v_mad_u64_u32 v[4:5], s[0:1], s63, v5, v[4:5]
	s_lshl_b64 s[0:1], s[62:63], 5
	v_writelane_b32 v60, s0, 30
	v_or_b32_e32 v5, 16, v45
	v_writelane_b32 v60, s1, 31
	v_mad_u64_u32 v[26:27], s[0:1], s62, v5, 0
	v_mov_b32_e32 v25, v4
	v_mov_b32_e32 v4, v27
	v_mad_u64_u32 v[4:5], s[0:1], s63, v5, v[4:5]
	v_cmp_eq_u32_e64 s[4:5], 0, v40
	v_or_b32_e32 v5, 8, v45
	v_mad_u64_u32 v[28:29], s[0:1], s62, v5, 0
	v_writelane_b32 v60, s4, 32
	v_mov_b32_e32 v27, v4
	v_mov_b32_e32 v4, v29
	v_writelane_b32 v60, s5, 33
	v_mad_u64_u32 v[4:5], s[0:1], s63, v5, v[4:5]
	v_writelane_b32 v60, s48, 34
	v_lshlrev_b64 v[30:31], 5, v[2:3]
	v_mov_b32_e32 v2, s57
	v_add_co_u32_e32 v46, vcc, s56, v0
	s_mul_i32 s0, s63, s33
	s_mul_hi_u32 s1, s62, s33
	v_writelane_b32 v60, s49, 35
	s_mov_b32 s75, 0
	v_lshlrev_b32_e32 v41, 3, v0
	v_addc_co_u32_e32 v47, vcc, 0, v2, vcc
	v_mov_b32_e32 v2, 0xc00
	s_add_i32 s1, s1, s0
	s_mul_i32 s0, s62, s33
	v_writelane_b32 v60, s50, 36
	v_add_u32_e32 v42, 0xc00, v41
	v_cmp_gt_i64_e64 s[80:81], s[56:57], v[0:1]
	v_lshlrev_b32_e32 v20, 2, v0
	v_mov_b32_e32 v21, v19
	s_mov_b32 s82, s75
	v_mov_b32_e32 v29, v4
	v_lshl_or_b32 v48, v40, 3, v2
	s_lshl_b64 s[70:71], s[0:1], 3
	s_lshl_b32 s78, s33, 3
	s_mov_b32 s52, 62
	s_mov_b64 s[92:93], 0
	v_pk_mov_b32 v[6:7], 0, 0
	v_mov_b32_e32 v3, 0x3ff00000
	v_cvt_f32_ubyte0_e32 v49, 0
	s_mov_b32 s83, 0
	s_mov_b64 s[86:87], 0
	s_mov_b64 s[84:85], 0
	v_writelane_b32 v60, s51, 37
                                        ; implicit-def: $sgpr54_sgpr55
                                        ; implicit-def: $sgpr66_sgpr67
                                        ; implicit-def: $sgpr64_sgpr65
                                        ; implicit-def: $sgpr68_sgpr69
                                        ; implicit-def: $sgpr72_sgpr73
                                        ; implicit-def: $sgpr10_sgpr11
	v_writelane_b32 v60, s76, 38
	s_branch .LBB44_8
.LBB44_4:                               ;   in Loop: Header=BB44_8 Depth=1
	s_xor_b32 s83, s83, 1
	s_add_i32 s8, s52, -2
	s_cmp_eq_u32 s52, 0
	s_mov_b64 s[2:3], 0
	s_cselect_b64 s[6:7], -1, 0
	s_mov_b32 s52, s8
.LBB44_5:                               ;   in Loop: Header=BB44_8 Depth=1
	s_andn2_b64 s[8:9], s[26:27], exec
	s_and_b64 s[2:3], s[2:3], exec
	s_or_b64 s[26:27], s[8:9], s[2:3]
	s_andn2_b64 s[30:31], s[30:31], exec
	s_andn2_b64 s[24:25], s[24:25], exec
	s_orn2_b64 s[18:19], s[6:7], exec
.LBB44_6:                               ;   in Loop: Header=BB44_8 Depth=1
	s_or_b64 exec, exec, s[0:1]
	s_andn2_b64 s[0:1], s[10:11], exec
	s_and_b64 s[2:3], s[26:27], exec
	s_or_b64 s[10:11], s[0:1], s[2:3]
	s_andn2_b64 s[0:1], s[72:73], exec
	s_and_b64 s[2:3], s[30:31], exec
	s_or_b64 s[72:73], s[0:1], s[2:3]
	;; [unrolled: 3-line block ×3, first 2 shown]
	s_orn2_b64 s[24:25], s[18:19], exec
.LBB44_7:                               ;   in Loop: Header=BB44_8 Depth=1
	s_or_b64 exec, exec, s[16:17]
	s_and_b64 s[0:1], exec, s[24:25]
	s_or_b64 s[92:93], s[0:1], s[92:93]
	s_andn2_b64 s[0:1], s[64:65], exec
	s_and_b64 s[2:3], s[10:11], exec
	s_or_b64 s[64:65], s[0:1], s[2:3]
	s_andn2_b64 s[0:1], s[66:67], exec
	s_and_b64 s[2:3], s[72:73], exec
	;; [unrolled: 3-line block ×3, first 2 shown]
	s_waitcnt vmcnt(0)
	v_pk_mov_b32 v[4:5], s[86:87], s[86:87] op_sel:[0,1]
	s_or_b64 s[54:55], s[0:1], s[2:3]
	s_andn2_b64 exec, exec, s[92:93]
	s_cbranch_execz .LBB44_278
.LBB44_8:                               ; =>This Loop Header: Depth=1
                                        ;     Child Loop BB44_16 Depth 2
                                        ;     Child Loop BB44_35 Depth 2
	;; [unrolled: 1-line block ×16, first 2 shown]
	ds_read_b128 v[8:11], v19 offset:5120
	s_waitcnt lgkmcnt(0)
	v_readfirstlane_b32 s61, v9
	v_readfirstlane_b32 s60, v8
	v_cmp_gt_i64_e64 s[0:1], s[60:61], 0
	s_and_b64 vcc, exec, s[0:1]
	s_cbranch_vccnz .LBB44_42
; %bb.9:                                ;   in Loop: Header=BB44_8 Depth=1
	v_readlane_b32 s0, v60, 14
	v_readlane_b32 s1, v60, 15
	s_and_b64 vcc, exec, s[0:1]
	s_cbranch_vccz .LBB44_24
; %bb.10:                               ;   in Loop: Header=BB44_8 Depth=1
	s_mov_b64 s[0:1], 0x181
	v_cmp_gt_i64_e32 vcc, s[0:1], v[10:11]
	s_mov_b64 s[0:1], 0
	s_mov_b64 s[2:3], 0
	s_cbranch_vccz .LBB44_29
; %bb.11:                               ;   in Loop: Header=BB44_8 Depth=1
	v_pk_mov_b32 v[4:5], 0, 0
	s_mov_b64 s[2:3], exec
	v_readlane_b32 s6, v60, 16
	v_readlane_b32 s7, v60, 17
	s_and_b64 s[6:7], s[2:3], s[6:7]
	s_mov_b64 exec, s[6:7]
	s_cbranch_execz .LBB44_13
; %bb.12:                               ;   in Loop: Header=BB44_8 Depth=1
	global_load_dwordx2 v[4:5], v[16:17], off
.LBB44_13:                              ;   in Loop: Header=BB44_8 Depth=1
	s_or_b64 exec, exec, s[2:3]
	s_mov_b64 s[2:3], exec
	v_readlane_b32 s6, v60, 16
	v_readlane_b32 s7, v60, 17
	s_and_b64 s[6:7], s[2:3], s[6:7]
	s_mov_b64 exec, s[6:7]
	s_cbranch_execz .LBB44_25
; %bb.14:                               ;   in Loop: Header=BB44_8 Depth=1
	global_load_ushort v2, v19, s[50:51]
	v_readlane_b32 s14, v60, 28
	v_pk_mov_b32 v[8:9], s[90:91], s[90:91] op_sel:[0,1]
	v_readlane_b32 s15, v60, 29
	s_mov_b64 s[8:9], 0
	s_waitcnt vmcnt(0)
	v_readfirstlane_b32 s6, v2
	s_and_b32 s6, 0xffff, s6
	v_add_u32_e32 v11, s6, v0
	s_mul_i32 s12, s15, s6
	s_mul_hi_u32 s13, s14, s6
	s_mul_i32 s20, s14, s6
	v_mad_u64_u32 v[8:9], s[6:7], s14, v11, v[8:9]
	v_mov_b32_e32 v10, v9
	v_mad_u64_u32 v[10:11], s[6:7], s15, v11, v[10:11]
	s_add_i32 s21, s13, s12
	v_mov_b32_e32 v9, v10
	v_pk_mov_b32 v[10:11], v[0:1], v[0:1] op_sel:[0,1]
	s_branch .LBB44_16
.LBB44_15:                              ;   in Loop: Header=BB44_16 Depth=2
	s_or_b64 exec, exec, s[6:7]
	v_mov_b32_e32 v4, s21
	v_add_co_u32_e32 v8, vcc, s20, v8
	v_addc_co_u32_e32 v9, vcc, v9, v4, vcc
	s_waitcnt vmcnt(0)
	v_pk_mov_b32 v[4:5], v[12:13], v[12:13] op_sel:[0,1]
	s_andn2_b64 exec, exec, s[8:9]
	s_cbranch_execz .LBB44_25
.LBB44_16:                              ;   Parent Loop BB44_8 Depth=1
                                        ; =>  This Inner Loop Header: Depth=2
	v_add_co_u32_sdwa v10, vcc, v10, v2 dst_sel:DWORD dst_unused:UNUSED_PAD src0_sel:DWORD src1_sel:WORD_0
	v_addc_co_u32_e32 v11, vcc, 0, v11, vcc
	v_cmp_gt_i64_e64 s[6:7], s[56:57], v[10:11]
	v_cmp_le_i64_e32 vcc, s[56:57], v[10:11]
	v_pk_mov_b32 v[12:13], 0, 0
	s_and_saveexec_b64 s[12:13], s[6:7]
	s_cbranch_execz .LBB44_18
; %bb.17:                               ;   in Loop: Header=BB44_16 Depth=2
	global_load_dwordx2 v[12:13], v[8:9], off
.LBB44_18:                              ;   in Loop: Header=BB44_16 Depth=2
	s_or_b64 exec, exec, s[12:13]
	s_waitcnt lgkmcnt(0)
	v_ashrrev_i32_e32 v14, 31, v5
	v_or_b32_e32 v15, 0x80000000, v14
	v_xor_b32_e32 v15, v15, v5
	v_xor_b32_e32 v14, v14, v4
	v_cmp_o_f64_e64 s[6:7], v[4:5], v[4:5]
	v_cndmask_b32_e64 v15, -1, v15, s[6:7]
	v_cndmask_b32_e64 v14, -1, v14, s[6:7]
	v_and_b32_e32 v15, s85, v15
	v_and_b32_e32 v14, s84, v14
	v_cmp_eq_u64_e64 s[12:13], s[86:87], v[14:15]
	s_cmp_lg_u64 s[12:13], 0
	s_cselect_b64 s[6:7], -1, 0
	s_and_b64 s[6:7], s[4:5], s[6:7]
	v_mov_b32_e32 v14, 0
	s_and_saveexec_b64 s[14:15], s[6:7]
	s_cbranch_execz .LBB44_22
; %bb.19:                               ;   in Loop: Header=BB44_16 Depth=2
	s_mov_b64 s[18:19], exec
	v_mbcnt_lo_u32_b32 v14, s18, 0
	v_mbcnt_hi_u32_b32 v14, s19, v14
	s_bcnt1_i32_b64 s22, s[12:13]
	v_cmp_eq_u32_e64 s[6:7], 0, v14
                                        ; implicit-def: $vgpr15
	s_and_saveexec_b64 s[16:17], s[6:7]
	s_cbranch_execz .LBB44_21
; %bb.20:                               ;   in Loop: Header=BB44_16 Depth=2
	s_bcnt1_i32_b64 s6, s[18:19]
	s_mul_i32 s6, s22, s6
	v_mov_b32_e32 v15, s6
	ds_add_rtn_u32 v15, v19, v15 offset:5136
.LBB44_21:                              ;   in Loop: Header=BB44_16 Depth=2
	s_or_b64 exec, exec, s[16:17]
	s_waitcnt lgkmcnt(0)
	v_readfirstlane_b32 s6, v15
	v_mov_b32_e32 v15, s6
	v_mad_u32_u24 v14, s22, v14, v15
.LBB44_22:                              ;   in Loop: Header=BB44_16 Depth=2
	s_or_b64 exec, exec, s[14:15]
	ds_bpermute_b32 v14, v44, v14
	s_and_b64 s[6:7], exec, vcc
	s_or_b64 s[8:9], s[6:7], s[8:9]
	s_and_saveexec_b64 s[6:7], s[12:13]
	s_cbranch_execz .LBB44_15
; %bb.23:                               ;   in Loop: Header=BB44_16 Depth=2
	v_and_b32_e32 v18, s12, v22
	v_and_b32_e32 v15, s13, v23
	v_bcnt_u32_b32 v18, v18, 0
	v_bcnt_u32_b32 v15, v15, v18
	v_lshlrev_b32_e32 v15, 3, v15
	s_waitcnt lgkmcnt(0)
	v_lshl_add_u32 v14, v14, 3, v15
	ds_write_b64 v14, v[4:5]
	s_branch .LBB44_15
.LBB44_24:                              ;   in Loop: Header=BB44_8 Depth=1
	s_mov_b64 s[0:1], -1
	s_mov_b64 s[2:3], 0
	s_branch .LBB44_28
.LBB44_25:                              ;   in Loop: Header=BB44_8 Depth=1
	s_or_b64 exec, exec, s[2:3]
	s_waitcnt lgkmcnt(0)
	s_barrier
	s_mov_b64 s[2:3], exec
	v_readlane_b32 s6, v60, 8
	v_readlane_b32 s7, v60, 9
	s_and_b64 s[6:7], s[2:3], s[6:7]
	s_mov_b64 exec, s[6:7]
	s_cbranch_execz .LBB44_27
; %bb.26:                               ;   in Loop: Header=BB44_8 Depth=1
	s_waitcnt vmcnt(0)
	ds_read_b32 v4, v19 offset:5136
	s_waitcnt lgkmcnt(0)
	v_ashrrev_i32_e32 v5, 31, v4
	ds_write_b64 v19, v[4:5] offset:5120
.LBB44_27:                              ;   in Loop: Header=BB44_8 Depth=1
	s_or_b64 exec, exec, s[2:3]
	s_waitcnt lgkmcnt(0)
	s_barrier
	s_mov_b64 s[2:3], -1
.LBB44_28:                              ;   in Loop: Header=BB44_8 Depth=1
                                        ; implicit-def: $sgpr60_sgpr61
.LBB44_29:                              ;   in Loop: Header=BB44_8 Depth=1
	s_and_b64 vcc, exec, s[0:1]
	s_cbranch_vccz .LBB44_40
; %bb.30:                               ;   in Loop: Header=BB44_8 Depth=1
	s_waitcnt vmcnt(0)
	v_pk_mov_b32 v[4:5], 0, 0
	s_and_saveexec_b64 s[0:1], s[80:81]
	s_cbranch_execz .LBB44_32
; %bb.31:                               ;   in Loop: Header=BB44_8 Depth=1
	global_load_dwordx2 v[4:5], v[16:17], off
.LBB44_32:                              ;   in Loop: Header=BB44_8 Depth=1
	s_or_b64 exec, exec, s[0:1]
	s_and_saveexec_b64 s[0:1], s[80:81]
	s_cbranch_execz .LBB44_37
; %bb.33:                               ;   in Loop: Header=BB44_8 Depth=1
	global_load_ushort v2, v19, s[50:51]
	v_readlane_b32 s14, v60, 28
	v_pk_mov_b32 v[8:9], s[90:91], s[90:91] op_sel:[0,1]
	v_readlane_b32 s15, v60, 29
	s_mov_b64 s[2:3], 0
	v_mov_b32_e32 v14, v41
	s_waitcnt vmcnt(0)
	v_readfirstlane_b32 s6, v2
	s_and_b32 s6, 0xffff, s6
	v_add_u32_e32 v11, s6, v0
	s_lshl_b32 s12, s6, 3
	s_mul_i32 s8, s15, s6
	s_mul_hi_u32 s9, s14, s6
	s_mul_i32 s13, s14, s6
	v_mad_u64_u32 v[8:9], s[6:7], s14, v11, v[8:9]
	v_mov_b32_e32 v10, v9
	v_mad_u64_u32 v[10:11], s[6:7], s15, v11, v[10:11]
	s_add_i32 s14, s9, s8
	v_mov_b32_e32 v9, v10
	v_pk_mov_b32 v[10:11], v[0:1], v[0:1] op_sel:[0,1]
	s_branch .LBB44_35
.LBB44_34:                              ;   in Loop: Header=BB44_35 Depth=2
	s_or_b64 exec, exec, s[8:9]
	s_and_b64 s[6:7], exec, vcc
	ds_write_b64 v14, v[4:5]
	v_mov_b32_e32 v4, s14
	v_add_co_u32_e32 v8, vcc, s13, v8
	s_or_b64 s[2:3], s[6:7], s[2:3]
	v_add_u32_e32 v14, s12, v14
	v_addc_co_u32_e32 v9, vcc, v9, v4, vcc
	s_waitcnt vmcnt(0)
	v_pk_mov_b32 v[4:5], v[12:13], v[12:13] op_sel:[0,1]
	s_andn2_b64 exec, exec, s[2:3]
	s_cbranch_execz .LBB44_37
.LBB44_35:                              ;   Parent Loop BB44_8 Depth=1
                                        ; =>  This Inner Loop Header: Depth=2
	v_add_co_u32_sdwa v10, vcc, v10, v2 dst_sel:DWORD dst_unused:UNUSED_PAD src0_sel:DWORD src1_sel:WORD_0
	v_addc_co_u32_e32 v11, vcc, 0, v11, vcc
	v_cmp_gt_i64_e64 s[6:7], s[56:57], v[10:11]
	v_cmp_le_i64_e32 vcc, s[56:57], v[10:11]
	v_pk_mov_b32 v[12:13], 0, 0
	s_and_saveexec_b64 s[8:9], s[6:7]
	s_cbranch_execz .LBB44_34
; %bb.36:                               ;   in Loop: Header=BB44_35 Depth=2
	global_load_dwordx2 v[12:13], v[8:9], off
	s_branch .LBB44_34
.LBB44_37:                              ;   in Loop: Header=BB44_8 Depth=1
	s_or_b64 exec, exec, s[0:1]
	s_waitcnt lgkmcnt(0)
	s_barrier
	s_mov_b64 s[0:1], exec
	v_readlane_b32 s2, v60, 8
	v_readlane_b32 s3, v60, 9
	s_and_b64 s[2:3], s[0:1], s[2:3]
	s_mov_b64 exec, s[2:3]
	s_cbranch_execz .LBB44_39
; %bb.38:                               ;   in Loop: Header=BB44_8 Depth=1
	s_waitcnt vmcnt(0)
	v_pk_mov_b32 v[4:5], s[56:57], s[56:57] op_sel:[0,1]
	ds_write_b64 v19, v[4:5] offset:5120
.LBB44_39:                              ;   in Loop: Header=BB44_8 Depth=1
	s_or_b64 exec, exec, s[0:1]
	s_mov_b64 s[2:3], -1
	s_waitcnt lgkmcnt(0)
	s_barrier
                                        ; implicit-def: $sgpr60_sgpr61
.LBB44_40:                              ;   in Loop: Header=BB44_8 Depth=1
	s_and_b64 vcc, exec, s[2:3]
	s_cbranch_vccz .LBB44_42
; %bb.41:                               ;   in Loop: Header=BB44_8 Depth=1
	s_waitcnt vmcnt(0)
	ds_read_b64 v[4:5], v19 offset:5120
	s_waitcnt lgkmcnt(0)
	v_readfirstlane_b32 s60, v4
.LBB44_42:                              ;   in Loop: Header=BB44_8 Depth=1
	s_cmp_lt_i32 s60, 1
	s_cbranch_scc0 .LBB44_57
; %bb.43:                               ;   in Loop: Header=BB44_8 Depth=1
	global_load_ushort v2, v19, s[50:51]
	s_mov_b32 s0, s75
	s_waitcnt vmcnt(0)
	v_readfirstlane_b32 s1, v2
	s_and_b32 s61, s1, 0xffff
	s_lshl_b32 s74, s61, 2
	s_mov_b32 s1, s57
	s_cmp_lg_u64 s[0:1], 0
	s_cbranch_scc0 .LBB44_77
; %bb.44:                               ;   in Loop: Header=BB44_8 Depth=1
	v_cvt_f32_u32_e32 v2, s74
	s_sub_u32 s0, 0, s74
	s_subb_u32 s1, 0, 0
	v_mac_f32_e32 v2, 0x4f800000, v49
	v_rcp_f32_e32 v2, v2
	v_mul_f32_e32 v2, 0x5f7ffffc, v2
	v_mul_f32_e32 v4, 0x2f800000, v2
	v_trunc_f32_e32 v4, v4
	v_mac_f32_e32 v2, 0xcf800000, v4
	v_cvt_u32_f32_e32 v4, v4
	v_cvt_u32_f32_e32 v2, v2
	v_readfirstlane_b32 s2, v4
	v_readfirstlane_b32 s3, v2
	s_mul_i32 s6, s0, s2
	s_mul_hi_u32 s8, s0, s3
	s_mul_i32 s7, s1, s3
	s_add_i32 s6, s8, s6
	s_mul_i32 s9, s0, s3
	s_add_i32 s6, s6, s7
	s_mul_hi_u32 s8, s3, s9
	s_mul_hi_u32 s7, s3, s6
	s_mul_i32 s3, s3, s6
	s_add_u32 s3, s8, s3
	s_addc_u32 s7, 0, s7
	s_mul_hi_u32 s12, s2, s9
	s_mul_i32 s9, s2, s9
	s_add_u32 s3, s3, s9
	s_mul_hi_u32 s8, s2, s6
	s_addc_u32 s3, s7, s12
	s_addc_u32 s7, s8, 0
	s_mul_i32 s6, s2, s6
	s_add_u32 s3, s3, s6
	s_addc_u32 s6, 0, s7
	v_add_co_u32_e32 v2, vcc, s3, v2
	s_cmp_lg_u64 vcc, 0
	s_addc_u32 s2, s2, s6
	v_readfirstlane_b32 s6, v2
	s_mul_i32 s3, s0, s2
	s_mul_hi_u32 s7, s0, s6
	s_add_i32 s3, s7, s3
	s_mul_i32 s1, s1, s6
	s_add_i32 s3, s3, s1
	s_mul_i32 s0, s0, s6
	s_mul_hi_u32 s7, s2, s0
	s_mul_i32 s8, s2, s0
	s_mul_i32 s12, s6, s3
	s_mul_hi_u32 s0, s6, s0
	s_mul_hi_u32 s9, s6, s3
	s_add_u32 s0, s0, s12
	s_addc_u32 s6, 0, s9
	s_add_u32 s0, s0, s8
	s_mul_hi_u32 s1, s2, s3
	s_addc_u32 s0, s6, s7
	s_addc_u32 s1, s1, 0
	s_mul_i32 s3, s2, s3
	s_add_u32 s0, s0, s3
	s_addc_u32 s1, 0, s1
	v_add_co_u32_e32 v2, vcc, s0, v2
	s_cmp_lg_u64 vcc, 0
	s_addc_u32 s6, s2, s1
	s_ashr_i32 s0, s57, 31
	s_add_u32 s2, s56, s0
	s_mov_b32 s1, s0
	s_addc_u32 s3, s57, s0
	s_xor_b64 s[2:3], s[2:3], s[0:1]
	v_readfirstlane_b32 s8, v2
	s_mul_i32 s7, s2, s6
	s_mul_hi_u32 s9, s2, s8
	s_mul_hi_u32 s1, s2, s6
	s_add_u32 s7, s9, s7
	s_addc_u32 s1, 0, s1
	s_mul_hi_u32 s12, s3, s8
	s_mul_i32 s8, s3, s8
	s_add_u32 s7, s7, s8
	s_mul_hi_u32 s9, s3, s6
	s_addc_u32 s1, s1, s12
	s_addc_u32 s7, s9, 0
	s_mul_i32 s6, s3, s6
	s_add_u32 s1, s1, s6
	s_addc_u32 s6, 0, s7
	s_mul_hi_u32 s7, s74, s1
	s_mul_i32 s1, s74, s1
	s_mul_i32 s6, s74, s6
	v_mov_b32_e32 v2, s1
	s_add_i32 s7, s7, s6
	v_sub_co_u32_e32 v2, vcc, s2, v2
	s_cmp_lg_u64 vcc, 0
	s_subb_u32 s1, s3, s7
	v_subrev_co_u32_e32 v4, vcc, s74, v2
	s_cmp_lg_u64 vcc, 0
	s_subb_u32 s2, s1, 0
	v_subrev_co_u32_e32 v5, vcc, s74, v4
	s_cmp_lg_u64 vcc, 0
	s_subb_u32 s3, s2, 0
	v_cmp_le_u32_e32 vcc, s74, v4
	s_cmp_eq_u32 s2, 0
	v_cndmask_b32_e64 v8, 0, -1, vcc
	s_cselect_b64 vcc, -1, 0
	v_cndmask_b32_e32 v8, -1, v8, vcc
	v_mov_b32_e32 v9, s2
	v_mov_b32_e32 v10, s3
	v_cmp_ne_u32_e32 vcc, 0, v8
	v_cndmask_b32_e32 v8, v9, v10, vcc
	v_cndmask_b32_e32 v4, v4, v5, vcc
	v_cmp_le_u32_e32 vcc, s74, v2
	s_cmp_eq_u32 s1, 0
	v_cndmask_b32_e64 v5, 0, -1, vcc
	s_cselect_b64 vcc, -1, 0
	v_cndmask_b32_e32 v5, -1, v5, vcc
	v_cmp_ne_u32_e32 vcc, 0, v5
	v_mov_b32_e32 v9, s1
	v_cndmask_b32_e32 v2, v2, v4, vcc
	v_cndmask_b32_e32 v5, v9, v8, vcc
	v_xor_b32_e32 v2, s0, v2
	v_xor_b32_e32 v5, s0, v5
	v_mov_b32_e32 v8, s0
	v_subrev_co_u32_e32 v4, vcc, s0, v2
	v_subb_co_u32_e32 v5, vcc, v5, v8, vcc
	s_cbranch_execnz .LBB44_46
.LBB44_45:                              ;   in Loop: Header=BB44_8 Depth=1
	v_cvt_f32_u32_e32 v2, s74
	s_sub_i32 s0, 0, s74
	v_rcp_iflag_f32_e32 v2, v2
	v_mul_f32_e32 v2, 0x4f7ffffe, v2
	v_cvt_u32_f32_e32 v2, v2
	v_mul_lo_u32 v4, s0, v2
	v_mul_hi_u32 v4, v2, v4
	v_add_u32_e32 v2, v2, v4
	v_mul_hi_u32 v2, s56, v2
	v_mul_lo_u32 v2, v2, s74
	v_sub_u32_e32 v2, s56, v2
	v_subrev_u32_e32 v4, s74, v2
	v_cmp_le_u32_e32 vcc, s74, v2
	v_cndmask_b32_e32 v2, v2, v4, vcc
	v_subrev_u32_e32 v4, s74, v2
	v_cmp_le_u32_e32 vcc, s74, v2
	v_cndmask_b32_e32 v18, v2, v4, vcc
	v_pk_mov_b32 v[4:5], v[18:19], v[18:19] op_sel:[0,1]
.LBB44_46:                              ;   in Loop: Header=BB44_8 Depth=1
	v_mov_b32_e32 v2, s57
	v_sub_co_u32_e32 v32, vcc, s56, v4
	v_subb_co_u32_e32 v33, vcc, v2, v5, vcc
	v_pk_mov_b32 v[8:9], 0, 0
	v_cmp_gt_i64_e32 vcc, v[32:33], v[20:21]
	s_mov_b64 s[8:9], 0
	v_pk_mov_b32 v[10:11], v[8:9], v[8:9] op_sel:[0,1]
	v_pk_mov_b32 v[12:13], v[8:9], v[8:9] op_sel:[0,1]
	;; [unrolled: 1-line block ×3, first 2 shown]
	s_and_saveexec_b64 s[0:1], vcc
	s_cbranch_execz .LBB44_50
; %bb.47:                               ;   in Loop: Header=BB44_8 Depth=1
	v_writelane_b32 v60, s66, 39
	v_writelane_b32 v60, s67, 40
	v_readlane_b32 s4, v60, 30
	v_readlane_b32 s5, v60, 31
	s_mul_i32 s2, s5, s61
	s_mul_hi_u32 s3, s4, s61
	s_mov_b64 s[66:67], s[64:65]
	s_mov_b64 s[64:65], s[54:55]
	;; [unrolled: 1-line block ×5, first 2 shown]
	s_mov_b32 s69, s47
	s_mov_b64 s[88:89], s[80:81]
	s_mov_b32 s68, s52
	s_and_b32 s80, s52, 0xfe
	s_add_i32 s81, s3, s2
	s_mul_i32 s79, s4, s61
	s_mov_b64 s[4:5], s[90:91]
	s_mov_b64 s[72:73], s[90:91]
	;; [unrolled: 1-line block ×6, first 2 shown]
	v_pk_mov_b32 v[34:35], v[20:21], v[20:21] op_sel:[0,1]
.LBB44_48:                              ;   Parent Loop BB44_8 Depth=1
                                        ; =>  This Inner Loop Header: Depth=2
	v_add_co_u32_e64 v34, s[6:7], s74, v34
	v_addc_co_u32_e64 v35, s[6:7], 0, v35, s[6:7]
	v_mov_b32_e32 v2, s73
	v_add_co_u32_e32 v14, vcc, s72, v28
	v_add_co_u32_e64 v36, s[12:13], s72, v26
	v_add_co_u32_e64 v38, s[14:15], s72, v24
	v_add_co_u32_e64 v50, s[6:7], s72, v30
	v_addc_co_u32_e64 v51, s[6:7], v2, v31, s[6:7]
	v_addc_co_u32_e32 v15, vcc, v2, v29, vcc
	v_addc_co_u32_e64 v37, vcc, v2, v27, s[12:13]
	v_addc_co_u32_e64 v39, vcc, v2, v25, s[14:15]
	global_load_dwordx2 v[50:51], v[50:51], off
	s_nop 0
	global_load_dwordx2 v[14:15], v[14:15], off
	s_nop 0
	global_load_dwordx2 v[36:37], v[36:37], off
	s_nop 0
	global_load_dwordx2 v[38:39], v[38:39], off
	v_mov_b32_e32 v9, v19
	v_mov_b32_e32 v11, v19
	;; [unrolled: 1-line block ×3, first 2 shown]
	v_cmp_ge_i64_e32 vcc, v[34:35], v[32:33]
	s_waitcnt vmcnt(3)
	v_ashrrev_i32_e32 v2, 31, v51
	s_waitcnt vmcnt(2)
	v_ashrrev_i32_e32 v8, 31, v15
	v_xor_b32_e32 v18, v8, v14
	v_cmp_o_f64_e64 s[6:7], v[14:15], v[14:15]
	v_or_b32_e32 v14, 0x80000000, v2
	s_waitcnt vmcnt(1)
	v_ashrrev_i32_e32 v10, 31, v37
	s_waitcnt vmcnt(0)
	v_ashrrev_i32_e32 v12, 31, v39
	v_xor_b32_e32 v2, v2, v50
	v_or_b32_e32 v8, 0x80000000, v8
	v_cmp_o_f64_e64 s[16:17], v[50:51], v[50:51]
	v_xor_b32_e32 v51, v14, v51
	v_xor_b32_e32 v52, v10, v36
	v_cmp_o_f64_e64 s[12:13], v[36:37], v[36:37]
	v_xor_b32_e32 v53, v12, v38
	v_cmp_o_f64_e64 s[14:15], v[38:39], v[38:39]
	v_or_b32_e32 v10, 0x80000000, v10
	v_xor_b32_e32 v8, v8, v15
	v_cndmask_b32_e64 v14, -1, v2, s[16:17]
	v_cndmask_b32_e64 v15, -1, v51, s[16:17]
	v_or_b32_e32 v12, 0x80000000, v12
	v_xor_b32_e32 v10, v10, v37
	v_cndmask_b32_e64 v36, -1, v18, s[6:7]
	v_cndmask_b32_e64 v38, -1, v52, s[12:13]
	;; [unrolled: 1-line block ×4, first 2 shown]
	v_and_b32_e32 v52, s84, v14
	v_and_b32_e32 v53, s85, v15
	v_lshrrev_b64 v[14:15], s80, v[14:15]
	v_xor_b32_e32 v12, v12, v39
	v_cndmask_b32_e64 v39, -1, v10, s[12:13]
	v_and_b32_e32 v54, s84, v36
	v_and_b32_e32 v55, s85, v37
	v_lshrrev_b64 v[36:37], s80, v[36:37]
	v_and_b32_e32 v18, 3, v14
	v_cndmask_b32_e64 v51, -1, v12, s[14:15]
	v_and_b32_e32 v56, s84, v38
	v_and_b32_e32 v57, s85, v39
	v_lshrrev_b64 v[38:39], s80, v[38:39]
	v_cmp_eq_u64_e64 s[18:19], s[86:87], v[52:53]
	v_and_b32_e32 v8, 3, v36
	v_cmp_eq_u64_e64 s[6:7], 0, v[18:19]
	v_and_b32_e32 v58, s84, v50
	v_and_b32_e32 v59, s85, v51
	v_lshrrev_b64 v[50:51], s80, v[50:51]
	v_cmp_eq_u64_e64 s[16:17], s[86:87], v[54:55]
	v_and_b32_e32 v10, 3, v38
	v_cmp_eq_u64_e64 s[30:31], 0, v[8:9]
	s_and_b64 s[6:7], s[18:19], s[6:7]
	v_cmp_eq_u64_e64 s[14:15], s[86:87], v[56:57]
	v_and_b32_e32 v12, 3, v50
	v_cmp_eq_u64_e64 s[34:35], 0, v[10:11]
	v_cndmask_b32_e64 v2, 0, 1, s[6:7]
	s_and_b64 s[6:7], s[16:17], s[30:31]
	v_cmp_eq_u64_e64 s[12:13], s[86:87], v[58:59]
	v_cmp_eq_u64_e64 s[36:37], 0, v[12:13]
	;; [unrolled: 1-line block ×5, first 2 shown]
	v_cndmask_b32_e64 v8, 0, 1, s[6:7]
	s_and_b64 s[6:7], s[14:15], s[34:35]
	v_cndmask_b32_e64 v9, 0, 1, s[6:7]
	s_and_b64 s[6:7], s[12:13], s[36:37]
	v_cmp_eq_u64_e64 s[42:43], 1, v[10:11]
	v_cmp_eq_u64_e64 s[50:51], 2, v[10:11]
	v_cmp_eq_u64_e64 s[22:23], 3, v[10:11]
	v_cndmask_b32_e64 v10, 0, 1, s[6:7]
	v_cmp_ne_u32_e64 s[6:7], 0, v2
	v_cmp_ne_u32_e64 s[30:31], 0, v8
	;; [unrolled: 1-line block ×4, first 2 shown]
	s_bcnt1_i32_b64 s6, s[6:7]
	s_bcnt1_i32_b64 s7, s[30:31]
	s_bcnt1_i32_b64 s30, s[34:35]
	s_bcnt1_i32_b64 s31, s[36:37]
	s_add_u32 s6, s6, s76
	s_addc_u32 s34, 0, s77
	s_add_u32 s6, s6, s7
	s_addc_u32 s7, s34, 0
	;; [unrolled: 2-line block ×3, first 2 shown]
	v_cmp_eq_u64_e64 s[38:39], 1, v[18:19]
	s_add_u32 s76, s6, s31
	s_addc_u32 s77, s7, 0
	s_and_b64 s[6:7], s[18:19], s[38:39]
	v_cndmask_b32_e64 v2, 0, 1, s[6:7]
	s_and_b64 s[6:7], s[16:17], s[40:41]
	v_cmp_eq_u64_e64 s[44:45], 1, v[12:13]
	v_cndmask_b32_e64 v10, 0, 1, s[6:7]
	s_and_b64 s[6:7], s[14:15], s[42:43]
	v_cndmask_b32_e64 v11, 0, 1, s[6:7]
	s_and_b64 s[6:7], s[12:13], s[44:45]
	v_cmp_eq_u64_e64 s[52:53], 2, v[12:13]
	v_cmp_eq_u64_e64 s[20:21], 3, v[12:13]
	v_cndmask_b32_e64 v12, 0, 1, s[6:7]
	v_cmp_ne_u32_e64 s[6:7], 0, v2
	v_cmp_ne_u32_e64 s[30:31], 0, v10
	;; [unrolled: 1-line block ×4, first 2 shown]
	s_bcnt1_i32_b64 s6, s[6:7]
	s_bcnt1_i32_b64 s7, s[30:31]
	;; [unrolled: 1-line block ×4, first 2 shown]
	s_add_u32 s6, s6, s90
	s_addc_u32 s34, 0, s91
	s_add_u32 s6, s6, s7
	s_addc_u32 s7, s34, 0
	;; [unrolled: 2-line block ×3, first 2 shown]
	v_cmp_eq_u64_e64 s[46:47], 2, v[18:19]
	s_add_u32 s90, s6, s31
	s_addc_u32 s91, s7, 0
	s_and_b64 s[6:7], s[18:19], s[46:47]
	v_cndmask_b32_e64 v2, 0, 1, s[6:7]
	s_and_b64 s[6:7], s[16:17], s[48:49]
	v_cndmask_b32_e64 v12, 0, 1, s[6:7]
	;; [unrolled: 2-line block ×4, first 2 shown]
	v_cmp_ne_u32_e64 s[6:7], 0, v2
	v_cmp_ne_u32_e64 s[30:31], 0, v12
	;; [unrolled: 1-line block ×4, first 2 shown]
	s_bcnt1_i32_b64 s6, s[6:7]
	s_bcnt1_i32_b64 s7, s[30:31]
	;; [unrolled: 1-line block ×4, first 2 shown]
	s_add_u32 s6, s6, s28
	s_addc_u32 s28, 0, s29
	s_add_u32 s6, s6, s7
	s_addc_u32 s7, s28, 0
	;; [unrolled: 2-line block ×3, first 2 shown]
	v_cmp_eq_u64_e64 s[26:27], 3, v[18:19]
	s_add_u32 s28, s6, s31
	s_addc_u32 s29, s7, 0
	s_and_b64 s[6:7], s[18:19], s[26:27]
	v_cndmask_b32_e64 v2, 0, 1, s[6:7]
	s_and_b64 s[6:7], s[16:17], s[24:25]
	v_cndmask_b32_e64 v14, 0, 1, s[6:7]
	;; [unrolled: 2-line block ×4, first 2 shown]
	v_cmp_ne_u32_e64 s[6:7], 0, v2
	v_cmp_ne_u32_e64 s[12:13], 0, v14
	v_cmp_ne_u32_e64 s[14:15], 0, v15
	v_cmp_ne_u32_e64 s[16:17], 0, v18
	s_bcnt1_i32_b64 s6, s[6:7]
	s_bcnt1_i32_b64 s7, s[12:13]
	;; [unrolled: 1-line block ×4, first 2 shown]
	s_add_u32 s2, s6, s2
	s_addc_u32 s3, 0, s3
	s_add_u32 s2, s2, s7
	s_addc_u32 s3, s3, 0
	;; [unrolled: 2-line block ×5, first 2 shown]
	v_pk_mov_b32 v[8:9], s[76:77], s[76:77] op_sel:[0,1]
	v_pk_mov_b32 v[10:11], s[90:91], s[90:91] op_sel:[0,1]
	;; [unrolled: 1-line block ×3, first 2 shown]
	s_or_b64 s[8:9], vcc, s[8:9]
	v_pk_mov_b32 v[14:15], s[2:3], s[2:3] op_sel:[0,1]
	s_andn2_b64 exec, exec, s[8:9]
	s_cbranch_execnz .LBB44_48
; %bb.49:                               ;   in Loop: Header=BB44_8 Depth=1
	s_or_b64 exec, exec, s[8:9]
	s_mov_b64 s[90:91], s[4:5]
	v_readlane_b32 s4, v60, 32
	v_readlane_b32 s48, v60, 34
	;; [unrolled: 1-line block ×3, first 2 shown]
	s_mov_b64 s[72:73], s[10:11]
	s_mov_b64 s[10:11], s[54:55]
	;; [unrolled: 1-line block ×4, first 2 shown]
	v_readlane_b32 s66, v60, 39
	s_mov_b64 s[80:81], s[88:89]
	v_readlane_b32 s5, v60, 33
	v_readlane_b32 s49, v60, 35
	s_mov_b32 s47, s69
	v_readlane_b32 s51, v60, 37
	s_mov_b32 s52, s68
	s_mov_b64 s[68:69], s[94:95]
	v_readlane_b32 s67, v60, 40
	v_readlane_b32 s76, v60, 38
.LBB44_50:                              ;   in Loop: Header=BB44_8 Depth=1
	s_or_b64 exec, exec, s[0:1]
	v_add_co_u32_e32 v32, vcc, v32, v0
	v_addc_co_u32_e32 v33, vcc, 0, v33, vcc
	v_cmp_gt_i64_e32 vcc, s[56:57], v[32:33]
	v_pk_mov_b32 v[34:35], 0, 0
	s_and_saveexec_b64 s[0:1], vcc
	s_cbranch_execz .LBB44_52
; %bb.51:                               ;   in Loop: Header=BB44_8 Depth=1
	v_mul_lo_u32 v2, v33, s62
	v_mul_lo_u32 v18, v32, s63
	v_mad_u64_u32 v[34:35], s[2:3], v32, s62, 0
	v_add3_u32 v35, v35, v18, v2
	v_lshlrev_b64 v[34:35], 3, v[34:35]
	v_mov_b32_e32 v2, s91
	v_add_co_u32_e64 v34, s[6:7], s90, v34
	v_addc_co_u32_e64 v35, s[6:7], v2, v35, s[6:7]
	global_load_dwordx2 v[34:35], v[34:35], off
.LBB44_52:                              ;   in Loop: Header=BB44_8 Depth=1
	s_or_b64 exec, exec, s[0:1]
	s_and_saveexec_b64 s[0:1], vcc
	s_cbranch_execz .LBB44_59
; %bb.53:                               ;   in Loop: Header=BB44_8 Depth=1
	v_mov_b32_e32 v2, s75
	v_add_co_u32_e32 v18, vcc, s61, v46
	v_addc_co_u32_e32 v2, vcc, v47, v2, vcc
	v_sub_co_u32_e32 v18, vcc, v18, v4
	v_subb_co_u32_e32 v2, vcc, v2, v5, vcc
	v_readlane_b32 s6, v60, 28
	v_pk_mov_b32 v[4:5], s[90:91], s[90:91] op_sel:[0,1]
	v_readlane_b32 s7, v60, 29
	v_mad_u64_u32 v[4:5], s[2:3], s6, v18, v[4:5]
	v_mul_lo_u32 v2, s6, v2
	v_mul_lo_u32 v36, s7, v18
	s_mul_i32 s2, s7, s61
	s_mul_hi_u32 s3, s6, s61
	s_and_b32 s12, s52, 0xfe
	v_add3_u32 v5, v36, v5, v2
	s_add_i32 s13, s3, s2
	s_mul_i32 s14, s6, s61
	s_mov_b64 s[2:3], 0
	s_branch .LBB44_55
.LBB44_54:                              ;   in Loop: Header=BB44_55 Depth=2
	s_or_b64 exec, exec, s[8:9]
	s_waitcnt vmcnt(0)
	v_ashrrev_i32_e32 v2, 31, v35
	v_or_b32_e32 v18, 0x80000000, v2
	s_and_b64 s[6:7], exec, vcc
	v_xor_b32_e32 v18, v18, v35
	v_xor_b32_e32 v2, v2, v34
	v_cmp_o_f64_e32 vcc, v[34:35], v[34:35]
	v_cndmask_b32_e32 v35, -1, v18, vcc
	v_cndmask_b32_e32 v34, -1, v2, vcc
	v_and_b32_e32 v39, s85, v35
	v_and_b32_e32 v38, s84, v34
	v_lshrrev_b64 v[34:35], s12, v[34:35]
	v_and_b32_e32 v18, 3, v34
	s_or_b64 s[2:3], s[6:7], s[2:3]
	v_cmp_eq_u64_e32 vcc, s[86:87], v[38:39]
	v_cmp_eq_u64_e64 s[6:7], 0, v[18:19]
	s_and_b64 s[6:7], vcc, s[6:7]
	v_cndmask_b32_e64 v2, 0, 1, s[6:7]
	v_cmp_ne_u32_e64 s[6:7], 0, v2
	s_bcnt1_i32_b64 s6, s[6:7]
	v_add_co_u32_e64 v8, s[6:7], s6, v8
	v_addc_co_u32_e64 v9, s[6:7], 0, v9, s[6:7]
	v_cmp_eq_u64_e64 s[6:7], 1, v[18:19]
	s_and_b64 s[6:7], vcc, s[6:7]
	v_cndmask_b32_e64 v2, 0, 1, s[6:7]
	v_cmp_ne_u32_e64 s[6:7], 0, v2
	s_bcnt1_i32_b64 s6, s[6:7]
	v_add_co_u32_e64 v10, s[6:7], s6, v10
	v_addc_co_u32_e64 v11, s[6:7], 0, v11, s[6:7]
	;; [unrolled: 7-line block ×3, first 2 shown]
	v_cmp_eq_u64_e64 s[6:7], 3, v[18:19]
	s_and_b64 s[6:7], vcc, s[6:7]
	v_cndmask_b32_e64 v2, 0, 1, s[6:7]
	v_cmp_ne_u32_e32 vcc, 0, v2
	s_bcnt1_i32_b64 s6, vcc
	v_add_co_u32_e32 v14, vcc, s6, v14
	v_addc_co_u32_e32 v15, vcc, 0, v15, vcc
	v_mov_b32_e32 v2, s13
	v_add_co_u32_e32 v4, vcc, s14, v4
	v_addc_co_u32_e32 v5, vcc, v5, v2, vcc
	v_pk_mov_b32 v[34:35], v[36:37], v[36:37] op_sel:[0,1]
	s_andn2_b64 exec, exec, s[2:3]
	s_cbranch_execz .LBB44_58
.LBB44_55:                              ;   Parent Loop BB44_8 Depth=1
                                        ; =>  This Inner Loop Header: Depth=2
	v_mov_b32_e32 v2, s75
	v_add_co_u32_e32 v32, vcc, s61, v32
	v_addc_co_u32_e32 v33, vcc, v33, v2, vcc
	v_cmp_gt_i64_e64 s[6:7], s[56:57], v[32:33]
	v_cmp_le_i64_e32 vcc, s[56:57], v[32:33]
	v_pk_mov_b32 v[36:37], 0, 0
	s_and_saveexec_b64 s[8:9], s[6:7]
	s_cbranch_execz .LBB44_54
; %bb.56:                               ;   in Loop: Header=BB44_55 Depth=2
	global_load_dwordx2 v[36:37], v[4:5], off
	s_branch .LBB44_54
.LBB44_57:                              ;   in Loop: Header=BB44_8 Depth=1
                                        ; implicit-def: $vgpr14_vgpr15
                                        ; implicit-def: $vgpr10_vgpr11
	s_cbranch_execnz .LBB44_60
	s_branch .LBB44_69
.LBB44_58:                              ;   in Loop: Header=BB44_8 Depth=1
	s_or_b64 exec, exec, s[2:3]
.LBB44_59:                              ;   in Loop: Header=BB44_8 Depth=1
	s_or_b64 exec, exec, s[0:1]
	s_branch .LBB44_69
.LBB44_60:                              ;   in Loop: Header=BB44_8 Depth=1
	global_load_ushort v2, v19, s[50:51]
	v_pk_mov_b32 v[8:9], 0, 0
	v_pk_mov_b32 v[10:11], v[8:9], v[8:9] op_sel:[0,1]
	v_pk_mov_b32 v[12:13], v[8:9], v[8:9] op_sel:[0,1]
	;; [unrolled: 1-line block ×3, first 2 shown]
	s_waitcnt vmcnt(0)
	v_readfirstlane_b32 s0, v2
	s_and_b32 s0, 0xffff, s0
	s_lshl_b32 s61, s0, 2
	v_cvt_f32_u32_e32 v4, s61
	s_sub_i32 s2, 0, s61
	s_mov_b64 s[0:1], 0
	v_and_b32_e32 v2, 0xffff, v2
	v_rcp_iflag_f32_e32 v4, v4
	v_mul_f32_e32 v4, 0x4f7ffffe, v4
	v_cvt_u32_f32_e32 v4, v4
	v_readfirstlane_b32 s3, v4
	s_mul_i32 s2, s2, s3
	s_mul_hi_u32 s2, s3, s2
	s_add_i32 s3, s3, s2
	s_mul_hi_u32 s2, s60, s3
	s_mul_i32 s2, s2, s61
	s_sub_i32 s2, s60, s2
	s_sub_i32 s3, s2, s61
	s_cmp_ge_u32 s2, s61
	s_cselect_b32 s2, s3, s2
	s_sub_i32 s3, s2, s61
	s_cmp_ge_u32 s2, s61
	s_cselect_b32 s2, s3, s2
	s_sub_i32 s74, s60, s2
	v_cmp_gt_u32_e32 vcc, s74, v20
	s_and_saveexec_b64 s[8:9], vcc
	s_cbranch_execz .LBB44_64
; %bb.61:                               ;   in Loop: Header=BB44_8 Depth=1
	s_mov_b64 s[94:95], s[66:67]
	s_mov_b64 s[66:67], s[64:65]
	;; [unrolled: 1-line block ×6, first 2 shown]
	s_mov_b32 s69, s47
	s_mov_b32 s68, s52
	s_and_b32 s79, s52, 0xfe
	v_lshlrev_b32_e32 v38, 5, v2
	v_mov_b32_e32 v39, v45
	s_mov_b64 s[2:3], 0
	s_mov_b64 s[28:29], 0
	;; [unrolled: 1-line block ×4, first 2 shown]
	v_pk_mov_b32 v[4:5], v[20:21], v[20:21] op_sel:[0,1]
.LBB44_62:                              ;   Parent Loop BB44_8 Depth=1
                                        ; =>  This Inner Loop Header: Depth=2
	ds_read_b128 v[12:15], v39
	ds_read_b128 v[8:11], v39 offset:16
	v_mov_b32_e32 v33, v19
	v_mov_b32_e32 v35, v19
	;; [unrolled: 1-line block ×3, first 2 shown]
	s_waitcnt lgkmcnt(1)
	v_ashrrev_i32_e32 v18, 31, v13
	v_ashrrev_i32_e32 v32, 31, v15
	s_waitcnt lgkmcnt(0)
	v_ashrrev_i32_e32 v34, 31, v9
	v_ashrrev_i32_e32 v36, 31, v11
	v_xor_b32_e32 v50, v32, v14
	v_cmp_o_f64_e64 s[6:7], v[14:15], v[14:15]
	v_xor_b32_e32 v14, v34, v8
	v_cmp_o_f64_e64 s[12:13], v[8:9], v[8:9]
	v_or_b32_e32 v8, 0x80000000, v18
	v_xor_b32_e32 v51, v36, v10
	v_cmp_o_f64_e64 s[14:15], v[10:11], v[10:11]
	v_xor_b32_e32 v10, v18, v12
	v_or_b32_e32 v18, 0x80000000, v32
	v_or_b32_e32 v32, 0x80000000, v34
	v_cmp_o_f64_e64 s[16:17], v[12:13], v[12:13]
	v_xor_b32_e32 v13, v8, v13
	v_or_b32_e32 v34, 0x80000000, v36
	v_xor_b32_e32 v15, v18, v15
	v_xor_b32_e32 v18, v32, v9
	v_cndmask_b32_e64 v8, -1, v10, s[16:17]
	v_cndmask_b32_e64 v9, -1, v13, s[16:17]
	v_xor_b32_e32 v32, v34, v11
	v_cndmask_b32_e64 v10, -1, v50, s[6:7]
	v_cndmask_b32_e64 v12, -1, v14, s[12:13]
	;; [unrolled: 1-line block ×4, first 2 shown]
	v_and_b32_e32 v50, s84, v8
	v_and_b32_e32 v51, s85, v9
	v_lshrrev_b64 v[8:9], s79, v[8:9]
	v_cndmask_b32_e64 v13, -1, v18, s[12:13]
	v_and_b32_e32 v52, s84, v10
	v_and_b32_e32 v53, s85, v11
	v_lshrrev_b64 v[10:11], s79, v[10:11]
	v_and_b32_e32 v18, 3, v8
	v_cndmask_b32_e64 v15, -1, v32, s[14:15]
	v_and_b32_e32 v54, s84, v12
	v_and_b32_e32 v55, s85, v13
	v_lshrrev_b64 v[12:13], s79, v[12:13]
	v_cmp_eq_u64_e64 s[18:19], s[86:87], v[50:51]
	v_and_b32_e32 v32, 3, v10
	v_cmp_eq_u64_e64 s[6:7], 0, v[18:19]
	v_and_b32_e32 v56, s84, v14
	v_and_b32_e32 v57, s85, v15
	v_lshrrev_b64 v[14:15], s79, v[14:15]
	v_cmp_eq_u64_e64 s[16:17], s[86:87], v[52:53]
	v_and_b32_e32 v34, 3, v12
	v_cmp_eq_u64_e64 s[30:31], 0, v[32:33]
	s_and_b64 s[6:7], s[18:19], s[6:7]
	v_cmp_eq_u64_e64 s[14:15], s[86:87], v[54:55]
	v_and_b32_e32 v36, 3, v14
	v_cmp_eq_u64_e64 s[34:35], 0, v[34:35]
	v_cndmask_b32_e64 v8, 0, 1, s[6:7]
	s_and_b64 s[6:7], s[16:17], s[30:31]
	v_cmp_eq_u64_e64 s[12:13], s[86:87], v[56:57]
	v_cmp_eq_u64_e64 s[36:37], 0, v[36:37]
	v_cndmask_b32_e64 v9, 0, 1, s[6:7]
	s_and_b64 s[6:7], s[14:15], s[34:35]
	v_cndmask_b32_e64 v10, 0, 1, s[6:7]
	s_and_b64 s[6:7], s[12:13], s[36:37]
	v_cndmask_b32_e64 v11, 0, 1, s[6:7]
	v_cmp_ne_u32_e64 s[6:7], 0, v8
	v_cmp_ne_u32_e64 s[30:31], 0, v9
	v_cmp_ne_u32_e64 s[34:35], 0, v10
	v_cmp_ne_u32_e64 s[36:37], 0, v11
	s_bcnt1_i32_b64 s6, s[6:7]
	s_bcnt1_i32_b64 s7, s[30:31]
	s_bcnt1_i32_b64 s30, s[34:35]
	s_bcnt1_i32_b64 s31, s[36:37]
	s_add_u32 s6, s6, s76
	s_addc_u32 s34, 0, s77
	s_add_u32 s6, s6, s7
	s_addc_u32 s7, s34, 0
	s_add_u32 s6, s6, s30
	s_addc_u32 s7, s7, 0
	v_cmp_eq_u64_e64 s[38:39], 1, v[18:19]
	s_add_u32 s76, s6, s31
	v_cmp_eq_u64_e64 s[40:41], 1, v[32:33]
	s_addc_u32 s77, s7, 0
	s_and_b64 s[6:7], s[18:19], s[38:39]
	v_cmp_eq_u64_e64 s[42:43], 1, v[34:35]
	v_cndmask_b32_e64 v10, 0, 1, s[6:7]
	s_and_b64 s[6:7], s[16:17], s[40:41]
	v_cmp_eq_u64_e64 s[44:45], 1, v[36:37]
	v_cndmask_b32_e64 v11, 0, 1, s[6:7]
	s_and_b64 s[6:7], s[14:15], s[42:43]
	v_cndmask_b32_e64 v12, 0, 1, s[6:7]
	s_and_b64 s[6:7], s[12:13], s[44:45]
	v_cndmask_b32_e64 v13, 0, 1, s[6:7]
	v_cmp_ne_u32_e64 s[6:7], 0, v10
	v_cmp_ne_u32_e64 s[30:31], 0, v11
	v_cmp_ne_u32_e64 s[34:35], 0, v12
	v_cmp_ne_u32_e64 s[36:37], 0, v13
	s_bcnt1_i32_b64 s6, s[6:7]
	s_bcnt1_i32_b64 s7, s[30:31]
	s_bcnt1_i32_b64 s30, s[34:35]
	s_bcnt1_i32_b64 s31, s[36:37]
	s_add_u32 s6, s6, s72
	s_addc_u32 s34, 0, s73
	s_add_u32 s6, s6, s7
	s_addc_u32 s7, s34, 0
	s_add_u32 s6, s6, s30
	s_addc_u32 s7, s7, 0
	v_cmp_eq_u64_e64 s[46:47], 2, v[18:19]
	s_add_u32 s72, s6, s31
	v_cmp_eq_u64_e64 s[48:49], 2, v[32:33]
	s_addc_u32 s73, s7, 0
	s_and_b64 s[6:7], s[18:19], s[46:47]
	v_cmp_eq_u64_e64 s[50:51], 2, v[34:35]
	v_cndmask_b32_e64 v12, 0, 1, s[6:7]
	s_and_b64 s[6:7], s[16:17], s[48:49]
	v_cmp_eq_u64_e64 s[52:53], 2, v[36:37]
	v_cndmask_b32_e64 v13, 0, 1, s[6:7]
	s_and_b64 s[6:7], s[14:15], s[50:51]
	v_cndmask_b32_e64 v14, 0, 1, s[6:7]
	s_and_b64 s[6:7], s[12:13], s[52:53]
	v_cndmask_b32_e64 v15, 0, 1, s[6:7]
	v_cmp_ne_u32_e64 s[6:7], 0, v12
	v_cmp_ne_u32_e64 s[30:31], 0, v13
	v_cmp_ne_u32_e64 s[34:35], 0, v14
	v_cmp_ne_u32_e64 s[36:37], 0, v15
	s_bcnt1_i32_b64 s6, s[6:7]
	s_bcnt1_i32_b64 s7, s[30:31]
	s_bcnt1_i32_b64 s30, s[34:35]
	s_bcnt1_i32_b64 s31, s[36:37]
	s_add_u32 s6, s6, s28
	s_addc_u32 s28, 0, s29
	s_add_u32 s6, s6, s7
	s_addc_u32 s7, s28, 0
	s_add_u32 s6, s6, s30
	s_addc_u32 s7, s7, 0
	v_cmp_eq_u64_e64 s[26:27], 3, v[18:19]
	s_add_u32 s28, s6, s31
	v_cmp_eq_u64_e64 s[24:25], 3, v[32:33]
	s_addc_u32 s29, s7, 0
	s_and_b64 s[6:7], s[18:19], s[26:27]
	v_cmp_eq_u64_e64 s[22:23], 3, v[34:35]
	v_cndmask_b32_e64 v14, 0, 1, s[6:7]
	s_and_b64 s[6:7], s[16:17], s[24:25]
	v_cmp_eq_u64_e64 s[20:21], 3, v[36:37]
	v_cndmask_b32_e64 v15, 0, 1, s[6:7]
	s_and_b64 s[6:7], s[14:15], s[22:23]
	v_cndmask_b32_e64 v18, 0, 1, s[6:7]
	s_and_b64 s[6:7], s[12:13], s[20:21]
	v_cndmask_b32_e64 v32, 0, 1, s[6:7]
	v_cmp_ne_u32_e64 s[6:7], 0, v14
	v_cmp_ne_u32_e64 s[12:13], 0, v15
	;; [unrolled: 1-line block ×4, first 2 shown]
	s_bcnt1_i32_b64 s6, s[6:7]
	s_bcnt1_i32_b64 s7, s[12:13]
	;; [unrolled: 1-line block ×4, first 2 shown]
	s_add_u32 s2, s6, s2
	s_addc_u32 s3, 0, s3
	s_add_u32 s2, s2, s7
	s_addc_u32 s3, s3, 0
	s_add_u32 s2, s2, s12
	v_add_co_u32_e32 v4, vcc, s61, v4
	s_addc_u32 s3, s3, 0
	v_addc_co_u32_e32 v5, vcc, 0, v5, vcc
	s_add_u32 s2, s2, s13
	v_cmp_le_u64_e32 vcc, s[74:75], v[4:5]
	s_addc_u32 s3, s3, 0
	v_add_u32_e32 v39, v39, v38
	v_pk_mov_b32 v[8:9], s[76:77], s[76:77] op_sel:[0,1]
	v_pk_mov_b32 v[10:11], s[72:73], s[72:73] op_sel:[0,1]
	;; [unrolled: 1-line block ×3, first 2 shown]
	s_or_b64 s[0:1], vcc, s[0:1]
	v_pk_mov_b32 v[14:15], s[2:3], s[2:3] op_sel:[0,1]
	s_andn2_b64 exec, exec, s[0:1]
	s_cbranch_execnz .LBB44_62
; %bb.63:                               ;   in Loop: Header=BB44_8 Depth=1
	s_or_b64 exec, exec, s[0:1]
	v_readlane_b32 s4, v60, 32
	v_readlane_b32 s48, v60, 34
	;; [unrolled: 1-line block ×5, first 2 shown]
	s_mov_b32 s47, s69
	v_readlane_b32 s51, v60, 37
	s_mov_b32 s52, s68
	s_mov_b64 s[68:69], s[88:89]
	s_mov_b64 s[72:73], s[10:11]
	;; [unrolled: 1-line block ×6, first 2 shown]
	v_readlane_b32 s76, v60, 38
.LBB44_64:                              ;   in Loop: Header=BB44_8 Depth=1
	s_or_b64 exec, exec, s[8:9]
	v_add_u32_e32 v18, s74, v0
	v_cmp_gt_u32_e32 vcc, s60, v18
	s_and_saveexec_b64 s[0:1], vcc
	s_cbranch_execz .LBB44_68
; %bb.65:                               ;   in Loop: Header=BB44_8 Depth=1
	s_and_b32 s74, s60, 0x7fffffff
	s_and_b32 s8, s52, 0xfe
	v_lshlrev_b32_e32 v32, 3, v18
	v_lshlrev_b32_e32 v33, 3, v2
	s_mov_b64 s[2:3], 0
	v_pk_mov_b32 v[4:5], v[18:19], v[18:19] op_sel:[0,1]
.LBB44_66:                              ;   Parent Loop BB44_8 Depth=1
                                        ; =>  This Inner Loop Header: Depth=2
	ds_read_b64 v[34:35], v32
	v_add_co_u32_e32 v4, vcc, v4, v2
	v_addc_co_u32_e32 v5, vcc, 0, v5, vcc
	s_waitcnt lgkmcnt(0)
	v_ashrrev_i32_e32 v18, 31, v35
	v_or_b32_e32 v36, 0x80000000, v18
	v_xor_b32_e32 v18, v18, v34
	v_xor_b32_e32 v36, v36, v35
	v_cmp_o_f64_e64 s[6:7], v[34:35], v[34:35]
	v_cndmask_b32_e64 v35, -1, v36, s[6:7]
	v_cndmask_b32_e64 v34, -1, v18, s[6:7]
	v_and_b32_e32 v37, s85, v35
	v_and_b32_e32 v36, s84, v34
	v_lshrrev_b64 v[34:35], s8, v[34:35]
	v_and_b32_e32 v18, 3, v34
	v_cmp_eq_u64_e64 s[6:7], s[86:87], v[36:37]
	v_cmp_eq_u64_e64 s[12:13], 0, v[18:19]
	;; [unrolled: 1-line block ×3, first 2 shown]
	s_and_b64 s[12:13], s[6:7], s[12:13]
	v_cmp_eq_u64_e64 s[16:17], 2, v[18:19]
	v_cmp_eq_u64_e64 s[18:19], 3, v[18:19]
	v_cndmask_b32_e64 v18, 0, 1, s[12:13]
	s_and_b64 s[12:13], s[6:7], s[14:15]
	v_cndmask_b32_e64 v34, 0, 1, s[12:13]
	s_and_b64 s[12:13], s[6:7], s[16:17]
	s_and_b64 s[6:7], s[6:7], s[18:19]
	v_cndmask_b32_e64 v36, 0, 1, s[6:7]
	v_cmp_ne_u32_e64 s[6:7], 0, v18
	s_bcnt1_i32_b64 s6, s[6:7]
	v_cndmask_b32_e64 v35, 0, 1, s[12:13]
	v_cmp_ne_u32_e64 s[12:13], 0, v34
	v_add_co_u32_e64 v8, s[6:7], s6, v8
	s_bcnt1_i32_b64 s9, s[12:13]
	v_addc_co_u32_e64 v9, s[6:7], 0, v9, s[6:7]
	v_cmp_ne_u32_e64 s[14:15], 0, v35
	v_cmp_ne_u32_e64 s[16:17], 0, v36
	v_add_co_u32_e64 v10, s[6:7], s9, v10
	v_cmp_le_u64_e32 vcc, s[74:75], v[4:5]
	s_bcnt1_i32_b64 s12, s[14:15]
	s_bcnt1_i32_b64 s13, s[16:17]
	v_addc_co_u32_e64 v11, s[6:7], 0, v11, s[6:7]
	v_add_co_u32_e64 v12, s[6:7], s12, v12
	s_or_b64 s[2:3], vcc, s[2:3]
	v_add_co_u32_e32 v14, vcc, s13, v14
	v_add_u32_e32 v32, v32, v33
	v_addc_co_u32_e64 v13, s[6:7], 0, v13, s[6:7]
	v_addc_co_u32_e32 v15, vcc, 0, v15, vcc
	s_andn2_b64 exec, exec, s[2:3]
	s_cbranch_execnz .LBB44_66
; %bb.67:                               ;   in Loop: Header=BB44_8 Depth=1
	s_or_b64 exec, exec, s[2:3]
.LBB44_68:                              ;   in Loop: Header=BB44_8 Depth=1
	s_or_b64 exec, exec, s[0:1]
.LBB44_69:                              ;   in Loop: Header=BB44_8 Depth=1
	s_lshl_b32 s2, s83, 6
	s_and_saveexec_b64 s[0:1], s[4:5]
	s_cbranch_execz .LBB44_71
; %bb.70:                               ;   in Loop: Header=BB44_8 Depth=1
	v_or_b32_e32 v2, s2, v43
	v_lshlrev_b32_e32 v2, 3, v2
	ds_write_b128 v2, v[8:11] offset:3072
	ds_write_b128 v2, v[12:15] offset:3088
.LBB44_71:                              ;   in Loop: Header=BB44_8 Depth=1
	s_or_b64 exec, exec, s[0:1]
	s_waitcnt lgkmcnt(0)
	s_barrier
	s_and_saveexec_b64 s[0:1], s[48:49]
	s_cbranch_execz .LBB44_83
; %bb.72:                               ;   in Loop: Header=BB44_8 Depth=1
	v_readlane_b32 s6, v60, 18
	v_readlane_b32 s7, v60, 19
	s_andn2_b64 vcc, exec, s[6:7]
	s_waitcnt vmcnt(0)
	v_pk_mov_b32 v[4:5], 0, 0
	s_cbranch_vccnz .LBB44_82
; %bb.73:                               ;   in Loop: Header=BB44_8 Depth=1
	v_readlane_b32 s6, v60, 23
	v_readlane_b32 s7, v60, 24
	s_andn2_b64 vcc, exec, s[6:7]
	s_cbranch_vccnz .LBB44_78
; %bb.74:                               ;   in Loop: Header=BB44_8 Depth=1
	v_lshl_add_u32 v2, s83, 9, v48
	s_mov_b32 s3, 0
	v_pk_mov_b32 v[4:5], 0, 0
.LBB44_75:                              ;   Parent Loop BB44_8 Depth=1
                                        ; =>  This Inner Loop Header: Depth=2
	ds_read2_b64 v[8:11], v2 offset1:4
	ds_read2_b64 v[12:15], v2 offset0:8 offset1:12
	ds_read2_b64 v[32:35], v2 offset0:16 offset1:20
	;; [unrolled: 1-line block ×3, first 2 shown]
	s_add_i32 s3, s3, 8
	s_waitcnt lgkmcnt(3)
	v_add_co_u32_e32 v4, vcc, v8, v4
	v_addc_co_u32_e32 v5, vcc, v9, v5, vcc
	v_add_co_u32_e32 v4, vcc, v10, v4
	v_addc_co_u32_e32 v5, vcc, v11, v5, vcc
	s_waitcnt lgkmcnt(2)
	v_add_co_u32_e32 v4, vcc, v12, v4
	v_addc_co_u32_e32 v5, vcc, v13, v5, vcc
	v_add_co_u32_e32 v4, vcc, v14, v4
	v_addc_co_u32_e32 v5, vcc, v15, v5, vcc
	;; [unrolled: 5-line block ×3, first 2 shown]
	s_waitcnt lgkmcnt(0)
	v_add_co_u32_e32 v4, vcc, v36, v4
	v_addc_co_u32_e32 v5, vcc, v37, v5, vcc
	v_add_co_u32_e32 v4, vcc, v38, v4
	v_add_u32_e32 v2, 0x100, v2
	s_cmp_eq_u32 s76, s3
	v_addc_co_u32_e32 v5, vcc, v39, v5, vcc
	s_cbranch_scc0 .LBB44_75
; %bb.76:                               ;   in Loop: Header=BB44_8 Depth=1
	s_mov_b32 s3, s76
	s_branch .LBB44_79
.LBB44_77:                              ;   in Loop: Header=BB44_8 Depth=1
                                        ; implicit-def: $vgpr4_vgpr5
	s_branch .LBB44_45
.LBB44_78:                              ;   in Loop: Header=BB44_8 Depth=1
	s_mov_b32 s3, 0
	v_pk_mov_b32 v[4:5], 0, 0
.LBB44_79:                              ;   in Loop: Header=BB44_8 Depth=1
	v_readlane_b32 s6, v60, 26
	v_readlane_b32 s7, v60, 27
	s_andn2_b64 vcc, exec, s[6:7]
	s_cbranch_vccnz .LBB44_82
; %bb.80:                               ;   in Loop: Header=BB44_8 Depth=1
	s_lshl_b32 s6, s83, 9
	s_lshl_b32 s3, s3, 5
	s_add_i32 s6, s6, s3
	v_add_u32_e32 v2, s6, v48
	v_readlane_b32 s3, v60, 25
.LBB44_81:                              ;   Parent Loop BB44_8 Depth=1
                                        ; =>  This Inner Loop Header: Depth=2
	ds_read_b64 v[8:9], v2
	s_add_i32 s3, s3, -1
	v_add_u32_e32 v2, 32, v2
	s_cmp_lg_u32 s3, 0
	s_waitcnt lgkmcnt(0)
	v_add_co_u32_e32 v4, vcc, v8, v4
	v_addc_co_u32_e32 v5, vcc, v9, v5, vcc
	s_cbranch_scc1 .LBB44_81
.LBB44_82:                              ;   in Loop: Header=BB44_8 Depth=1
	v_add_lshl_u32 v2, s2, v40, 3
	ds_write_b64 v2, v[4:5] offset:3072
.LBB44_83:                              ;   in Loop: Header=BB44_8 Depth=1
	s_or_b64 exec, exec, s[0:1]
	s_lshl_b32 s0, s2, 3
	v_mov_b32_e32 v2, s0
	s_waitcnt lgkmcnt(0)
	s_barrier
	ds_read_b128 v[8:11], v2 offset:3072
	ds_read_b128 v[12:15], v2 offset:3088
	s_and_b32 s28, s52, 0xfe
	s_lshl_b64 s[14:15], 3, s28
	s_not_b64 s[22:23], s[14:15]
	s_waitcnt lgkmcnt(1)
	v_readfirstlane_b32 s19, v9
	v_readfirstlane_b32 s18, v8
	s_cmp_eq_u64 s[18:19], 1
	s_cselect_b64 s[0:1], -1, 0
	s_cmp_eq_u64 s[58:59], 1
	s_cselect_b64 s[2:3], -1, 0
	s_and_b64 s[26:27], s[0:1], s[2:3]
	v_readfirstlane_b32 s36, v10
	v_readfirstlane_b32 s37, v11
	s_waitcnt lgkmcnt(0)
	v_readfirstlane_b32 s20, v12
	v_readfirstlane_b32 s21, v13
	;; [unrolled: 1-line block ×4, first 2 shown]
	s_mov_b64 s[24:25], -1
	s_and_b64 vcc, exec, s[26:27]
	s_cbranch_vccz .LBB44_98
; %bb.84:                               ;   in Loop: Header=BB44_8 Depth=1
	s_waitcnt vmcnt(0)
	ds_read_b64 v[4:5], v19 offset:5120
	s_waitcnt lgkmcnt(0)
	s_barrier
	v_readfirstlane_b32 s16, v4
	v_readfirstlane_b32 s17, v5
	s_mov_b64 s[0:1], exec
	v_readlane_b32 s2, v60, 12
	v_readlane_b32 s3, v60, 13
	s_and_b64 s[2:3], s[0:1], s[2:3]
	s_mov_b64 exec, s[2:3]
	s_cbranch_execz .LBB44_86
; %bb.85:                               ;   in Loop: Header=BB44_8 Depth=1
	v_mov_b32_e32 v18, v19
	ds_write_b64 v42, v[18:19]
.LBB44_86:                              ;   in Loop: Header=BB44_8 Depth=1
	s_or_b64 exec, exec, s[0:1]
	v_cmp_lt_i64_e64 s[0:1], s[16:17], 1
	s_and_b64 s[86:87], s[86:87], s[22:23]
	s_or_b64 s[84:85], s[84:85], s[14:15]
	s_and_b64 vcc, exec, s[0:1]
	s_waitcnt lgkmcnt(0)
	s_barrier
	s_cbranch_vccz .LBB44_99
; %bb.87:                               ;   in Loop: Header=BB44_8 Depth=1
	s_mov_b32 s46, s75
	s_cmp_lg_u64 s[46:47], 0
	s_cbranch_scc0 .LBB44_144
; %bb.88:                               ;   in Loop: Header=BB44_8 Depth=1
	v_cvt_f32_u32_e32 v2, s33
	s_sub_u32 s0, 0, s33
	s_subb_u32 s1, 0, 0
	v_mac_f32_e32 v2, 0x4f800000, v49
	v_rcp_f32_e32 v2, v2
	v_mul_f32_e32 v2, 0x5f7ffffc, v2
	v_mul_f32_e32 v4, 0x2f800000, v2
	v_trunc_f32_e32 v4, v4
	v_mac_f32_e32 v2, 0xcf800000, v4
	v_cvt_u32_f32_e32 v4, v4
	v_cvt_u32_f32_e32 v2, v2
	v_readfirstlane_b32 s2, v4
	v_readfirstlane_b32 s3, v2
	s_mul_i32 s6, s0, s2
	s_mul_hi_u32 s8, s0, s3
	s_mul_i32 s7, s1, s3
	s_add_i32 s6, s8, s6
	s_mul_i32 s9, s0, s3
	s_add_i32 s6, s6, s7
	s_mul_hi_u32 s8, s3, s9
	s_mul_hi_u32 s7, s3, s6
	s_mul_i32 s3, s3, s6
	s_add_u32 s3, s8, s3
	s_addc_u32 s7, 0, s7
	s_mul_hi_u32 s29, s2, s9
	s_mul_i32 s9, s2, s9
	s_add_u32 s3, s3, s9
	s_mul_hi_u32 s8, s2, s6
	s_addc_u32 s3, s7, s29
	s_addc_u32 s7, s8, 0
	s_mul_i32 s6, s2, s6
	s_add_u32 s3, s3, s6
	s_addc_u32 s6, 0, s7
	v_add_co_u32_e32 v2, vcc, s3, v2
	s_cmp_lg_u64 vcc, 0
	s_addc_u32 s2, s2, s6
	v_readfirstlane_b32 s6, v2
	s_mul_i32 s3, s0, s2
	s_mul_hi_u32 s7, s0, s6
	s_add_i32 s3, s7, s3
	s_mul_i32 s1, s1, s6
	s_add_i32 s3, s3, s1
	s_mul_i32 s0, s0, s6
	s_mul_hi_u32 s7, s2, s0
	s_mul_i32 s8, s2, s0
	s_mul_i32 s29, s6, s3
	s_mul_hi_u32 s0, s6, s0
	s_mul_hi_u32 s9, s6, s3
	s_add_u32 s0, s0, s29
	s_addc_u32 s6, 0, s9
	s_add_u32 s0, s0, s8
	s_mul_hi_u32 s1, s2, s3
	s_addc_u32 s0, s6, s7
	s_addc_u32 s1, s1, 0
	s_mul_i32 s3, s2, s3
	s_add_u32 s0, s0, s3
	s_addc_u32 s1, 0, s1
	v_add_co_u32_e32 v2, vcc, s0, v2
	s_cmp_lg_u64 vcc, 0
	s_addc_u32 s6, s2, s1
	s_ashr_i32 s0, s47, 31
	v_readlane_b32 s2, v60, 21
	s_add_u32 s2, s2, s0
	s_mov_b32 s1, s0
	s_addc_u32 s3, s47, s0
	s_xor_b64 s[2:3], s[2:3], s[0:1]
	v_readfirstlane_b32 s8, v2
	s_mul_i32 s7, s2, s6
	s_mul_hi_u32 s9, s2, s8
	s_mul_hi_u32 s1, s2, s6
	s_add_u32 s7, s9, s7
	s_addc_u32 s1, 0, s1
	s_mul_hi_u32 s29, s3, s8
	s_mul_i32 s8, s3, s8
	s_add_u32 s7, s7, s8
	s_mul_hi_u32 s9, s3, s6
	s_addc_u32 s1, s1, s29
	s_addc_u32 s7, s9, 0
	s_mul_i32 s6, s3, s6
	s_add_u32 s1, s1, s6
	s_addc_u32 s6, 0, s7
	s_mul_hi_u32 s7, s33, s1
	s_mul_i32 s1, s33, s1
	s_mul_i32 s6, s33, s6
	v_mov_b32_e32 v2, s1
	s_add_i32 s7, s7, s6
	v_sub_co_u32_e32 v2, vcc, s2, v2
	s_cmp_lg_u64 vcc, 0
	s_subb_u32 s1, s3, s7
	v_subrev_co_u32_e32 v4, vcc, s33, v2
	s_cmp_lg_u64 vcc, 0
	s_subb_u32 s2, s1, 0
	v_subrev_co_u32_e32 v5, vcc, s33, v4
	s_cmp_lg_u64 vcc, 0
	s_subb_u32 s3, s2, 0
	v_cmp_le_u32_e32 vcc, s33, v4
	s_cmp_eq_u32 s2, 0
	v_cndmask_b32_e64 v6, 0, -1, vcc
	s_cselect_b64 vcc, -1, 0
	v_cndmask_b32_e32 v6, -1, v6, vcc
	v_mov_b32_e32 v7, s2
	v_mov_b32_e32 v8, s3
	v_cmp_ne_u32_e32 vcc, 0, v6
	v_cndmask_b32_e32 v6, v7, v8, vcc
	v_cndmask_b32_e32 v4, v4, v5, vcc
	v_cmp_le_u32_e32 vcc, s33, v2
	s_cmp_eq_u32 s1, 0
	v_cndmask_b32_e64 v5, 0, -1, vcc
	s_cselect_b64 vcc, -1, 0
	v_cndmask_b32_e32 v5, -1, v5, vcc
	v_cmp_ne_u32_e32 vcc, 0, v5
	v_mov_b32_e32 v7, s1
	v_cndmask_b32_e32 v2, v2, v4, vcc
	v_cndmask_b32_e32 v5, v7, v6, vcc
	v_xor_b32_e32 v2, s0, v2
	v_xor_b32_e32 v5, s0, v5
	v_mov_b32_e32 v6, s0
	v_subrev_co_u32_e32 v4, vcc, s0, v2
	v_subb_co_u32_e32 v5, vcc, v5, v6, vcc
	s_cbranch_execnz .LBB44_90
.LBB44_89:                              ;   in Loop: Header=BB44_8 Depth=1
	v_cvt_f32_u32_e32 v2, s33
	s_sub_i32 s0, 0, s33
	v_rcp_iflag_f32_e32 v2, v2
	v_mul_f32_e32 v2, 0x4f7ffffe, v2
	v_cvt_u32_f32_e32 v2, v2
	v_mul_lo_u32 v4, s0, v2
	v_mul_hi_u32 v4, v2, v4
	v_add_u32_e32 v2, v2, v4
	v_readlane_b32 s0, v60, 21
	v_mul_hi_u32 v2, s0, v2
	v_mul_lo_u32 v2, v2, s33
	v_sub_u32_e32 v2, s0, v2
	v_subrev_u32_e32 v4, s33, v2
	v_cmp_le_u32_e32 vcc, s33, v2
	v_cndmask_b32_e32 v2, v2, v4, vcc
	v_subrev_u32_e32 v4, s33, v2
	v_cmp_le_u32_e32 vcc, s33, v2
	v_cndmask_b32_e32 v18, v2, v4, vcc
	v_pk_mov_b32 v[4:5], v[18:19], v[18:19] op_sel:[0,1]
.LBB44_90:                              ;   in Loop: Header=BB44_8 Depth=1
	v_readlane_b32 s0, v60, 21
	v_mov_b32_e32 v2, s47
	v_sub_co_u32_e32 v8, vcc, s0, v4
	v_subb_co_u32_e32 v9, vcc, v2, v5, vcc
	v_cmp_gt_i64_e32 vcc, v[8:9], v[0:1]
	s_mov_b64 s[0:1], 0
                                        ; implicit-def: $vgpr6_vgpr7
	s_and_saveexec_b64 s[2:3], vcc
	s_cbranch_execz .LBB44_101
; %bb.91:                               ;   in Loop: Header=BB44_8 Depth=1
	s_mov_b64 s[8:9], 0
	v_pk_mov_b32 v[10:11], v[16:17], v[16:17] op_sel:[0,1]
	v_pk_mov_b32 v[12:13], v[0:1], v[0:1] op_sel:[0,1]
                                        ; implicit-def: $sgpr0_sgpr1
	s_branch .LBB44_93
.LBB44_92:                              ;   in Loop: Header=BB44_93 Depth=2
	s_or_b64 exec, exec, s[6:7]
	s_waitcnt lgkmcnt(0)
	s_barrier
	s_waitcnt vmcnt(0)
	ds_read_b128 v[4:7], v19 offset:3072
	v_mov_b32_e32 v2, s82
	v_add_co_u32_e64 v12, s[6:7], s33, v12
	v_addc_co_u32_e64 v13, s[6:7], v13, v2, s[6:7]
	s_waitcnt lgkmcnt(0)
	v_cmp_neq_f64_e32 vcc, 0, v[4:5]
	v_cmp_ge_i64_e64 s[6:7], v[12:13], v[8:9]
	s_or_b64 s[30:31], vcc, s[6:7]
	v_mov_b32_e32 v2, s71
	v_add_co_u32_e64 v10, s[6:7], s70, v10
	v_addc_co_u32_e64 v11, s[6:7], v11, v2, s[6:7]
	s_and_b64 s[6:7], exec, s[30:31]
	s_or_b64 s[8:9], s[6:7], s[8:9]
	s_andn2_b64 s[0:1], s[0:1], exec
	s_and_b64 s[6:7], vcc, exec
	s_or_b64 s[0:1], s[0:1], s[6:7]
	s_barrier
	s_andn2_b64 exec, exec, s[8:9]
	s_cbranch_execz .LBB44_100
.LBB44_93:                              ;   Parent Loop BB44_8 Depth=1
                                        ; =>  This Inner Loop Header: Depth=2
	v_cmp_gt_i64_e32 vcc, s[56:57], v[12:13]
	v_pk_mov_b32 v[4:5], 0, 0
	s_and_saveexec_b64 s[6:7], vcc
	s_cbranch_execz .LBB44_95
; %bb.94:                               ;   in Loop: Header=BB44_93 Depth=2
	global_load_dwordx2 v[4:5], v[10:11], off
.LBB44_95:                              ;   in Loop: Header=BB44_93 Depth=2
	s_or_b64 exec, exec, s[6:7]
	s_and_saveexec_b64 s[6:7], vcc
	s_cbranch_execz .LBB44_92
; %bb.96:                               ;   in Loop: Header=BB44_93 Depth=2
	s_waitcnt vmcnt(0)
	v_ashrrev_i32_e32 v2, 31, v5
	v_or_b32_e32 v6, 0x80000000, v2
	v_xor_b32_e32 v6, v6, v5
	v_xor_b32_e32 v2, v2, v4
	v_cmp_o_f64_e32 vcc, v[4:5], v[4:5]
	v_cndmask_b32_e32 v6, -1, v6, vcc
	v_cndmask_b32_e32 v2, -1, v2, vcc
	v_and_b32_e32 v7, s85, v6
	v_and_b32_e32 v6, s84, v2
	v_cmp_eq_u64_e32 vcc, s[86:87], v[6:7]
	s_and_b64 exec, exec, vcc
	s_cbranch_execz .LBB44_92
; %bb.97:                               ;   in Loop: Header=BB44_93 Depth=2
	v_mov_b32_e32 v2, v19
	ds_write_b128 v19, v[2:5] offset:3072
	s_branch .LBB44_92
.LBB44_98:                              ;   in Loop: Header=BB44_8 Depth=1
	s_mov_b64 s[0:1], -1
                                        ; implicit-def: $sgpr2_sgpr3
                                        ; implicit-def: $sgpr8_sgpr9
                                        ; implicit-def: $sgpr6_sgpr7
	s_branch .LBB44_115
.LBB44_99:                              ;   in Loop: Header=BB44_8 Depth=1
	s_mov_b64 s[2:3], -1
	s_mov_b64 s[0:1], 0
                                        ; implicit-def: $sgpr6_sgpr7
                                        ; implicit-def: $vgpr6_vgpr7
	s_mov_b64 s[8:9], s[2:3]
	s_cbranch_execnz .LBB44_102
	s_branch .LBB44_115
.LBB44_100:                             ;   in Loop: Header=BB44_8 Depth=1
	s_or_b64 exec, exec, s[8:9]
	s_and_b64 s[0:1], s[0:1], exec
.LBB44_101:                             ;   in Loop: Header=BB44_8 Depth=1
	s_or_b64 exec, exec, s[2:3]
	s_mov_b64 s[6:7], -1
	s_mov_b64 s[2:3], 0
	s_mov_b64 s[8:9], s[2:3]
	s_branch .LBB44_115
.LBB44_102:                             ;   in Loop: Header=BB44_8 Depth=1
	v_readlane_b32 s0, v60, 20
	s_add_u32 s6, s0, s16
	v_readlane_b32 s0, v60, 22
	s_addc_u32 s1, s0, s17
	s_mov_b32 s0, s75
	s_cmp_lg_u64 s[0:1], 0
	s_cbranch_scc0 .LBB44_145
; %bb.103:                              ;   in Loop: Header=BB44_8 Depth=1
	v_cvt_f32_u32_e32 v2, s33
	s_sub_u32 s0, 0, s33
	s_subb_u32 s2, 0, 0
	v_mac_f32_e32 v2, 0x4f800000, v49
	v_rcp_f32_e32 v2, v2
	v_mul_f32_e32 v2, 0x5f7ffffc, v2
	v_mul_f32_e32 v4, 0x2f800000, v2
	v_trunc_f32_e32 v4, v4
	v_mac_f32_e32 v2, 0xcf800000, v4
	v_cvt_u32_f32_e32 v4, v4
	v_cvt_u32_f32_e32 v2, v2
	v_readfirstlane_b32 s3, v4
	v_readfirstlane_b32 s7, v2
	s_mul_i32 s8, s0, s3
	s_mul_hi_u32 s29, s0, s7
	s_mul_i32 s9, s2, s7
	s_add_i32 s8, s29, s8
	s_mul_i32 s30, s0, s7
	s_add_i32 s8, s8, s9
	s_mul_hi_u32 s29, s7, s30
	s_mul_hi_u32 s9, s7, s8
	s_mul_i32 s7, s7, s8
	s_add_u32 s7, s29, s7
	s_addc_u32 s9, 0, s9
	s_mul_hi_u32 s31, s3, s30
	s_mul_i32 s30, s3, s30
	s_add_u32 s7, s7, s30
	s_mul_hi_u32 s29, s3, s8
	s_addc_u32 s7, s9, s31
	s_addc_u32 s9, s29, 0
	s_mul_i32 s8, s3, s8
	s_add_u32 s7, s7, s8
	s_addc_u32 s8, 0, s9
	v_add_co_u32_e32 v2, vcc, s7, v2
	s_cmp_lg_u64 vcc, 0
	s_addc_u32 s3, s3, s8
	v_readfirstlane_b32 s8, v2
	s_mul_i32 s7, s0, s3
	s_mul_hi_u32 s9, s0, s8
	s_add_i32 s7, s9, s7
	s_mul_i32 s2, s2, s8
	s_add_i32 s7, s7, s2
	s_mul_i32 s0, s0, s8
	s_mul_hi_u32 s9, s3, s0
	s_mul_i32 s29, s3, s0
	s_mul_i32 s31, s8, s7
	s_mul_hi_u32 s0, s8, s0
	s_mul_hi_u32 s30, s8, s7
	s_add_u32 s0, s0, s31
	s_addc_u32 s8, 0, s30
	s_add_u32 s0, s0, s29
	s_mul_hi_u32 s2, s3, s7
	s_addc_u32 s0, s8, s9
	s_addc_u32 s2, s2, 0
	s_mul_i32 s7, s3, s7
	s_add_u32 s0, s0, s7
	s_addc_u32 s2, 0, s2
	v_add_co_u32_e32 v2, vcc, s0, v2
	s_cmp_lg_u64 vcc, 0
	s_addc_u32 s0, s3, s2
	s_ashr_i32 s2, s1, 31
	s_add_u32 s8, s6, s2
	s_mov_b32 s3, s2
	s_addc_u32 s9, s1, s2
	s_xor_b64 s[8:9], s[8:9], s[2:3]
	v_readfirstlane_b32 s29, v2
	s_mul_i32 s7, s8, s0
	s_mul_hi_u32 s30, s8, s29
	s_mul_hi_u32 s3, s8, s0
	s_add_u32 s7, s30, s7
	s_addc_u32 s3, 0, s3
	s_mul_hi_u32 s31, s9, s29
	s_mul_i32 s29, s9, s29
	s_add_u32 s7, s7, s29
	s_mul_hi_u32 s30, s9, s0
	s_addc_u32 s3, s3, s31
	s_addc_u32 s7, s30, 0
	s_mul_i32 s0, s9, s0
	s_add_u32 s0, s3, s0
	s_addc_u32 s3, 0, s7
	s_mul_hi_u32 s7, s33, s0
	s_mul_i32 s0, s33, s0
	s_mul_i32 s3, s33, s3
	v_mov_b32_e32 v2, s0
	s_add_i32 s7, s7, s3
	v_sub_co_u32_e32 v2, vcc, s8, v2
	s_cmp_lg_u64 vcc, 0
	s_subb_u32 s0, s9, s7
	v_subrev_co_u32_e32 v4, vcc, s33, v2
	s_cmp_lg_u64 vcc, 0
	s_subb_u32 s3, s0, 0
	v_subrev_co_u32_e32 v5, vcc, s33, v4
	s_cmp_lg_u64 vcc, 0
	s_subb_u32 s7, s3, 0
	v_cmp_le_u32_e32 vcc, s33, v4
	s_cmp_eq_u32 s3, 0
	v_cndmask_b32_e64 v6, 0, -1, vcc
	s_cselect_b64 vcc, -1, 0
	v_cndmask_b32_e32 v6, -1, v6, vcc
	v_mov_b32_e32 v7, s3
	v_mov_b32_e32 v8, s7
	v_cmp_ne_u32_e32 vcc, 0, v6
	v_cndmask_b32_e32 v6, v7, v8, vcc
	v_cndmask_b32_e32 v4, v4, v5, vcc
	v_cmp_le_u32_e32 vcc, s33, v2
	s_cmp_eq_u32 s0, 0
	v_cndmask_b32_e64 v5, 0, -1, vcc
	s_cselect_b64 vcc, -1, 0
	v_cndmask_b32_e32 v5, -1, v5, vcc
	v_cmp_ne_u32_e32 vcc, 0, v5
	v_mov_b32_e32 v7, s0
	v_cndmask_b32_e32 v2, v2, v4, vcc
	v_cndmask_b32_e32 v5, v7, v6, vcc
	v_xor_b32_e32 v2, s2, v2
	v_xor_b32_e32 v5, s2, v5
	v_mov_b32_e32 v6, s2
	v_subrev_co_u32_e32 v4, vcc, s2, v2
	v_subb_co_u32_e32 v5, vcc, v5, v6, vcc
	s_cbranch_execnz .LBB44_105
.LBB44_104:                             ;   in Loop: Header=BB44_8 Depth=1
	v_cvt_f32_u32_e32 v2, s33
	s_sub_i32 s0, 0, s33
	v_rcp_iflag_f32_e32 v2, v2
	v_mul_f32_e32 v2, 0x4f7ffffe, v2
	v_cvt_u32_f32_e32 v2, v2
	v_mul_lo_u32 v4, s0, v2
	v_mul_hi_u32 v4, v2, v4
	v_add_u32_e32 v2, v2, v4
	v_mul_hi_u32 v2, s6, v2
	v_mul_lo_u32 v2, v2, s33
	v_sub_u32_e32 v2, s6, v2
	v_subrev_u32_e32 v4, s33, v2
	v_cmp_le_u32_e32 vcc, s33, v2
	v_cndmask_b32_e32 v2, v2, v4, vcc
	v_subrev_u32_e32 v4, s33, v2
	v_cmp_le_u32_e32 vcc, s33, v2
	v_cndmask_b32_e32 v18, v2, v4, vcc
	v_pk_mov_b32 v[4:5], v[18:19], v[18:19] op_sel:[0,1]
.LBB44_105:                             ;   in Loop: Header=BB44_8 Depth=1
	v_mov_b32_e32 v2, s1
	v_sub_co_u32_e32 v8, vcc, s6, v4
	v_subb_co_u32_e32 v9, vcc, v2, v5, vcc
	v_cmp_gt_i64_e32 vcc, v[8:9], v[0:1]
	s_mov_b64 s[0:1], 0
                                        ; implicit-def: $vgpr6_vgpr7
	s_and_saveexec_b64 s[2:3], vcc
	s_cbranch_execz .LBB44_114
; %bb.106:                              ;   in Loop: Header=BB44_8 Depth=1
	s_mov_b64 s[8:9], 0
	v_mov_b32_e32 v12, v41
	v_pk_mov_b32 v[10:11], v[0:1], v[0:1] op_sel:[0,1]
                                        ; implicit-def: $sgpr0_sgpr1
	s_branch .LBB44_108
.LBB44_107:                             ;   in Loop: Header=BB44_108 Depth=2
	s_or_b64 exec, exec, s[6:7]
	s_waitcnt lgkmcnt(0)
	s_barrier
	ds_read_b128 v[4:7], v19 offset:3072
	v_mov_b32_e32 v2, s82
	v_add_co_u32_e64 v10, s[6:7], s33, v10
	v_addc_co_u32_e64 v11, s[6:7], v11, v2, s[6:7]
	s_waitcnt lgkmcnt(0)
	v_cmp_neq_f64_e32 vcc, 0, v[4:5]
	v_cmp_ge_i64_e64 s[6:7], v[10:11], v[8:9]
	s_or_b64 s[6:7], vcc, s[6:7]
	s_and_b64 s[6:7], exec, s[6:7]
	s_or_b64 s[8:9], s[6:7], s[8:9]
	s_andn2_b64 s[0:1], s[0:1], exec
	s_and_b64 s[6:7], vcc, exec
	v_add_u32_e32 v12, s78, v12
	s_or_b64 s[0:1], s[0:1], s[6:7]
	s_barrier
	s_andn2_b64 exec, exec, s[8:9]
	s_cbranch_execz .LBB44_113
.LBB44_108:                             ;   Parent Loop BB44_8 Depth=1
                                        ; =>  This Inner Loop Header: Depth=2
	v_cmp_gt_i64_e32 vcc, s[16:17], v[10:11]
	v_pk_mov_b32 v[4:5], 0, 0
	s_and_saveexec_b64 s[6:7], vcc
	s_cbranch_execz .LBB44_110
; %bb.109:                              ;   in Loop: Header=BB44_108 Depth=2
	ds_read_b64 v[4:5], v12
.LBB44_110:                             ;   in Loop: Header=BB44_108 Depth=2
	s_or_b64 exec, exec, s[6:7]
	s_and_saveexec_b64 s[6:7], vcc
	s_cbranch_execz .LBB44_107
; %bb.111:                              ;   in Loop: Header=BB44_108 Depth=2
	s_waitcnt lgkmcnt(0)
	v_ashrrev_i32_e32 v2, 31, v5
	v_or_b32_e32 v6, 0x80000000, v2
	v_xor_b32_e32 v6, v6, v5
	v_xor_b32_e32 v2, v2, v4
	v_cmp_o_f64_e32 vcc, v[4:5], v[4:5]
	v_cndmask_b32_e32 v6, -1, v6, vcc
	v_cndmask_b32_e32 v2, -1, v2, vcc
	v_and_b32_e32 v7, s85, v6
	v_and_b32_e32 v6, s84, v2
	v_cmp_eq_u64_e32 vcc, s[86:87], v[6:7]
	s_and_b64 exec, exec, vcc
	s_cbranch_execz .LBB44_107
; %bb.112:                              ;   in Loop: Header=BB44_108 Depth=2
	v_mov_b32_e32 v2, v19
	ds_write_b128 v19, v[2:5] offset:3072
	s_branch .LBB44_107
.LBB44_113:                             ;   in Loop: Header=BB44_8 Depth=1
	s_or_b64 exec, exec, s[8:9]
	s_and_b64 s[0:1], s[0:1], exec
.LBB44_114:                             ;   in Loop: Header=BB44_8 Depth=1
	s_or_b64 exec, exec, s[2:3]
	s_mov_b64 s[8:9], -1
	s_mov_b64 s[2:3], 0
	s_mov_b64 s[6:7], 0
.LBB44_115:                             ;   in Loop: Header=BB44_8 Depth=1
	s_andn2_b64 s[10:11], s[10:11], exec
	s_and_b64 s[2:3], s[2:3], exec
	s_or_b64 s[10:11], s[10:11], s[2:3]
	s_andn2_b64 s[2:3], s[72:73], exec
	s_and_b64 s[8:9], s[8:9], exec
	s_or_b64 s[72:73], s[2:3], s[8:9]
	;; [unrolled: 3-line block ×3, first 2 shown]
	s_and_saveexec_b64 s[16:17], s[0:1]
	s_cbranch_execz .LBB44_7
; %bb.116:                              ;   in Loop: Header=BB44_8 Depth=1
	s_xor_b64 s[0:1], s[26:27], -1
	s_andn2_b64 vcc, exec, s[0:1]
	s_mov_b32 s46, 1
	s_cbranch_vccnz .LBB44_127
; %bb.117:                              ;   in Loop: Header=BB44_8 Depth=1
	s_waitcnt vmcnt(0)
	v_pk_mov_b32 v[4:5], s[18:19], s[18:19] op_sel:[0,1]
	v_cmp_gt_i64_e32 vcc, s[58:59], v[4:5]
	s_mov_b64 s[0:1], -1
                                        ; implicit-def: $sgpr46
                                        ; implicit-def: $sgpr2_sgpr3
                                        ; implicit-def: $sgpr6_sgpr7
	s_cbranch_vccnz .LBB44_123
; %bb.118:                              ;   in Loop: Header=BB44_8 Depth=1
	ds_read_b64 v[4:5], v19 offset:5120
	s_waitcnt lgkmcnt(0)
	v_cmp_ne_u64_e32 vcc, 0, v[4:5]
	s_cbranch_vccnz .LBB44_122
; %bb.119:                              ;   in Loop: Header=BB44_8 Depth=1
	s_mov_b64 s[0:1], exec
	v_readlane_b32 s2, v60, 8
	v_readlane_b32 s3, v60, 9
	s_and_b64 s[2:3], s[0:1], s[2:3]
	s_mov_b64 exec, s[2:3]
	s_cbranch_execz .LBB44_121
; %bb.120:                              ;   in Loop: Header=BB44_8 Depth=1
	v_pk_mov_b32 v[4:5], s[18:19], s[18:19] op_sel:[0,1]
	ds_write_b64 v19, v[4:5] offset:5128
.LBB44_121:                             ;   in Loop: Header=BB44_8 Depth=1
	s_or_b64 exec, exec, s[0:1]
	s_waitcnt lgkmcnt(0)
	s_barrier
.LBB44_122:                             ;   in Loop: Header=BB44_8 Depth=1
	s_and_b64 s[2:3], s[86:87], s[22:23]
	s_or_b64 s[6:7], s[84:85], s[14:15]
	s_mov_b64 s[0:1], 0
	s_mov_b32 s46, 8
.LBB44_123:                             ;   in Loop: Header=BB44_8 Depth=1
	s_andn2_b64 vcc, exec, s[0:1]
	s_cbranch_vccnz .LBB44_125
; %bb.124:                              ;   in Loop: Header=BB44_8 Depth=1
	s_sub_u32 s58, s58, s18
	s_subb_u32 s59, s59, s19
	s_mov_b64 s[0:1], -1
	s_mov_b32 s46, 0
	s_mov_b64 s[2:3], s[86:87]
	s_mov_b64 s[6:7], s[84:85]
.LBB44_125:                             ;   in Loop: Header=BB44_8 Depth=1
	s_mov_b64 s[84:85], s[6:7]
	s_mov_b64 s[86:87], s[2:3]
	s_mov_b64 s[18:19], -1
	s_and_b64 vcc, exec, s[0:1]
	s_cbranch_vccnz .LBB44_128
.LBB44_126:                             ;   in Loop: Header=BB44_8 Depth=1
	s_mov_b64 s[2:3], -1
                                        ; implicit-def: $sgpr24_sgpr25
                                        ; implicit-def: $sgpr30_sgpr31
                                        ; implicit-def: $sgpr26_sgpr27
	s_and_saveexec_b64 s[0:1], s[2:3]
	s_xor_b64 s[0:1], exec, s[0:1]
	s_cbranch_execz .LBB44_6
	s_branch .LBB44_274
.LBB44_127:                             ;   in Loop: Header=BB44_8 Depth=1
	s_mov_b64 s[58:59], 1
	s_mov_b64 s[18:19], -1
	s_branch .LBB44_126
.LBB44_128:                             ;   in Loop: Header=BB44_8 Depth=1
	s_cmp_eq_u64 s[36:37], 1
	s_cselect_b64 s[0:1], -1, 0
	s_cmp_eq_u64 s[58:59], 1
	s_cselect_b64 s[2:3], -1, 0
	s_and_b64 s[38:39], s[0:1], s[2:3]
	s_mov_b64 s[0:1], -1
	s_and_b64 vcc, exec, s[38:39]
	s_cbranch_vccz .LBB44_143
; %bb.129:                              ;   in Loop: Header=BB44_8 Depth=1
	s_waitcnt vmcnt(0)
	ds_read_b64 v[4:5], v19 offset:5120
	s_waitcnt lgkmcnt(0)
	s_barrier
	v_readfirstlane_b32 s34, v4
	v_readfirstlane_b32 s35, v5
	s_mov_b64 s[0:1], exec
	v_readlane_b32 s2, v60, 12
	v_readlane_b32 s3, v60, 13
	s_and_b64 s[2:3], s[0:1], s[2:3]
	s_mov_b64 exec, s[2:3]
	s_cbranch_execz .LBB44_131
; %bb.130:                              ;   in Loop: Header=BB44_8 Depth=1
	v_mov_b32_e32 v18, v19
	ds_write_b64 v42, v[18:19]
.LBB44_131:                             ;   in Loop: Header=BB44_8 Depth=1
	s_or_b64 exec, exec, s[0:1]
	s_lshl_b64 s[0:1], 1, s28
	s_and_b64 s[2:3], s[86:87], s[22:23]
	s_or_b64 s[86:87], s[2:3], s[0:1]
	v_cmp_gt_i64_e64 s[0:1], s[34:35], 0
	s_or_b64 s[84:85], s[84:85], s[14:15]
	s_and_b64 vcc, exec, s[0:1]
	s_waitcnt lgkmcnt(0)
	s_barrier
	s_cbranch_vccnz .LBB44_146
; %bb.132:                              ;   in Loop: Header=BB44_8 Depth=1
	s_mov_b32 s46, s75
	s_cmp_lg_u64 s[46:47], 0
	s_cbranch_scc0 .LBB44_191
; %bb.133:                              ;   in Loop: Header=BB44_8 Depth=1
	v_cvt_f32_u32_e32 v2, s33
	s_sub_u32 s0, 0, s33
	s_subb_u32 s1, 0, 0
	v_mac_f32_e32 v2, 0x4f800000, v49
	v_rcp_f32_e32 v2, v2
	v_mul_f32_e32 v2, 0x5f7ffffc, v2
	v_mul_f32_e32 v4, 0x2f800000, v2
	v_trunc_f32_e32 v4, v4
	v_mac_f32_e32 v2, 0xcf800000, v4
	v_cvt_u32_f32_e32 v4, v4
	v_cvt_u32_f32_e32 v2, v2
	v_readfirstlane_b32 s2, v4
	v_readfirstlane_b32 s3, v2
	s_mul_i32 s6, s0, s2
	s_mul_hi_u32 s8, s0, s3
	s_mul_i32 s7, s1, s3
	s_add_i32 s6, s8, s6
	s_mul_i32 s9, s0, s3
	s_add_i32 s6, s6, s7
	s_mul_hi_u32 s8, s3, s9
	s_mul_hi_u32 s7, s3, s6
	s_mul_i32 s3, s3, s6
	s_add_u32 s3, s8, s3
	s_addc_u32 s7, 0, s7
	s_mul_hi_u32 s24, s2, s9
	s_mul_i32 s9, s2, s9
	s_add_u32 s3, s3, s9
	s_mul_hi_u32 s8, s2, s6
	s_addc_u32 s3, s7, s24
	s_addc_u32 s7, s8, 0
	s_mul_i32 s6, s2, s6
	s_add_u32 s3, s3, s6
	s_addc_u32 s6, 0, s7
	v_add_co_u32_e32 v2, vcc, s3, v2
	s_cmp_lg_u64 vcc, 0
	s_addc_u32 s2, s2, s6
	v_readfirstlane_b32 s6, v2
	s_mul_i32 s3, s0, s2
	s_mul_hi_u32 s7, s0, s6
	s_add_i32 s3, s7, s3
	s_mul_i32 s1, s1, s6
	s_add_i32 s3, s3, s1
	s_mul_i32 s0, s0, s6
	s_mul_hi_u32 s7, s2, s0
	s_mul_i32 s8, s2, s0
	s_mul_i32 s24, s6, s3
	s_mul_hi_u32 s0, s6, s0
	s_mul_hi_u32 s9, s6, s3
	s_add_u32 s0, s0, s24
	s_addc_u32 s6, 0, s9
	s_add_u32 s0, s0, s8
	s_mul_hi_u32 s1, s2, s3
	s_addc_u32 s0, s6, s7
	s_addc_u32 s1, s1, 0
	s_mul_i32 s3, s2, s3
	s_add_u32 s0, s0, s3
	s_addc_u32 s1, 0, s1
	v_add_co_u32_e32 v2, vcc, s0, v2
	s_cmp_lg_u64 vcc, 0
	s_addc_u32 s6, s2, s1
	s_ashr_i32 s0, s47, 31
	v_readlane_b32 s2, v60, 21
	s_add_u32 s2, s2, s0
	s_mov_b32 s1, s0
	s_addc_u32 s3, s47, s0
	s_xor_b64 s[2:3], s[2:3], s[0:1]
	v_readfirstlane_b32 s8, v2
	s_mul_i32 s7, s2, s6
	s_mul_hi_u32 s9, s2, s8
	s_mul_hi_u32 s1, s2, s6
	s_add_u32 s7, s9, s7
	s_addc_u32 s1, 0, s1
	s_mul_hi_u32 s24, s3, s8
	s_mul_i32 s8, s3, s8
	s_add_u32 s7, s7, s8
	s_mul_hi_u32 s9, s3, s6
	s_addc_u32 s1, s1, s24
	s_addc_u32 s7, s9, 0
	s_mul_i32 s6, s3, s6
	s_add_u32 s1, s1, s6
	s_addc_u32 s6, 0, s7
	s_mul_hi_u32 s7, s33, s1
	s_mul_i32 s1, s33, s1
	s_mul_i32 s6, s33, s6
	v_mov_b32_e32 v2, s1
	s_add_i32 s7, s7, s6
	v_sub_co_u32_e32 v2, vcc, s2, v2
	s_cmp_lg_u64 vcc, 0
	s_subb_u32 s1, s3, s7
	v_subrev_co_u32_e32 v4, vcc, s33, v2
	s_cmp_lg_u64 vcc, 0
	s_subb_u32 s2, s1, 0
	v_subrev_co_u32_e32 v5, vcc, s33, v4
	s_cmp_lg_u64 vcc, 0
	s_subb_u32 s3, s2, 0
	v_cmp_le_u32_e32 vcc, s33, v4
	s_cmp_eq_u32 s2, 0
	v_cndmask_b32_e64 v6, 0, -1, vcc
	s_cselect_b64 vcc, -1, 0
	v_cndmask_b32_e32 v6, -1, v6, vcc
	v_mov_b32_e32 v7, s2
	v_mov_b32_e32 v8, s3
	v_cmp_ne_u32_e32 vcc, 0, v6
	v_cndmask_b32_e32 v6, v7, v8, vcc
	v_cndmask_b32_e32 v4, v4, v5, vcc
	v_cmp_le_u32_e32 vcc, s33, v2
	s_cmp_eq_u32 s1, 0
	v_cndmask_b32_e64 v5, 0, -1, vcc
	s_cselect_b64 vcc, -1, 0
	v_cndmask_b32_e32 v5, -1, v5, vcc
	v_cmp_ne_u32_e32 vcc, 0, v5
	v_mov_b32_e32 v7, s1
	v_cndmask_b32_e32 v2, v2, v4, vcc
	v_cndmask_b32_e32 v5, v7, v6, vcc
	v_xor_b32_e32 v2, s0, v2
	v_xor_b32_e32 v5, s0, v5
	v_mov_b32_e32 v6, s0
	v_subrev_co_u32_e32 v4, vcc, s0, v2
	v_subb_co_u32_e32 v5, vcc, v5, v6, vcc
	s_cbranch_execnz .LBB44_135
.LBB44_134:                             ;   in Loop: Header=BB44_8 Depth=1
	v_cvt_f32_u32_e32 v2, s33
	s_sub_i32 s0, 0, s33
	v_rcp_iflag_f32_e32 v2, v2
	v_mul_f32_e32 v2, 0x4f7ffffe, v2
	v_cvt_u32_f32_e32 v2, v2
	v_mul_lo_u32 v4, s0, v2
	v_mul_hi_u32 v4, v2, v4
	v_add_u32_e32 v2, v2, v4
	v_readlane_b32 s0, v60, 21
	v_mul_hi_u32 v2, s0, v2
	v_mul_lo_u32 v2, v2, s33
	v_sub_u32_e32 v2, s0, v2
	v_subrev_u32_e32 v4, s33, v2
	v_cmp_le_u32_e32 vcc, s33, v2
	v_cndmask_b32_e32 v2, v2, v4, vcc
	v_subrev_u32_e32 v4, s33, v2
	v_cmp_le_u32_e32 vcc, s33, v2
	v_cndmask_b32_e32 v18, v2, v4, vcc
	v_pk_mov_b32 v[4:5], v[18:19], v[18:19] op_sel:[0,1]
.LBB44_135:                             ;   in Loop: Header=BB44_8 Depth=1
	v_readlane_b32 s0, v60, 21
	v_mov_b32_e32 v2, s47
	v_sub_co_u32_e32 v8, vcc, s0, v4
	v_subb_co_u32_e32 v9, vcc, v2, v5, vcc
	v_cmp_gt_i64_e32 vcc, v[8:9], v[0:1]
	s_mov_b64 s[0:1], 0
                                        ; implicit-def: $vgpr6_vgpr7
	s_and_saveexec_b64 s[2:3], vcc
	s_cbranch_execz .LBB44_148
; %bb.136:                              ;   in Loop: Header=BB44_8 Depth=1
	s_mov_b64 s[8:9], 0
	v_pk_mov_b32 v[10:11], v[16:17], v[16:17] op_sel:[0,1]
	v_pk_mov_b32 v[12:13], v[0:1], v[0:1] op_sel:[0,1]
                                        ; implicit-def: $sgpr0_sgpr1
	s_branch .LBB44_138
.LBB44_137:                             ;   in Loop: Header=BB44_138 Depth=2
	s_or_b64 exec, exec, s[6:7]
	s_waitcnt lgkmcnt(0)
	s_barrier
	s_waitcnt vmcnt(0)
	ds_read_b128 v[4:7], v19 offset:3072
	v_mov_b32_e32 v2, s82
	v_add_co_u32_e64 v12, s[6:7], s33, v12
	v_addc_co_u32_e64 v13, s[6:7], v13, v2, s[6:7]
	s_waitcnt lgkmcnt(0)
	v_cmp_neq_f64_e32 vcc, 0, v[4:5]
	v_cmp_ge_i64_e64 s[6:7], v[12:13], v[8:9]
	s_or_b64 s[24:25], vcc, s[6:7]
	v_mov_b32_e32 v2, s71
	v_add_co_u32_e64 v10, s[6:7], s70, v10
	v_addc_co_u32_e64 v11, s[6:7], v11, v2, s[6:7]
	s_and_b64 s[6:7], exec, s[24:25]
	s_or_b64 s[8:9], s[6:7], s[8:9]
	s_andn2_b64 s[0:1], s[0:1], exec
	s_and_b64 s[6:7], vcc, exec
	s_or_b64 s[0:1], s[0:1], s[6:7]
	s_barrier
	s_andn2_b64 exec, exec, s[8:9]
	s_cbranch_execz .LBB44_147
.LBB44_138:                             ;   Parent Loop BB44_8 Depth=1
                                        ; =>  This Inner Loop Header: Depth=2
	v_cmp_gt_i64_e32 vcc, s[56:57], v[12:13]
	v_pk_mov_b32 v[4:5], 0, 0
	s_and_saveexec_b64 s[6:7], vcc
	s_cbranch_execz .LBB44_140
; %bb.139:                              ;   in Loop: Header=BB44_138 Depth=2
	global_load_dwordx2 v[4:5], v[10:11], off
.LBB44_140:                             ;   in Loop: Header=BB44_138 Depth=2
	s_or_b64 exec, exec, s[6:7]
	s_and_saveexec_b64 s[6:7], vcc
	s_cbranch_execz .LBB44_137
; %bb.141:                              ;   in Loop: Header=BB44_138 Depth=2
	s_waitcnt vmcnt(0)
	v_ashrrev_i32_e32 v2, 31, v5
	v_or_b32_e32 v6, 0x80000000, v2
	v_xor_b32_e32 v6, v6, v5
	v_xor_b32_e32 v2, v2, v4
	v_cmp_o_f64_e32 vcc, v[4:5], v[4:5]
	v_cndmask_b32_e32 v6, -1, v6, vcc
	v_cndmask_b32_e32 v2, -1, v2, vcc
	v_and_b32_e32 v7, s85, v6
	v_and_b32_e32 v6, s84, v2
	v_cmp_eq_u64_e32 vcc, s[86:87], v[6:7]
	s_and_b64 exec, exec, vcc
	s_cbranch_execz .LBB44_137
; %bb.142:                              ;   in Loop: Header=BB44_138 Depth=2
	v_mov_b32_e32 v2, v19
	ds_write_b128 v19, v[2:5] offset:3072
	s_branch .LBB44_137
.LBB44_143:                             ;   in Loop: Header=BB44_8 Depth=1
                                        ; implicit-def: $sgpr26_sgpr27
                                        ; implicit-def: $sgpr30_sgpr31
                                        ; implicit-def: $sgpr24_sgpr25
	s_branch .LBB44_162
.LBB44_144:                             ;   in Loop: Header=BB44_8 Depth=1
                                        ; implicit-def: $vgpr4_vgpr5
	s_branch .LBB44_89
.LBB44_145:                             ;   in Loop: Header=BB44_8 Depth=1
                                        ; implicit-def: $vgpr4_vgpr5
	s_branch .LBB44_104
.LBB44_146:                             ;   in Loop: Header=BB44_8 Depth=1
	s_mov_b64 s[26:27], -1
	s_mov_b64 s[0:1], 0
                                        ; implicit-def: $sgpr24_sgpr25
                                        ; implicit-def: $vgpr6_vgpr7
	s_mov_b64 s[30:31], s[26:27]
	s_cbranch_execnz .LBB44_149
	s_branch .LBB44_162
.LBB44_147:                             ;   in Loop: Header=BB44_8 Depth=1
	s_or_b64 exec, exec, s[8:9]
	s_and_b64 s[0:1], s[0:1], exec
.LBB44_148:                             ;   in Loop: Header=BB44_8 Depth=1
	s_or_b64 exec, exec, s[2:3]
	s_mov_b64 s[24:25], -1
	s_mov_b64 s[26:27], 0
	s_mov_b64 s[30:31], s[26:27]
	s_branch .LBB44_162
.LBB44_149:                             ;   in Loop: Header=BB44_8 Depth=1
	v_readlane_b32 s0, v60, 20
	s_add_u32 s6, s0, s34
	v_readlane_b32 s0, v60, 22
	s_addc_u32 s1, s0, s35
	s_mov_b32 s0, s75
	s_cmp_lg_u64 s[0:1], 0
	s_cbranch_scc0 .LBB44_192
; %bb.150:                              ;   in Loop: Header=BB44_8 Depth=1
	v_cvt_f32_u32_e32 v2, s33
	s_sub_u32 s0, 0, s33
	s_subb_u32 s2, 0, 0
	v_mac_f32_e32 v2, 0x4f800000, v49
	v_rcp_f32_e32 v2, v2
	v_mul_f32_e32 v2, 0x5f7ffffc, v2
	v_mul_f32_e32 v4, 0x2f800000, v2
	v_trunc_f32_e32 v4, v4
	v_mac_f32_e32 v2, 0xcf800000, v4
	v_cvt_u32_f32_e32 v4, v4
	v_cvt_u32_f32_e32 v2, v2
	v_readfirstlane_b32 s3, v4
	v_readfirstlane_b32 s7, v2
	s_mul_i32 s8, s0, s3
	s_mul_hi_u32 s24, s0, s7
	s_mul_i32 s9, s2, s7
	s_add_i32 s8, s24, s8
	s_mul_i32 s25, s0, s7
	s_add_i32 s8, s8, s9
	s_mul_hi_u32 s24, s7, s25
	s_mul_hi_u32 s9, s7, s8
	s_mul_i32 s7, s7, s8
	s_add_u32 s7, s24, s7
	s_addc_u32 s9, 0, s9
	s_mul_hi_u32 s26, s3, s25
	s_mul_i32 s25, s3, s25
	s_add_u32 s7, s7, s25
	s_mul_hi_u32 s24, s3, s8
	s_addc_u32 s7, s9, s26
	s_addc_u32 s9, s24, 0
	s_mul_i32 s8, s3, s8
	s_add_u32 s7, s7, s8
	s_addc_u32 s8, 0, s9
	v_add_co_u32_e32 v2, vcc, s7, v2
	s_cmp_lg_u64 vcc, 0
	s_addc_u32 s3, s3, s8
	v_readfirstlane_b32 s8, v2
	s_mul_i32 s7, s0, s3
	s_mul_hi_u32 s9, s0, s8
	s_add_i32 s7, s9, s7
	s_mul_i32 s2, s2, s8
	s_add_i32 s7, s7, s2
	s_mul_i32 s0, s0, s8
	s_mul_hi_u32 s9, s3, s0
	s_mul_i32 s24, s3, s0
	s_mul_i32 s26, s8, s7
	s_mul_hi_u32 s0, s8, s0
	s_mul_hi_u32 s25, s8, s7
	s_add_u32 s0, s0, s26
	s_addc_u32 s8, 0, s25
	s_add_u32 s0, s0, s24
	s_mul_hi_u32 s2, s3, s7
	s_addc_u32 s0, s8, s9
	s_addc_u32 s2, s2, 0
	s_mul_i32 s7, s3, s7
	s_add_u32 s0, s0, s7
	s_addc_u32 s2, 0, s2
	v_add_co_u32_e32 v2, vcc, s0, v2
	s_cmp_lg_u64 vcc, 0
	s_addc_u32 s0, s3, s2
	s_ashr_i32 s2, s1, 31
	s_add_u32 s8, s6, s2
	s_mov_b32 s3, s2
	s_addc_u32 s9, s1, s2
	s_xor_b64 s[8:9], s[8:9], s[2:3]
	v_readfirstlane_b32 s24, v2
	s_mul_i32 s7, s8, s0
	s_mul_hi_u32 s25, s8, s24
	s_mul_hi_u32 s3, s8, s0
	s_add_u32 s7, s25, s7
	s_addc_u32 s3, 0, s3
	s_mul_hi_u32 s26, s9, s24
	s_mul_i32 s24, s9, s24
	s_add_u32 s7, s7, s24
	s_mul_hi_u32 s25, s9, s0
	s_addc_u32 s3, s3, s26
	s_addc_u32 s7, s25, 0
	s_mul_i32 s0, s9, s0
	s_add_u32 s0, s3, s0
	s_addc_u32 s3, 0, s7
	s_mul_hi_u32 s7, s33, s0
	s_mul_i32 s0, s33, s0
	s_mul_i32 s3, s33, s3
	v_mov_b32_e32 v2, s0
	s_add_i32 s7, s7, s3
	v_sub_co_u32_e32 v2, vcc, s8, v2
	s_cmp_lg_u64 vcc, 0
	s_subb_u32 s0, s9, s7
	v_subrev_co_u32_e32 v4, vcc, s33, v2
	s_cmp_lg_u64 vcc, 0
	s_subb_u32 s3, s0, 0
	v_subrev_co_u32_e32 v5, vcc, s33, v4
	s_cmp_lg_u64 vcc, 0
	s_subb_u32 s7, s3, 0
	v_cmp_le_u32_e32 vcc, s33, v4
	s_cmp_eq_u32 s3, 0
	v_cndmask_b32_e64 v6, 0, -1, vcc
	s_cselect_b64 vcc, -1, 0
	v_cndmask_b32_e32 v6, -1, v6, vcc
	v_mov_b32_e32 v7, s3
	v_mov_b32_e32 v8, s7
	v_cmp_ne_u32_e32 vcc, 0, v6
	v_cndmask_b32_e32 v6, v7, v8, vcc
	v_cndmask_b32_e32 v4, v4, v5, vcc
	v_cmp_le_u32_e32 vcc, s33, v2
	s_cmp_eq_u32 s0, 0
	v_cndmask_b32_e64 v5, 0, -1, vcc
	s_cselect_b64 vcc, -1, 0
	v_cndmask_b32_e32 v5, -1, v5, vcc
	v_cmp_ne_u32_e32 vcc, 0, v5
	v_mov_b32_e32 v7, s0
	v_cndmask_b32_e32 v2, v2, v4, vcc
	v_cndmask_b32_e32 v5, v7, v6, vcc
	v_xor_b32_e32 v2, s2, v2
	v_xor_b32_e32 v5, s2, v5
	v_mov_b32_e32 v6, s2
	v_subrev_co_u32_e32 v4, vcc, s2, v2
	v_subb_co_u32_e32 v5, vcc, v5, v6, vcc
	s_cbranch_execnz .LBB44_152
.LBB44_151:                             ;   in Loop: Header=BB44_8 Depth=1
	v_cvt_f32_u32_e32 v2, s33
	s_sub_i32 s0, 0, s33
	v_rcp_iflag_f32_e32 v2, v2
	v_mul_f32_e32 v2, 0x4f7ffffe, v2
	v_cvt_u32_f32_e32 v2, v2
	v_mul_lo_u32 v4, s0, v2
	v_mul_hi_u32 v4, v2, v4
	v_add_u32_e32 v2, v2, v4
	v_mul_hi_u32 v2, s6, v2
	v_mul_lo_u32 v2, v2, s33
	v_sub_u32_e32 v2, s6, v2
	v_subrev_u32_e32 v4, s33, v2
	v_cmp_le_u32_e32 vcc, s33, v2
	v_cndmask_b32_e32 v2, v2, v4, vcc
	v_subrev_u32_e32 v4, s33, v2
	v_cmp_le_u32_e32 vcc, s33, v2
	v_cndmask_b32_e32 v18, v2, v4, vcc
	v_pk_mov_b32 v[4:5], v[18:19], v[18:19] op_sel:[0,1]
.LBB44_152:                             ;   in Loop: Header=BB44_8 Depth=1
	v_mov_b32_e32 v2, s1
	v_sub_co_u32_e32 v8, vcc, s6, v4
	v_subb_co_u32_e32 v9, vcc, v2, v5, vcc
	v_cmp_gt_i64_e32 vcc, v[8:9], v[0:1]
	s_mov_b64 s[0:1], 0
                                        ; implicit-def: $vgpr6_vgpr7
	s_and_saveexec_b64 s[2:3], vcc
	s_cbranch_execz .LBB44_161
; %bb.153:                              ;   in Loop: Header=BB44_8 Depth=1
	s_mov_b64 s[8:9], 0
	v_mov_b32_e32 v12, v41
	v_pk_mov_b32 v[10:11], v[0:1], v[0:1] op_sel:[0,1]
                                        ; implicit-def: $sgpr0_sgpr1
	s_branch .LBB44_155
.LBB44_154:                             ;   in Loop: Header=BB44_155 Depth=2
	s_or_b64 exec, exec, s[6:7]
	s_waitcnt lgkmcnt(0)
	s_barrier
	ds_read_b128 v[4:7], v19 offset:3072
	v_mov_b32_e32 v2, s82
	v_add_co_u32_e64 v10, s[6:7], s33, v10
	v_addc_co_u32_e64 v11, s[6:7], v11, v2, s[6:7]
	s_waitcnt lgkmcnt(0)
	v_cmp_neq_f64_e32 vcc, 0, v[4:5]
	v_cmp_ge_i64_e64 s[6:7], v[10:11], v[8:9]
	s_or_b64 s[6:7], vcc, s[6:7]
	s_and_b64 s[6:7], exec, s[6:7]
	s_or_b64 s[8:9], s[6:7], s[8:9]
	s_andn2_b64 s[0:1], s[0:1], exec
	s_and_b64 s[6:7], vcc, exec
	v_add_u32_e32 v12, s78, v12
	s_or_b64 s[0:1], s[0:1], s[6:7]
	s_barrier
	s_andn2_b64 exec, exec, s[8:9]
	s_cbranch_execz .LBB44_160
.LBB44_155:                             ;   Parent Loop BB44_8 Depth=1
                                        ; =>  This Inner Loop Header: Depth=2
	v_cmp_gt_i64_e32 vcc, s[34:35], v[10:11]
	v_pk_mov_b32 v[4:5], 0, 0
	s_and_saveexec_b64 s[6:7], vcc
	s_cbranch_execz .LBB44_157
; %bb.156:                              ;   in Loop: Header=BB44_155 Depth=2
	ds_read_b64 v[4:5], v12
.LBB44_157:                             ;   in Loop: Header=BB44_155 Depth=2
	s_or_b64 exec, exec, s[6:7]
	s_and_saveexec_b64 s[6:7], vcc
	s_cbranch_execz .LBB44_154
; %bb.158:                              ;   in Loop: Header=BB44_155 Depth=2
	s_waitcnt lgkmcnt(0)
	v_ashrrev_i32_e32 v2, 31, v5
	v_or_b32_e32 v6, 0x80000000, v2
	v_xor_b32_e32 v6, v6, v5
	v_xor_b32_e32 v2, v2, v4
	v_cmp_o_f64_e32 vcc, v[4:5], v[4:5]
	v_cndmask_b32_e32 v6, -1, v6, vcc
	v_cndmask_b32_e32 v2, -1, v2, vcc
	v_and_b32_e32 v7, s85, v6
	v_and_b32_e32 v6, s84, v2
	v_cmp_eq_u64_e32 vcc, s[86:87], v[6:7]
	s_and_b64 exec, exec, vcc
	s_cbranch_execz .LBB44_154
; %bb.159:                              ;   in Loop: Header=BB44_155 Depth=2
	v_mov_b32_e32 v2, v19
	ds_write_b128 v19, v[2:5] offset:3072
	s_branch .LBB44_154
.LBB44_160:                             ;   in Loop: Header=BB44_8 Depth=1
	s_or_b64 exec, exec, s[8:9]
	s_and_b64 s[0:1], s[0:1], exec
.LBB44_161:                             ;   in Loop: Header=BB44_8 Depth=1
	s_or_b64 exec, exec, s[2:3]
	s_mov_b64 s[30:31], -1
	s_mov_b64 s[26:27], 0
	s_mov_b64 s[24:25], 0
.LBB44_162:                             ;   in Loop: Header=BB44_8 Depth=1
	s_mov_b64 s[2:3], 0
                                        ; implicit-def: $sgpr46
	s_and_saveexec_b64 s[34:35], s[0:1]
	s_cbranch_execz .LBB44_273
; %bb.163:                              ;   in Loop: Header=BB44_8 Depth=1
	s_xor_b64 s[0:1], s[38:39], -1
	s_andn2_b64 vcc, exec, s[0:1]
	s_mov_b32 s46, 1
	s_cbranch_vccnz .LBB44_174
; %bb.164:                              ;   in Loop: Header=BB44_8 Depth=1
	s_waitcnt vmcnt(0)
	v_pk_mov_b32 v[4:5], s[36:37], s[36:37] op_sel:[0,1]
	v_cmp_gt_i64_e32 vcc, s[58:59], v[4:5]
	s_mov_b64 s[0:1], -1
                                        ; implicit-def: $sgpr46
                                        ; implicit-def: $sgpr2_sgpr3
                                        ; implicit-def: $sgpr6_sgpr7
	s_cbranch_vccnz .LBB44_170
; %bb.165:                              ;   in Loop: Header=BB44_8 Depth=1
	ds_read_b64 v[4:5], v19 offset:5120
	s_waitcnt lgkmcnt(0)
	v_cmp_ne_u64_e32 vcc, 0, v[4:5]
	s_cbranch_vccnz .LBB44_169
; %bb.166:                              ;   in Loop: Header=BB44_8 Depth=1
	s_mov_b64 s[0:1], exec
	v_readlane_b32 s2, v60, 8
	v_readlane_b32 s3, v60, 9
	s_and_b64 s[2:3], s[0:1], s[2:3]
	s_mov_b64 exec, s[2:3]
	s_cbranch_execz .LBB44_168
; %bb.167:                              ;   in Loop: Header=BB44_8 Depth=1
	v_pk_mov_b32 v[4:5], s[36:37], s[36:37] op_sel:[0,1]
	ds_write_b64 v19, v[4:5] offset:5128
.LBB44_168:                             ;   in Loop: Header=BB44_8 Depth=1
	s_or_b64 exec, exec, s[0:1]
	s_waitcnt lgkmcnt(0)
	s_barrier
.LBB44_169:                             ;   in Loop: Header=BB44_8 Depth=1
	s_lshl_b64 s[0:1], 1, s28
	s_and_b64 s[2:3], s[86:87], s[22:23]
	s_or_b64 s[2:3], s[2:3], s[0:1]
	s_or_b64 s[6:7], s[84:85], s[14:15]
	s_mov_b64 s[0:1], 0
	s_mov_b32 s46, 8
.LBB44_170:                             ;   in Loop: Header=BB44_8 Depth=1
	s_andn2_b64 vcc, exec, s[0:1]
	s_cbranch_vccnz .LBB44_172
; %bb.171:                              ;   in Loop: Header=BB44_8 Depth=1
	s_sub_u32 s58, s58, s36
	s_subb_u32 s59, s59, s37
	s_mov_b64 s[0:1], -1
	s_mov_b32 s46, 0
	s_mov_b64 s[2:3], s[86:87]
	s_mov_b64 s[6:7], s[84:85]
.LBB44_172:                             ;   in Loop: Header=BB44_8 Depth=1
	s_mov_b64 s[84:85], s[6:7]
	s_mov_b64 s[86:87], s[2:3]
	s_andn2_b64 vcc, exec, s[0:1]
	s_mov_b64 s[2:3], -1
	s_cbranch_vccz .LBB44_175
.LBB44_173:                             ;   in Loop: Header=BB44_8 Depth=1
                                        ; implicit-def: $sgpr38_sgpr39
                                        ; implicit-def: $sgpr40_sgpr41
                                        ; implicit-def: $sgpr36_sgpr37
	s_branch .LBB44_272
.LBB44_174:                             ;   in Loop: Header=BB44_8 Depth=1
	s_mov_b64 s[58:59], 1
	s_mov_b64 s[2:3], -1
	s_cbranch_execnz .LBB44_173
.LBB44_175:                             ;   in Loop: Header=BB44_8 Depth=1
	s_cmp_eq_u64 s[20:21], 1
	s_cselect_b64 s[0:1], -1, 0
	s_cmp_eq_u64 s[58:59], 1
	s_cselect_b64 s[2:3], -1, 0
	s_and_b64 s[44:45], s[0:1], s[2:3]
	s_mov_b64 s[0:1], -1
	s_and_b64 vcc, exec, s[44:45]
	s_cbranch_vccz .LBB44_190
; %bb.176:                              ;   in Loop: Header=BB44_8 Depth=1
	s_waitcnt vmcnt(0)
	ds_read_b64 v[4:5], v19 offset:5120
	s_waitcnt lgkmcnt(0)
	s_barrier
	v_readfirstlane_b32 s42, v4
	v_readfirstlane_b32 s43, v5
	s_mov_b64 s[0:1], exec
	v_readlane_b32 s2, v60, 12
	v_readlane_b32 s3, v60, 13
	s_and_b64 s[2:3], s[0:1], s[2:3]
	s_mov_b64 exec, s[2:3]
	s_cbranch_execz .LBB44_178
; %bb.177:                              ;   in Loop: Header=BB44_8 Depth=1
	v_mov_b32_e32 v18, v19
	ds_write_b64 v42, v[18:19]
.LBB44_178:                             ;   in Loop: Header=BB44_8 Depth=1
	s_or_b64 exec, exec, s[0:1]
	s_lshl_b64 s[0:1], 2, s28
	s_and_b64 s[2:3], s[86:87], s[22:23]
	s_or_b64 s[86:87], s[2:3], s[0:1]
	v_cmp_gt_i64_e64 s[0:1], s[42:43], 0
	s_or_b64 s[84:85], s[84:85], s[14:15]
	s_and_b64 vcc, exec, s[0:1]
	s_waitcnt lgkmcnt(0)
	s_barrier
	s_cbranch_vccnz .LBB44_193
; %bb.179:                              ;   in Loop: Header=BB44_8 Depth=1
	s_mov_b32 s46, s75
	s_cmp_lg_u64 s[46:47], 0
	s_cbranch_scc0 .LBB44_238
; %bb.180:                              ;   in Loop: Header=BB44_8 Depth=1
	v_cvt_f32_u32_e32 v2, s33
	s_sub_u32 s0, 0, s33
	s_subb_u32 s1, 0, 0
	v_mac_f32_e32 v2, 0x4f800000, v49
	v_rcp_f32_e32 v2, v2
	v_mul_f32_e32 v2, 0x5f7ffffc, v2
	v_mul_f32_e32 v4, 0x2f800000, v2
	v_trunc_f32_e32 v4, v4
	v_mac_f32_e32 v2, 0xcf800000, v4
	v_cvt_u32_f32_e32 v4, v4
	v_cvt_u32_f32_e32 v2, v2
	v_readfirstlane_b32 s2, v4
	v_readfirstlane_b32 s3, v2
	s_mul_i32 s6, s0, s2
	s_mul_hi_u32 s8, s0, s3
	s_mul_i32 s7, s1, s3
	s_add_i32 s6, s8, s6
	s_mul_i32 s9, s0, s3
	s_add_i32 s6, s6, s7
	s_mul_hi_u32 s8, s3, s9
	s_mul_hi_u32 s7, s3, s6
	s_mul_i32 s3, s3, s6
	s_add_u32 s3, s8, s3
	s_addc_u32 s7, 0, s7
	s_mul_hi_u32 s29, s2, s9
	s_mul_i32 s9, s2, s9
	s_add_u32 s3, s3, s9
	s_mul_hi_u32 s8, s2, s6
	s_addc_u32 s3, s7, s29
	s_addc_u32 s7, s8, 0
	s_mul_i32 s6, s2, s6
	s_add_u32 s3, s3, s6
	s_addc_u32 s6, 0, s7
	v_add_co_u32_e32 v2, vcc, s3, v2
	s_cmp_lg_u64 vcc, 0
	s_addc_u32 s2, s2, s6
	v_readfirstlane_b32 s6, v2
	s_mul_i32 s3, s0, s2
	s_mul_hi_u32 s7, s0, s6
	s_add_i32 s3, s7, s3
	s_mul_i32 s1, s1, s6
	s_add_i32 s3, s3, s1
	s_mul_i32 s0, s0, s6
	s_mul_hi_u32 s7, s2, s0
	s_mul_i32 s8, s2, s0
	s_mul_i32 s29, s6, s3
	s_mul_hi_u32 s0, s6, s0
	s_mul_hi_u32 s9, s6, s3
	s_add_u32 s0, s0, s29
	s_addc_u32 s6, 0, s9
	s_add_u32 s0, s0, s8
	s_mul_hi_u32 s1, s2, s3
	s_addc_u32 s0, s6, s7
	s_addc_u32 s1, s1, 0
	s_mul_i32 s3, s2, s3
	s_add_u32 s0, s0, s3
	s_addc_u32 s1, 0, s1
	v_add_co_u32_e32 v2, vcc, s0, v2
	s_cmp_lg_u64 vcc, 0
	s_addc_u32 s6, s2, s1
	s_ashr_i32 s0, s47, 31
	v_readlane_b32 s2, v60, 21
	s_add_u32 s2, s2, s0
	s_mov_b32 s1, s0
	s_addc_u32 s3, s47, s0
	s_xor_b64 s[2:3], s[2:3], s[0:1]
	v_readfirstlane_b32 s8, v2
	s_mul_i32 s7, s2, s6
	s_mul_hi_u32 s9, s2, s8
	s_mul_hi_u32 s1, s2, s6
	s_add_u32 s7, s9, s7
	s_addc_u32 s1, 0, s1
	s_mul_hi_u32 s29, s3, s8
	s_mul_i32 s8, s3, s8
	s_add_u32 s7, s7, s8
	s_mul_hi_u32 s9, s3, s6
	s_addc_u32 s1, s1, s29
	s_addc_u32 s7, s9, 0
	s_mul_i32 s6, s3, s6
	s_add_u32 s1, s1, s6
	s_addc_u32 s6, 0, s7
	s_mul_hi_u32 s7, s33, s1
	s_mul_i32 s1, s33, s1
	s_mul_i32 s6, s33, s6
	v_mov_b32_e32 v2, s1
	s_add_i32 s7, s7, s6
	v_sub_co_u32_e32 v2, vcc, s2, v2
	s_cmp_lg_u64 vcc, 0
	s_subb_u32 s1, s3, s7
	v_subrev_co_u32_e32 v4, vcc, s33, v2
	s_cmp_lg_u64 vcc, 0
	s_subb_u32 s2, s1, 0
	v_subrev_co_u32_e32 v5, vcc, s33, v4
	s_cmp_lg_u64 vcc, 0
	s_subb_u32 s3, s2, 0
	v_cmp_le_u32_e32 vcc, s33, v4
	s_cmp_eq_u32 s2, 0
	v_cndmask_b32_e64 v6, 0, -1, vcc
	s_cselect_b64 vcc, -1, 0
	v_cndmask_b32_e32 v6, -1, v6, vcc
	v_mov_b32_e32 v7, s2
	v_mov_b32_e32 v8, s3
	v_cmp_ne_u32_e32 vcc, 0, v6
	v_cndmask_b32_e32 v6, v7, v8, vcc
	v_cndmask_b32_e32 v4, v4, v5, vcc
	v_cmp_le_u32_e32 vcc, s33, v2
	s_cmp_eq_u32 s1, 0
	v_cndmask_b32_e64 v5, 0, -1, vcc
	s_cselect_b64 vcc, -1, 0
	v_cndmask_b32_e32 v5, -1, v5, vcc
	v_cmp_ne_u32_e32 vcc, 0, v5
	v_mov_b32_e32 v7, s1
	v_cndmask_b32_e32 v2, v2, v4, vcc
	v_cndmask_b32_e32 v5, v7, v6, vcc
	v_xor_b32_e32 v2, s0, v2
	v_xor_b32_e32 v5, s0, v5
	v_mov_b32_e32 v6, s0
	v_subrev_co_u32_e32 v4, vcc, s0, v2
	v_subb_co_u32_e32 v5, vcc, v5, v6, vcc
	s_cbranch_execnz .LBB44_182
.LBB44_181:                             ;   in Loop: Header=BB44_8 Depth=1
	v_cvt_f32_u32_e32 v2, s33
	s_sub_i32 s0, 0, s33
	v_rcp_iflag_f32_e32 v2, v2
	v_mul_f32_e32 v2, 0x4f7ffffe, v2
	v_cvt_u32_f32_e32 v2, v2
	v_mul_lo_u32 v4, s0, v2
	v_mul_hi_u32 v4, v2, v4
	v_add_u32_e32 v2, v2, v4
	v_readlane_b32 s0, v60, 21
	v_mul_hi_u32 v2, s0, v2
	v_mul_lo_u32 v2, v2, s33
	v_sub_u32_e32 v2, s0, v2
	v_subrev_u32_e32 v4, s33, v2
	v_cmp_le_u32_e32 vcc, s33, v2
	v_cndmask_b32_e32 v2, v2, v4, vcc
	v_subrev_u32_e32 v4, s33, v2
	v_cmp_le_u32_e32 vcc, s33, v2
	v_cndmask_b32_e32 v18, v2, v4, vcc
	v_pk_mov_b32 v[4:5], v[18:19], v[18:19] op_sel:[0,1]
.LBB44_182:                             ;   in Loop: Header=BB44_8 Depth=1
	v_readlane_b32 s0, v60, 21
	v_mov_b32_e32 v2, s47
	v_sub_co_u32_e32 v8, vcc, s0, v4
	v_subb_co_u32_e32 v9, vcc, v2, v5, vcc
	v_cmp_gt_i64_e32 vcc, v[8:9], v[0:1]
	s_mov_b64 s[0:1], 0
                                        ; implicit-def: $vgpr6_vgpr7
	s_and_saveexec_b64 s[2:3], vcc
	s_cbranch_execz .LBB44_195
; %bb.183:                              ;   in Loop: Header=BB44_8 Depth=1
	s_mov_b64 s[8:9], 0
	v_pk_mov_b32 v[10:11], v[16:17], v[16:17] op_sel:[0,1]
	v_pk_mov_b32 v[12:13], v[0:1], v[0:1] op_sel:[0,1]
                                        ; implicit-def: $sgpr0_sgpr1
	s_branch .LBB44_185
.LBB44_184:                             ;   in Loop: Header=BB44_185 Depth=2
	s_or_b64 exec, exec, s[6:7]
	s_waitcnt lgkmcnt(0)
	s_barrier
	s_waitcnt vmcnt(0)
	ds_read_b128 v[4:7], v19 offset:3072
	v_mov_b32_e32 v2, s82
	v_add_co_u32_e64 v12, s[6:7], s33, v12
	v_addc_co_u32_e64 v13, s[6:7], v13, v2, s[6:7]
	s_waitcnt lgkmcnt(0)
	v_cmp_neq_f64_e32 vcc, 0, v[4:5]
	v_cmp_ge_i64_e64 s[6:7], v[12:13], v[8:9]
	s_or_b64 s[36:37], vcc, s[6:7]
	v_mov_b32_e32 v2, s71
	v_add_co_u32_e64 v10, s[6:7], s70, v10
	v_addc_co_u32_e64 v11, s[6:7], v11, v2, s[6:7]
	s_and_b64 s[6:7], exec, s[36:37]
	s_or_b64 s[8:9], s[6:7], s[8:9]
	s_andn2_b64 s[0:1], s[0:1], exec
	s_and_b64 s[6:7], vcc, exec
	s_or_b64 s[0:1], s[0:1], s[6:7]
	s_barrier
	s_andn2_b64 exec, exec, s[8:9]
	s_cbranch_execz .LBB44_194
.LBB44_185:                             ;   Parent Loop BB44_8 Depth=1
                                        ; =>  This Inner Loop Header: Depth=2
	v_cmp_gt_i64_e32 vcc, s[56:57], v[12:13]
	v_pk_mov_b32 v[4:5], 0, 0
	s_and_saveexec_b64 s[6:7], vcc
	s_cbranch_execz .LBB44_187
; %bb.186:                              ;   in Loop: Header=BB44_185 Depth=2
	global_load_dwordx2 v[4:5], v[10:11], off
.LBB44_187:                             ;   in Loop: Header=BB44_185 Depth=2
	s_or_b64 exec, exec, s[6:7]
	s_and_saveexec_b64 s[6:7], vcc
	s_cbranch_execz .LBB44_184
; %bb.188:                              ;   in Loop: Header=BB44_185 Depth=2
	s_waitcnt vmcnt(0)
	v_ashrrev_i32_e32 v2, 31, v5
	v_or_b32_e32 v6, 0x80000000, v2
	v_xor_b32_e32 v6, v6, v5
	v_xor_b32_e32 v2, v2, v4
	v_cmp_o_f64_e32 vcc, v[4:5], v[4:5]
	v_cndmask_b32_e32 v6, -1, v6, vcc
	v_cndmask_b32_e32 v2, -1, v2, vcc
	v_and_b32_e32 v7, s85, v6
	v_and_b32_e32 v6, s84, v2
	v_cmp_eq_u64_e32 vcc, s[86:87], v[6:7]
	s_and_b64 exec, exec, vcc
	s_cbranch_execz .LBB44_184
; %bb.189:                              ;   in Loop: Header=BB44_185 Depth=2
	v_mov_b32_e32 v2, v19
	ds_write_b128 v19, v[2:5] offset:3072
	s_branch .LBB44_184
.LBB44_190:                             ;   in Loop: Header=BB44_8 Depth=1
                                        ; implicit-def: $sgpr36_sgpr37
                                        ; implicit-def: $sgpr40_sgpr41
                                        ; implicit-def: $sgpr38_sgpr39
	s_branch .LBB44_209
.LBB44_191:                             ;   in Loop: Header=BB44_8 Depth=1
                                        ; implicit-def: $vgpr4_vgpr5
	s_branch .LBB44_134
.LBB44_192:                             ;   in Loop: Header=BB44_8 Depth=1
                                        ; implicit-def: $vgpr4_vgpr5
	s_branch .LBB44_151
.LBB44_193:                             ;   in Loop: Header=BB44_8 Depth=1
	s_mov_b64 s[36:37], -1
	s_mov_b64 s[0:1], 0
                                        ; implicit-def: $sgpr38_sgpr39
                                        ; implicit-def: $vgpr6_vgpr7
	s_mov_b64 s[40:41], s[36:37]
	s_cbranch_execnz .LBB44_196
	s_branch .LBB44_209
.LBB44_194:                             ;   in Loop: Header=BB44_8 Depth=1
	s_or_b64 exec, exec, s[8:9]
	s_and_b64 s[0:1], s[0:1], exec
.LBB44_195:                             ;   in Loop: Header=BB44_8 Depth=1
	s_or_b64 exec, exec, s[2:3]
	s_mov_b64 s[38:39], -1
	s_mov_b64 s[36:37], 0
	s_mov_b64 s[40:41], s[36:37]
	s_branch .LBB44_209
.LBB44_196:                             ;   in Loop: Header=BB44_8 Depth=1
	v_readlane_b32 s0, v60, 20
	s_add_u32 s6, s0, s42
	v_readlane_b32 s0, v60, 22
	s_addc_u32 s1, s0, s43
	s_mov_b32 s0, s75
	s_cmp_lg_u64 s[0:1], 0
	s_cbranch_scc0 .LBB44_239
; %bb.197:                              ;   in Loop: Header=BB44_8 Depth=1
	v_cvt_f32_u32_e32 v2, s33
	s_sub_u32 s0, 0, s33
	s_subb_u32 s2, 0, 0
	v_mac_f32_e32 v2, 0x4f800000, v49
	v_rcp_f32_e32 v2, v2
	v_mul_f32_e32 v2, 0x5f7ffffc, v2
	v_mul_f32_e32 v4, 0x2f800000, v2
	v_trunc_f32_e32 v4, v4
	v_mac_f32_e32 v2, 0xcf800000, v4
	v_cvt_u32_f32_e32 v4, v4
	v_cvt_u32_f32_e32 v2, v2
	v_readfirstlane_b32 s3, v4
	v_readfirstlane_b32 s7, v2
	s_mul_i32 s8, s0, s3
	s_mul_hi_u32 s29, s0, s7
	s_mul_i32 s9, s2, s7
	s_add_i32 s8, s29, s8
	s_mul_i32 s36, s0, s7
	s_add_i32 s8, s8, s9
	s_mul_hi_u32 s29, s7, s36
	s_mul_hi_u32 s9, s7, s8
	s_mul_i32 s7, s7, s8
	s_add_u32 s7, s29, s7
	s_addc_u32 s9, 0, s9
	s_mul_hi_u32 s37, s3, s36
	s_mul_i32 s36, s3, s36
	s_add_u32 s7, s7, s36
	s_mul_hi_u32 s29, s3, s8
	s_addc_u32 s7, s9, s37
	s_addc_u32 s9, s29, 0
	s_mul_i32 s8, s3, s8
	s_add_u32 s7, s7, s8
	s_addc_u32 s8, 0, s9
	v_add_co_u32_e32 v2, vcc, s7, v2
	s_cmp_lg_u64 vcc, 0
	s_addc_u32 s3, s3, s8
	v_readfirstlane_b32 s8, v2
	s_mul_i32 s7, s0, s3
	s_mul_hi_u32 s9, s0, s8
	s_add_i32 s7, s9, s7
	s_mul_i32 s2, s2, s8
	s_add_i32 s7, s7, s2
	s_mul_i32 s0, s0, s8
	s_mul_hi_u32 s9, s3, s0
	s_mul_i32 s29, s3, s0
	s_mul_i32 s37, s8, s7
	s_mul_hi_u32 s0, s8, s0
	s_mul_hi_u32 s36, s8, s7
	s_add_u32 s0, s0, s37
	s_addc_u32 s8, 0, s36
	s_add_u32 s0, s0, s29
	s_mul_hi_u32 s2, s3, s7
	s_addc_u32 s0, s8, s9
	s_addc_u32 s2, s2, 0
	s_mul_i32 s7, s3, s7
	s_add_u32 s0, s0, s7
	s_addc_u32 s2, 0, s2
	v_add_co_u32_e32 v2, vcc, s0, v2
	s_cmp_lg_u64 vcc, 0
	s_addc_u32 s0, s3, s2
	s_ashr_i32 s2, s1, 31
	s_add_u32 s8, s6, s2
	s_mov_b32 s3, s2
	s_addc_u32 s9, s1, s2
	s_xor_b64 s[8:9], s[8:9], s[2:3]
	v_readfirstlane_b32 s29, v2
	s_mul_i32 s7, s8, s0
	s_mul_hi_u32 s36, s8, s29
	s_mul_hi_u32 s3, s8, s0
	s_add_u32 s7, s36, s7
	s_addc_u32 s3, 0, s3
	s_mul_hi_u32 s37, s9, s29
	s_mul_i32 s29, s9, s29
	s_add_u32 s7, s7, s29
	s_mul_hi_u32 s36, s9, s0
	s_addc_u32 s3, s3, s37
	s_addc_u32 s7, s36, 0
	s_mul_i32 s0, s9, s0
	s_add_u32 s0, s3, s0
	s_addc_u32 s3, 0, s7
	s_mul_hi_u32 s7, s33, s0
	s_mul_i32 s0, s33, s0
	s_mul_i32 s3, s33, s3
	v_mov_b32_e32 v2, s0
	s_add_i32 s7, s7, s3
	v_sub_co_u32_e32 v2, vcc, s8, v2
	s_cmp_lg_u64 vcc, 0
	s_subb_u32 s0, s9, s7
	v_subrev_co_u32_e32 v4, vcc, s33, v2
	s_cmp_lg_u64 vcc, 0
	s_subb_u32 s3, s0, 0
	v_subrev_co_u32_e32 v5, vcc, s33, v4
	s_cmp_lg_u64 vcc, 0
	s_subb_u32 s7, s3, 0
	v_cmp_le_u32_e32 vcc, s33, v4
	s_cmp_eq_u32 s3, 0
	v_cndmask_b32_e64 v6, 0, -1, vcc
	s_cselect_b64 vcc, -1, 0
	v_cndmask_b32_e32 v6, -1, v6, vcc
	v_mov_b32_e32 v7, s3
	v_mov_b32_e32 v8, s7
	v_cmp_ne_u32_e32 vcc, 0, v6
	v_cndmask_b32_e32 v6, v7, v8, vcc
	v_cndmask_b32_e32 v4, v4, v5, vcc
	v_cmp_le_u32_e32 vcc, s33, v2
	s_cmp_eq_u32 s0, 0
	v_cndmask_b32_e64 v5, 0, -1, vcc
	s_cselect_b64 vcc, -1, 0
	v_cndmask_b32_e32 v5, -1, v5, vcc
	v_cmp_ne_u32_e32 vcc, 0, v5
	v_mov_b32_e32 v7, s0
	v_cndmask_b32_e32 v2, v2, v4, vcc
	v_cndmask_b32_e32 v5, v7, v6, vcc
	v_xor_b32_e32 v2, s2, v2
	v_xor_b32_e32 v5, s2, v5
	v_mov_b32_e32 v6, s2
	v_subrev_co_u32_e32 v4, vcc, s2, v2
	v_subb_co_u32_e32 v5, vcc, v5, v6, vcc
	s_cbranch_execnz .LBB44_199
.LBB44_198:                             ;   in Loop: Header=BB44_8 Depth=1
	v_cvt_f32_u32_e32 v2, s33
	s_sub_i32 s0, 0, s33
	v_rcp_iflag_f32_e32 v2, v2
	v_mul_f32_e32 v2, 0x4f7ffffe, v2
	v_cvt_u32_f32_e32 v2, v2
	v_mul_lo_u32 v4, s0, v2
	v_mul_hi_u32 v4, v2, v4
	v_add_u32_e32 v2, v2, v4
	v_mul_hi_u32 v2, s6, v2
	v_mul_lo_u32 v2, v2, s33
	v_sub_u32_e32 v2, s6, v2
	v_subrev_u32_e32 v4, s33, v2
	v_cmp_le_u32_e32 vcc, s33, v2
	v_cndmask_b32_e32 v2, v2, v4, vcc
	v_subrev_u32_e32 v4, s33, v2
	v_cmp_le_u32_e32 vcc, s33, v2
	v_cndmask_b32_e32 v18, v2, v4, vcc
	v_pk_mov_b32 v[4:5], v[18:19], v[18:19] op_sel:[0,1]
.LBB44_199:                             ;   in Loop: Header=BB44_8 Depth=1
	v_mov_b32_e32 v2, s1
	v_sub_co_u32_e32 v8, vcc, s6, v4
	v_subb_co_u32_e32 v9, vcc, v2, v5, vcc
	v_cmp_gt_i64_e32 vcc, v[8:9], v[0:1]
	s_mov_b64 s[0:1], 0
                                        ; implicit-def: $vgpr6_vgpr7
	s_and_saveexec_b64 s[2:3], vcc
	s_cbranch_execz .LBB44_208
; %bb.200:                              ;   in Loop: Header=BB44_8 Depth=1
	s_mov_b64 s[8:9], 0
	v_mov_b32_e32 v12, v41
	v_pk_mov_b32 v[10:11], v[0:1], v[0:1] op_sel:[0,1]
                                        ; implicit-def: $sgpr0_sgpr1
	s_branch .LBB44_202
.LBB44_201:                             ;   in Loop: Header=BB44_202 Depth=2
	s_or_b64 exec, exec, s[6:7]
	s_waitcnt lgkmcnt(0)
	s_barrier
	ds_read_b128 v[4:7], v19 offset:3072
	v_mov_b32_e32 v2, s82
	v_add_co_u32_e64 v10, s[6:7], s33, v10
	v_addc_co_u32_e64 v11, s[6:7], v11, v2, s[6:7]
	s_waitcnt lgkmcnt(0)
	v_cmp_neq_f64_e32 vcc, 0, v[4:5]
	v_cmp_ge_i64_e64 s[6:7], v[10:11], v[8:9]
	s_or_b64 s[6:7], vcc, s[6:7]
	s_and_b64 s[6:7], exec, s[6:7]
	s_or_b64 s[8:9], s[6:7], s[8:9]
	s_andn2_b64 s[0:1], s[0:1], exec
	s_and_b64 s[6:7], vcc, exec
	v_add_u32_e32 v12, s78, v12
	s_or_b64 s[0:1], s[0:1], s[6:7]
	s_barrier
	s_andn2_b64 exec, exec, s[8:9]
	s_cbranch_execz .LBB44_207
.LBB44_202:                             ;   Parent Loop BB44_8 Depth=1
                                        ; =>  This Inner Loop Header: Depth=2
	v_cmp_gt_i64_e32 vcc, s[42:43], v[10:11]
	v_pk_mov_b32 v[4:5], 0, 0
	s_and_saveexec_b64 s[6:7], vcc
	s_cbranch_execz .LBB44_204
; %bb.203:                              ;   in Loop: Header=BB44_202 Depth=2
	ds_read_b64 v[4:5], v12
.LBB44_204:                             ;   in Loop: Header=BB44_202 Depth=2
	s_or_b64 exec, exec, s[6:7]
	s_and_saveexec_b64 s[6:7], vcc
	s_cbranch_execz .LBB44_201
; %bb.205:                              ;   in Loop: Header=BB44_202 Depth=2
	s_waitcnt lgkmcnt(0)
	v_ashrrev_i32_e32 v2, 31, v5
	v_or_b32_e32 v6, 0x80000000, v2
	v_xor_b32_e32 v6, v6, v5
	v_xor_b32_e32 v2, v2, v4
	v_cmp_o_f64_e32 vcc, v[4:5], v[4:5]
	v_cndmask_b32_e32 v6, -1, v6, vcc
	v_cndmask_b32_e32 v2, -1, v2, vcc
	v_and_b32_e32 v7, s85, v6
	v_and_b32_e32 v6, s84, v2
	v_cmp_eq_u64_e32 vcc, s[86:87], v[6:7]
	s_and_b64 exec, exec, vcc
	s_cbranch_execz .LBB44_201
; %bb.206:                              ;   in Loop: Header=BB44_202 Depth=2
	v_mov_b32_e32 v2, v19
	ds_write_b128 v19, v[2:5] offset:3072
	s_branch .LBB44_201
.LBB44_207:                             ;   in Loop: Header=BB44_8 Depth=1
	s_or_b64 exec, exec, s[8:9]
	s_and_b64 s[0:1], s[0:1], exec
.LBB44_208:                             ;   in Loop: Header=BB44_8 Depth=1
	s_or_b64 exec, exec, s[2:3]
	s_mov_b64 s[40:41], -1
	s_mov_b64 s[36:37], 0
	s_mov_b64 s[38:39], 0
.LBB44_209:                             ;   in Loop: Header=BB44_8 Depth=1
	s_mov_b64 s[2:3], 0
                                        ; implicit-def: $sgpr46
	s_and_saveexec_b64 s[42:43], s[0:1]
	s_cbranch_execz .LBB44_271
; %bb.210:                              ;   in Loop: Header=BB44_8 Depth=1
	s_xor_b64 s[0:1], s[44:45], -1
	s_andn2_b64 vcc, exec, s[0:1]
	s_mov_b32 s46, 1
	s_cbranch_vccnz .LBB44_221
; %bb.211:                              ;   in Loop: Header=BB44_8 Depth=1
	s_waitcnt vmcnt(0)
	v_pk_mov_b32 v[4:5], s[20:21], s[20:21] op_sel:[0,1]
	v_cmp_gt_i64_e32 vcc, s[58:59], v[4:5]
	s_mov_b64 s[0:1], -1
                                        ; implicit-def: $sgpr46
                                        ; implicit-def: $sgpr2_sgpr3
                                        ; implicit-def: $sgpr6_sgpr7
	s_cbranch_vccnz .LBB44_217
; %bb.212:                              ;   in Loop: Header=BB44_8 Depth=1
	ds_read_b64 v[4:5], v19 offset:5120
	s_waitcnt lgkmcnt(0)
	v_cmp_ne_u64_e32 vcc, 0, v[4:5]
	s_cbranch_vccnz .LBB44_216
; %bb.213:                              ;   in Loop: Header=BB44_8 Depth=1
	s_mov_b64 s[0:1], exec
	v_readlane_b32 s2, v60, 8
	v_readlane_b32 s3, v60, 9
	s_and_b64 s[2:3], s[0:1], s[2:3]
	s_mov_b64 exec, s[2:3]
	s_cbranch_execz .LBB44_215
; %bb.214:                              ;   in Loop: Header=BB44_8 Depth=1
	v_pk_mov_b32 v[4:5], s[20:21], s[20:21] op_sel:[0,1]
	ds_write_b64 v19, v[4:5] offset:5128
.LBB44_215:                             ;   in Loop: Header=BB44_8 Depth=1
	s_or_b64 exec, exec, s[0:1]
	s_waitcnt lgkmcnt(0)
	s_barrier
.LBB44_216:                             ;   in Loop: Header=BB44_8 Depth=1
	s_lshl_b64 s[0:1], 2, s28
	s_and_b64 s[2:3], s[86:87], s[22:23]
	s_or_b64 s[2:3], s[2:3], s[0:1]
	s_or_b64 s[6:7], s[84:85], s[14:15]
	s_mov_b64 s[0:1], 0
	s_mov_b32 s46, 8
.LBB44_217:                             ;   in Loop: Header=BB44_8 Depth=1
	s_andn2_b64 vcc, exec, s[0:1]
	s_cbranch_vccnz .LBB44_219
; %bb.218:                              ;   in Loop: Header=BB44_8 Depth=1
	s_sub_u32 s58, s58, s20
	s_subb_u32 s59, s59, s21
	s_mov_b64 s[0:1], -1
	s_mov_b32 s46, 0
	s_mov_b64 s[2:3], s[86:87]
	s_mov_b64 s[6:7], s[84:85]
.LBB44_219:                             ;   in Loop: Header=BB44_8 Depth=1
	s_mov_b64 s[84:85], s[6:7]
	s_mov_b64 s[86:87], s[2:3]
	s_andn2_b64 vcc, exec, s[0:1]
	s_mov_b64 s[28:29], -1
	s_cbranch_vccz .LBB44_222
.LBB44_220:                             ;   in Loop: Header=BB44_8 Depth=1
                                        ; implicit-def: $sgpr0_sgpr1
                                        ; implicit-def: $sgpr6_sgpr7
                                        ; implicit-def: $sgpr2_sgpr3
	s_branch .LBB44_270
.LBB44_221:                             ;   in Loop: Header=BB44_8 Depth=1
	s_mov_b64 s[58:59], 1
	s_mov_b64 s[28:29], -1
	s_cbranch_execnz .LBB44_220
.LBB44_222:                             ;   in Loop: Header=BB44_8 Depth=1
	s_cmp_eq_u64 s[12:13], 1
	s_cselect_b64 s[0:1], -1, 0
	s_cmp_eq_u64 s[58:59], 1
	s_cselect_b64 s[2:3], -1, 0
	s_and_b64 s[20:21], s[0:1], s[2:3]
	s_mov_b64 s[8:9], -1
	s_and_b64 vcc, exec, s[20:21]
	s_cbranch_vccz .LBB44_237
; %bb.223:                              ;   in Loop: Header=BB44_8 Depth=1
	s_waitcnt vmcnt(0)
	ds_read_b64 v[4:5], v19 offset:5120
	s_waitcnt lgkmcnt(0)
	s_barrier
	v_readfirstlane_b32 s22, v4
	v_readfirstlane_b32 s23, v5
	s_mov_b64 s[0:1], exec
	v_readlane_b32 s2, v60, 12
	v_readlane_b32 s3, v60, 13
	s_and_b64 s[2:3], s[0:1], s[2:3]
	s_mov_b64 exec, s[2:3]
	s_cbranch_execz .LBB44_225
; %bb.224:                              ;   in Loop: Header=BB44_8 Depth=1
	v_mov_b32_e32 v18, v19
	ds_write_b64 v42, v[18:19]
.LBB44_225:                             ;   in Loop: Header=BB44_8 Depth=1
	s_or_b64 exec, exec, s[0:1]
	v_cmp_gt_i64_e64 s[0:1], s[22:23], 0
	s_or_b64 s[86:87], s[86:87], s[14:15]
	s_or_b64 s[84:85], s[84:85], s[14:15]
	s_and_b64 vcc, exec, s[0:1]
	s_waitcnt lgkmcnt(0)
	s_barrier
	s_cbranch_vccnz .LBB44_240
; %bb.226:                              ;   in Loop: Header=BB44_8 Depth=1
	s_mov_b32 s46, s75
	s_cmp_lg_u64 s[46:47], 0
	s_cbranch_scc0 .LBB44_276
; %bb.227:                              ;   in Loop: Header=BB44_8 Depth=1
	v_cvt_f32_u32_e32 v2, s33
	s_sub_u32 s0, 0, s33
	s_subb_u32 s1, 0, 0
	v_mac_f32_e32 v2, 0x4f800000, v49
	v_rcp_f32_e32 v2, v2
	v_mul_f32_e32 v2, 0x5f7ffffc, v2
	v_mul_f32_e32 v4, 0x2f800000, v2
	v_trunc_f32_e32 v4, v4
	v_mac_f32_e32 v2, 0xcf800000, v4
	v_cvt_u32_f32_e32 v4, v4
	v_cvt_u32_f32_e32 v2, v2
	v_readfirstlane_b32 s2, v4
	v_readfirstlane_b32 s3, v2
	s_mul_i32 s6, s0, s2
	s_mul_hi_u32 s8, s0, s3
	s_mul_i32 s7, s1, s3
	s_add_i32 s6, s8, s6
	s_mul_i32 s9, s0, s3
	s_add_i32 s6, s6, s7
	s_mul_hi_u32 s8, s3, s9
	s_mul_hi_u32 s7, s3, s6
	s_mul_i32 s3, s3, s6
	s_add_u32 s3, s8, s3
	s_addc_u32 s7, 0, s7
	s_mul_hi_u32 s28, s2, s9
	s_mul_i32 s9, s2, s9
	s_add_u32 s3, s3, s9
	s_mul_hi_u32 s8, s2, s6
	s_addc_u32 s3, s7, s28
	s_addc_u32 s7, s8, 0
	s_mul_i32 s6, s2, s6
	s_add_u32 s3, s3, s6
	s_addc_u32 s6, 0, s7
	v_add_co_u32_e32 v2, vcc, s3, v2
	s_cmp_lg_u64 vcc, 0
	s_addc_u32 s2, s2, s6
	v_readfirstlane_b32 s6, v2
	s_mul_i32 s3, s0, s2
	s_mul_hi_u32 s7, s0, s6
	s_add_i32 s3, s7, s3
	s_mul_i32 s1, s1, s6
	s_add_i32 s3, s3, s1
	s_mul_i32 s0, s0, s6
	s_mul_hi_u32 s7, s2, s0
	s_mul_i32 s8, s2, s0
	s_mul_i32 s28, s6, s3
	s_mul_hi_u32 s0, s6, s0
	s_mul_hi_u32 s9, s6, s3
	s_add_u32 s0, s0, s28
	s_addc_u32 s6, 0, s9
	s_add_u32 s0, s0, s8
	s_mul_hi_u32 s1, s2, s3
	s_addc_u32 s0, s6, s7
	s_addc_u32 s1, s1, 0
	s_mul_i32 s3, s2, s3
	s_add_u32 s0, s0, s3
	s_addc_u32 s1, 0, s1
	v_add_co_u32_e32 v2, vcc, s0, v2
	s_cmp_lg_u64 vcc, 0
	s_addc_u32 s6, s2, s1
	s_ashr_i32 s0, s47, 31
	v_readlane_b32 s2, v60, 21
	s_add_u32 s2, s2, s0
	s_mov_b32 s1, s0
	s_addc_u32 s3, s47, s0
	s_xor_b64 s[2:3], s[2:3], s[0:1]
	v_readfirstlane_b32 s8, v2
	s_mul_i32 s7, s2, s6
	s_mul_hi_u32 s9, s2, s8
	s_mul_hi_u32 s1, s2, s6
	s_add_u32 s7, s9, s7
	s_addc_u32 s1, 0, s1
	s_mul_hi_u32 s28, s3, s8
	s_mul_i32 s8, s3, s8
	s_add_u32 s7, s7, s8
	s_mul_hi_u32 s9, s3, s6
	s_addc_u32 s1, s1, s28
	s_addc_u32 s7, s9, 0
	s_mul_i32 s6, s3, s6
	s_add_u32 s1, s1, s6
	s_addc_u32 s6, 0, s7
	s_mul_hi_u32 s7, s33, s1
	s_mul_i32 s1, s33, s1
	s_mul_i32 s6, s33, s6
	v_mov_b32_e32 v2, s1
	s_add_i32 s7, s7, s6
	v_sub_co_u32_e32 v2, vcc, s2, v2
	s_cmp_lg_u64 vcc, 0
	s_subb_u32 s1, s3, s7
	v_subrev_co_u32_e32 v4, vcc, s33, v2
	s_cmp_lg_u64 vcc, 0
	s_subb_u32 s2, s1, 0
	v_subrev_co_u32_e32 v5, vcc, s33, v4
	s_cmp_lg_u64 vcc, 0
	s_subb_u32 s3, s2, 0
	v_cmp_le_u32_e32 vcc, s33, v4
	s_cmp_eq_u32 s2, 0
	v_cndmask_b32_e64 v6, 0, -1, vcc
	s_cselect_b64 vcc, -1, 0
	v_cndmask_b32_e32 v6, -1, v6, vcc
	v_mov_b32_e32 v7, s2
	v_mov_b32_e32 v8, s3
	v_cmp_ne_u32_e32 vcc, 0, v6
	v_cndmask_b32_e32 v6, v7, v8, vcc
	v_cndmask_b32_e32 v4, v4, v5, vcc
	v_cmp_le_u32_e32 vcc, s33, v2
	s_cmp_eq_u32 s1, 0
	v_cndmask_b32_e64 v5, 0, -1, vcc
	s_cselect_b64 vcc, -1, 0
	v_cndmask_b32_e32 v5, -1, v5, vcc
	v_cmp_ne_u32_e32 vcc, 0, v5
	v_mov_b32_e32 v7, s1
	v_cndmask_b32_e32 v2, v2, v4, vcc
	v_cndmask_b32_e32 v5, v7, v6, vcc
	v_xor_b32_e32 v2, s0, v2
	v_xor_b32_e32 v5, s0, v5
	v_mov_b32_e32 v6, s0
	v_subrev_co_u32_e32 v4, vcc, s0, v2
	v_subb_co_u32_e32 v5, vcc, v5, v6, vcc
	s_cbranch_execnz .LBB44_229
.LBB44_228:                             ;   in Loop: Header=BB44_8 Depth=1
	v_cvt_f32_u32_e32 v2, s33
	s_sub_i32 s0, 0, s33
	v_rcp_iflag_f32_e32 v2, v2
	v_mul_f32_e32 v2, 0x4f7ffffe, v2
	v_cvt_u32_f32_e32 v2, v2
	v_mul_lo_u32 v4, s0, v2
	v_mul_hi_u32 v4, v2, v4
	v_add_u32_e32 v2, v2, v4
	v_readlane_b32 s0, v60, 21
	v_mul_hi_u32 v2, s0, v2
	v_mul_lo_u32 v2, v2, s33
	v_sub_u32_e32 v2, s0, v2
	v_subrev_u32_e32 v4, s33, v2
	v_cmp_le_u32_e32 vcc, s33, v2
	v_cndmask_b32_e32 v2, v2, v4, vcc
	v_subrev_u32_e32 v4, s33, v2
	v_cmp_le_u32_e32 vcc, s33, v2
	v_cndmask_b32_e32 v18, v2, v4, vcc
	v_pk_mov_b32 v[4:5], v[18:19], v[18:19] op_sel:[0,1]
.LBB44_229:                             ;   in Loop: Header=BB44_8 Depth=1
	v_readlane_b32 s0, v60, 21
	v_mov_b32_e32 v2, s47
	v_sub_co_u32_e32 v8, vcc, s0, v4
	v_subb_co_u32_e32 v9, vcc, v2, v5, vcc
	v_cmp_gt_i64_e32 vcc, v[8:9], v[0:1]
	s_mov_b64 s[8:9], 0
                                        ; implicit-def: $vgpr6_vgpr7
	s_and_saveexec_b64 s[0:1], vcc
	s_cbranch_execz .LBB44_242
; %bb.230:                              ;   in Loop: Header=BB44_8 Depth=1
	v_pk_mov_b32 v[10:11], v[16:17], v[16:17] op_sel:[0,1]
	v_pk_mov_b32 v[12:13], v[0:1], v[0:1] op_sel:[0,1]
                                        ; implicit-def: $sgpr2_sgpr3
	s_branch .LBB44_232
.LBB44_231:                             ;   in Loop: Header=BB44_232 Depth=2
	s_or_b64 exec, exec, s[6:7]
	s_waitcnt lgkmcnt(0)
	s_barrier
	s_waitcnt vmcnt(0)
	ds_read_b128 v[4:7], v19 offset:3072
	v_mov_b32_e32 v2, s82
	v_add_co_u32_e64 v12, s[6:7], s33, v12
	v_addc_co_u32_e64 v13, s[6:7], v13, v2, s[6:7]
	s_waitcnt lgkmcnt(0)
	v_cmp_neq_f64_e32 vcc, 0, v[4:5]
	v_cmp_ge_i64_e64 s[6:7], v[12:13], v[8:9]
	s_or_b64 s[28:29], vcc, s[6:7]
	v_mov_b32_e32 v2, s71
	v_add_co_u32_e64 v10, s[6:7], s70, v10
	v_addc_co_u32_e64 v11, s[6:7], v11, v2, s[6:7]
	s_and_b64 s[6:7], exec, s[28:29]
	s_or_b64 s[8:9], s[6:7], s[8:9]
	s_andn2_b64 s[2:3], s[2:3], exec
	s_and_b64 s[6:7], vcc, exec
	s_or_b64 s[2:3], s[2:3], s[6:7]
	s_barrier
	s_andn2_b64 exec, exec, s[8:9]
	s_cbranch_execz .LBB44_241
.LBB44_232:                             ;   Parent Loop BB44_8 Depth=1
                                        ; =>  This Inner Loop Header: Depth=2
	v_cmp_gt_i64_e32 vcc, s[56:57], v[12:13]
	v_pk_mov_b32 v[4:5], 0, 0
	s_and_saveexec_b64 s[6:7], vcc
	s_cbranch_execz .LBB44_234
; %bb.233:                              ;   in Loop: Header=BB44_232 Depth=2
	global_load_dwordx2 v[4:5], v[10:11], off
.LBB44_234:                             ;   in Loop: Header=BB44_232 Depth=2
	s_or_b64 exec, exec, s[6:7]
	s_and_saveexec_b64 s[6:7], vcc
	s_cbranch_execz .LBB44_231
; %bb.235:                              ;   in Loop: Header=BB44_232 Depth=2
	s_waitcnt vmcnt(0)
	v_ashrrev_i32_e32 v2, 31, v5
	v_or_b32_e32 v6, 0x80000000, v2
	v_xor_b32_e32 v6, v6, v5
	v_xor_b32_e32 v2, v2, v4
	v_cmp_o_f64_e32 vcc, v[4:5], v[4:5]
	v_cndmask_b32_e32 v6, -1, v6, vcc
	v_cndmask_b32_e32 v2, -1, v2, vcc
	v_and_b32_e32 v7, s85, v6
	v_and_b32_e32 v6, s84, v2
	v_cmp_eq_u64_e32 vcc, s[86:87], v[6:7]
	s_and_b64 exec, exec, vcc
	s_cbranch_execz .LBB44_231
; %bb.236:                              ;   in Loop: Header=BB44_232 Depth=2
	v_mov_b32_e32 v2, v19
	ds_write_b128 v19, v[2:5] offset:3072
	s_branch .LBB44_231
.LBB44_237:                             ;   in Loop: Header=BB44_8 Depth=1
                                        ; implicit-def: $sgpr0_sgpr1
                                        ; implicit-def: $sgpr6_sgpr7
                                        ; implicit-def: $sgpr2_sgpr3
	s_branch .LBB44_256
.LBB44_238:                             ;   in Loop: Header=BB44_8 Depth=1
                                        ; implicit-def: $vgpr4_vgpr5
	s_branch .LBB44_181
.LBB44_239:                             ;   in Loop: Header=BB44_8 Depth=1
                                        ; implicit-def: $vgpr4_vgpr5
	s_branch .LBB44_198
.LBB44_240:                             ;   in Loop: Header=BB44_8 Depth=1
	s_mov_b64 s[0:1], -1
	s_mov_b64 s[8:9], 0
                                        ; implicit-def: $sgpr2_sgpr3
                                        ; implicit-def: $vgpr6_vgpr7
	s_mov_b64 s[6:7], s[0:1]
	s_cbranch_execnz .LBB44_243
	s_branch .LBB44_256
.LBB44_241:                             ;   in Loop: Header=BB44_8 Depth=1
	s_or_b64 exec, exec, s[8:9]
	s_and_b64 s[8:9], s[2:3], exec
.LBB44_242:                             ;   in Loop: Header=BB44_8 Depth=1
	s_or_b64 exec, exec, s[0:1]
	s_mov_b64 s[2:3], -1
	s_mov_b64 s[0:1], 0
	s_mov_b64 s[6:7], s[0:1]
	s_branch .LBB44_256
.LBB44_243:                             ;   in Loop: Header=BB44_8 Depth=1
	v_readlane_b32 s0, v60, 20
	s_add_u32 s6, s0, s22
	v_readlane_b32 s0, v60, 22
	s_addc_u32 s1, s0, s23
	s_mov_b32 s0, s75
	s_cmp_lg_u64 s[0:1], 0
	s_cbranch_scc0 .LBB44_277
; %bb.244:                              ;   in Loop: Header=BB44_8 Depth=1
	v_cvt_f32_u32_e32 v2, s33
	s_sub_u32 s0, 0, s33
	s_subb_u32 s2, 0, 0
	v_mac_f32_e32 v2, 0x4f800000, v49
	v_rcp_f32_e32 v2, v2
	v_mul_f32_e32 v2, 0x5f7ffffc, v2
	v_mul_f32_e32 v4, 0x2f800000, v2
	v_trunc_f32_e32 v4, v4
	v_mac_f32_e32 v2, 0xcf800000, v4
	v_cvt_u32_f32_e32 v4, v4
	v_cvt_u32_f32_e32 v2, v2
	v_readfirstlane_b32 s3, v4
	v_readfirstlane_b32 s7, v2
	s_mul_i32 s8, s0, s3
	s_mul_hi_u32 s28, s0, s7
	s_mul_i32 s9, s2, s7
	s_add_i32 s8, s28, s8
	s_mul_i32 s29, s0, s7
	s_add_i32 s8, s8, s9
	s_mul_hi_u32 s28, s7, s29
	s_mul_hi_u32 s9, s7, s8
	s_mul_i32 s7, s7, s8
	s_add_u32 s7, s28, s7
	s_addc_u32 s9, 0, s9
	s_mul_hi_u32 s44, s3, s29
	s_mul_i32 s29, s3, s29
	s_add_u32 s7, s7, s29
	s_mul_hi_u32 s28, s3, s8
	s_addc_u32 s7, s9, s44
	s_addc_u32 s9, s28, 0
	s_mul_i32 s8, s3, s8
	s_add_u32 s7, s7, s8
	s_addc_u32 s8, 0, s9
	v_add_co_u32_e32 v2, vcc, s7, v2
	s_cmp_lg_u64 vcc, 0
	s_addc_u32 s3, s3, s8
	v_readfirstlane_b32 s8, v2
	s_mul_i32 s7, s0, s3
	s_mul_hi_u32 s9, s0, s8
	s_add_i32 s7, s9, s7
	s_mul_i32 s2, s2, s8
	s_add_i32 s7, s7, s2
	s_mul_i32 s0, s0, s8
	s_mul_hi_u32 s9, s3, s0
	s_mul_i32 s28, s3, s0
	s_mul_i32 s44, s8, s7
	s_mul_hi_u32 s0, s8, s0
	s_mul_hi_u32 s29, s8, s7
	s_add_u32 s0, s0, s44
	s_addc_u32 s8, 0, s29
	s_add_u32 s0, s0, s28
	s_mul_hi_u32 s2, s3, s7
	s_addc_u32 s0, s8, s9
	s_addc_u32 s2, s2, 0
	s_mul_i32 s7, s3, s7
	s_add_u32 s0, s0, s7
	s_addc_u32 s2, 0, s2
	v_add_co_u32_e32 v2, vcc, s0, v2
	s_cmp_lg_u64 vcc, 0
	s_addc_u32 s0, s3, s2
	s_ashr_i32 s2, s1, 31
	s_add_u32 s8, s6, s2
	s_mov_b32 s3, s2
	s_addc_u32 s9, s1, s2
	s_xor_b64 s[8:9], s[8:9], s[2:3]
	v_readfirstlane_b32 s28, v2
	s_mul_i32 s7, s8, s0
	s_mul_hi_u32 s29, s8, s28
	s_mul_hi_u32 s3, s8, s0
	s_add_u32 s7, s29, s7
	s_addc_u32 s3, 0, s3
	s_mul_hi_u32 s44, s9, s28
	s_mul_i32 s28, s9, s28
	s_add_u32 s7, s7, s28
	s_mul_hi_u32 s29, s9, s0
	s_addc_u32 s3, s3, s44
	s_addc_u32 s7, s29, 0
	s_mul_i32 s0, s9, s0
	s_add_u32 s0, s3, s0
	s_addc_u32 s3, 0, s7
	s_mul_hi_u32 s7, s33, s0
	s_mul_i32 s0, s33, s0
	s_mul_i32 s3, s33, s3
	v_mov_b32_e32 v2, s0
	s_add_i32 s7, s7, s3
	v_sub_co_u32_e32 v2, vcc, s8, v2
	s_cmp_lg_u64 vcc, 0
	s_subb_u32 s0, s9, s7
	v_subrev_co_u32_e32 v4, vcc, s33, v2
	s_cmp_lg_u64 vcc, 0
	s_subb_u32 s3, s0, 0
	v_subrev_co_u32_e32 v5, vcc, s33, v4
	s_cmp_lg_u64 vcc, 0
	s_subb_u32 s7, s3, 0
	v_cmp_le_u32_e32 vcc, s33, v4
	s_cmp_eq_u32 s3, 0
	v_cndmask_b32_e64 v6, 0, -1, vcc
	s_cselect_b64 vcc, -1, 0
	v_cndmask_b32_e32 v6, -1, v6, vcc
	v_mov_b32_e32 v7, s3
	v_mov_b32_e32 v8, s7
	v_cmp_ne_u32_e32 vcc, 0, v6
	v_cndmask_b32_e32 v6, v7, v8, vcc
	v_cndmask_b32_e32 v4, v4, v5, vcc
	v_cmp_le_u32_e32 vcc, s33, v2
	s_cmp_eq_u32 s0, 0
	v_cndmask_b32_e64 v5, 0, -1, vcc
	s_cselect_b64 vcc, -1, 0
	v_cndmask_b32_e32 v5, -1, v5, vcc
	v_cmp_ne_u32_e32 vcc, 0, v5
	v_mov_b32_e32 v7, s0
	v_cndmask_b32_e32 v2, v2, v4, vcc
	v_cndmask_b32_e32 v5, v7, v6, vcc
	v_xor_b32_e32 v2, s2, v2
	v_xor_b32_e32 v5, s2, v5
	v_mov_b32_e32 v6, s2
	v_subrev_co_u32_e32 v4, vcc, s2, v2
	v_subb_co_u32_e32 v5, vcc, v5, v6, vcc
	s_cbranch_execnz .LBB44_246
.LBB44_245:                             ;   in Loop: Header=BB44_8 Depth=1
	v_cvt_f32_u32_e32 v2, s33
	s_sub_i32 s0, 0, s33
	v_rcp_iflag_f32_e32 v2, v2
	v_mul_f32_e32 v2, 0x4f7ffffe, v2
	v_cvt_u32_f32_e32 v2, v2
	v_mul_lo_u32 v4, s0, v2
	v_mul_hi_u32 v4, v2, v4
	v_add_u32_e32 v2, v2, v4
	v_mul_hi_u32 v2, s6, v2
	v_mul_lo_u32 v2, v2, s33
	v_sub_u32_e32 v2, s6, v2
	v_subrev_u32_e32 v4, s33, v2
	v_cmp_le_u32_e32 vcc, s33, v2
	v_cndmask_b32_e32 v2, v2, v4, vcc
	v_subrev_u32_e32 v4, s33, v2
	v_cmp_le_u32_e32 vcc, s33, v2
	v_cndmask_b32_e32 v18, v2, v4, vcc
	v_pk_mov_b32 v[4:5], v[18:19], v[18:19] op_sel:[0,1]
.LBB44_246:                             ;   in Loop: Header=BB44_8 Depth=1
	v_mov_b32_e32 v2, s1
	v_sub_co_u32_e32 v8, vcc, s6, v4
	v_subb_co_u32_e32 v9, vcc, v2, v5, vcc
	v_cmp_gt_i64_e32 vcc, v[8:9], v[0:1]
	s_mov_b64 s[8:9], 0
                                        ; implicit-def: $vgpr6_vgpr7
	s_and_saveexec_b64 s[0:1], vcc
	s_cbranch_execz .LBB44_255
; %bb.247:                              ;   in Loop: Header=BB44_8 Depth=1
	v_mov_b32_e32 v12, v41
	v_pk_mov_b32 v[10:11], v[0:1], v[0:1] op_sel:[0,1]
                                        ; implicit-def: $sgpr2_sgpr3
	s_branch .LBB44_249
.LBB44_248:                             ;   in Loop: Header=BB44_249 Depth=2
	s_or_b64 exec, exec, s[6:7]
	s_waitcnt lgkmcnt(0)
	s_barrier
	ds_read_b128 v[4:7], v19 offset:3072
	v_mov_b32_e32 v2, s82
	v_add_co_u32_e64 v10, s[6:7], s33, v10
	v_addc_co_u32_e64 v11, s[6:7], v11, v2, s[6:7]
	s_waitcnt lgkmcnt(0)
	v_cmp_neq_f64_e32 vcc, 0, v[4:5]
	v_cmp_ge_i64_e64 s[6:7], v[10:11], v[8:9]
	s_or_b64 s[6:7], vcc, s[6:7]
	s_and_b64 s[6:7], exec, s[6:7]
	s_or_b64 s[8:9], s[6:7], s[8:9]
	s_andn2_b64 s[2:3], s[2:3], exec
	s_and_b64 s[6:7], vcc, exec
	v_add_u32_e32 v12, s78, v12
	s_or_b64 s[2:3], s[2:3], s[6:7]
	s_barrier
	s_andn2_b64 exec, exec, s[8:9]
	s_cbranch_execz .LBB44_254
.LBB44_249:                             ;   Parent Loop BB44_8 Depth=1
                                        ; =>  This Inner Loop Header: Depth=2
	v_cmp_gt_i64_e32 vcc, s[22:23], v[10:11]
	v_pk_mov_b32 v[4:5], 0, 0
	s_and_saveexec_b64 s[6:7], vcc
	s_cbranch_execz .LBB44_251
; %bb.250:                              ;   in Loop: Header=BB44_249 Depth=2
	ds_read_b64 v[4:5], v12
.LBB44_251:                             ;   in Loop: Header=BB44_249 Depth=2
	s_or_b64 exec, exec, s[6:7]
	s_and_saveexec_b64 s[6:7], vcc
	s_cbranch_execz .LBB44_248
; %bb.252:                              ;   in Loop: Header=BB44_249 Depth=2
	s_waitcnt lgkmcnt(0)
	v_ashrrev_i32_e32 v2, 31, v5
	v_or_b32_e32 v6, 0x80000000, v2
	v_xor_b32_e32 v6, v6, v5
	v_xor_b32_e32 v2, v2, v4
	v_cmp_o_f64_e32 vcc, v[4:5], v[4:5]
	v_cndmask_b32_e32 v6, -1, v6, vcc
	v_cndmask_b32_e32 v2, -1, v2, vcc
	v_and_b32_e32 v7, s85, v6
	v_and_b32_e32 v6, s84, v2
	v_cmp_eq_u64_e32 vcc, s[86:87], v[6:7]
	s_and_b64 exec, exec, vcc
	s_cbranch_execz .LBB44_248
; %bb.253:                              ;   in Loop: Header=BB44_249 Depth=2
	v_mov_b32_e32 v2, v19
	ds_write_b128 v19, v[2:5] offset:3072
	s_branch .LBB44_248
.LBB44_254:                             ;   in Loop: Header=BB44_8 Depth=1
	s_or_b64 exec, exec, s[8:9]
	s_and_b64 s[8:9], s[2:3], exec
.LBB44_255:                             ;   in Loop: Header=BB44_8 Depth=1
	s_or_b64 exec, exec, s[0:1]
	s_mov_b64 s[6:7], -1
	s_mov_b64 s[0:1], 0
	s_mov_b64 s[2:3], 0
.LBB44_256:                             ;   in Loop: Header=BB44_8 Depth=1
	s_mov_b64 s[28:29], 0
                                        ; implicit-def: $sgpr46
                                        ; implicit-def: $sgpr44_sgpr45
	s_and_saveexec_b64 s[22:23], s[8:9]
	s_cbranch_execz .LBB44_269
; %bb.257:                              ;   in Loop: Header=BB44_8 Depth=1
	s_xor_b64 s[8:9], s[20:21], -1
	s_mov_b64 s[44:45], 1
	s_andn2_b64 vcc, exec, s[8:9]
	s_mov_b32 s46, 1
	s_cbranch_vccnz .LBB44_268
; %bb.258:                              ;   in Loop: Header=BB44_8 Depth=1
	s_waitcnt vmcnt(0)
	v_pk_mov_b32 v[4:5], s[12:13], s[12:13] op_sel:[0,1]
	v_cmp_gt_i64_e32 vcc, s[58:59], v[4:5]
	s_cbranch_vccnz .LBB44_264
; %bb.259:                              ;   in Loop: Header=BB44_8 Depth=1
	ds_read_b64 v[4:5], v19 offset:5120
	s_waitcnt lgkmcnt(0)
	v_cmp_ne_u64_e32 vcc, 0, v[4:5]
	s_cbranch_vccnz .LBB44_263
; %bb.260:                              ;   in Loop: Header=BB44_8 Depth=1
	s_mov_b64 s[8:9], exec
	v_readlane_b32 s20, v60, 8
	v_readlane_b32 s21, v60, 9
	s_and_b64 s[20:21], s[8:9], s[20:21]
	s_mov_b64 exec, s[20:21]
	s_cbranch_execz .LBB44_262
; %bb.261:                              ;   in Loop: Header=BB44_8 Depth=1
	v_pk_mov_b32 v[4:5], s[12:13], s[12:13] op_sel:[0,1]
	ds_write_b64 v19, v[4:5] offset:5128
.LBB44_262:                             ;   in Loop: Header=BB44_8 Depth=1
	s_or_b64 exec, exec, s[8:9]
	s_waitcnt lgkmcnt(0)
	s_barrier
.LBB44_263:                             ;   in Loop: Header=BB44_8 Depth=1
	s_or_b64 s[8:9], s[86:87], s[14:15]
	s_or_b64 s[14:15], s[84:85], s[14:15]
	s_mov_b64 s[20:21], 0
	s_mov_b32 s46, 8
	s_branch .LBB44_265
.LBB44_264:                             ;   in Loop: Header=BB44_8 Depth=1
	s_mov_b64 s[20:21], -1
                                        ; implicit-def: $sgpr46
                                        ; implicit-def: $sgpr8_sgpr9
                                        ; implicit-def: $sgpr14_sgpr15
.LBB44_265:                             ;   in Loop: Header=BB44_8 Depth=1
	s_andn2_b64 vcc, exec, s[20:21]
	s_cbranch_vccnz .LBB44_267
; %bb.266:                              ;   in Loop: Header=BB44_8 Depth=1
	s_sub_u32 s58, s58, s12
	s_subb_u32 s59, s59, s13
	s_mov_b32 s46, 8
	s_mov_b64 s[8:9], s[86:87]
	s_mov_b64 s[14:15], s[84:85]
.LBB44_267:                             ;   in Loop: Header=BB44_8 Depth=1
	s_mov_b64 s[44:45], s[58:59]
	s_mov_b64 s[86:87], s[8:9]
	;; [unrolled: 1-line block ×3, first 2 shown]
.LBB44_268:                             ;   in Loop: Header=BB44_8 Depth=1
	s_mov_b64 s[28:29], exec
.LBB44_269:                             ;   in Loop: Header=BB44_8 Depth=1
	s_or_b64 exec, exec, s[22:23]
	s_mov_b64 s[58:59], s[44:45]
.LBB44_270:                             ;   in Loop: Header=BB44_8 Depth=1
	s_andn2_b64 s[8:9], s[36:37], exec
	s_and_b64 s[0:1], s[0:1], exec
	s_or_b64 s[36:37], s[8:9], s[0:1]
	s_andn2_b64 s[0:1], s[40:41], exec
	s_and_b64 s[6:7], s[6:7], exec
	s_or_b64 s[40:41], s[0:1], s[6:7]
	;; [unrolled: 3-line block ×3, first 2 shown]
	s_and_b64 s[2:3], s[28:29], exec
.LBB44_271:                             ;   in Loop: Header=BB44_8 Depth=1
	s_or_b64 exec, exec, s[42:43]
.LBB44_272:                             ;   in Loop: Header=BB44_8 Depth=1
	s_andn2_b64 s[0:1], s[26:27], exec
	s_and_b64 s[6:7], s[36:37], exec
	s_or_b64 s[26:27], s[0:1], s[6:7]
	s_andn2_b64 s[0:1], s[30:31], exec
	s_and_b64 s[6:7], s[40:41], exec
	s_or_b64 s[30:31], s[0:1], s[6:7]
	;; [unrolled: 3-line block ×3, first 2 shown]
	s_and_b64 s[2:3], s[2:3], exec
.LBB44_273:                             ;   in Loop: Header=BB44_8 Depth=1
	s_or_b64 exec, exec, s[34:35]
	s_and_saveexec_b64 s[0:1], s[2:3]
	s_xor_b64 s[0:1], exec, s[0:1]
	s_cbranch_execz .LBB44_6
.LBB44_274:                             ;   in Loop: Header=BB44_8 Depth=1
	s_and_b32 s2, s46, -9
	s_cmp_eq_u32 s2, 0
	s_cbranch_scc1 .LBB44_4
; %bb.275:                              ;   in Loop: Header=BB44_8 Depth=1
	s_mov_b64 s[2:3], -1
                                        ; implicit-def: $sgpr84_sgpr85
                                        ; implicit-def: $sgpr52
                                        ; implicit-def: $sgpr83
	s_mov_b64 s[6:7], -1
	s_branch .LBB44_5
.LBB44_276:                             ;   in Loop: Header=BB44_8 Depth=1
                                        ; implicit-def: $vgpr4_vgpr5
	s_branch .LBB44_228
.LBB44_277:                             ;   in Loop: Header=BB44_8 Depth=1
                                        ; implicit-def: $vgpr4_vgpr5
	s_branch .LBB44_245
.LBB44_278:
	s_or_b64 exec, exec, s[92:93]
	s_xor_b64 s[4:5], s[66:67], -1
	s_xor_b64 s[0:1], s[54:55], -1
	;; [unrolled: 1-line block ×3, first 2 shown]
	s_mov_b64 s[2:3], 0
	s_and_saveexec_b64 s[8:9], s[0:1]
	s_xor_b64 s[0:1], exec, s[8:9]
	s_cbranch_execnz .LBB44_283
; %bb.279:
	s_andn2_saveexec_b64 s[0:1], s[0:1]
	s_cbranch_execnz .LBB44_305
.LBB44_280:
	s_or_b64 exec, exec, s[0:1]
	s_and_saveexec_b64 s[0:1], s[2:3]
.LBB44_281:
	; divergent unreachable
.LBB44_282:
	s_endpgm
.LBB44_283:
	s_and_saveexec_b64 s[2:3], s[4:5]
	s_xor_b64 s[4:5], exec, s[2:3]
	s_cbranch_execz .LBB44_303
; %bb.284:
	s_and_saveexec_b64 s[2:3], s[6:7]
	s_xor_b64 s[2:3], exec, s[2:3]
; %bb.285:
	v_lshrrev_b32_e32 v2, 31, v5
	v_add_co_u32_e32 v2, vcc, -1, v2
	v_addc_co_u32_e64 v3, s[6:7], 0, -1, vcc
	v_or_b32_e32 v3, 0x80000000, v3
	v_xor_b32_e32 v7, v3, v5
	v_xor_b32_e32 v6, v2, v4
; %bb.286:
	s_or_b64 exec, exec, s[2:3]
	s_mov_b64 s[2:3], exec
	v_readlane_b32 s6, v60, 8
	v_readlane_b32 s7, v60, 9
	s_and_b64 s[6:7], s[2:3], s[6:7]
	v_readlane_b32 s26, v60, 10
	v_readlane_b32 s27, v60, 11
	s_mov_b64 exec, s[6:7]
	s_cbranch_execz .LBB44_288
; %bb.287:
	v_mov_b32_e32 v2, 0
	v_mov_b32_e32 v3, s56
	ds_write_b32 v2, v3 offset:5140
.LBB44_288:
	s_or_b64 exec, exec, s[2:3]
	s_waitcnt lgkmcnt(0)
	s_barrier
	s_and_saveexec_b64 s[6:7], s[80:81]
	s_cbranch_execz .LBB44_300
; %bb.289:
	v_mov_b32_e32 v2, 0
	ds_read_b32 v4, v2 offset:5140
	v_cmp_u_f64_e32 vcc, v[6:7], v[6:7]
	s_mov_b64 s[8:9], 0
	s_xor_b64 s[10:11], vcc, -1
                                        ; implicit-def: $sgpr12_sgpr13
                                        ; implicit-def: $sgpr14_sgpr15
                                        ; implicit-def: $sgpr16_sgpr17
	s_waitcnt lgkmcnt(0)
	v_ashrrev_i32_e32 v5, 31, v4
	s_branch .LBB44_292
.LBB44_290:                             ;   in Loop: Header=BB44_292 Depth=1
	s_or_b64 exec, exec, s[22:23]
	s_andn2_b64 s[16:17], s[16:17], exec
	s_and_b64 s[2:3], s[2:3], exec
	s_or_b64 s[16:17], s[16:17], s[2:3]
	s_andn2_b64 s[2:3], s[14:15], exec
	s_and_b64 s[14:15], s[20:21], exec
	s_or_b64 s[14:15], s[2:3], s[14:15]
.LBB44_291:                             ;   in Loop: Header=BB44_292 Depth=1
	s_or_b64 exec, exec, s[18:19]
	s_and_b64 s[2:3], exec, s[14:15]
	s_or_b64 s[8:9], s[2:3], s[8:9]
	s_andn2_b64 s[2:3], s[12:13], exec
	s_and_b64 s[12:13], s[16:17], exec
	s_or_b64 s[12:13], s[2:3], s[12:13]
	s_andn2_b64 exec, exec, s[8:9]
	s_cbranch_execz .LBB44_295
.LBB44_292:                             ; =>This Inner Loop Header: Depth=1
	v_pk_mov_b32 v[2:3], v[0:1], v[0:1] op_sel:[0,1]
	v_cmp_lt_i64_e32 vcc, v[2:3], v[4:5]
	s_or_b64 s[16:17], s[16:17], exec
	s_or_b64 s[14:15], s[14:15], exec
                                        ; implicit-def: $vgpr0_vgpr1
	s_and_saveexec_b64 s[18:19], vcc
	s_cbranch_execz .LBB44_291
; %bb.293:                              ;   in Loop: Header=BB44_292 Depth=1
	global_load_dwordx2 v[0:1], v[16:17], off
	s_mov_b64 s[20:21], -1
	s_waitcnt vmcnt(0)
	v_cmp_o_f64_e64 s[2:3], v[0:1], v[0:1]
	v_cmp_neq_f64_e32 vcc, v[0:1], v[6:7]
	s_or_b64 s[2:3], s[2:3], s[10:11]
	s_and_b64 s[24:25], vcc, s[2:3]
	s_mov_b64 s[2:3], 0
                                        ; implicit-def: $vgpr0_vgpr1
	s_and_saveexec_b64 s[22:23], s[24:25]
	s_cbranch_execz .LBB44_290
; %bb.294:                              ;   in Loop: Header=BB44_292 Depth=1
	v_mov_b32_e32 v1, s82
	v_add_co_u32_e32 v0, vcc, s33, v2
	v_addc_co_u32_e32 v1, vcc, v3, v1, vcc
	v_mov_b32_e32 v3, s71
	v_add_co_u32_e32 v16, vcc, s70, v16
	v_addc_co_u32_e32 v17, vcc, v17, v3, vcc
	v_cmp_le_i64_e32 vcc, s[56:57], v[0:1]
	s_mov_b64 s[2:3], exec
	s_orn2_b64 s[20:21], vcc, exec
	s_branch .LBB44_290
.LBB44_295:
	s_or_b64 exec, exec, s[8:9]
	s_xor_b64 s[2:3], s[12:13], -1
	s_and_saveexec_b64 s[8:9], s[2:3]
	s_xor_b64 s[8:9], exec, s[8:9]
	s_cbranch_execz .LBB44_300
; %bb.296:
	s_mov_b64 s[2:3], exec
	s_brev_b32 s8, -2
.LBB44_297:                             ; =>This Inner Loop Header: Depth=1
	s_ff1_i32_b64 s9, s[2:3]
	v_readlane_b32 s12, v2, s9
	s_lshl_b64 s[10:11], 1, s9
	s_min_i32 s8, s8, s12
	s_andn2_b64 s[2:3], s[2:3], s[10:11]
	s_cmp_lg_u64 s[2:3], 0
	s_cbranch_scc1 .LBB44_297
; %bb.298:
	v_mbcnt_lo_u32_b32 v0, exec_lo, 0
	v_mbcnt_hi_u32_b32 v0, exec_hi, v0
	v_cmp_eq_u32_e32 vcc, 0, v0
	s_and_saveexec_b64 s[2:3], vcc
	s_xor_b64 s[2:3], exec, s[2:3]
	s_cbranch_execz .LBB44_300
; %bb.299:
	v_mov_b32_e32 v0, 0
	v_mov_b32_e32 v1, s8
	ds_min_i32 v0, v1 offset:5140
.LBB44_300:
	s_or_b64 exec, exec, s[6:7]
	s_waitcnt lgkmcnt(0)
	s_barrier
	s_mov_b64 s[2:3], exec
	v_readlane_b32 s6, v60, 8
	v_readlane_b32 s7, v60, 9
	s_and_b64 s[6:7], s[2:3], s[6:7]
	s_mov_b64 exec, s[6:7]
	s_cbranch_execz .LBB44_302
; %bb.301:
	v_readlane_b32 s8, v60, 4
	v_readlane_b32 s9, v60, 5
	;; [unrolled: 1-line block ×3, first 2 shown]
	s_mul_i32 s6, s9, s26
	s_mul_hi_u32 s7, s8, s26
	v_readlane_b32 s11, v60, 1
	v_mov_b32_e32 v2, 0
	s_add_i32 s7, s7, s6
	s_mul_i32 s6, s8, s26
	s_mul_i32 s8, s11, s26
	s_mul_hi_u32 s9, s10, s26
	ds_read_b32 v0, v2 offset:5140
	s_add_i32 s9, s9, s8
	s_mul_i32 s8, s10, s26
	s_lshl_b64 s[6:7], s[6:7], 3
	v_readlane_b32 s10, v60, 6
	v_readlane_b32 s11, v60, 7
	s_add_u32 s6, s10, s6
	s_addc_u32 s7, s11, s7
	s_lshl_b64 s[8:9], s[8:9], 3
	v_readlane_b32 s10, v60, 2
	v_readlane_b32 s11, v60, 3
	s_add_u32 s8, s10, s8
	s_addc_u32 s9, s11, s9
	s_waitcnt lgkmcnt(0)
	v_ashrrev_i32_e32 v1, 31, v0
	global_store_dwordx2 v2, v[0:1], s[8:9]
	global_store_dwordx2 v2, v[6:7], s[6:7]
.LBB44_302:
	s_or_b64 exec, exec, s[2:3]
.LBB44_303:
	s_or_saveexec_b64 s[2:3], s[4:5]
	s_mov_b64 s[4:5], 0
	s_xor_b64 exec, exec, s[2:3]
	s_cbranch_execnz .LBB44_306
.LBB44_304:
	s_or_b64 exec, exec, s[2:3]
	s_and_b64 s[2:3], s[4:5], exec
	s_andn2_saveexec_b64 s[0:1], s[0:1]
	s_cbranch_execz .LBB44_280
.LBB44_305:
	s_or_b64 s[2:3], s[2:3], exec
	s_trap 2
	s_or_b64 exec, exec, s[0:1]
	s_and_saveexec_b64 s[0:1], s[2:3]
	s_cbranch_execnz .LBB44_281
	s_branch .LBB44_282
.LBB44_306:
	s_mov_b64 s[4:5], exec
	s_trap 2
	s_branch .LBB44_304
	.section	.rodata,"a",@progbits
	.p2align	6, 0x0
	.amdhsa_kernel _ZN2at6native12_GLOBAL__N_114gatherKthValueIdlLi1EEEvNS_4cuda6detail10TensorInfoIKT_T0_EES8_S8_S8_S8_NS5_IS6_S8_EENS5_IlS8_EE
		.amdhsa_group_segment_fixed_size 5144
		.amdhsa_private_segment_fixed_size 0
		.amdhsa_kernarg_size 1536
		.amdhsa_user_sgpr_count 6
		.amdhsa_user_sgpr_private_segment_buffer 1
		.amdhsa_user_sgpr_dispatch_ptr 0
		.amdhsa_user_sgpr_queue_ptr 0
		.amdhsa_user_sgpr_kernarg_segment_ptr 1
		.amdhsa_user_sgpr_dispatch_id 0
		.amdhsa_user_sgpr_flat_scratch_init 0
		.amdhsa_user_sgpr_kernarg_preload_length 0
		.amdhsa_user_sgpr_kernarg_preload_offset 0
		.amdhsa_user_sgpr_private_segment_size 0
		.amdhsa_uses_dynamic_stack 0
		.amdhsa_system_sgpr_private_segment_wavefront_offset 0
		.amdhsa_system_sgpr_workgroup_id_x 1
		.amdhsa_system_sgpr_workgroup_id_y 1
		.amdhsa_system_sgpr_workgroup_id_z 1
		.amdhsa_system_sgpr_workgroup_info 0
		.amdhsa_system_vgpr_workitem_id 0
		.amdhsa_next_free_vgpr 61
		.amdhsa_next_free_sgpr 96
		.amdhsa_accum_offset 64
		.amdhsa_reserve_vcc 1
		.amdhsa_reserve_flat_scratch 0
		.amdhsa_float_round_mode_32 0
		.amdhsa_float_round_mode_16_64 0
		.amdhsa_float_denorm_mode_32 3
		.amdhsa_float_denorm_mode_16_64 3
		.amdhsa_dx10_clamp 1
		.amdhsa_ieee_mode 1
		.amdhsa_fp16_overflow 0
		.amdhsa_tg_split 0
		.amdhsa_exception_fp_ieee_invalid_op 0
		.amdhsa_exception_fp_denorm_src 0
		.amdhsa_exception_fp_ieee_div_zero 0
		.amdhsa_exception_fp_ieee_overflow 0
		.amdhsa_exception_fp_ieee_underflow 0
		.amdhsa_exception_fp_ieee_inexact 0
		.amdhsa_exception_int_div_zero 0
	.end_amdhsa_kernel
	.section	.text._ZN2at6native12_GLOBAL__N_114gatherKthValueIdlLi1EEEvNS_4cuda6detail10TensorInfoIKT_T0_EES8_S8_S8_S8_NS5_IS6_S8_EENS5_IlS8_EE,"axG",@progbits,_ZN2at6native12_GLOBAL__N_114gatherKthValueIdlLi1EEEvNS_4cuda6detail10TensorInfoIKT_T0_EES8_S8_S8_S8_NS5_IS6_S8_EENS5_IlS8_EE,comdat
.Lfunc_end44:
	.size	_ZN2at6native12_GLOBAL__N_114gatherKthValueIdlLi1EEEvNS_4cuda6detail10TensorInfoIKT_T0_EES8_S8_S8_S8_NS5_IS6_S8_EENS5_IlS8_EE, .Lfunc_end44-_ZN2at6native12_GLOBAL__N_114gatherKthValueIdlLi1EEEvNS_4cuda6detail10TensorInfoIKT_T0_EES8_S8_S8_S8_NS5_IS6_S8_EENS5_IlS8_EE
                                        ; -- End function
	.section	.AMDGPU.csdata,"",@progbits
; Kernel info:
; codeLenInByte = 17080
; NumSgprs: 100
; NumVgprs: 61
; NumAgprs: 0
; TotalNumVgprs: 61
; ScratchSize: 0
; MemoryBound: 0
; FloatMode: 240
; IeeeMode: 1
; LDSByteSize: 5144 bytes/workgroup (compile time only)
; SGPRBlocks: 12
; VGPRBlocks: 7
; NumSGPRsForWavesPerEU: 100
; NumVGPRsForWavesPerEU: 61
; AccumOffset: 64
; Occupancy: 8
; WaveLimiterHint : 1
; COMPUTE_PGM_RSRC2:SCRATCH_EN: 0
; COMPUTE_PGM_RSRC2:USER_SGPR: 6
; COMPUTE_PGM_RSRC2:TRAP_HANDLER: 0
; COMPUTE_PGM_RSRC2:TGID_X_EN: 1
; COMPUTE_PGM_RSRC2:TGID_Y_EN: 1
; COMPUTE_PGM_RSRC2:TGID_Z_EN: 1
; COMPUTE_PGM_RSRC2:TIDIG_COMP_CNT: 0
; COMPUTE_PGM_RSRC3_GFX90A:ACCUM_OFFSET: 15
; COMPUTE_PGM_RSRC3_GFX90A:TG_SPLIT: 0
	.section	.text._ZN2at6native12_GLOBAL__N_114gatherKthValueIdlLi2EEEvNS_4cuda6detail10TensorInfoIKT_T0_EES8_S8_S8_S8_NS5_IS6_S8_EENS5_IlS8_EE,"axG",@progbits,_ZN2at6native12_GLOBAL__N_114gatherKthValueIdlLi2EEEvNS_4cuda6detail10TensorInfoIKT_T0_EES8_S8_S8_S8_NS5_IS6_S8_EENS5_IlS8_EE,comdat
	.globl	_ZN2at6native12_GLOBAL__N_114gatherKthValueIdlLi2EEEvNS_4cuda6detail10TensorInfoIKT_T0_EES8_S8_S8_S8_NS5_IS6_S8_EENS5_IlS8_EE ; -- Begin function _ZN2at6native12_GLOBAL__N_114gatherKthValueIdlLi2EEEvNS_4cuda6detail10TensorInfoIKT_T0_EES8_S8_S8_S8_NS5_IS6_S8_EENS5_IlS8_EE
	.p2align	8
	.type	_ZN2at6native12_GLOBAL__N_114gatherKthValueIdlLi2EEEvNS_4cuda6detail10TensorInfoIKT_T0_EES8_S8_S8_S8_NS5_IS6_S8_EENS5_IlS8_EE,@function
_ZN2at6native12_GLOBAL__N_114gatherKthValueIdlLi2EEEvNS_4cuda6detail10TensorInfoIKT_T0_EES8_S8_S8_S8_NS5_IS6_S8_EENS5_IlS8_EE: ; @_ZN2at6native12_GLOBAL__N_114gatherKthValueIdlLi2EEEvNS_4cuda6detail10TensorInfoIKT_T0_EES8_S8_S8_S8_NS5_IS6_S8_EENS5_IlS8_EE
; %bb.0:
	s_load_dwordx8 s[56:63], s[4:5], 0x1a0
	s_load_dwordx2 s[14:15], s[4:5], 0x500
	s_add_u32 s12, s4, 0x500
	s_addc_u32 s13, s5, 0
	s_mov_b32 s29, 0
	s_waitcnt lgkmcnt(0)
	v_mov_b32_e32 v2, s60
	s_mul_i32 s0, s15, s8
	s_add_i32 s0, s0, s7
	s_mul_i32 s0, s0, s14
	v_mov_b32_e32 v3, s61
	s_add_i32 s28, s0, s6
	v_cmp_ge_i64_e32 vcc, s[28:29], v[2:3]
	s_cbranch_vccnz .LBB45_291
; %bb.1:
	s_load_dwordx2 s[2:3], s[4:5], 0x10
	s_load_dwordx2 s[26:27], s[4:5], 0x1d0
	s_mov_b32 s0, s29
	s_waitcnt lgkmcnt(0)
	s_mov_b32 s1, s3
	s_cmp_lg_u64 s[0:1], 0
	s_cbranch_scc0 .LBB45_304
; %bb.2:
	s_ashr_i32 s8, s3, 31
	s_add_u32 s0, s2, s8
	s_mov_b32 s9, s8
	s_addc_u32 s1, s3, s8
	s_xor_b64 s[16:17], s[0:1], s[8:9]
	v_cvt_f32_u32_e32 v1, s16
	v_cvt_f32_u32_e32 v2, s17
	s_sub_u32 s0, 0, s16
	s_subb_u32 s1, 0, s17
	v_madmk_f32 v1, v2, 0x4f800000, v1
	v_rcp_f32_e32 v1, v1
	v_mul_f32_e32 v1, 0x5f7ffffc, v1
	v_mul_f32_e32 v2, 0x2f800000, v1
	v_trunc_f32_e32 v2, v2
	v_madmk_f32 v1, v2, 0xcf800000, v1
	v_cvt_u32_f32_e32 v2, v2
	v_cvt_u32_f32_e32 v1, v1
	v_readfirstlane_b32 s7, v2
	v_readfirstlane_b32 s15, v1
	s_mul_i32 s18, s0, s7
	s_mul_hi_u32 s20, s0, s15
	s_mul_i32 s19, s1, s15
	s_add_i32 s18, s20, s18
	s_add_i32 s18, s18, s19
	s_mul_i32 s21, s0, s15
	s_mul_hi_u32 s19, s15, s18
	s_mul_i32 s20, s15, s18
	s_mul_hi_u32 s15, s15, s21
	s_add_u32 s15, s15, s20
	s_addc_u32 s19, 0, s19
	s_mul_hi_u32 s22, s7, s21
	s_mul_i32 s21, s7, s21
	s_add_u32 s15, s15, s21
	s_mul_hi_u32 s20, s7, s18
	s_addc_u32 s15, s19, s22
	s_addc_u32 s19, s20, 0
	s_mul_i32 s18, s7, s18
	s_add_u32 s15, s15, s18
	s_addc_u32 s18, 0, s19
	v_add_co_u32_e32 v1, vcc, s15, v1
	s_cmp_lg_u64 vcc, 0
	s_addc_u32 s7, s7, s18
	v_readfirstlane_b32 s18, v1
	s_mul_i32 s15, s0, s7
	s_mul_hi_u32 s19, s0, s18
	s_add_i32 s15, s19, s15
	s_mul_i32 s1, s1, s18
	s_add_i32 s15, s15, s1
	s_mul_i32 s0, s0, s18
	s_mul_hi_u32 s19, s7, s0
	s_mul_i32 s20, s7, s0
	s_mul_i32 s22, s18, s15
	s_mul_hi_u32 s0, s18, s0
	s_mul_hi_u32 s21, s18, s15
	s_add_u32 s0, s0, s22
	s_addc_u32 s18, 0, s21
	s_add_u32 s0, s0, s20
	s_mul_hi_u32 s1, s7, s15
	s_addc_u32 s0, s18, s19
	s_addc_u32 s1, s1, 0
	s_mul_i32 s15, s7, s15
	s_add_u32 s0, s0, s15
	s_addc_u32 s1, 0, s1
	v_add_co_u32_e32 v1, vcc, s0, v1
	s_cmp_lg_u64 vcc, 0
	s_addc_u32 s7, s7, s1
	s_ashr_i32 s18, 0, 31
	s_add_u32 s0, s28, s18
	s_mov_b32 s19, s18
	s_addc_u32 s1, 0, s18
	s_xor_b64 s[20:21], s[0:1], s[18:19]
	v_readfirstlane_b32 s15, v1
	s_mul_i32 s1, s20, s7
	s_mul_hi_u32 s22, s20, s15
	s_mul_hi_u32 s0, s20, s7
	s_add_u32 s1, s22, s1
	s_addc_u32 s0, 0, s0
	s_mul_hi_u32 s23, s21, s15
	s_mul_i32 s15, s21, s15
	s_add_u32 s1, s1, s15
	s_mul_hi_u32 s22, s21, s7
	s_addc_u32 s0, s0, s23
	s_addc_u32 s1, s22, 0
	s_mul_i32 s7, s21, s7
	s_add_u32 s7, s0, s7
	s_addc_u32 s15, 0, s1
	s_mul_i32 s0, s16, s15
	s_mul_hi_u32 s1, s16, s7
	s_add_i32 s0, s1, s0
	s_mul_i32 s1, s17, s7
	s_add_i32 s22, s0, s1
	s_mul_i32 s1, s16, s7
	v_mov_b32_e32 v1, s1
	s_sub_i32 s0, s21, s22
	v_sub_co_u32_e32 v1, vcc, s20, v1
	s_cmp_lg_u64 vcc, 0
	s_subb_u32 s20, s0, s17
	v_subrev_co_u32_e64 v2, s[0:1], s16, v1
	s_cmp_lg_u64 s[0:1], 0
	s_subb_u32 s0, s20, 0
	s_cmp_ge_u32 s0, s17
	v_readfirstlane_b32 s20, v2
	s_cselect_b32 s1, -1, 0
	s_cmp_ge_u32 s20, s16
	s_cselect_b32 s20, -1, 0
	s_cmp_eq_u32 s0, s17
	s_cselect_b32 s0, s20, s1
	s_add_u32 s1, s7, 1
	s_addc_u32 s20, s15, 0
	s_add_u32 s23, s7, 2
	s_addc_u32 s24, s15, 0
	s_cmp_lg_u32 s0, 0
	s_cselect_b32 s0, s23, s1
	s_cselect_b32 s1, s24, s20
	s_cmp_lg_u64 vcc, 0
	s_subb_u32 s20, s21, s22
	s_cmp_ge_u32 s20, s17
	v_readfirstlane_b32 s22, v1
	s_cselect_b32 s21, -1, 0
	s_cmp_ge_u32 s22, s16
	s_cselect_b32 s16, -1, 0
	s_cmp_eq_u32 s20, s17
	s_cselect_b32 s16, s16, s21
	s_cmp_lg_u32 s16, 0
	s_cselect_b32 s1, s1, s15
	s_cselect_b32 s0, s0, s7
	s_xor_b64 s[8:9], s[18:19], s[8:9]
	s_xor_b64 s[0:1], s[0:1], s[8:9]
	s_sub_u32 s16, s0, s8
	s_subb_u32 s17, s1, s9
	s_cbranch_execnz .LBB45_4
.LBB45_3:
	v_cvt_f32_u32_e32 v1, s2
	s_sub_i32 s0, 0, s2
	s_mov_b32 s17, 0
	v_rcp_iflag_f32_e32 v1, v1
	v_mul_f32_e32 v1, 0x4f7ffffe, v1
	v_cvt_u32_f32_e32 v1, v1
	v_readfirstlane_b32 s1, v1
	s_mul_i32 s0, s0, s1
	s_mul_hi_u32 s0, s1, s0
	s_add_i32 s1, s1, s0
	s_mul_hi_u32 s0, s28, s1
	s_mul_i32 s7, s0, s2
	s_sub_i32 s7, s28, s7
	s_add_i32 s1, s0, 1
	s_sub_i32 s8, s7, s2
	s_cmp_ge_u32 s7, s2
	s_cselect_b32 s0, s1, s0
	s_cselect_b32 s7, s8, s7
	s_add_i32 s1, s0, 1
	s_cmp_ge_u32 s7, s2
	s_cselect_b32 s16, s1, s0
.LBB45_4:
	s_load_dwordx2 s[30:31], s[4:5], 0x370
	s_mov_b32 s0, 0
	s_mov_b32 s1, s27
                                        ; implicit-def: $vgpr64 : SGPR spill to VGPR lane
	s_cmp_lg_u64 s[0:1], 0
	v_writelane_b32 v64, s26, 0
	v_writelane_b32 v64, s27, 1
	s_cbranch_scc0 .LBB45_305
; %bb.5:
	s_ashr_i32 s8, s27, 31
	s_add_u32 s0, s26, s8
	s_mov_b32 s9, s8
	s_addc_u32 s1, s27, s8
	s_xor_b64 s[18:19], s[0:1], s[8:9]
	v_cvt_f32_u32_e32 v1, s18
	v_cvt_f32_u32_e32 v2, s19
	s_sub_u32 s0, 0, s18
	s_subb_u32 s1, 0, s19
	v_madmk_f32 v1, v2, 0x4f800000, v1
	v_rcp_f32_e32 v1, v1
	v_mul_f32_e32 v1, 0x5f7ffffc, v1
	v_mul_f32_e32 v2, 0x2f800000, v1
	v_trunc_f32_e32 v2, v2
	v_madmk_f32 v1, v2, 0xcf800000, v1
	v_cvt_u32_f32_e32 v2, v2
	v_cvt_u32_f32_e32 v1, v1
	v_readfirstlane_b32 s7, v2
	v_readfirstlane_b32 s15, v1
	s_mul_i32 s20, s0, s7
	s_mul_hi_u32 s22, s0, s15
	s_mul_i32 s21, s1, s15
	s_add_i32 s20, s22, s20
	s_add_i32 s20, s20, s21
	s_mul_i32 s23, s0, s15
	s_mul_hi_u32 s21, s15, s20
	s_mul_i32 s22, s15, s20
	s_mul_hi_u32 s15, s15, s23
	s_add_u32 s15, s15, s22
	s_addc_u32 s21, 0, s21
	s_mul_hi_u32 s24, s7, s23
	s_mul_i32 s23, s7, s23
	s_add_u32 s15, s15, s23
	s_mul_hi_u32 s22, s7, s20
	s_addc_u32 s15, s21, s24
	s_addc_u32 s21, s22, 0
	s_mul_i32 s20, s7, s20
	s_add_u32 s15, s15, s20
	s_addc_u32 s20, 0, s21
	v_add_co_u32_e32 v1, vcc, s15, v1
	s_cmp_lg_u64 vcc, 0
	s_addc_u32 s7, s7, s20
	v_readfirstlane_b32 s20, v1
	s_mul_i32 s15, s0, s7
	s_mul_hi_u32 s21, s0, s20
	s_add_i32 s15, s21, s15
	s_mul_i32 s1, s1, s20
	s_add_i32 s15, s15, s1
	s_mul_i32 s0, s0, s20
	s_mul_hi_u32 s21, s7, s0
	s_mul_i32 s22, s7, s0
	s_mul_i32 s24, s20, s15
	s_mul_hi_u32 s0, s20, s0
	s_mul_hi_u32 s23, s20, s15
	s_add_u32 s0, s0, s24
	s_addc_u32 s20, 0, s23
	s_add_u32 s0, s0, s22
	s_mul_hi_u32 s1, s7, s15
	s_addc_u32 s0, s20, s21
	s_addc_u32 s1, s1, 0
	s_mul_i32 s15, s7, s15
	s_add_u32 s0, s0, s15
	s_addc_u32 s1, 0, s1
	v_add_co_u32_e32 v1, vcc, s0, v1
	s_cmp_lg_u64 vcc, 0
	s_addc_u32 s7, s7, s1
	s_ashr_i32 s20, 0, 31
	s_add_u32 s0, s28, s20
	s_mov_b32 s21, s20
	s_addc_u32 s1, 0, s20
	s_xor_b64 s[22:23], s[0:1], s[20:21]
	v_readfirstlane_b32 s15, v1
	s_mul_i32 s1, s22, s7
	s_mul_hi_u32 s24, s22, s15
	s_mul_hi_u32 s0, s22, s7
	s_add_u32 s1, s24, s1
	s_addc_u32 s0, 0, s0
	s_mul_hi_u32 s25, s23, s15
	s_mul_i32 s15, s23, s15
	s_add_u32 s1, s1, s15
	s_mul_hi_u32 s24, s23, s7
	s_addc_u32 s0, s0, s25
	s_addc_u32 s1, s24, 0
	s_mul_i32 s7, s23, s7
	s_add_u32 s7, s0, s7
	s_addc_u32 s15, 0, s1
	s_mul_i32 s0, s18, s15
	s_mul_hi_u32 s1, s18, s7
	s_add_i32 s0, s1, s0
	s_mul_i32 s1, s19, s7
	s_add_i32 s24, s0, s1
	s_mul_i32 s1, s18, s7
	v_mov_b32_e32 v1, s1
	s_sub_i32 s0, s23, s24
	v_sub_co_u32_e32 v1, vcc, s22, v1
	s_cmp_lg_u64 vcc, 0
	s_subb_u32 s22, s0, s19
	v_subrev_co_u32_e64 v2, s[0:1], s18, v1
	s_cmp_lg_u64 s[0:1], 0
	s_subb_u32 s0, s22, 0
	s_cmp_ge_u32 s0, s19
	v_readfirstlane_b32 s22, v2
	s_cselect_b32 s1, -1, 0
	s_cmp_ge_u32 s22, s18
	s_cselect_b32 s22, -1, 0
	s_cmp_eq_u32 s0, s19
	s_cselect_b32 s0, s22, s1
	s_add_u32 s1, s7, 1
	s_addc_u32 s22, s15, 0
	s_add_u32 s25, s7, 2
	s_addc_u32 s26, s15, 0
	s_cmp_lg_u32 s0, 0
	s_cselect_b32 s0, s25, s1
	s_cselect_b32 s1, s26, s22
	s_cmp_lg_u64 vcc, 0
	s_subb_u32 s22, s23, s24
	s_cmp_ge_u32 s22, s19
	v_readfirstlane_b32 s24, v1
	s_cselect_b32 s23, -1, 0
	s_cmp_ge_u32 s24, s18
	s_cselect_b32 s18, -1, 0
	s_cmp_eq_u32 s22, s19
	s_cselect_b32 s18, s18, s23
	s_cmp_lg_u32 s18, 0
	s_cselect_b32 s1, s1, s15
	s_cselect_b32 s0, s0, s7
	s_xor_b64 s[8:9], s[20:21], s[8:9]
	s_load_dwordx2 s[26:27], s[4:5], 0x1d0
	s_xor_b64 s[0:1], s[0:1], s[8:9]
	s_sub_u32 s0, s0, s8
	s_subb_u32 s1, s1, s9
	v_writelane_b32 v64, s0, 2
	v_writelane_b32 v64, s1, 3
	s_cbranch_execnz .LBB45_7
.LBB45_6:
	s_waitcnt lgkmcnt(0)
	v_cvt_f32_u32_e32 v1, s26
	s_sub_i32 s0, 0, s26
	s_mov_b32 s9, 0
	v_rcp_iflag_f32_e32 v1, v1
	v_mul_f32_e32 v1, 0x4f7ffffe, v1
	v_cvt_u32_f32_e32 v1, v1
	v_readfirstlane_b32 s1, v1
	s_mul_i32 s0, s0, s1
	s_mul_hi_u32 s0, s1, s0
	s_add_i32 s1, s1, s0
	s_mul_hi_u32 s0, s28, s1
	s_mul_i32 s7, s0, s26
	s_sub_i32 s7, s28, s7
	s_add_i32 s1, s0, 1
	s_sub_i32 s8, s7, s26
	s_cmp_ge_u32 s7, s26
	s_cselect_b32 s0, s1, s0
	s_cselect_b32 s7, s8, s7
	s_add_i32 s1, s0, 1
	s_cmp_ge_u32 s7, s26
	s_cselect_b32 s8, s1, s0
	v_writelane_b32 v64, s8, 2
	v_writelane_b32 v64, s9, 3
.LBB45_7:
	s_mov_b32 s0, 0
	s_waitcnt lgkmcnt(0)
	s_mov_b32 s1, s31
	s_cmp_lg_u64 s[0:1], 0
	s_cbranch_scc0 .LBB45_306
; %bb.8:
	s_ashr_i32 s10, s31, 31
	s_add_u32 s0, s30, s10
	s_mov_b32 s11, s10
	s_addc_u32 s1, s31, s10
	s_xor_b64 s[18:19], s[0:1], s[10:11]
	v_cvt_f32_u32_e32 v1, s18
	v_cvt_f32_u32_e32 v2, s19
	s_sub_u32 s0, 0, s18
	s_subb_u32 s1, 0, s19
	v_madmk_f32 v1, v2, 0x4f800000, v1
	v_rcp_f32_e32 v1, v1
	v_mul_f32_e32 v1, 0x5f7ffffc, v1
	v_mul_f32_e32 v2, 0x2f800000, v1
	v_trunc_f32_e32 v2, v2
	v_madmk_f32 v1, v2, 0xcf800000, v1
	v_cvt_u32_f32_e32 v2, v2
	v_cvt_u32_f32_e32 v1, v1
	v_readfirstlane_b32 s7, v2
	v_readfirstlane_b32 s15, v1
	s_mul_i32 s20, s0, s7
	s_mul_hi_u32 s22, s0, s15
	s_mul_i32 s21, s1, s15
	s_add_i32 s20, s22, s20
	s_add_i32 s20, s20, s21
	s_mul_i32 s23, s0, s15
	s_mul_hi_u32 s21, s15, s20
	s_mul_i32 s22, s15, s20
	s_mul_hi_u32 s15, s15, s23
	s_add_u32 s15, s15, s22
	s_addc_u32 s21, 0, s21
	s_mul_hi_u32 s24, s7, s23
	s_mul_i32 s23, s7, s23
	s_add_u32 s15, s15, s23
	s_mul_hi_u32 s22, s7, s20
	s_addc_u32 s15, s21, s24
	s_addc_u32 s21, s22, 0
	s_mul_i32 s20, s7, s20
	s_add_u32 s15, s15, s20
	s_addc_u32 s20, 0, s21
	v_add_co_u32_e32 v1, vcc, s15, v1
	s_cmp_lg_u64 vcc, 0
	s_addc_u32 s7, s7, s20
	v_readfirstlane_b32 s20, v1
	s_mul_i32 s15, s0, s7
	s_mul_hi_u32 s21, s0, s20
	s_add_i32 s15, s21, s15
	s_mul_i32 s1, s1, s20
	s_add_i32 s15, s15, s1
	s_mul_i32 s0, s0, s20
	s_mul_hi_u32 s21, s7, s0
	s_mul_i32 s22, s7, s0
	s_mul_i32 s24, s20, s15
	s_mul_hi_u32 s0, s20, s0
	s_mul_hi_u32 s23, s20, s15
	s_add_u32 s0, s0, s24
	s_addc_u32 s20, 0, s23
	s_add_u32 s0, s0, s22
	s_mul_hi_u32 s1, s7, s15
	s_addc_u32 s0, s20, s21
	s_addc_u32 s1, s1, 0
	s_mul_i32 s15, s7, s15
	s_add_u32 s0, s0, s15
	s_addc_u32 s1, 0, s1
	v_add_co_u32_e32 v1, vcc, s0, v1
	s_cmp_lg_u64 vcc, 0
	s_addc_u32 s7, s7, s1
	s_ashr_i32 s20, 0, 31
	s_add_u32 s0, s28, s20
	s_mov_b32 s21, s20
	s_addc_u32 s1, 0, s20
	s_xor_b64 s[22:23], s[0:1], s[20:21]
	v_readfirstlane_b32 s15, v1
	s_mul_i32 s1, s22, s7
	s_mul_hi_u32 s24, s22, s15
	s_mul_hi_u32 s0, s22, s7
	s_add_u32 s1, s24, s1
	s_addc_u32 s0, 0, s0
	s_mul_hi_u32 s25, s23, s15
	s_mul_i32 s15, s23, s15
	s_add_u32 s1, s1, s15
	s_mul_hi_u32 s24, s23, s7
	s_addc_u32 s0, s0, s25
	s_addc_u32 s1, s24, 0
	s_mul_i32 s7, s23, s7
	s_add_u32 s7, s0, s7
	s_addc_u32 s15, 0, s1
	s_mul_i32 s0, s18, s15
	s_mul_hi_u32 s1, s18, s7
	s_add_i32 s0, s1, s0
	s_mul_i32 s1, s19, s7
	s_add_i32 s24, s0, s1
	s_mul_i32 s1, s18, s7
	v_mov_b32_e32 v1, s1
	s_sub_i32 s0, s23, s24
	v_sub_co_u32_e32 v1, vcc, s22, v1
	s_cmp_lg_u64 vcc, 0
	s_subb_u32 s22, s0, s19
	v_subrev_co_u32_e64 v2, s[0:1], s18, v1
	s_cmp_lg_u64 s[0:1], 0
	s_subb_u32 s0, s22, 0
	s_cmp_ge_u32 s0, s19
	v_readfirstlane_b32 s22, v2
	s_cselect_b32 s1, -1, 0
	s_cmp_ge_u32 s22, s18
	s_cselect_b32 s22, -1, 0
	s_cmp_eq_u32 s0, s19
	s_cselect_b32 s0, s22, s1
	s_add_u32 s1, s7, 1
	s_addc_u32 s22, s15, 0
	s_add_u32 s25, s7, 2
	s_addc_u32 s26, s15, 0
	s_cmp_lg_u32 s0, 0
	s_cselect_b32 s0, s25, s1
	s_cselect_b32 s1, s26, s22
	s_cmp_lg_u64 vcc, 0
	s_subb_u32 s22, s23, s24
	s_cmp_ge_u32 s22, s19
	v_readfirstlane_b32 s24, v1
	s_cselect_b32 s23, -1, 0
	s_cmp_ge_u32 s24, s18
	s_cselect_b32 s18, -1, 0
	s_cmp_eq_u32 s22, s19
	s_cselect_b32 s18, s18, s23
	s_cmp_lg_u32 s18, 0
	s_cselect_b32 s1, s1, s15
	s_cselect_b32 s0, s0, s7
	s_xor_b64 s[10:11], s[20:21], s[10:11]
	s_xor_b64 s[0:1], s[0:1], s[10:11]
	s_sub_u32 s0, s0, s10
	s_subb_u32 s1, s1, s11
	v_writelane_b32 v64, s0, 4
	v_writelane_b32 v64, s1, 5
	s_load_dwordx2 s[0:1], s[4:5], 0x0
	s_cbranch_execnz .LBB45_10
.LBB45_9:
	v_cvt_f32_u32_e32 v1, s30
	s_sub_i32 s7, 0, s30
	s_mov_b32 s11, 0
	v_rcp_iflag_f32_e32 v1, v1
	v_mul_f32_e32 v1, 0x4f7ffffe, v1
	v_cvt_u32_f32_e32 v1, v1
	v_readfirstlane_b32 s8, v1
	s_mul_i32 s7, s7, s8
	s_mul_hi_u32 s7, s8, s7
	s_add_i32 s8, s8, s7
	s_mul_hi_u32 s7, s28, s8
	s_mul_i32 s9, s7, s30
	s_sub_i32 s9, s28, s9
	s_add_i32 s8, s7, 1
	s_sub_i32 s10, s9, s30
	s_cmp_ge_u32 s9, s30
	s_cselect_b32 s7, s8, s7
	s_cselect_b32 s9, s10, s9
	s_add_i32 s8, s7, 1
	s_cmp_ge_u32 s9, s30
	s_cselect_b32 s10, s8, s7
	v_writelane_b32 v64, s10, 4
	v_writelane_b32 v64, s11, 5
.LBB45_10:
	s_load_dwordx2 s[8:9], s[4:5], 0x360
	v_writelane_b32 v64, s30, 6
	v_writelane_b32 v64, s31, 7
	s_mov_b32 s85, 0
	v_cmp_eq_u32_e64 s[20:21], 0, v0
	s_waitcnt lgkmcnt(0)
	v_writelane_b32 v64, s8, 8
	v_writelane_b32 v64, s9, 9
	s_load_dwordx2 s[8:9], s[4:5], 0x1c0
	s_waitcnt lgkmcnt(0)
	v_writelane_b32 v64, s8, 10
	v_writelane_b32 v64, s9, 11
	s_load_dwordx4 s[8:11], s[4:5], 0xd0
	s_mov_b64 s[18:19], exec
	v_writelane_b32 v64, s20, 12
	v_writelane_b32 v64, s21, 13
	s_and_b64 s[20:21], s[18:19], s[20:21]
	s_mov_b64 exec, s[20:21]
	s_cbranch_execz .LBB45_12
; %bb.11:
	v_mov_b32_e32 v2, 0
	v_mov_b32_e32 v4, s56
	;; [unrolled: 1-line block ×4, first 2 shown]
	ds_write_b32 v2, v2 offset:5136
	ds_write_b128 v2, v[2:5] offset:5120
.LBB45_12:
	s_or_b64 exec, exec, s[18:19]
	s_load_dwordx4 s[20:23], s[4:5], 0x430
                                        ; kill: killed $sgpr4 killed $sgpr5
	s_mul_i32 s3, s16, s3
	v_mov_b32_e32 v2, 0x180
	v_mov_b32_e32 v3, 0
	;; [unrolled: 1-line block ×3, first 2 shown]
	s_waitcnt lgkmcnt(0)
	v_writelane_b32 v64, s20, 14
	v_writelane_b32 v64, s21, 15
	;; [unrolled: 1-line block ×4, first 2 shown]
	s_load_dwordx4 s[20:23], s[4:5], 0x290
	s_mul_hi_u32 s4, s16, s2
	s_add_i32 s3, s4, s3
	s_mul_i32 s4, s17, s2
	s_add_i32 s3, s3, s4
	s_waitcnt lgkmcnt(0)
	v_writelane_b32 v64, s20, 18
	v_writelane_b32 v64, s21, 19
	v_writelane_b32 v64, s22, 20
	v_writelane_b32 v64, s23, 21
	s_mul_i32 s2, s16, s2
	s_mov_b32 s4, s28
	v_writelane_b32 v64, s4, 22
	s_sub_u32 s2, s28, s2
	v_writelane_b32 v64, s5, 23
	s_subb_u32 s3, 0, s3
	s_mul_i32 s4, s2, s11
	s_mul_hi_u32 s5, s2, s10
	s_add_i32 s4, s5, s4
	s_mul_i32 s3, s3, s10
	s_add_i32 s3, s4, s3
	s_mul_i32 s4, s16, s9
	s_mul_hi_u32 s5, s16, s8
	s_add_i32 s4, s5, s4
	s_mul_i32 s5, s17, s8
	s_mul_i32 s2, s2, s10
	s_add_i32 s5, s4, s5
	s_mul_i32 s4, s16, s8
	s_lshl_b64 s[4:5], s[4:5], 3
	s_lshl_b64 s[2:3], s[2:3], 3
	s_add_u32 s2, s4, s2
	s_addc_u32 s3, s5, s3
	s_add_u32 s8, s0, s2
	s_addc_u32 s9, s1, s3
	v_cmp_gt_u32_e64 s[0:1], 2, v0
	v_writelane_b32 v64, s0, 24
	v_mbcnt_lo_u32_b32 v1, -1, 0
	v_writelane_b32 v64, s1, 25
	v_cmp_gt_i64_e64 s[0:1], s[56:57], v[2:3]
	v_mbcnt_hi_u32_b32 v38, -1, v1
	v_mov_b32_e32 v1, v19
	v_writelane_b32 v64, s0, 26
	v_writelane_b32 v64, s1, 27
	v_cmp_gt_u64_e64 s[0:1], s[56:57], v[0:1]
	v_writelane_b32 v64, s0, 28
	v_writelane_b32 v64, s1, 29
	v_mad_u64_u32 v[2:3], s[0:1], v0, s62, 0
	v_mov_b32_e32 v4, v3
	v_mad_u64_u32 v[4:5], s[0:1], v0, s63, v[4:5]
	v_mov_b32_e32 v6, s9
	v_writelane_b32 v64, s8, 30
	v_writelane_b32 v64, s9, 31
	v_cmp_gt_i64_e64 s[0:1], s[56:57], v[0:1]
	v_writelane_b32 v64, s0, 32
	s_barrier
	v_writelane_b32 v64, s1, 33
	s_load_dword s0, s[12:13], 0xc
	v_cmp_gt_u32_e32 vcc, 64, v0
	v_cmp_gt_i32_e64 s[2:3], 4, v38
	s_and_b64 s[48:49], vcc, s[2:3]
	v_mov_b32_e32 v3, v4
	s_waitcnt lgkmcnt(0)
	s_and_b32 s33, s0, 0xffff
	s_bfe_u32 s1, s0, 0xa0006
	v_cmp_gt_u16_e64 s[2:3], s0, 63
	v_writelane_b32 v64, s2, 34
	s_add_u32 s0, s33, -1
	v_writelane_b32 v64, s3, 35
	s_addc_u32 s2, 0, -1
	s_add_u32 s87, s0, s56
	s_addc_u32 s93, s2, s57
	s_cmp_lt_u32 s6, s14
	v_writelane_b32 v64, s0, 36
	s_cselect_b32 s0, 12, 18
	s_add_u32 s50, s12, s0
	v_writelane_b32 v64, s2, 37
	s_addc_u32 s51, s13, 0
	s_add_i32 s0, s1, -1
	s_bfe_u32 s2, s33, 0x30006
	s_cmp_gt_u32 s0, 6
	v_lshlrev_b64 v[4:5], 3, v[2:3]
	s_cselect_b64 s[6:7], -1, 0
	v_add_co_u32_e32 v16, vcc, s8, v4
	v_lshrrev_b32_e32 v4, 4, v0
	v_writelane_b32 v64, s6, 38
	s_and_b32 s89, s1, 0x3f8
	v_and_b32_e32 v41, 60, v4
	v_lshlrev_b32_e32 v4, 2, v38
	v_writelane_b32 v64, s7, 39
	s_cmp_lg_u32 s2, 0
	v_addc_co_u32_e32 v17, vcc, v6, v5, vcc
	v_and_b32_e32 v42, 0x100, v4
	v_lshlrev_b64 v[4:5], v38, -1
	v_writelane_b32 v64, s2, 40
	s_cselect_b64 s[0:1], -1, 0
	v_lshlrev_b32_e32 v43, 5, v0
	v_not_b32_e32 v23, v5
	v_writelane_b32 v64, s0, 41
	v_or_b32_e32 v5, 24, v43
	v_writelane_b32 v64, s1, 42
	v_mad_u64_u32 v[24:25], s[0:1], s62, v5, 0
	v_not_b32_e32 v22, v4
	v_mov_b32_e32 v4, v25
	v_mad_u64_u32 v[4:5], s[0:1], s63, v5, v[4:5]
	s_lshl_b64 s[0:1], s[62:63], 5
	v_writelane_b32 v64, s0, 43
	v_or_b32_e32 v5, 16, v43
	v_writelane_b32 v64, s1, 44
	v_mad_u64_u32 v[26:27], s[0:1], s62, v5, 0
	v_mov_b32_e32 v25, v4
	v_mov_b32_e32 v4, v27
	v_mad_u64_u32 v[4:5], s[0:1], s63, v5, v[4:5]
	v_or_b32_e32 v5, 8, v43
	v_mad_u64_u32 v[28:29], s[0:1], s62, v5, 0
	v_mov_b32_e32 v27, v4
	v_mov_b32_e32 v4, v29
	v_mad_u64_u32 v[4:5], s[0:1], s63, v5, v[4:5]
	v_lshlrev_b64 v[30:31], 5, v[2:3]
	v_mov_b32_e32 v2, s57
	v_add_co_u32_e32 v44, vcc, s56, v0
	s_mul_i32 s0, s63, s33
	s_mul_hi_u32 s1, s62, s33
	v_writelane_b32 v64, s48, 45
	v_lshlrev_b32_e32 v39, 3, v0
	v_addc_co_u32_e32 v45, vcc, 0, v2, vcc
	v_mov_b32_e32 v2, 0xc00
	s_add_i32 s1, s1, s0
	s_mul_i32 s0, s62, s33
	v_writelane_b32 v64, s49, 46
	v_cmp_eq_u32_e64 s[4:5], 0, v38
	v_add_u32_e32 v40, 0xc00, v39
	v_lshlrev_b32_e32 v20, 2, v0
	v_mov_b32_e32 v21, v19
	s_mov_b32 s88, s85
	s_lshl_b64 s[64:65], s[62:63], 3
	v_mov_b32_e32 v29, v4
	v_lshl_or_b32 v46, v38, 3, v2
	s_lshl_b64 s[82:83], s[0:1], 3
	s_lshl_b32 s94, s33, 3
	s_mov_b32 s95, 62
	s_mov_b64 s[68:69], 0
	v_pk_mov_b32 v[6:7], 0, 0
	v_mov_b32_e32 v3, 0x3ff00000
	v_cvt_f32_ubyte0_e32 v47, 0
	s_mov_b32 s86, 0
	s_mov_b64 s[80:81], 0
	s_mov_b64 s[78:79], 0
	v_writelane_b32 v64, s50, 47
                                        ; implicit-def: $sgpr60_sgpr61
                                        ; implicit-def: $sgpr74_sgpr75
                                        ; implicit-def: $sgpr72_sgpr73
                                        ; implicit-def: $sgpr76_sgpr77
                                        ; implicit-def: $sgpr70_sgpr71
                                        ; implicit-def: $sgpr10_sgpr11
	v_writelane_b32 v64, s51, 48
	s_branch .LBB45_17
.LBB45_13:                              ;   in Loop: Header=BB45_17 Depth=1
	s_xor_b32 s86, s86, 1
	s_add_i32 s8, s95, -2
	s_cmp_eq_u32 s95, 0
	s_mov_b64 s[2:3], 0
	s_cselect_b64 s[6:7], -1, 0
	s_mov_b32 s95, s8
.LBB45_14:                              ;   in Loop: Header=BB45_17 Depth=1
	s_andn2_b64 s[8:9], s[26:27], exec
	s_and_b64 s[2:3], s[2:3], exec
	s_or_b64 s[26:27], s[8:9], s[2:3]
	s_andn2_b64 s[30:31], s[30:31], exec
	s_andn2_b64 s[24:25], s[24:25], exec
	s_orn2_b64 s[18:19], s[6:7], exec
.LBB45_15:                              ;   in Loop: Header=BB45_17 Depth=1
	s_or_b64 exec, exec, s[0:1]
	s_andn2_b64 s[0:1], s[10:11], exec
	s_and_b64 s[2:3], s[26:27], exec
	s_or_b64 s[10:11], s[0:1], s[2:3]
	s_andn2_b64 s[0:1], s[70:71], exec
	s_and_b64 s[2:3], s[30:31], exec
	s_or_b64 s[70:71], s[0:1], s[2:3]
	;; [unrolled: 3-line block ×3, first 2 shown]
	s_orn2_b64 s[24:25], s[18:19], exec
.LBB45_16:                              ;   in Loop: Header=BB45_17 Depth=1
	s_or_b64 exec, exec, s[16:17]
	s_and_b64 s[0:1], exec, s[24:25]
	s_or_b64 s[68:69], s[0:1], s[68:69]
	s_andn2_b64 s[0:1], s[72:73], exec
	s_and_b64 s[2:3], s[10:11], exec
	s_or_b64 s[72:73], s[0:1], s[2:3]
	s_andn2_b64 s[0:1], s[74:75], exec
	s_and_b64 s[2:3], s[70:71], exec
	;; [unrolled: 3-line block ×3, first 2 shown]
	s_waitcnt vmcnt(0)
	v_pk_mov_b32 v[4:5], s[80:81], s[80:81] op_sel:[0,1]
	s_or_b64 s[60:61], s[0:1], s[2:3]
	s_andn2_b64 exec, exec, s[68:69]
	s_cbranch_execz .LBB45_287
.LBB45_17:                              ; =>This Loop Header: Depth=1
                                        ;     Child Loop BB45_25 Depth 2
                                        ;     Child Loop BB45_44 Depth 2
	;; [unrolled: 1-line block ×16, first 2 shown]
	ds_read_b128 v[8:11], v19 offset:5120
	s_waitcnt lgkmcnt(0)
	v_readfirstlane_b32 s55, v9
	v_readfirstlane_b32 s54, v8
	v_cmp_gt_i64_e64 s[0:1], s[54:55], 0
	s_and_b64 vcc, exec, s[0:1]
	s_cbranch_vccnz .LBB45_51
; %bb.18:                               ;   in Loop: Header=BB45_17 Depth=1
	v_readlane_b32 s0, v64, 26
	v_readlane_b32 s1, v64, 27
	s_and_b64 vcc, exec, s[0:1]
	s_cbranch_vccz .LBB45_33
; %bb.19:                               ;   in Loop: Header=BB45_17 Depth=1
	s_mov_b64 s[0:1], 0x181
	v_cmp_gt_i64_e32 vcc, s[0:1], v[10:11]
	s_mov_b64 s[0:1], 0
	s_mov_b64 s[2:3], 0
	s_cbranch_vccz .LBB45_38
; %bb.20:                               ;   in Loop: Header=BB45_17 Depth=1
	v_pk_mov_b32 v[4:5], 0, 0
	s_mov_b64 s[2:3], exec
	v_readlane_b32 s6, v64, 28
	v_readlane_b32 s7, v64, 29
	s_and_b64 s[6:7], s[2:3], s[6:7]
	s_mov_b64 exec, s[6:7]
	s_cbranch_execz .LBB45_22
; %bb.21:                               ;   in Loop: Header=BB45_17 Depth=1
	global_load_dwordx2 v[4:5], v[16:17], off
.LBB45_22:                              ;   in Loop: Header=BB45_17 Depth=1
	s_or_b64 exec, exec, s[2:3]
	s_mov_b64 s[2:3], exec
	v_readlane_b32 s6, v64, 28
	v_readlane_b32 s7, v64, 29
	s_and_b64 s[6:7], s[2:3], s[6:7]
	s_mov_b64 exec, s[6:7]
	s_cbranch_execz .LBB45_34
; %bb.23:                               ;   in Loop: Header=BB45_17 Depth=1
	global_load_ushort v2, v19, s[50:51]
	v_readlane_b32 s6, v64, 30
	v_readlane_b32 s7, v64, 31
	v_pk_mov_b32 v[8:9], s[6:7], s[6:7] op_sel:[0,1]
	s_mov_b64 s[8:9], 0
	s_waitcnt vmcnt(0)
	v_readfirstlane_b32 s6, v2
	s_and_b32 s6, 0xffff, s6
	v_add_u32_e32 v11, s6, v0
	s_mul_i32 s12, s65, s6
	s_mul_hi_u32 s13, s64, s6
	s_mul_i32 s20, s64, s6
	v_mad_u64_u32 v[8:9], s[6:7], s64, v11, v[8:9]
	v_mov_b32_e32 v10, v9
	v_mad_u64_u32 v[10:11], s[6:7], s65, v11, v[10:11]
	s_add_i32 s21, s13, s12
	v_mov_b32_e32 v9, v10
	v_pk_mov_b32 v[10:11], v[0:1], v[0:1] op_sel:[0,1]
	s_branch .LBB45_25
.LBB45_24:                              ;   in Loop: Header=BB45_25 Depth=2
	s_or_b64 exec, exec, s[6:7]
	v_mov_b32_e32 v4, s21
	v_add_co_u32_e32 v8, vcc, s20, v8
	v_addc_co_u32_e32 v9, vcc, v9, v4, vcc
	s_waitcnt vmcnt(0)
	v_pk_mov_b32 v[4:5], v[12:13], v[12:13] op_sel:[0,1]
	s_andn2_b64 exec, exec, s[8:9]
	s_cbranch_execz .LBB45_34
.LBB45_25:                              ;   Parent Loop BB45_17 Depth=1
                                        ; =>  This Inner Loop Header: Depth=2
	v_add_co_u32_sdwa v10, vcc, v10, v2 dst_sel:DWORD dst_unused:UNUSED_PAD src0_sel:DWORD src1_sel:WORD_0
	v_addc_co_u32_e32 v11, vcc, 0, v11, vcc
	v_cmp_gt_i64_e64 s[6:7], s[56:57], v[10:11]
	v_cmp_le_i64_e32 vcc, s[56:57], v[10:11]
	v_pk_mov_b32 v[12:13], 0, 0
	s_and_saveexec_b64 s[12:13], s[6:7]
	s_cbranch_execz .LBB45_27
; %bb.26:                               ;   in Loop: Header=BB45_25 Depth=2
	global_load_dwordx2 v[12:13], v[8:9], off
.LBB45_27:                              ;   in Loop: Header=BB45_25 Depth=2
	s_or_b64 exec, exec, s[12:13]
	s_waitcnt lgkmcnt(0)
	v_ashrrev_i32_e32 v14, 31, v5
	v_or_b32_e32 v15, 0x80000000, v14
	v_xor_b32_e32 v15, v15, v5
	v_xor_b32_e32 v14, v14, v4
	v_cmp_o_f64_e64 s[6:7], v[4:5], v[4:5]
	v_cndmask_b32_e64 v15, -1, v15, s[6:7]
	v_cndmask_b32_e64 v14, -1, v14, s[6:7]
	v_and_b32_e32 v15, s79, v15
	v_and_b32_e32 v14, s78, v14
	v_cmp_eq_u64_e64 s[12:13], s[80:81], v[14:15]
	s_cmp_lg_u64 s[12:13], 0
	s_cselect_b64 s[6:7], -1, 0
	s_and_b64 s[6:7], s[4:5], s[6:7]
	v_mov_b32_e32 v14, 0
	s_and_saveexec_b64 s[14:15], s[6:7]
	s_cbranch_execz .LBB45_31
; %bb.28:                               ;   in Loop: Header=BB45_25 Depth=2
	s_mov_b64 s[18:19], exec
	v_mbcnt_lo_u32_b32 v14, s18, 0
	v_mbcnt_hi_u32_b32 v14, s19, v14
	s_bcnt1_i32_b64 s22, s[12:13]
	v_cmp_eq_u32_e64 s[6:7], 0, v14
                                        ; implicit-def: $vgpr15
	s_and_saveexec_b64 s[16:17], s[6:7]
	s_cbranch_execz .LBB45_30
; %bb.29:                               ;   in Loop: Header=BB45_25 Depth=2
	s_bcnt1_i32_b64 s6, s[18:19]
	s_mul_i32 s6, s22, s6
	v_mov_b32_e32 v15, s6
	ds_add_rtn_u32 v15, v19, v15 offset:5136
.LBB45_30:                              ;   in Loop: Header=BB45_25 Depth=2
	s_or_b64 exec, exec, s[16:17]
	s_waitcnt lgkmcnt(0)
	v_readfirstlane_b32 s6, v15
	v_mov_b32_e32 v15, s6
	v_mad_u32_u24 v14, s22, v14, v15
.LBB45_31:                              ;   in Loop: Header=BB45_25 Depth=2
	s_or_b64 exec, exec, s[14:15]
	ds_bpermute_b32 v14, v42, v14
	s_and_b64 s[6:7], exec, vcc
	s_or_b64 s[8:9], s[6:7], s[8:9]
	s_and_saveexec_b64 s[6:7], s[12:13]
	s_cbranch_execz .LBB45_24
; %bb.32:                               ;   in Loop: Header=BB45_25 Depth=2
	v_and_b32_e32 v18, s12, v22
	v_and_b32_e32 v15, s13, v23
	v_bcnt_u32_b32 v18, v18, 0
	v_bcnt_u32_b32 v15, v15, v18
	v_lshlrev_b32_e32 v15, 3, v15
	s_waitcnt lgkmcnt(0)
	v_lshl_add_u32 v14, v14, 3, v15
	ds_write_b64 v14, v[4:5]
	s_branch .LBB45_24
.LBB45_33:                              ;   in Loop: Header=BB45_17 Depth=1
	s_mov_b64 s[0:1], -1
	s_mov_b64 s[2:3], 0
	s_branch .LBB45_37
.LBB45_34:                              ;   in Loop: Header=BB45_17 Depth=1
	s_or_b64 exec, exec, s[2:3]
	s_waitcnt lgkmcnt(0)
	s_barrier
	s_mov_b64 s[2:3], exec
	v_readlane_b32 s6, v64, 12
	v_readlane_b32 s7, v64, 13
	s_and_b64 s[6:7], s[2:3], s[6:7]
	s_mov_b64 exec, s[6:7]
	s_cbranch_execz .LBB45_36
; %bb.35:                               ;   in Loop: Header=BB45_17 Depth=1
	s_waitcnt vmcnt(0)
	ds_read_b32 v4, v19 offset:5136
	s_waitcnt lgkmcnt(0)
	v_ashrrev_i32_e32 v5, 31, v4
	ds_write_b64 v19, v[4:5] offset:5120
.LBB45_36:                              ;   in Loop: Header=BB45_17 Depth=1
	s_or_b64 exec, exec, s[2:3]
	s_waitcnt lgkmcnt(0)
	s_barrier
	s_mov_b64 s[2:3], -1
.LBB45_37:                              ;   in Loop: Header=BB45_17 Depth=1
                                        ; implicit-def: $sgpr54_sgpr55
.LBB45_38:                              ;   in Loop: Header=BB45_17 Depth=1
	s_and_b64 vcc, exec, s[0:1]
	s_cbranch_vccz .LBB45_49
; %bb.39:                               ;   in Loop: Header=BB45_17 Depth=1
	s_waitcnt vmcnt(0)
	v_pk_mov_b32 v[4:5], 0, 0
	s_mov_b64 s[0:1], exec
	v_readlane_b32 s2, v64, 32
	v_readlane_b32 s3, v64, 33
	s_and_b64 s[2:3], s[0:1], s[2:3]
	s_mov_b64 exec, s[2:3]
	s_cbranch_execz .LBB45_41
; %bb.40:                               ;   in Loop: Header=BB45_17 Depth=1
	global_load_dwordx2 v[4:5], v[16:17], off
.LBB45_41:                              ;   in Loop: Header=BB45_17 Depth=1
	s_or_b64 exec, exec, s[0:1]
	s_mov_b64 s[0:1], exec
	v_readlane_b32 s2, v64, 32
	v_readlane_b32 s3, v64, 33
	s_and_b64 s[2:3], s[0:1], s[2:3]
	s_mov_b64 exec, s[2:3]
	s_cbranch_execz .LBB45_46
; %bb.42:                               ;   in Loop: Header=BB45_17 Depth=1
	global_load_ushort v2, v19, s[50:51]
	v_readlane_b32 s2, v64, 30
	v_readlane_b32 s3, v64, 31
	v_pk_mov_b32 v[8:9], s[2:3], s[2:3] op_sel:[0,1]
	s_mov_b64 s[2:3], 0
	v_mov_b32_e32 v14, v39
	s_waitcnt vmcnt(0)
	v_readfirstlane_b32 s6, v2
	s_and_b32 s6, 0xffff, s6
	v_add_u32_e32 v11, s6, v0
	s_lshl_b32 s12, s6, 3
	s_mul_i32 s8, s65, s6
	s_mul_hi_u32 s9, s64, s6
	s_mul_i32 s13, s64, s6
	v_mad_u64_u32 v[8:9], s[6:7], s64, v11, v[8:9]
	v_mov_b32_e32 v10, v9
	v_mad_u64_u32 v[10:11], s[6:7], s65, v11, v[10:11]
	s_add_i32 s14, s9, s8
	v_mov_b32_e32 v9, v10
	v_pk_mov_b32 v[10:11], v[0:1], v[0:1] op_sel:[0,1]
	s_branch .LBB45_44
.LBB45_43:                              ;   in Loop: Header=BB45_44 Depth=2
	s_or_b64 exec, exec, s[8:9]
	s_and_b64 s[6:7], exec, vcc
	ds_write_b64 v14, v[4:5]
	v_mov_b32_e32 v4, s14
	v_add_co_u32_e32 v8, vcc, s13, v8
	s_or_b64 s[2:3], s[6:7], s[2:3]
	v_add_u32_e32 v14, s12, v14
	v_addc_co_u32_e32 v9, vcc, v9, v4, vcc
	s_waitcnt vmcnt(0)
	v_pk_mov_b32 v[4:5], v[12:13], v[12:13] op_sel:[0,1]
	s_andn2_b64 exec, exec, s[2:3]
	s_cbranch_execz .LBB45_46
.LBB45_44:                              ;   Parent Loop BB45_17 Depth=1
                                        ; =>  This Inner Loop Header: Depth=2
	v_add_co_u32_sdwa v10, vcc, v10, v2 dst_sel:DWORD dst_unused:UNUSED_PAD src0_sel:DWORD src1_sel:WORD_0
	v_addc_co_u32_e32 v11, vcc, 0, v11, vcc
	v_cmp_gt_i64_e64 s[6:7], s[56:57], v[10:11]
	v_cmp_le_i64_e32 vcc, s[56:57], v[10:11]
	v_pk_mov_b32 v[12:13], 0, 0
	s_and_saveexec_b64 s[8:9], s[6:7]
	s_cbranch_execz .LBB45_43
; %bb.45:                               ;   in Loop: Header=BB45_44 Depth=2
	global_load_dwordx2 v[12:13], v[8:9], off
	s_branch .LBB45_43
.LBB45_46:                              ;   in Loop: Header=BB45_17 Depth=1
	s_or_b64 exec, exec, s[0:1]
	s_waitcnt lgkmcnt(0)
	s_barrier
	s_mov_b64 s[0:1], exec
	v_readlane_b32 s2, v64, 12
	v_readlane_b32 s3, v64, 13
	s_and_b64 s[2:3], s[0:1], s[2:3]
	s_mov_b64 exec, s[2:3]
	s_cbranch_execz .LBB45_48
; %bb.47:                               ;   in Loop: Header=BB45_17 Depth=1
	s_waitcnt vmcnt(0)
	v_pk_mov_b32 v[4:5], s[56:57], s[56:57] op_sel:[0,1]
	ds_write_b64 v19, v[4:5] offset:5120
.LBB45_48:                              ;   in Loop: Header=BB45_17 Depth=1
	s_or_b64 exec, exec, s[0:1]
	s_mov_b64 s[2:3], -1
	s_waitcnt lgkmcnt(0)
	s_barrier
                                        ; implicit-def: $sgpr54_sgpr55
.LBB45_49:                              ;   in Loop: Header=BB45_17 Depth=1
	s_and_b64 vcc, exec, s[2:3]
	s_cbranch_vccz .LBB45_51
; %bb.50:                               ;   in Loop: Header=BB45_17 Depth=1
	s_waitcnt vmcnt(0)
	ds_read_b64 v[4:5], v19 offset:5120
	s_waitcnt lgkmcnt(0)
	v_readfirstlane_b32 s54, v4
.LBB45_51:                              ;   in Loop: Header=BB45_17 Depth=1
	s_cmp_lt_i32 s54, 1
	s_cbranch_scc0 .LBB45_66
; %bb.52:                               ;   in Loop: Header=BB45_17 Depth=1
	global_load_ushort v2, v19, s[50:51]
	s_mov_b32 s0, s85
	s_waitcnt vmcnt(0)
	v_readfirstlane_b32 s1, v2
	s_and_b32 s1, 0xffff, s1
	s_lshl_b32 s55, s1, 2
	s_mov_b32 s1, s57
	s_cmp_lg_u64 s[0:1], 0
	s_cbranch_scc0 .LBB45_86
; %bb.53:                               ;   in Loop: Header=BB45_17 Depth=1
	v_cvt_f32_u32_e32 v4, s55
	s_sub_u32 s0, 0, s55
	s_subb_u32 s1, 0, 0
	v_mac_f32_e32 v4, 0x4f800000, v47
	v_rcp_f32_e32 v4, v4
	v_mul_f32_e32 v4, 0x5f7ffffc, v4
	v_mul_f32_e32 v5, 0x2f800000, v4
	v_trunc_f32_e32 v5, v5
	v_mac_f32_e32 v4, 0xcf800000, v5
	v_cvt_u32_f32_e32 v5, v5
	v_cvt_u32_f32_e32 v4, v4
	v_readfirstlane_b32 s2, v5
	v_readfirstlane_b32 s3, v4
	s_mul_i32 s6, s0, s2
	s_mul_hi_u32 s8, s0, s3
	s_mul_i32 s7, s1, s3
	s_add_i32 s6, s8, s6
	s_mul_i32 s9, s0, s3
	s_add_i32 s6, s6, s7
	s_mul_hi_u32 s8, s3, s9
	s_mul_hi_u32 s7, s3, s6
	s_mul_i32 s3, s3, s6
	s_add_u32 s3, s8, s3
	s_addc_u32 s7, 0, s7
	s_mul_hi_u32 s12, s2, s9
	s_mul_i32 s9, s2, s9
	s_add_u32 s3, s3, s9
	s_mul_hi_u32 s8, s2, s6
	s_addc_u32 s3, s7, s12
	s_addc_u32 s7, s8, 0
	s_mul_i32 s6, s2, s6
	s_add_u32 s3, s3, s6
	s_addc_u32 s6, 0, s7
	v_add_co_u32_e32 v4, vcc, s3, v4
	s_cmp_lg_u64 vcc, 0
	s_addc_u32 s2, s2, s6
	v_readfirstlane_b32 s6, v4
	s_mul_i32 s3, s0, s2
	s_mul_hi_u32 s7, s0, s6
	s_add_i32 s3, s7, s3
	s_mul_i32 s1, s1, s6
	s_add_i32 s3, s3, s1
	s_mul_i32 s0, s0, s6
	s_mul_hi_u32 s7, s2, s0
	s_mul_i32 s8, s2, s0
	s_mul_i32 s12, s6, s3
	s_mul_hi_u32 s0, s6, s0
	s_mul_hi_u32 s9, s6, s3
	s_add_u32 s0, s0, s12
	s_addc_u32 s6, 0, s9
	s_add_u32 s0, s0, s8
	s_mul_hi_u32 s1, s2, s3
	s_addc_u32 s0, s6, s7
	s_addc_u32 s1, s1, 0
	s_mul_i32 s3, s2, s3
	s_add_u32 s0, s0, s3
	s_addc_u32 s1, 0, s1
	v_add_co_u32_e32 v4, vcc, s0, v4
	s_cmp_lg_u64 vcc, 0
	s_addc_u32 s6, s2, s1
	s_ashr_i32 s0, s57, 31
	s_add_u32 s2, s56, s0
	s_mov_b32 s1, s0
	s_addc_u32 s3, s57, s0
	s_xor_b64 s[2:3], s[2:3], s[0:1]
	v_readfirstlane_b32 s8, v4
	s_mul_i32 s7, s2, s6
	s_mul_hi_u32 s9, s2, s8
	s_mul_hi_u32 s1, s2, s6
	s_add_u32 s7, s9, s7
	s_addc_u32 s1, 0, s1
	s_mul_hi_u32 s12, s3, s8
	s_mul_i32 s8, s3, s8
	s_add_u32 s7, s7, s8
	s_mul_hi_u32 s9, s3, s6
	s_addc_u32 s1, s1, s12
	s_addc_u32 s7, s9, 0
	s_mul_i32 s6, s3, s6
	s_add_u32 s1, s1, s6
	s_addc_u32 s6, 0, s7
	s_mul_hi_u32 s7, s55, s1
	s_mul_i32 s1, s55, s1
	s_mul_i32 s6, s55, s6
	v_mov_b32_e32 v4, s1
	s_add_i32 s7, s7, s6
	v_sub_co_u32_e32 v4, vcc, s2, v4
	s_cmp_lg_u64 vcc, 0
	s_subb_u32 s1, s3, s7
	v_subrev_co_u32_e32 v5, vcc, s55, v4
	s_cmp_lg_u64 vcc, 0
	s_subb_u32 s2, s1, 0
	v_subrev_co_u32_e32 v8, vcc, s55, v5
	s_cmp_lg_u64 vcc, 0
	s_subb_u32 s3, s2, 0
	v_cmp_le_u32_e32 vcc, s55, v5
	s_cmp_eq_u32 s2, 0
	v_cndmask_b32_e64 v9, 0, -1, vcc
	s_cselect_b64 vcc, -1, 0
	v_cndmask_b32_e32 v9, -1, v9, vcc
	v_mov_b32_e32 v10, s2
	v_mov_b32_e32 v11, s3
	v_cmp_ne_u32_e32 vcc, 0, v9
	v_cndmask_b32_e32 v9, v10, v11, vcc
	v_cndmask_b32_e32 v5, v5, v8, vcc
	v_cmp_le_u32_e32 vcc, s55, v4
	s_cmp_eq_u32 s1, 0
	v_cndmask_b32_e64 v8, 0, -1, vcc
	s_cselect_b64 vcc, -1, 0
	v_cndmask_b32_e32 v8, -1, v8, vcc
	v_cmp_ne_u32_e32 vcc, 0, v8
	v_mov_b32_e32 v10, s1
	v_cndmask_b32_e32 v4, v4, v5, vcc
	v_cndmask_b32_e32 v8, v10, v9, vcc
	v_xor_b32_e32 v4, s0, v4
	v_xor_b32_e32 v5, s0, v8
	v_mov_b32_e32 v8, s0
	v_subrev_co_u32_e32 v4, vcc, s0, v4
	v_subb_co_u32_e32 v5, vcc, v5, v8, vcc
	s_cbranch_execnz .LBB45_55
.LBB45_54:                              ;   in Loop: Header=BB45_17 Depth=1
	v_cvt_f32_u32_e32 v4, s55
	s_sub_i32 s0, 0, s55
	v_rcp_iflag_f32_e32 v4, v4
	v_mul_f32_e32 v4, 0x4f7ffffe, v4
	v_cvt_u32_f32_e32 v4, v4
	v_mul_lo_u32 v5, s0, v4
	v_mul_hi_u32 v5, v4, v5
	v_add_u32_e32 v4, v4, v5
	v_mul_hi_u32 v4, s56, v4
	v_mul_lo_u32 v4, v4, s55
	v_sub_u32_e32 v4, s56, v4
	v_subrev_u32_e32 v5, s55, v4
	v_cmp_le_u32_e32 vcc, s55, v4
	v_cndmask_b32_e32 v4, v4, v5, vcc
	v_subrev_u32_e32 v5, s55, v4
	v_cmp_le_u32_e32 vcc, s55, v4
	v_cndmask_b32_e32 v18, v4, v5, vcc
	v_pk_mov_b32 v[4:5], v[18:19], v[18:19] op_sel:[0,1]
.LBB45_55:                              ;   in Loop: Header=BB45_17 Depth=1
	v_mov_b32_e32 v8, s57
	v_sub_co_u32_e32 v32, vcc, s56, v4
	v_subb_co_u32_e32 v33, vcc, v8, v5, vcc
	v_pk_mov_b32 v[8:9], 0, 0
	v_and_b32_e32 v2, 0xffff, v2
	v_cmp_gt_i64_e32 vcc, v[32:33], v[20:21]
	s_mov_b64 s[8:9], 0
	v_pk_mov_b32 v[10:11], v[8:9], v[8:9] op_sel:[0,1]
	v_pk_mov_b32 v[12:13], v[8:9], v[8:9] op_sel:[0,1]
	;; [unrolled: 1-line block ×3, first 2 shown]
	s_and_saveexec_b64 s[0:1], vcc
	s_cbranch_execz .LBB45_59
; %bb.56:                               ;   in Loop: Header=BB45_17 Depth=1
	v_readlane_b32 s2, v64, 43
	v_readlane_b32 s3, v64, 44
	v_mul_lo_u32 v8, s3, v2
	v_mul_hi_u32 v9, s2, v2
	v_mul_lo_u32 v49, s2, v2
	v_readlane_b32 s2, v64, 30
	v_readlane_b32 s3, v64, 31
	s_and_b32 s84, s95, 0xfe
	v_add_u32_e32 v48, v9, v8
	v_pk_mov_b32 v[34:35], s[2:3], s[2:3] op_sel:[0,1]
	s_mov_b64 s[90:91], 0
	s_mov_b64 s[2:3], 0
	;; [unrolled: 1-line block ×4, first 2 shown]
	v_pk_mov_b32 v[36:37], v[20:21], v[20:21] op_sel:[0,1]
.LBB45_57:                              ;   Parent Loop BB45_17 Depth=1
                                        ; =>  This Inner Loop Header: Depth=2
	v_add_co_u32_e32 v14, vcc, v34, v30
	v_addc_co_u32_e32 v15, vcc, v35, v31, vcc
	v_add_co_u32_e32 v50, vcc, v34, v28
	v_addc_co_u32_e32 v51, vcc, v35, v29, vcc
	;; [unrolled: 2-line block ×4, first 2 shown]
	global_load_dwordx2 v[14:15], v[14:15], off
	s_nop 0
	global_load_dwordx2 v[50:51], v[50:51], off
	s_nop 0
	;; [unrolled: 2-line block ×3, first 2 shown]
	global_load_dwordx2 v[54:55], v[54:55], off
	v_mov_b32_e32 v9, v19
	v_mov_b32_e32 v11, v19
	;; [unrolled: 1-line block ×3, first 2 shown]
	v_add_co_u32_e32 v36, vcc, s55, v36
	v_addc_co_u32_e32 v37, vcc, 0, v37, vcc
	v_add_co_u32_e32 v34, vcc, v34, v49
	v_addc_co_u32_e32 v35, vcc, v35, v48, vcc
	v_cmp_ge_i64_e32 vcc, v[36:37], v[32:33]
	s_waitcnt vmcnt(3)
	v_ashrrev_i32_e32 v8, 31, v15
	s_waitcnt vmcnt(2)
	v_ashrrev_i32_e32 v10, 31, v51
	v_xor_b32_e32 v56, v10, v50
	v_cmp_o_f64_e64 s[6:7], v[50:51], v[50:51]
	v_or_b32_e32 v50, 0x80000000, v8
	s_waitcnt vmcnt(1)
	v_ashrrev_i32_e32 v12, 31, v53
	s_waitcnt vmcnt(0)
	v_ashrrev_i32_e32 v18, 31, v55
	v_xor_b32_e32 v8, v8, v14
	v_or_b32_e32 v10, 0x80000000, v10
	v_cmp_o_f64_e64 s[16:17], v[14:15], v[14:15]
	v_xor_b32_e32 v15, v50, v15
	v_xor_b32_e32 v57, v12, v52
	v_cmp_o_f64_e64 s[12:13], v[52:53], v[52:53]
	v_xor_b32_e32 v58, v18, v54
	v_or_b32_e32 v12, 0x80000000, v12
	v_or_b32_e32 v18, 0x80000000, v18
	v_xor_b32_e32 v10, v10, v51
	v_cndmask_b32_e64 v14, -1, v8, s[16:17]
	v_cndmask_b32_e64 v15, -1, v15, s[16:17]
	v_cmp_o_f64_e64 s[14:15], v[54:55], v[54:55]
	v_xor_b32_e32 v12, v12, v53
	v_xor_b32_e32 v18, v18, v55
	v_cndmask_b32_e64 v50, -1, v56, s[6:7]
	v_cndmask_b32_e64 v52, -1, v57, s[12:13]
	;; [unrolled: 1-line block ×3, first 2 shown]
	v_and_b32_e32 v56, s78, v14
	v_and_b32_e32 v57, s79, v15
	v_lshrrev_b64 v[14:15], s84, v[14:15]
	v_cndmask_b32_e64 v54, -1, v58, s[14:15]
	v_cndmask_b32_e64 v53, -1, v12, s[12:13]
	;; [unrolled: 1-line block ×3, first 2 shown]
	v_and_b32_e32 v58, s78, v50
	v_and_b32_e32 v59, s79, v51
	v_lshrrev_b64 v[50:51], s84, v[50:51]
	v_and_b32_e32 v18, 3, v14
	v_and_b32_e32 v60, s78, v52
	;; [unrolled: 1-line block ×3, first 2 shown]
	v_lshrrev_b64 v[52:53], s84, v[52:53]
	v_cmp_eq_u64_e64 s[18:19], s[80:81], v[56:57]
	v_and_b32_e32 v8, 3, v50
	v_cmp_eq_u64_e64 s[6:7], 0, v[18:19]
	v_and_b32_e32 v62, s78, v54
	v_and_b32_e32 v63, s79, v55
	v_lshrrev_b64 v[54:55], s84, v[54:55]
	v_cmp_eq_u64_e64 s[16:17], s[80:81], v[58:59]
	v_and_b32_e32 v10, 3, v52
	v_cmp_eq_u64_e64 s[30:31], 0, v[8:9]
	s_and_b64 s[6:7], s[18:19], s[6:7]
	v_cmp_eq_u64_e64 s[14:15], s[80:81], v[60:61]
	v_and_b32_e32 v12, 3, v54
	v_cmp_eq_u64_e64 s[34:35], 0, v[10:11]
	v_cmp_eq_u64_e64 s[40:41], 1, v[8:9]
	v_cmp_eq_u64_e64 s[48:49], 2, v[8:9]
	v_cmp_eq_u64_e64 s[24:25], 3, v[8:9]
	v_cndmask_b32_e64 v8, 0, 1, s[6:7]
	s_and_b64 s[6:7], s[16:17], s[30:31]
	v_cmp_eq_u64_e64 s[12:13], s[80:81], v[62:63]
	v_cmp_eq_u64_e64 s[36:37], 0, v[12:13]
	v_cndmask_b32_e64 v9, 0, 1, s[6:7]
	s_and_b64 s[6:7], s[14:15], s[34:35]
	v_cmp_eq_u64_e64 s[42:43], 1, v[10:11]
	v_cmp_eq_u64_e64 s[50:51], 2, v[10:11]
	;; [unrolled: 1-line block ×3, first 2 shown]
	v_cndmask_b32_e64 v10, 0, 1, s[6:7]
	s_and_b64 s[6:7], s[12:13], s[36:37]
	v_cndmask_b32_e64 v11, 0, 1, s[6:7]
	v_cmp_ne_u32_e64 s[6:7], 0, v8
	v_cmp_ne_u32_e64 s[30:31], 0, v9
	;; [unrolled: 1-line block ×4, first 2 shown]
	s_bcnt1_i32_b64 s6, s[6:7]
	s_bcnt1_i32_b64 s7, s[30:31]
	;; [unrolled: 1-line block ×4, first 2 shown]
	s_add_u32 s6, s6, s66
	s_addc_u32 s34, 0, s67
	s_add_u32 s6, s6, s7
	s_addc_u32 s7, s34, 0
	;; [unrolled: 2-line block ×3, first 2 shown]
	v_cmp_eq_u64_e64 s[38:39], 1, v[18:19]
	s_add_u32 s66, s6, s31
	s_addc_u32 s67, s7, 0
	s_and_b64 s[6:7], s[18:19], s[38:39]
	v_cndmask_b32_e64 v10, 0, 1, s[6:7]
	s_and_b64 s[6:7], s[16:17], s[40:41]
	v_cmp_eq_u64_e64 s[44:45], 1, v[12:13]
	v_cndmask_b32_e64 v11, 0, 1, s[6:7]
	s_and_b64 s[6:7], s[14:15], s[42:43]
	v_cmp_eq_u64_e64 s[52:53], 2, v[12:13]
	v_cmp_eq_u64_e64 s[20:21], 3, v[12:13]
	v_cndmask_b32_e64 v12, 0, 1, s[6:7]
	s_and_b64 s[6:7], s[12:13], s[44:45]
	v_cndmask_b32_e64 v13, 0, 1, s[6:7]
	v_cmp_ne_u32_e64 s[6:7], 0, v10
	v_cmp_ne_u32_e64 s[30:31], 0, v11
	;; [unrolled: 1-line block ×4, first 2 shown]
	s_bcnt1_i32_b64 s6, s[6:7]
	s_bcnt1_i32_b64 s7, s[30:31]
	;; [unrolled: 1-line block ×4, first 2 shown]
	s_add_u32 s6, s6, s28
	s_addc_u32 s28, 0, s29
	s_add_u32 s6, s6, s7
	s_addc_u32 s7, s28, 0
	;; [unrolled: 2-line block ×3, first 2 shown]
	v_cmp_eq_u64_e64 s[46:47], 2, v[18:19]
	s_add_u32 s28, s6, s31
	s_addc_u32 s29, s7, 0
	s_and_b64 s[6:7], s[18:19], s[46:47]
	v_cndmask_b32_e64 v12, 0, 1, s[6:7]
	s_and_b64 s[6:7], s[16:17], s[48:49]
	v_cndmask_b32_e64 v13, 0, 1, s[6:7]
	;; [unrolled: 2-line block ×4, first 2 shown]
	v_cmp_ne_u32_e64 s[6:7], 0, v12
	v_cmp_ne_u32_e64 s[30:31], 0, v13
	;; [unrolled: 1-line block ×4, first 2 shown]
	s_bcnt1_i32_b64 s6, s[6:7]
	s_bcnt1_i32_b64 s7, s[30:31]
	;; [unrolled: 1-line block ×4, first 2 shown]
	s_add_u32 s2, s6, s2
	s_addc_u32 s3, 0, s3
	s_add_u32 s2, s2, s7
	s_addc_u32 s3, s3, 0
	;; [unrolled: 2-line block ×3, first 2 shown]
	v_cmp_eq_u64_e64 s[26:27], 3, v[18:19]
	s_add_u32 s2, s2, s31
	s_addc_u32 s3, s3, 0
	s_and_b64 s[6:7], s[18:19], s[26:27]
	v_cndmask_b32_e64 v14, 0, 1, s[6:7]
	s_and_b64 s[6:7], s[16:17], s[24:25]
	v_cndmask_b32_e64 v15, 0, 1, s[6:7]
	;; [unrolled: 2-line block ×4, first 2 shown]
	v_cmp_ne_u32_e64 s[6:7], 0, v14
	v_cmp_ne_u32_e64 s[12:13], 0, v15
	;; [unrolled: 1-line block ×4, first 2 shown]
	s_bcnt1_i32_b64 s6, s[6:7]
	s_bcnt1_i32_b64 s7, s[12:13]
	;; [unrolled: 1-line block ×4, first 2 shown]
	s_add_u32 s6, s6, s90
	s_addc_u32 s14, 0, s91
	s_add_u32 s6, s6, s7
	s_addc_u32 s7, s14, 0
	;; [unrolled: 2-line block ×4, first 2 shown]
	v_pk_mov_b32 v[8:9], s[66:67], s[66:67] op_sel:[0,1]
	v_pk_mov_b32 v[10:11], s[28:29], s[28:29] op_sel:[0,1]
	;; [unrolled: 1-line block ×3, first 2 shown]
	s_or_b64 s[8:9], vcc, s[8:9]
	v_pk_mov_b32 v[14:15], s[90:91], s[90:91] op_sel:[0,1]
	s_andn2_b64 exec, exec, s[8:9]
	s_cbranch_execnz .LBB45_57
; %bb.58:                               ;   in Loop: Header=BB45_17 Depth=1
	s_or_b64 exec, exec, s[8:9]
	v_readlane_b32 s48, v64, 45
	v_readlane_b32 s50, v64, 47
	;; [unrolled: 1-line block ×4, first 2 shown]
.LBB45_59:                              ;   in Loop: Header=BB45_17 Depth=1
	s_or_b64 exec, exec, s[0:1]
	v_add_co_u32_e32 v32, vcc, v32, v0
	v_addc_co_u32_e32 v33, vcc, 0, v33, vcc
	v_cmp_gt_i64_e32 vcc, s[56:57], v[32:33]
	v_pk_mov_b32 v[34:35], 0, 0
	s_and_saveexec_b64 s[0:1], vcc
	s_cbranch_execz .LBB45_61
; %bb.60:                               ;   in Loop: Header=BB45_17 Depth=1
	v_mul_lo_u32 v18, v33, s62
	v_mul_lo_u32 v36, v32, s63
	v_mad_u64_u32 v[34:35], s[2:3], v32, s62, 0
	v_add3_u32 v35, v35, v36, v18
	v_readlane_b32 s2, v64, 30
	v_lshlrev_b64 v[34:35], 3, v[34:35]
	v_readlane_b32 s3, v64, 31
	v_mov_b32_e32 v18, s3
	v_add_co_u32_e64 v34, s[6:7], s2, v34
	v_addc_co_u32_e64 v35, s[6:7], v18, v35, s[6:7]
	global_load_dwordx2 v[34:35], v[34:35], off
.LBB45_61:                              ;   in Loop: Header=BB45_17 Depth=1
	s_or_b64 exec, exec, s[0:1]
	s_and_saveexec_b64 s[0:1], vcc
	s_cbranch_execz .LBB45_68
; %bb.62:                               ;   in Loop: Header=BB45_17 Depth=1
	v_add_co_u32_e32 v18, vcc, v44, v2
	v_addc_co_u32_e32 v36, vcc, 0, v45, vcc
	v_sub_co_u32_e32 v18, vcc, v18, v4
	v_readlane_b32 s2, v64, 30
	v_subb_co_u32_e32 v4, vcc, v36, v5, vcc
	v_readlane_b32 s3, v64, 31
	v_mul_lo_u32 v36, s64, v4
	v_pk_mov_b32 v[4:5], s[2:3], s[2:3] op_sel:[0,1]
	v_mul_lo_u32 v37, s65, v18
	v_mad_u64_u32 v[4:5], s[2:3], s64, v18, v[4:5]
	v_add3_u32 v5, v37, v5, v36
	v_mul_lo_u32 v18, s65, v2
	v_mul_hi_u32 v36, s64, v2
	s_and_b32 s12, s95, 0xfe
	v_add_u32_e32 v48, v36, v18
	v_mul_lo_u32 v49, s64, v2
	s_mov_b64 s[2:3], 0
	s_branch .LBB45_64
.LBB45_63:                              ;   in Loop: Header=BB45_64 Depth=2
	s_or_b64 exec, exec, s[8:9]
	s_waitcnt vmcnt(0)
	v_ashrrev_i32_e32 v18, 31, v35
	v_or_b32_e32 v50, 0x80000000, v18
	s_and_b64 s[6:7], exec, vcc
	v_xor_b32_e32 v50, v50, v35
	v_xor_b32_e32 v18, v18, v34
	v_cmp_o_f64_e32 vcc, v[34:35], v[34:35]
	v_cndmask_b32_e32 v35, -1, v50, vcc
	v_cndmask_b32_e32 v34, -1, v18, vcc
	v_and_b32_e32 v51, s79, v35
	v_and_b32_e32 v50, s78, v34
	v_lshrrev_b64 v[34:35], s12, v[34:35]
	v_and_b32_e32 v18, 3, v34
	s_or_b64 s[2:3], s[6:7], s[2:3]
	v_cmp_eq_u64_e32 vcc, s[80:81], v[50:51]
	v_cmp_eq_u64_e64 s[6:7], 0, v[18:19]
	s_and_b64 s[6:7], vcc, s[6:7]
	v_cndmask_b32_e64 v34, 0, 1, s[6:7]
	v_cmp_ne_u32_e64 s[6:7], 0, v34
	s_bcnt1_i32_b64 s6, s[6:7]
	v_add_co_u32_e64 v8, s[6:7], s6, v8
	v_addc_co_u32_e64 v9, s[6:7], 0, v9, s[6:7]
	v_cmp_eq_u64_e64 s[6:7], 1, v[18:19]
	s_and_b64 s[6:7], vcc, s[6:7]
	v_cndmask_b32_e64 v34, 0, 1, s[6:7]
	v_cmp_ne_u32_e64 s[6:7], 0, v34
	s_bcnt1_i32_b64 s6, s[6:7]
	v_add_co_u32_e64 v10, s[6:7], s6, v10
	v_addc_co_u32_e64 v11, s[6:7], 0, v11, s[6:7]
	;; [unrolled: 7-line block ×3, first 2 shown]
	v_cmp_eq_u64_e64 s[6:7], 3, v[18:19]
	s_and_b64 s[6:7], vcc, s[6:7]
	v_cndmask_b32_e64 v18, 0, 1, s[6:7]
	v_cmp_ne_u32_e32 vcc, 0, v18
	s_bcnt1_i32_b64 s6, vcc
	v_add_co_u32_e32 v14, vcc, s6, v14
	v_addc_co_u32_e32 v15, vcc, 0, v15, vcc
	v_add_co_u32_e32 v4, vcc, v4, v49
	v_addc_co_u32_e32 v5, vcc, v5, v48, vcc
	v_pk_mov_b32 v[34:35], v[36:37], v[36:37] op_sel:[0,1]
	s_andn2_b64 exec, exec, s[2:3]
	s_cbranch_execz .LBB45_67
.LBB45_64:                              ;   Parent Loop BB45_17 Depth=1
                                        ; =>  This Inner Loop Header: Depth=2
	v_add_co_u32_e32 v32, vcc, v32, v2
	v_addc_co_u32_e32 v33, vcc, 0, v33, vcc
	v_cmp_gt_i64_e64 s[6:7], s[56:57], v[32:33]
	v_cmp_le_i64_e32 vcc, s[56:57], v[32:33]
	v_pk_mov_b32 v[36:37], 0, 0
	s_and_saveexec_b64 s[8:9], s[6:7]
	s_cbranch_execz .LBB45_63
; %bb.65:                               ;   in Loop: Header=BB45_64 Depth=2
	global_load_dwordx2 v[36:37], v[4:5], off
	s_branch .LBB45_63
.LBB45_66:                              ;   in Loop: Header=BB45_17 Depth=1
                                        ; implicit-def: $vgpr14_vgpr15
                                        ; implicit-def: $vgpr10_vgpr11
	s_cbranch_execnz .LBB45_69
	s_branch .LBB45_78
.LBB45_67:                              ;   in Loop: Header=BB45_17 Depth=1
	s_or_b64 exec, exec, s[2:3]
.LBB45_68:                              ;   in Loop: Header=BB45_17 Depth=1
	s_or_b64 exec, exec, s[0:1]
	s_branch .LBB45_78
.LBB45_69:                              ;   in Loop: Header=BB45_17 Depth=1
	global_load_ushort v2, v19, s[50:51]
	v_pk_mov_b32 v[8:9], 0, 0
	v_pk_mov_b32 v[10:11], v[8:9], v[8:9] op_sel:[0,1]
	v_pk_mov_b32 v[12:13], v[8:9], v[8:9] op_sel:[0,1]
	;; [unrolled: 1-line block ×3, first 2 shown]
	s_waitcnt vmcnt(0)
	v_readfirstlane_b32 s0, v2
	s_and_b32 s0, 0xffff, s0
	s_lshl_b32 s55, s0, 2
	v_cvt_f32_u32_e32 v4, s55
	s_sub_i32 s2, 0, s55
	s_mov_b64 s[0:1], 0
	v_and_b32_e32 v2, 0xffff, v2
	v_rcp_iflag_f32_e32 v4, v4
	v_mul_f32_e32 v4, 0x4f7ffffe, v4
	v_cvt_u32_f32_e32 v4, v4
	v_readfirstlane_b32 s3, v4
	s_mul_i32 s2, s2, s3
	s_mul_hi_u32 s2, s3, s2
	s_add_i32 s3, s3, s2
	s_mul_hi_u32 s2, s54, s3
	s_mul_i32 s2, s2, s55
	s_sub_i32 s2, s54, s2
	s_sub_i32 s3, s2, s55
	s_cmp_ge_u32 s2, s55
	s_cselect_b32 s2, s3, s2
	s_sub_i32 s3, s2, s55
	s_cmp_ge_u32 s2, s55
	s_cselect_b32 s2, s3, s2
	s_sub_i32 s84, s54, s2
	v_cmp_gt_u32_e32 vcc, s84, v20
	s_and_saveexec_b64 s[8:9], vcc
	s_cbranch_execz .LBB45_73
; %bb.70:                               ;   in Loop: Header=BB45_17 Depth=1
	s_mov_b32 s92, s87
	s_and_b32 s87, s95, 0xfe
	v_lshlrev_b32_e32 v48, 5, v2
	v_mov_b32_e32 v49, v43
	s_mov_b64 s[2:3], 0
	s_mov_b64 s[28:29], 0
	;; [unrolled: 1-line block ×4, first 2 shown]
	v_pk_mov_b32 v[4:5], v[20:21], v[20:21] op_sel:[0,1]
.LBB45_71:                              ;   Parent Loop BB45_17 Depth=1
                                        ; =>  This Inner Loop Header: Depth=2
	ds_read_b128 v[12:15], v49
	ds_read_b128 v[8:11], v49 offset:16
	v_mov_b32_e32 v33, v19
	v_mov_b32_e32 v35, v19
	;; [unrolled: 1-line block ×3, first 2 shown]
	s_waitcnt lgkmcnt(1)
	v_ashrrev_i32_e32 v18, 31, v13
	v_ashrrev_i32_e32 v32, 31, v15
	s_waitcnt lgkmcnt(0)
	v_ashrrev_i32_e32 v34, 31, v9
	v_ashrrev_i32_e32 v36, 31, v11
	v_xor_b32_e32 v50, v32, v14
	v_cmp_o_f64_e64 s[6:7], v[14:15], v[14:15]
	v_xor_b32_e32 v14, v34, v8
	v_cmp_o_f64_e64 s[12:13], v[8:9], v[8:9]
	v_or_b32_e32 v8, 0x80000000, v18
	v_xor_b32_e32 v51, v36, v10
	v_cmp_o_f64_e64 s[14:15], v[10:11], v[10:11]
	v_xor_b32_e32 v10, v18, v12
	v_or_b32_e32 v18, 0x80000000, v32
	v_or_b32_e32 v32, 0x80000000, v34
	v_cmp_o_f64_e64 s[16:17], v[12:13], v[12:13]
	v_xor_b32_e32 v13, v8, v13
	v_or_b32_e32 v34, 0x80000000, v36
	v_xor_b32_e32 v15, v18, v15
	v_xor_b32_e32 v18, v32, v9
	v_cndmask_b32_e64 v8, -1, v10, s[16:17]
	v_cndmask_b32_e64 v9, -1, v13, s[16:17]
	v_xor_b32_e32 v32, v34, v11
	v_cndmask_b32_e64 v10, -1, v50, s[6:7]
	v_cndmask_b32_e64 v12, -1, v14, s[12:13]
	;; [unrolled: 1-line block ×4, first 2 shown]
	v_and_b32_e32 v50, s78, v8
	v_and_b32_e32 v51, s79, v9
	v_lshrrev_b64 v[8:9], s87, v[8:9]
	v_cndmask_b32_e64 v13, -1, v18, s[12:13]
	v_and_b32_e32 v52, s78, v10
	v_and_b32_e32 v53, s79, v11
	v_lshrrev_b64 v[10:11], s87, v[10:11]
	v_and_b32_e32 v18, 3, v8
	v_cndmask_b32_e64 v15, -1, v32, s[14:15]
	v_and_b32_e32 v54, s78, v12
	v_and_b32_e32 v55, s79, v13
	v_lshrrev_b64 v[12:13], s87, v[12:13]
	v_cmp_eq_u64_e64 s[18:19], s[80:81], v[50:51]
	v_and_b32_e32 v32, 3, v10
	v_cmp_eq_u64_e64 s[6:7], 0, v[18:19]
	v_and_b32_e32 v56, s78, v14
	v_and_b32_e32 v57, s79, v15
	v_lshrrev_b64 v[14:15], s87, v[14:15]
	v_cmp_eq_u64_e64 s[16:17], s[80:81], v[52:53]
	v_and_b32_e32 v34, 3, v12
	v_cmp_eq_u64_e64 s[30:31], 0, v[32:33]
	s_and_b64 s[6:7], s[18:19], s[6:7]
	v_cmp_eq_u64_e64 s[14:15], s[80:81], v[54:55]
	v_and_b32_e32 v36, 3, v14
	v_cmp_eq_u64_e64 s[34:35], 0, v[34:35]
	v_cndmask_b32_e64 v8, 0, 1, s[6:7]
	s_and_b64 s[6:7], s[16:17], s[30:31]
	v_cmp_eq_u64_e64 s[12:13], s[80:81], v[56:57]
	v_cmp_eq_u64_e64 s[36:37], 0, v[36:37]
	v_cndmask_b32_e64 v9, 0, 1, s[6:7]
	s_and_b64 s[6:7], s[14:15], s[34:35]
	v_cndmask_b32_e64 v10, 0, 1, s[6:7]
	s_and_b64 s[6:7], s[12:13], s[36:37]
	v_cndmask_b32_e64 v11, 0, 1, s[6:7]
	v_cmp_ne_u32_e64 s[6:7], 0, v8
	v_cmp_ne_u32_e64 s[30:31], 0, v9
	v_cmp_ne_u32_e64 s[34:35], 0, v10
	v_cmp_ne_u32_e64 s[36:37], 0, v11
	s_bcnt1_i32_b64 s6, s[6:7]
	s_bcnt1_i32_b64 s7, s[30:31]
	s_bcnt1_i32_b64 s30, s[34:35]
	s_bcnt1_i32_b64 s31, s[36:37]
	s_add_u32 s6, s6, s90
	s_addc_u32 s34, 0, s91
	s_add_u32 s6, s6, s7
	s_addc_u32 s7, s34, 0
	s_add_u32 s6, s6, s30
	s_addc_u32 s7, s7, 0
	v_cmp_eq_u64_e64 s[38:39], 1, v[18:19]
	s_add_u32 s90, s6, s31
	v_cmp_eq_u64_e64 s[40:41], 1, v[32:33]
	s_addc_u32 s91, s7, 0
	s_and_b64 s[6:7], s[18:19], s[38:39]
	v_cmp_eq_u64_e64 s[42:43], 1, v[34:35]
	v_cndmask_b32_e64 v10, 0, 1, s[6:7]
	s_and_b64 s[6:7], s[16:17], s[40:41]
	v_cmp_eq_u64_e64 s[44:45], 1, v[36:37]
	v_cndmask_b32_e64 v11, 0, 1, s[6:7]
	s_and_b64 s[6:7], s[14:15], s[42:43]
	v_cndmask_b32_e64 v12, 0, 1, s[6:7]
	s_and_b64 s[6:7], s[12:13], s[44:45]
	v_cndmask_b32_e64 v13, 0, 1, s[6:7]
	v_cmp_ne_u32_e64 s[6:7], 0, v10
	v_cmp_ne_u32_e64 s[30:31], 0, v11
	v_cmp_ne_u32_e64 s[34:35], 0, v12
	v_cmp_ne_u32_e64 s[36:37], 0, v13
	s_bcnt1_i32_b64 s6, s[6:7]
	s_bcnt1_i32_b64 s7, s[30:31]
	s_bcnt1_i32_b64 s30, s[34:35]
	s_bcnt1_i32_b64 s31, s[36:37]
	s_add_u32 s6, s6, s66
	s_addc_u32 s34, 0, s67
	s_add_u32 s6, s6, s7
	s_addc_u32 s7, s34, 0
	s_add_u32 s6, s6, s30
	s_addc_u32 s7, s7, 0
	v_cmp_eq_u64_e64 s[46:47], 2, v[18:19]
	s_add_u32 s66, s6, s31
	v_cmp_eq_u64_e64 s[48:49], 2, v[32:33]
	s_addc_u32 s67, s7, 0
	s_and_b64 s[6:7], s[18:19], s[46:47]
	v_cmp_eq_u64_e64 s[50:51], 2, v[34:35]
	v_cndmask_b32_e64 v12, 0, 1, s[6:7]
	s_and_b64 s[6:7], s[16:17], s[48:49]
	v_cmp_eq_u64_e64 s[52:53], 2, v[36:37]
	v_cndmask_b32_e64 v13, 0, 1, s[6:7]
	s_and_b64 s[6:7], s[14:15], s[50:51]
	v_cndmask_b32_e64 v14, 0, 1, s[6:7]
	s_and_b64 s[6:7], s[12:13], s[52:53]
	v_cndmask_b32_e64 v15, 0, 1, s[6:7]
	v_cmp_ne_u32_e64 s[6:7], 0, v12
	v_cmp_ne_u32_e64 s[30:31], 0, v13
	v_cmp_ne_u32_e64 s[34:35], 0, v14
	v_cmp_ne_u32_e64 s[36:37], 0, v15
	s_bcnt1_i32_b64 s6, s[6:7]
	s_bcnt1_i32_b64 s7, s[30:31]
	s_bcnt1_i32_b64 s30, s[34:35]
	s_bcnt1_i32_b64 s31, s[36:37]
	s_add_u32 s6, s6, s28
	s_addc_u32 s28, 0, s29
	s_add_u32 s6, s6, s7
	s_addc_u32 s7, s28, 0
	s_add_u32 s6, s6, s30
	s_addc_u32 s7, s7, 0
	v_cmp_eq_u64_e64 s[26:27], 3, v[18:19]
	s_add_u32 s28, s6, s31
	v_cmp_eq_u64_e64 s[24:25], 3, v[32:33]
	s_addc_u32 s29, s7, 0
	s_and_b64 s[6:7], s[18:19], s[26:27]
	v_cmp_eq_u64_e64 s[22:23], 3, v[34:35]
	v_cndmask_b32_e64 v14, 0, 1, s[6:7]
	s_and_b64 s[6:7], s[16:17], s[24:25]
	v_cmp_eq_u64_e64 s[20:21], 3, v[36:37]
	v_cndmask_b32_e64 v15, 0, 1, s[6:7]
	s_and_b64 s[6:7], s[14:15], s[22:23]
	v_cndmask_b32_e64 v18, 0, 1, s[6:7]
	s_and_b64 s[6:7], s[12:13], s[20:21]
	v_cndmask_b32_e64 v32, 0, 1, s[6:7]
	v_cmp_ne_u32_e64 s[6:7], 0, v14
	v_cmp_ne_u32_e64 s[12:13], 0, v15
	;; [unrolled: 1-line block ×4, first 2 shown]
	s_bcnt1_i32_b64 s6, s[6:7]
	s_bcnt1_i32_b64 s7, s[12:13]
	;; [unrolled: 1-line block ×4, first 2 shown]
	s_add_u32 s2, s6, s2
	s_addc_u32 s3, 0, s3
	s_add_u32 s2, s2, s7
	s_addc_u32 s3, s3, 0
	s_add_u32 s2, s2, s12
	v_add_co_u32_e32 v4, vcc, s55, v4
	s_addc_u32 s3, s3, 0
	v_addc_co_u32_e32 v5, vcc, 0, v5, vcc
	s_add_u32 s2, s2, s13
	v_cmp_le_u64_e32 vcc, s[84:85], v[4:5]
	s_addc_u32 s3, s3, 0
	v_add_u32_e32 v49, v49, v48
	v_pk_mov_b32 v[8:9], s[90:91], s[90:91] op_sel:[0,1]
	v_pk_mov_b32 v[10:11], s[66:67], s[66:67] op_sel:[0,1]
	;; [unrolled: 1-line block ×3, first 2 shown]
	s_or_b64 s[0:1], vcc, s[0:1]
	v_pk_mov_b32 v[14:15], s[2:3], s[2:3] op_sel:[0,1]
	s_andn2_b64 exec, exec, s[0:1]
	s_cbranch_execnz .LBB45_71
; %bb.72:                               ;   in Loop: Header=BB45_17 Depth=1
	s_or_b64 exec, exec, s[0:1]
	v_readlane_b32 s48, v64, 45
	v_readlane_b32 s50, v64, 47
	;; [unrolled: 1-line block ×3, first 2 shown]
	s_mov_b32 s87, s92
	v_readlane_b32 s51, v64, 48
.LBB45_73:                              ;   in Loop: Header=BB45_17 Depth=1
	s_or_b64 exec, exec, s[8:9]
	v_add_u32_e32 v18, s84, v0
	v_cmp_gt_u32_e32 vcc, s54, v18
	s_and_saveexec_b64 s[0:1], vcc
	s_cbranch_execz .LBB45_77
; %bb.74:                               ;   in Loop: Header=BB45_17 Depth=1
	s_and_b32 s84, s54, 0x7fffffff
	s_and_b32 s8, s95, 0xfe
	v_lshlrev_b32_e32 v32, 3, v18
	v_lshlrev_b32_e32 v33, 3, v2
	s_mov_b64 s[2:3], 0
	v_pk_mov_b32 v[4:5], v[18:19], v[18:19] op_sel:[0,1]
.LBB45_75:                              ;   Parent Loop BB45_17 Depth=1
                                        ; =>  This Inner Loop Header: Depth=2
	ds_read_b64 v[34:35], v32
	v_add_co_u32_e32 v4, vcc, v4, v2
	v_addc_co_u32_e32 v5, vcc, 0, v5, vcc
	s_waitcnt lgkmcnt(0)
	v_ashrrev_i32_e32 v18, 31, v35
	v_or_b32_e32 v36, 0x80000000, v18
	v_xor_b32_e32 v18, v18, v34
	v_cmp_o_f64_e64 s[6:7], v[34:35], v[34:35]
	v_xor_b32_e32 v35, v36, v35
	v_cndmask_b32_e64 v34, -1, v18, s[6:7]
	v_cndmask_b32_e64 v35, -1, v35, s[6:7]
	v_and_b32_e32 v36, s78, v34
	v_and_b32_e32 v37, s79, v35
	v_lshrrev_b64 v[34:35], s8, v[34:35]
	v_and_b32_e32 v18, 3, v34
	v_cmp_eq_u64_e64 s[6:7], s[80:81], v[36:37]
	v_cmp_eq_u64_e64 s[12:13], 0, v[18:19]
	;; [unrolled: 1-line block ×3, first 2 shown]
	s_and_b64 s[12:13], s[6:7], s[12:13]
	v_cmp_eq_u64_e64 s[16:17], 2, v[18:19]
	v_cmp_eq_u64_e64 s[18:19], 3, v[18:19]
	v_cndmask_b32_e64 v18, 0, 1, s[12:13]
	s_and_b64 s[12:13], s[6:7], s[14:15]
	v_cndmask_b32_e64 v34, 0, 1, s[12:13]
	s_and_b64 s[12:13], s[6:7], s[16:17]
	s_and_b64 s[6:7], s[6:7], s[18:19]
	v_cndmask_b32_e64 v35, 0, 1, s[12:13]
	v_cndmask_b32_e64 v36, 0, 1, s[6:7]
	v_cmp_ne_u32_e64 s[6:7], 0, v18
	v_cmp_ne_u32_e64 s[12:13], 0, v34
	;; [unrolled: 1-line block ×4, first 2 shown]
	v_cmp_le_u64_e32 vcc, s[84:85], v[4:5]
	s_bcnt1_i32_b64 s6, s[6:7]
	s_bcnt1_i32_b64 s7, s[12:13]
	;; [unrolled: 1-line block ×4, first 2 shown]
	s_or_b64 s[2:3], vcc, s[2:3]
	v_add_co_u32_e32 v8, vcc, s6, v8
	v_addc_co_u32_e32 v9, vcc, 0, v9, vcc
	v_add_co_u32_e32 v10, vcc, s7, v10
	v_addc_co_u32_e32 v11, vcc, 0, v11, vcc
	;; [unrolled: 2-line block ×3, first 2 shown]
	v_add_co_u32_e32 v14, vcc, s12, v14
	v_add_u32_e32 v32, v32, v33
	v_addc_co_u32_e32 v15, vcc, 0, v15, vcc
	s_andn2_b64 exec, exec, s[2:3]
	s_cbranch_execnz .LBB45_75
; %bb.76:                               ;   in Loop: Header=BB45_17 Depth=1
	s_or_b64 exec, exec, s[2:3]
.LBB45_77:                              ;   in Loop: Header=BB45_17 Depth=1
	s_or_b64 exec, exec, s[0:1]
.LBB45_78:                              ;   in Loop: Header=BB45_17 Depth=1
	s_lshl_b32 s2, s86, 6
	s_and_saveexec_b64 s[0:1], s[4:5]
	s_cbranch_execz .LBB45_80
; %bb.79:                               ;   in Loop: Header=BB45_17 Depth=1
	v_or_b32_e32 v2, s2, v41
	v_lshlrev_b32_e32 v2, 3, v2
	ds_write_b128 v2, v[8:11] offset:3072
	ds_write_b128 v2, v[12:15] offset:3088
.LBB45_80:                              ;   in Loop: Header=BB45_17 Depth=1
	s_or_b64 exec, exec, s[0:1]
	s_waitcnt lgkmcnt(0)
	s_barrier
	s_and_saveexec_b64 s[0:1], s[48:49]
	s_cbranch_execz .LBB45_92
; %bb.81:                               ;   in Loop: Header=BB45_17 Depth=1
	v_readlane_b32 s6, v64, 34
	v_readlane_b32 s7, v64, 35
	s_andn2_b64 vcc, exec, s[6:7]
	s_waitcnt vmcnt(0)
	v_pk_mov_b32 v[4:5], 0, 0
	s_cbranch_vccnz .LBB45_91
; %bb.82:                               ;   in Loop: Header=BB45_17 Depth=1
	v_readlane_b32 s6, v64, 38
	v_readlane_b32 s7, v64, 39
	s_andn2_b64 vcc, exec, s[6:7]
	s_cbranch_vccnz .LBB45_87
; %bb.83:                               ;   in Loop: Header=BB45_17 Depth=1
	v_lshl_add_u32 v2, s86, 9, v46
	s_mov_b32 s3, 0
	v_pk_mov_b32 v[4:5], 0, 0
.LBB45_84:                              ;   Parent Loop BB45_17 Depth=1
                                        ; =>  This Inner Loop Header: Depth=2
	ds_read2_b64 v[8:11], v2 offset1:4
	ds_read2_b64 v[12:15], v2 offset0:8 offset1:12
	ds_read2_b64 v[32:35], v2 offset0:16 offset1:20
	;; [unrolled: 1-line block ×3, first 2 shown]
	s_add_i32 s3, s3, 8
	s_waitcnt lgkmcnt(3)
	v_add_co_u32_e32 v4, vcc, v8, v4
	v_addc_co_u32_e32 v5, vcc, v9, v5, vcc
	v_add_co_u32_e32 v4, vcc, v10, v4
	v_addc_co_u32_e32 v5, vcc, v11, v5, vcc
	s_waitcnt lgkmcnt(2)
	v_add_co_u32_e32 v4, vcc, v12, v4
	v_addc_co_u32_e32 v5, vcc, v13, v5, vcc
	v_add_co_u32_e32 v4, vcc, v14, v4
	v_addc_co_u32_e32 v5, vcc, v15, v5, vcc
	;; [unrolled: 5-line block ×3, first 2 shown]
	s_waitcnt lgkmcnt(0)
	v_add_co_u32_e32 v4, vcc, v48, v4
	v_addc_co_u32_e32 v5, vcc, v49, v5, vcc
	v_add_co_u32_e32 v4, vcc, v50, v4
	v_add_u32_e32 v2, 0x100, v2
	s_cmp_eq_u32 s89, s3
	v_addc_co_u32_e32 v5, vcc, v51, v5, vcc
	s_cbranch_scc0 .LBB45_84
; %bb.85:                               ;   in Loop: Header=BB45_17 Depth=1
	s_mov_b32 s3, s89
	s_branch .LBB45_88
.LBB45_86:                              ;   in Loop: Header=BB45_17 Depth=1
                                        ; implicit-def: $vgpr4_vgpr5
	s_branch .LBB45_54
.LBB45_87:                              ;   in Loop: Header=BB45_17 Depth=1
	s_mov_b32 s3, 0
	v_pk_mov_b32 v[4:5], 0, 0
.LBB45_88:                              ;   in Loop: Header=BB45_17 Depth=1
	v_readlane_b32 s6, v64, 41
	v_readlane_b32 s7, v64, 42
	s_andn2_b64 vcc, exec, s[6:7]
	s_cbranch_vccnz .LBB45_91
; %bb.89:                               ;   in Loop: Header=BB45_17 Depth=1
	s_lshl_b32 s6, s86, 9
	s_lshl_b32 s3, s3, 5
	s_add_i32 s6, s6, s3
	v_add_u32_e32 v2, s6, v46
	v_readlane_b32 s3, v64, 40
.LBB45_90:                              ;   Parent Loop BB45_17 Depth=1
                                        ; =>  This Inner Loop Header: Depth=2
	ds_read_b64 v[8:9], v2
	s_add_i32 s3, s3, -1
	v_add_u32_e32 v2, 32, v2
	s_cmp_lg_u32 s3, 0
	s_waitcnt lgkmcnt(0)
	v_add_co_u32_e32 v4, vcc, v8, v4
	v_addc_co_u32_e32 v5, vcc, v9, v5, vcc
	s_cbranch_scc1 .LBB45_90
.LBB45_91:                              ;   in Loop: Header=BB45_17 Depth=1
	v_add_lshl_u32 v2, s2, v38, 3
	ds_write_b64 v2, v[4:5] offset:3072
.LBB45_92:                              ;   in Loop: Header=BB45_17 Depth=1
	s_or_b64 exec, exec, s[0:1]
	s_lshl_b32 s0, s2, 3
	v_mov_b32_e32 v2, s0
	s_waitcnt lgkmcnt(0)
	s_barrier
	ds_read_b128 v[8:11], v2 offset:3072
	ds_read_b128 v[12:15], v2 offset:3088
	s_and_b32 s28, s95, 0xfe
	s_lshl_b64 s[14:15], 3, s28
	s_not_b64 s[22:23], s[14:15]
	s_waitcnt lgkmcnt(1)
	v_readfirstlane_b32 s19, v9
	v_readfirstlane_b32 s18, v8
	s_cmp_eq_u64 s[18:19], 1
	s_cselect_b64 s[0:1], -1, 0
	s_cmp_eq_u64 s[58:59], 1
	s_cselect_b64 s[2:3], -1, 0
	s_and_b64 s[26:27], s[0:1], s[2:3]
	v_readfirstlane_b32 s36, v10
	v_readfirstlane_b32 s37, v11
	s_waitcnt lgkmcnt(0)
	v_readfirstlane_b32 s20, v12
	v_readfirstlane_b32 s21, v13
	;; [unrolled: 1-line block ×4, first 2 shown]
	s_mov_b64 s[24:25], -1
	s_and_b64 vcc, exec, s[26:27]
	s_cbranch_vccz .LBB45_107
; %bb.93:                               ;   in Loop: Header=BB45_17 Depth=1
	s_waitcnt vmcnt(0)
	ds_read_b64 v[4:5], v19 offset:5120
	s_waitcnt lgkmcnt(0)
	s_barrier
	v_readfirstlane_b32 s16, v4
	v_readfirstlane_b32 s17, v5
	s_mov_b64 s[0:1], exec
	v_readlane_b32 s2, v64, 24
	v_readlane_b32 s3, v64, 25
	s_and_b64 s[2:3], s[0:1], s[2:3]
	s_mov_b64 exec, s[2:3]
	s_cbranch_execz .LBB45_95
; %bb.94:                               ;   in Loop: Header=BB45_17 Depth=1
	v_mov_b32_e32 v18, v19
	ds_write_b64 v40, v[18:19]
.LBB45_95:                              ;   in Loop: Header=BB45_17 Depth=1
	s_or_b64 exec, exec, s[0:1]
	v_cmp_lt_i64_e64 s[0:1], s[16:17], 1
	s_and_b64 s[80:81], s[80:81], s[22:23]
	s_or_b64 s[78:79], s[78:79], s[14:15]
	s_and_b64 vcc, exec, s[0:1]
	s_waitcnt lgkmcnt(0)
	s_barrier
	s_cbranch_vccz .LBB45_108
; %bb.96:                               ;   in Loop: Header=BB45_17 Depth=1
	s_mov_b32 s92, s85
	s_cmp_lg_u64 s[92:93], 0
	s_cbranch_scc0 .LBB45_153
; %bb.97:                               ;   in Loop: Header=BB45_17 Depth=1
	v_cvt_f32_u32_e32 v2, s33
	s_sub_u32 s0, 0, s33
	s_subb_u32 s1, 0, 0
	v_mac_f32_e32 v2, 0x4f800000, v47
	v_rcp_f32_e32 v2, v2
	v_mul_f32_e32 v2, 0x5f7ffffc, v2
	v_mul_f32_e32 v4, 0x2f800000, v2
	v_trunc_f32_e32 v4, v4
	v_mac_f32_e32 v2, 0xcf800000, v4
	v_cvt_u32_f32_e32 v4, v4
	v_cvt_u32_f32_e32 v2, v2
	v_readfirstlane_b32 s2, v4
	v_readfirstlane_b32 s3, v2
	s_mul_i32 s6, s0, s2
	s_mul_hi_u32 s8, s0, s3
	s_mul_i32 s7, s1, s3
	s_add_i32 s6, s8, s6
	s_mul_i32 s9, s0, s3
	s_add_i32 s6, s6, s7
	s_mul_hi_u32 s8, s3, s9
	s_mul_hi_u32 s7, s3, s6
	s_mul_i32 s3, s3, s6
	s_add_u32 s3, s8, s3
	s_addc_u32 s7, 0, s7
	s_mul_hi_u32 s29, s2, s9
	s_mul_i32 s9, s2, s9
	s_add_u32 s3, s3, s9
	s_mul_hi_u32 s8, s2, s6
	s_addc_u32 s3, s7, s29
	s_addc_u32 s7, s8, 0
	s_mul_i32 s6, s2, s6
	s_add_u32 s3, s3, s6
	s_addc_u32 s6, 0, s7
	v_add_co_u32_e32 v2, vcc, s3, v2
	s_cmp_lg_u64 vcc, 0
	s_addc_u32 s2, s2, s6
	v_readfirstlane_b32 s6, v2
	s_mul_i32 s3, s0, s2
	s_mul_hi_u32 s7, s0, s6
	s_add_i32 s3, s7, s3
	s_mul_i32 s1, s1, s6
	s_add_i32 s3, s3, s1
	s_mul_i32 s0, s0, s6
	s_mul_hi_u32 s7, s2, s0
	s_mul_i32 s8, s2, s0
	s_mul_i32 s29, s6, s3
	s_mul_hi_u32 s0, s6, s0
	s_mul_hi_u32 s9, s6, s3
	s_add_u32 s0, s0, s29
	s_addc_u32 s6, 0, s9
	s_add_u32 s0, s0, s8
	s_mul_hi_u32 s1, s2, s3
	s_addc_u32 s0, s6, s7
	s_addc_u32 s1, s1, 0
	s_mul_i32 s3, s2, s3
	s_add_u32 s0, s0, s3
	s_addc_u32 s1, 0, s1
	v_add_co_u32_e32 v2, vcc, s0, v2
	s_cmp_lg_u64 vcc, 0
	s_addc_u32 s6, s2, s1
	s_ashr_i32 s0, s93, 31
	s_add_u32 s2, s87, s0
	s_mov_b32 s1, s0
	s_addc_u32 s3, s93, s0
	s_xor_b64 s[2:3], s[2:3], s[0:1]
	v_readfirstlane_b32 s8, v2
	s_mul_i32 s7, s2, s6
	s_mul_hi_u32 s9, s2, s8
	s_mul_hi_u32 s1, s2, s6
	s_add_u32 s7, s9, s7
	s_addc_u32 s1, 0, s1
	s_mul_hi_u32 s29, s3, s8
	s_mul_i32 s8, s3, s8
	s_add_u32 s7, s7, s8
	s_mul_hi_u32 s9, s3, s6
	s_addc_u32 s1, s1, s29
	s_addc_u32 s7, s9, 0
	s_mul_i32 s6, s3, s6
	s_add_u32 s1, s1, s6
	s_addc_u32 s6, 0, s7
	s_mul_hi_u32 s7, s33, s1
	s_mul_i32 s1, s33, s1
	s_mul_i32 s6, s33, s6
	v_mov_b32_e32 v2, s1
	s_add_i32 s7, s7, s6
	v_sub_co_u32_e32 v2, vcc, s2, v2
	s_cmp_lg_u64 vcc, 0
	s_subb_u32 s1, s3, s7
	v_subrev_co_u32_e32 v4, vcc, s33, v2
	s_cmp_lg_u64 vcc, 0
	s_subb_u32 s2, s1, 0
	v_subrev_co_u32_e32 v5, vcc, s33, v4
	s_cmp_lg_u64 vcc, 0
	s_subb_u32 s3, s2, 0
	v_cmp_le_u32_e32 vcc, s33, v4
	s_cmp_eq_u32 s2, 0
	v_cndmask_b32_e64 v6, 0, -1, vcc
	s_cselect_b64 vcc, -1, 0
	v_cndmask_b32_e32 v6, -1, v6, vcc
	v_mov_b32_e32 v7, s2
	v_mov_b32_e32 v8, s3
	v_cmp_ne_u32_e32 vcc, 0, v6
	v_cndmask_b32_e32 v6, v7, v8, vcc
	v_cndmask_b32_e32 v4, v4, v5, vcc
	v_cmp_le_u32_e32 vcc, s33, v2
	s_cmp_eq_u32 s1, 0
	v_cndmask_b32_e64 v5, 0, -1, vcc
	s_cselect_b64 vcc, -1, 0
	v_cndmask_b32_e32 v5, -1, v5, vcc
	v_cmp_ne_u32_e32 vcc, 0, v5
	v_mov_b32_e32 v7, s1
	v_cndmask_b32_e32 v2, v2, v4, vcc
	v_cndmask_b32_e32 v5, v7, v6, vcc
	v_xor_b32_e32 v2, s0, v2
	v_xor_b32_e32 v5, s0, v5
	v_mov_b32_e32 v6, s0
	v_subrev_co_u32_e32 v4, vcc, s0, v2
	v_subb_co_u32_e32 v5, vcc, v5, v6, vcc
	s_cbranch_execnz .LBB45_99
.LBB45_98:                              ;   in Loop: Header=BB45_17 Depth=1
	v_cvt_f32_u32_e32 v2, s33
	s_sub_i32 s0, 0, s33
	v_rcp_iflag_f32_e32 v2, v2
	v_mul_f32_e32 v2, 0x4f7ffffe, v2
	v_cvt_u32_f32_e32 v2, v2
	v_mul_lo_u32 v4, s0, v2
	v_mul_hi_u32 v4, v2, v4
	v_add_u32_e32 v2, v2, v4
	v_mul_hi_u32 v2, s87, v2
	v_mul_lo_u32 v2, v2, s33
	v_sub_u32_e32 v2, s87, v2
	v_subrev_u32_e32 v4, s33, v2
	v_cmp_le_u32_e32 vcc, s33, v2
	v_cndmask_b32_e32 v2, v2, v4, vcc
	v_subrev_u32_e32 v4, s33, v2
	v_cmp_le_u32_e32 vcc, s33, v2
	v_cndmask_b32_e32 v18, v2, v4, vcc
	v_pk_mov_b32 v[4:5], v[18:19], v[18:19] op_sel:[0,1]
.LBB45_99:                              ;   in Loop: Header=BB45_17 Depth=1
	v_mov_b32_e32 v2, s93
	v_sub_co_u32_e32 v8, vcc, s87, v4
	v_subb_co_u32_e32 v9, vcc, v2, v5, vcc
	v_cmp_gt_i64_e32 vcc, v[8:9], v[0:1]
	s_mov_b64 s[0:1], 0
                                        ; implicit-def: $vgpr6_vgpr7
	s_and_saveexec_b64 s[2:3], vcc
	s_cbranch_execz .LBB45_110
; %bb.100:                              ;   in Loop: Header=BB45_17 Depth=1
	s_mov_b64 s[8:9], 0
	v_pk_mov_b32 v[10:11], v[16:17], v[16:17] op_sel:[0,1]
	v_pk_mov_b32 v[12:13], v[0:1], v[0:1] op_sel:[0,1]
                                        ; implicit-def: $sgpr0_sgpr1
	s_branch .LBB45_102
.LBB45_101:                             ;   in Loop: Header=BB45_102 Depth=2
	s_or_b64 exec, exec, s[6:7]
	s_waitcnt lgkmcnt(0)
	s_barrier
	s_waitcnt vmcnt(0)
	ds_read_b128 v[4:7], v19 offset:3072
	v_mov_b32_e32 v2, s88
	v_add_co_u32_e64 v12, s[6:7], s33, v12
	v_addc_co_u32_e64 v13, s[6:7], v13, v2, s[6:7]
	s_waitcnt lgkmcnt(0)
	v_cmp_neq_f64_e32 vcc, 0, v[4:5]
	v_cmp_ge_i64_e64 s[6:7], v[12:13], v[8:9]
	s_or_b64 s[30:31], vcc, s[6:7]
	v_mov_b32_e32 v2, s83
	v_add_co_u32_e64 v10, s[6:7], s82, v10
	v_addc_co_u32_e64 v11, s[6:7], v11, v2, s[6:7]
	s_and_b64 s[6:7], exec, s[30:31]
	s_or_b64 s[8:9], s[6:7], s[8:9]
	s_andn2_b64 s[0:1], s[0:1], exec
	s_and_b64 s[6:7], vcc, exec
	s_or_b64 s[0:1], s[0:1], s[6:7]
	s_barrier
	s_andn2_b64 exec, exec, s[8:9]
	s_cbranch_execz .LBB45_109
.LBB45_102:                             ;   Parent Loop BB45_17 Depth=1
                                        ; =>  This Inner Loop Header: Depth=2
	v_cmp_gt_i64_e32 vcc, s[56:57], v[12:13]
	v_pk_mov_b32 v[4:5], 0, 0
	s_and_saveexec_b64 s[6:7], vcc
	s_cbranch_execz .LBB45_104
; %bb.103:                              ;   in Loop: Header=BB45_102 Depth=2
	global_load_dwordx2 v[4:5], v[10:11], off
.LBB45_104:                             ;   in Loop: Header=BB45_102 Depth=2
	s_or_b64 exec, exec, s[6:7]
	s_and_saveexec_b64 s[6:7], vcc
	s_cbranch_execz .LBB45_101
; %bb.105:                              ;   in Loop: Header=BB45_102 Depth=2
	s_waitcnt vmcnt(0)
	v_ashrrev_i32_e32 v2, 31, v5
	v_or_b32_e32 v6, 0x80000000, v2
	v_xor_b32_e32 v6, v6, v5
	v_xor_b32_e32 v2, v2, v4
	v_cmp_o_f64_e32 vcc, v[4:5], v[4:5]
	v_cndmask_b32_e32 v6, -1, v6, vcc
	v_cndmask_b32_e32 v2, -1, v2, vcc
	v_and_b32_e32 v7, s79, v6
	v_and_b32_e32 v6, s78, v2
	v_cmp_eq_u64_e32 vcc, s[80:81], v[6:7]
	s_and_b64 exec, exec, vcc
	s_cbranch_execz .LBB45_101
; %bb.106:                              ;   in Loop: Header=BB45_102 Depth=2
	v_mov_b32_e32 v2, v19
	ds_write_b128 v19, v[2:5] offset:3072
	s_branch .LBB45_101
.LBB45_107:                             ;   in Loop: Header=BB45_17 Depth=1
	s_mov_b64 s[0:1], -1
                                        ; implicit-def: $sgpr2_sgpr3
                                        ; implicit-def: $sgpr8_sgpr9
                                        ; implicit-def: $sgpr6_sgpr7
	s_branch .LBB45_124
.LBB45_108:                             ;   in Loop: Header=BB45_17 Depth=1
	s_mov_b64 s[2:3], -1
	s_mov_b64 s[0:1], 0
                                        ; implicit-def: $sgpr6_sgpr7
                                        ; implicit-def: $vgpr6_vgpr7
	s_mov_b64 s[8:9], s[2:3]
	s_cbranch_execnz .LBB45_111
	s_branch .LBB45_124
.LBB45_109:                             ;   in Loop: Header=BB45_17 Depth=1
	s_or_b64 exec, exec, s[8:9]
	s_and_b64 s[0:1], s[0:1], exec
.LBB45_110:                             ;   in Loop: Header=BB45_17 Depth=1
	s_or_b64 exec, exec, s[2:3]
	s_mov_b64 s[6:7], -1
	s_mov_b64 s[2:3], 0
	s_mov_b64 s[8:9], s[2:3]
	s_branch .LBB45_124
.LBB45_111:                             ;   in Loop: Header=BB45_17 Depth=1
	v_readlane_b32 s0, v64, 36
	s_add_u32 s6, s0, s16
	v_readlane_b32 s0, v64, 37
	s_addc_u32 s1, s0, s17
	s_mov_b32 s0, s85
	s_cmp_lg_u64 s[0:1], 0
	s_cbranch_scc0 .LBB45_154
; %bb.112:                              ;   in Loop: Header=BB45_17 Depth=1
	v_cvt_f32_u32_e32 v2, s33
	s_sub_u32 s0, 0, s33
	s_subb_u32 s2, 0, 0
	v_mac_f32_e32 v2, 0x4f800000, v47
	v_rcp_f32_e32 v2, v2
	v_mul_f32_e32 v2, 0x5f7ffffc, v2
	v_mul_f32_e32 v4, 0x2f800000, v2
	v_trunc_f32_e32 v4, v4
	v_mac_f32_e32 v2, 0xcf800000, v4
	v_cvt_u32_f32_e32 v4, v4
	v_cvt_u32_f32_e32 v2, v2
	v_readfirstlane_b32 s3, v4
	v_readfirstlane_b32 s7, v2
	s_mul_i32 s8, s0, s3
	s_mul_hi_u32 s29, s0, s7
	s_mul_i32 s9, s2, s7
	s_add_i32 s8, s29, s8
	s_mul_i32 s30, s0, s7
	s_add_i32 s8, s8, s9
	s_mul_hi_u32 s29, s7, s30
	s_mul_hi_u32 s9, s7, s8
	s_mul_i32 s7, s7, s8
	s_add_u32 s7, s29, s7
	s_addc_u32 s9, 0, s9
	s_mul_hi_u32 s31, s3, s30
	s_mul_i32 s30, s3, s30
	s_add_u32 s7, s7, s30
	s_mul_hi_u32 s29, s3, s8
	s_addc_u32 s7, s9, s31
	s_addc_u32 s9, s29, 0
	s_mul_i32 s8, s3, s8
	s_add_u32 s7, s7, s8
	s_addc_u32 s8, 0, s9
	v_add_co_u32_e32 v2, vcc, s7, v2
	s_cmp_lg_u64 vcc, 0
	s_addc_u32 s3, s3, s8
	v_readfirstlane_b32 s8, v2
	s_mul_i32 s7, s0, s3
	s_mul_hi_u32 s9, s0, s8
	s_add_i32 s7, s9, s7
	s_mul_i32 s2, s2, s8
	s_add_i32 s7, s7, s2
	s_mul_i32 s0, s0, s8
	s_mul_hi_u32 s9, s3, s0
	s_mul_i32 s29, s3, s0
	s_mul_i32 s31, s8, s7
	s_mul_hi_u32 s0, s8, s0
	s_mul_hi_u32 s30, s8, s7
	s_add_u32 s0, s0, s31
	s_addc_u32 s8, 0, s30
	s_add_u32 s0, s0, s29
	s_mul_hi_u32 s2, s3, s7
	s_addc_u32 s0, s8, s9
	s_addc_u32 s2, s2, 0
	s_mul_i32 s7, s3, s7
	s_add_u32 s0, s0, s7
	s_addc_u32 s2, 0, s2
	v_add_co_u32_e32 v2, vcc, s0, v2
	s_cmp_lg_u64 vcc, 0
	s_addc_u32 s0, s3, s2
	s_ashr_i32 s2, s1, 31
	s_add_u32 s8, s6, s2
	s_mov_b32 s3, s2
	s_addc_u32 s9, s1, s2
	s_xor_b64 s[8:9], s[8:9], s[2:3]
	v_readfirstlane_b32 s29, v2
	s_mul_i32 s7, s8, s0
	s_mul_hi_u32 s30, s8, s29
	s_mul_hi_u32 s3, s8, s0
	s_add_u32 s7, s30, s7
	s_addc_u32 s3, 0, s3
	s_mul_hi_u32 s31, s9, s29
	s_mul_i32 s29, s9, s29
	s_add_u32 s7, s7, s29
	s_mul_hi_u32 s30, s9, s0
	s_addc_u32 s3, s3, s31
	s_addc_u32 s7, s30, 0
	s_mul_i32 s0, s9, s0
	s_add_u32 s0, s3, s0
	s_addc_u32 s3, 0, s7
	s_mul_hi_u32 s7, s33, s0
	s_mul_i32 s0, s33, s0
	s_mul_i32 s3, s33, s3
	v_mov_b32_e32 v2, s0
	s_add_i32 s7, s7, s3
	v_sub_co_u32_e32 v2, vcc, s8, v2
	s_cmp_lg_u64 vcc, 0
	s_subb_u32 s0, s9, s7
	v_subrev_co_u32_e32 v4, vcc, s33, v2
	s_cmp_lg_u64 vcc, 0
	s_subb_u32 s3, s0, 0
	v_subrev_co_u32_e32 v5, vcc, s33, v4
	s_cmp_lg_u64 vcc, 0
	s_subb_u32 s7, s3, 0
	v_cmp_le_u32_e32 vcc, s33, v4
	s_cmp_eq_u32 s3, 0
	v_cndmask_b32_e64 v6, 0, -1, vcc
	s_cselect_b64 vcc, -1, 0
	v_cndmask_b32_e32 v6, -1, v6, vcc
	v_mov_b32_e32 v7, s3
	v_mov_b32_e32 v8, s7
	v_cmp_ne_u32_e32 vcc, 0, v6
	v_cndmask_b32_e32 v6, v7, v8, vcc
	v_cndmask_b32_e32 v4, v4, v5, vcc
	v_cmp_le_u32_e32 vcc, s33, v2
	s_cmp_eq_u32 s0, 0
	v_cndmask_b32_e64 v5, 0, -1, vcc
	s_cselect_b64 vcc, -1, 0
	v_cndmask_b32_e32 v5, -1, v5, vcc
	v_cmp_ne_u32_e32 vcc, 0, v5
	v_mov_b32_e32 v7, s0
	v_cndmask_b32_e32 v2, v2, v4, vcc
	v_cndmask_b32_e32 v5, v7, v6, vcc
	v_xor_b32_e32 v2, s2, v2
	v_xor_b32_e32 v5, s2, v5
	v_mov_b32_e32 v6, s2
	v_subrev_co_u32_e32 v4, vcc, s2, v2
	v_subb_co_u32_e32 v5, vcc, v5, v6, vcc
	s_cbranch_execnz .LBB45_114
.LBB45_113:                             ;   in Loop: Header=BB45_17 Depth=1
	v_cvt_f32_u32_e32 v2, s33
	s_sub_i32 s0, 0, s33
	v_rcp_iflag_f32_e32 v2, v2
	v_mul_f32_e32 v2, 0x4f7ffffe, v2
	v_cvt_u32_f32_e32 v2, v2
	v_mul_lo_u32 v4, s0, v2
	v_mul_hi_u32 v4, v2, v4
	v_add_u32_e32 v2, v2, v4
	v_mul_hi_u32 v2, s6, v2
	v_mul_lo_u32 v2, v2, s33
	v_sub_u32_e32 v2, s6, v2
	v_subrev_u32_e32 v4, s33, v2
	v_cmp_le_u32_e32 vcc, s33, v2
	v_cndmask_b32_e32 v2, v2, v4, vcc
	v_subrev_u32_e32 v4, s33, v2
	v_cmp_le_u32_e32 vcc, s33, v2
	v_cndmask_b32_e32 v18, v2, v4, vcc
	v_pk_mov_b32 v[4:5], v[18:19], v[18:19] op_sel:[0,1]
.LBB45_114:                             ;   in Loop: Header=BB45_17 Depth=1
	v_mov_b32_e32 v2, s1
	v_sub_co_u32_e32 v8, vcc, s6, v4
	v_subb_co_u32_e32 v9, vcc, v2, v5, vcc
	v_cmp_gt_i64_e32 vcc, v[8:9], v[0:1]
	s_mov_b64 s[0:1], 0
                                        ; implicit-def: $vgpr6_vgpr7
	s_and_saveexec_b64 s[2:3], vcc
	s_cbranch_execz .LBB45_123
; %bb.115:                              ;   in Loop: Header=BB45_17 Depth=1
	s_mov_b64 s[8:9], 0
	v_mov_b32_e32 v12, v39
	v_pk_mov_b32 v[10:11], v[0:1], v[0:1] op_sel:[0,1]
                                        ; implicit-def: $sgpr0_sgpr1
	s_branch .LBB45_117
.LBB45_116:                             ;   in Loop: Header=BB45_117 Depth=2
	s_or_b64 exec, exec, s[6:7]
	s_waitcnt lgkmcnt(0)
	s_barrier
	ds_read_b128 v[4:7], v19 offset:3072
	v_mov_b32_e32 v2, s88
	v_add_co_u32_e64 v10, s[6:7], s33, v10
	v_addc_co_u32_e64 v11, s[6:7], v11, v2, s[6:7]
	s_waitcnt lgkmcnt(0)
	v_cmp_neq_f64_e32 vcc, 0, v[4:5]
	v_cmp_ge_i64_e64 s[6:7], v[10:11], v[8:9]
	s_or_b64 s[6:7], vcc, s[6:7]
	s_and_b64 s[6:7], exec, s[6:7]
	s_or_b64 s[8:9], s[6:7], s[8:9]
	s_andn2_b64 s[0:1], s[0:1], exec
	s_and_b64 s[6:7], vcc, exec
	v_add_u32_e32 v12, s94, v12
	s_or_b64 s[0:1], s[0:1], s[6:7]
	s_barrier
	s_andn2_b64 exec, exec, s[8:9]
	s_cbranch_execz .LBB45_122
.LBB45_117:                             ;   Parent Loop BB45_17 Depth=1
                                        ; =>  This Inner Loop Header: Depth=2
	v_cmp_gt_i64_e32 vcc, s[16:17], v[10:11]
	v_pk_mov_b32 v[4:5], 0, 0
	s_and_saveexec_b64 s[6:7], vcc
	s_cbranch_execz .LBB45_119
; %bb.118:                              ;   in Loop: Header=BB45_117 Depth=2
	ds_read_b64 v[4:5], v12
.LBB45_119:                             ;   in Loop: Header=BB45_117 Depth=2
	s_or_b64 exec, exec, s[6:7]
	s_and_saveexec_b64 s[6:7], vcc
	s_cbranch_execz .LBB45_116
; %bb.120:                              ;   in Loop: Header=BB45_117 Depth=2
	s_waitcnt lgkmcnt(0)
	v_ashrrev_i32_e32 v2, 31, v5
	v_or_b32_e32 v6, 0x80000000, v2
	v_xor_b32_e32 v6, v6, v5
	v_xor_b32_e32 v2, v2, v4
	v_cmp_o_f64_e32 vcc, v[4:5], v[4:5]
	v_cndmask_b32_e32 v6, -1, v6, vcc
	v_cndmask_b32_e32 v2, -1, v2, vcc
	v_and_b32_e32 v7, s79, v6
	v_and_b32_e32 v6, s78, v2
	v_cmp_eq_u64_e32 vcc, s[80:81], v[6:7]
	s_and_b64 exec, exec, vcc
	s_cbranch_execz .LBB45_116
; %bb.121:                              ;   in Loop: Header=BB45_117 Depth=2
	v_mov_b32_e32 v2, v19
	ds_write_b128 v19, v[2:5] offset:3072
	s_branch .LBB45_116
.LBB45_122:                             ;   in Loop: Header=BB45_17 Depth=1
	s_or_b64 exec, exec, s[8:9]
	s_and_b64 s[0:1], s[0:1], exec
.LBB45_123:                             ;   in Loop: Header=BB45_17 Depth=1
	s_or_b64 exec, exec, s[2:3]
	s_mov_b64 s[8:9], -1
	s_mov_b64 s[2:3], 0
	s_mov_b64 s[6:7], 0
.LBB45_124:                             ;   in Loop: Header=BB45_17 Depth=1
	s_andn2_b64 s[10:11], s[10:11], exec
	s_and_b64 s[2:3], s[2:3], exec
	s_or_b64 s[10:11], s[10:11], s[2:3]
	s_andn2_b64 s[2:3], s[70:71], exec
	s_and_b64 s[8:9], s[8:9], exec
	s_or_b64 s[70:71], s[2:3], s[8:9]
	;; [unrolled: 3-line block ×3, first 2 shown]
	s_and_saveexec_b64 s[16:17], s[0:1]
	s_cbranch_execz .LBB45_16
; %bb.125:                              ;   in Loop: Header=BB45_17 Depth=1
	s_xor_b64 s[0:1], s[26:27], -1
	s_andn2_b64 vcc, exec, s[0:1]
	s_mov_b32 s46, 1
	s_cbranch_vccnz .LBB45_136
; %bb.126:                              ;   in Loop: Header=BB45_17 Depth=1
	s_waitcnt vmcnt(0)
	v_pk_mov_b32 v[4:5], s[18:19], s[18:19] op_sel:[0,1]
	v_cmp_gt_i64_e32 vcc, s[58:59], v[4:5]
	s_mov_b64 s[0:1], -1
                                        ; implicit-def: $sgpr46
                                        ; implicit-def: $sgpr2_sgpr3
                                        ; implicit-def: $sgpr6_sgpr7
	s_cbranch_vccnz .LBB45_132
; %bb.127:                              ;   in Loop: Header=BB45_17 Depth=1
	ds_read_b64 v[4:5], v19 offset:5120
	s_waitcnt lgkmcnt(0)
	v_cmp_ne_u64_e32 vcc, 0, v[4:5]
	s_cbranch_vccnz .LBB45_131
; %bb.128:                              ;   in Loop: Header=BB45_17 Depth=1
	s_mov_b64 s[0:1], exec
	v_readlane_b32 s2, v64, 12
	v_readlane_b32 s3, v64, 13
	s_and_b64 s[2:3], s[0:1], s[2:3]
	s_mov_b64 exec, s[2:3]
	s_cbranch_execz .LBB45_130
; %bb.129:                              ;   in Loop: Header=BB45_17 Depth=1
	v_pk_mov_b32 v[4:5], s[18:19], s[18:19] op_sel:[0,1]
	ds_write_b64 v19, v[4:5] offset:5128
.LBB45_130:                             ;   in Loop: Header=BB45_17 Depth=1
	s_or_b64 exec, exec, s[0:1]
	s_waitcnt lgkmcnt(0)
	s_barrier
.LBB45_131:                             ;   in Loop: Header=BB45_17 Depth=1
	s_and_b64 s[2:3], s[80:81], s[22:23]
	s_or_b64 s[6:7], s[78:79], s[14:15]
	s_mov_b64 s[0:1], 0
	s_mov_b32 s46, 8
.LBB45_132:                             ;   in Loop: Header=BB45_17 Depth=1
	s_andn2_b64 vcc, exec, s[0:1]
	s_cbranch_vccnz .LBB45_134
; %bb.133:                              ;   in Loop: Header=BB45_17 Depth=1
	s_sub_u32 s58, s58, s18
	s_subb_u32 s59, s59, s19
	s_mov_b64 s[0:1], -1
	s_mov_b32 s46, 0
	s_mov_b64 s[2:3], s[80:81]
	s_mov_b64 s[6:7], s[78:79]
.LBB45_134:                             ;   in Loop: Header=BB45_17 Depth=1
	s_mov_b64 s[78:79], s[6:7]
	s_mov_b64 s[80:81], s[2:3]
	s_mov_b64 s[18:19], -1
	s_and_b64 vcc, exec, s[0:1]
	s_cbranch_vccnz .LBB45_137
.LBB45_135:                             ;   in Loop: Header=BB45_17 Depth=1
	s_mov_b64 s[2:3], -1
                                        ; implicit-def: $sgpr24_sgpr25
                                        ; implicit-def: $sgpr30_sgpr31
                                        ; implicit-def: $sgpr26_sgpr27
	s_and_saveexec_b64 s[0:1], s[2:3]
	s_xor_b64 s[0:1], exec, s[0:1]
	s_cbranch_execz .LBB45_15
	s_branch .LBB45_283
.LBB45_136:                             ;   in Loop: Header=BB45_17 Depth=1
	s_mov_b64 s[58:59], 1
	s_mov_b64 s[18:19], -1
	s_branch .LBB45_135
.LBB45_137:                             ;   in Loop: Header=BB45_17 Depth=1
	s_cmp_eq_u64 s[36:37], 1
	s_cselect_b64 s[0:1], -1, 0
	s_cmp_eq_u64 s[58:59], 1
	s_cselect_b64 s[2:3], -1, 0
	s_and_b64 s[38:39], s[0:1], s[2:3]
	s_mov_b64 s[0:1], -1
	s_and_b64 vcc, exec, s[38:39]
	s_cbranch_vccz .LBB45_152
; %bb.138:                              ;   in Loop: Header=BB45_17 Depth=1
	s_waitcnt vmcnt(0)
	ds_read_b64 v[4:5], v19 offset:5120
	s_waitcnt lgkmcnt(0)
	s_barrier
	v_readfirstlane_b32 s34, v4
	v_readfirstlane_b32 s35, v5
	s_mov_b64 s[0:1], exec
	v_readlane_b32 s2, v64, 24
	v_readlane_b32 s3, v64, 25
	s_and_b64 s[2:3], s[0:1], s[2:3]
	s_mov_b64 exec, s[2:3]
	s_cbranch_execz .LBB45_140
; %bb.139:                              ;   in Loop: Header=BB45_17 Depth=1
	v_mov_b32_e32 v18, v19
	ds_write_b64 v40, v[18:19]
.LBB45_140:                             ;   in Loop: Header=BB45_17 Depth=1
	s_or_b64 exec, exec, s[0:1]
	s_lshl_b64 s[0:1], 1, s28
	s_and_b64 s[2:3], s[80:81], s[22:23]
	s_or_b64 s[80:81], s[2:3], s[0:1]
	v_cmp_gt_i64_e64 s[0:1], s[34:35], 0
	s_or_b64 s[78:79], s[78:79], s[14:15]
	s_and_b64 vcc, exec, s[0:1]
	s_waitcnt lgkmcnt(0)
	s_barrier
	s_cbranch_vccnz .LBB45_155
; %bb.141:                              ;   in Loop: Header=BB45_17 Depth=1
	s_mov_b32 s92, s85
	s_cmp_lg_u64 s[92:93], 0
	s_cbranch_scc0 .LBB45_200
; %bb.142:                              ;   in Loop: Header=BB45_17 Depth=1
	v_cvt_f32_u32_e32 v2, s33
	s_sub_u32 s0, 0, s33
	s_subb_u32 s1, 0, 0
	v_mac_f32_e32 v2, 0x4f800000, v47
	v_rcp_f32_e32 v2, v2
	v_mul_f32_e32 v2, 0x5f7ffffc, v2
	v_mul_f32_e32 v4, 0x2f800000, v2
	v_trunc_f32_e32 v4, v4
	v_mac_f32_e32 v2, 0xcf800000, v4
	v_cvt_u32_f32_e32 v4, v4
	v_cvt_u32_f32_e32 v2, v2
	v_readfirstlane_b32 s2, v4
	v_readfirstlane_b32 s3, v2
	s_mul_i32 s6, s0, s2
	s_mul_hi_u32 s8, s0, s3
	s_mul_i32 s7, s1, s3
	s_add_i32 s6, s8, s6
	s_mul_i32 s9, s0, s3
	s_add_i32 s6, s6, s7
	s_mul_hi_u32 s8, s3, s9
	s_mul_hi_u32 s7, s3, s6
	s_mul_i32 s3, s3, s6
	s_add_u32 s3, s8, s3
	s_addc_u32 s7, 0, s7
	s_mul_hi_u32 s24, s2, s9
	s_mul_i32 s9, s2, s9
	s_add_u32 s3, s3, s9
	s_mul_hi_u32 s8, s2, s6
	s_addc_u32 s3, s7, s24
	s_addc_u32 s7, s8, 0
	s_mul_i32 s6, s2, s6
	s_add_u32 s3, s3, s6
	s_addc_u32 s6, 0, s7
	v_add_co_u32_e32 v2, vcc, s3, v2
	s_cmp_lg_u64 vcc, 0
	s_addc_u32 s2, s2, s6
	v_readfirstlane_b32 s6, v2
	s_mul_i32 s3, s0, s2
	s_mul_hi_u32 s7, s0, s6
	s_add_i32 s3, s7, s3
	s_mul_i32 s1, s1, s6
	s_add_i32 s3, s3, s1
	s_mul_i32 s0, s0, s6
	s_mul_hi_u32 s7, s2, s0
	s_mul_i32 s8, s2, s0
	s_mul_i32 s24, s6, s3
	s_mul_hi_u32 s0, s6, s0
	s_mul_hi_u32 s9, s6, s3
	s_add_u32 s0, s0, s24
	s_addc_u32 s6, 0, s9
	s_add_u32 s0, s0, s8
	s_mul_hi_u32 s1, s2, s3
	s_addc_u32 s0, s6, s7
	s_addc_u32 s1, s1, 0
	s_mul_i32 s3, s2, s3
	s_add_u32 s0, s0, s3
	s_addc_u32 s1, 0, s1
	v_add_co_u32_e32 v2, vcc, s0, v2
	s_cmp_lg_u64 vcc, 0
	s_addc_u32 s6, s2, s1
	s_ashr_i32 s0, s93, 31
	s_add_u32 s2, s87, s0
	s_mov_b32 s1, s0
	s_addc_u32 s3, s93, s0
	s_xor_b64 s[2:3], s[2:3], s[0:1]
	v_readfirstlane_b32 s8, v2
	s_mul_i32 s7, s2, s6
	s_mul_hi_u32 s9, s2, s8
	s_mul_hi_u32 s1, s2, s6
	s_add_u32 s7, s9, s7
	s_addc_u32 s1, 0, s1
	s_mul_hi_u32 s24, s3, s8
	s_mul_i32 s8, s3, s8
	s_add_u32 s7, s7, s8
	s_mul_hi_u32 s9, s3, s6
	s_addc_u32 s1, s1, s24
	s_addc_u32 s7, s9, 0
	s_mul_i32 s6, s3, s6
	s_add_u32 s1, s1, s6
	s_addc_u32 s6, 0, s7
	s_mul_hi_u32 s7, s33, s1
	s_mul_i32 s1, s33, s1
	s_mul_i32 s6, s33, s6
	v_mov_b32_e32 v2, s1
	s_add_i32 s7, s7, s6
	v_sub_co_u32_e32 v2, vcc, s2, v2
	s_cmp_lg_u64 vcc, 0
	s_subb_u32 s1, s3, s7
	v_subrev_co_u32_e32 v4, vcc, s33, v2
	s_cmp_lg_u64 vcc, 0
	s_subb_u32 s2, s1, 0
	v_subrev_co_u32_e32 v5, vcc, s33, v4
	s_cmp_lg_u64 vcc, 0
	s_subb_u32 s3, s2, 0
	v_cmp_le_u32_e32 vcc, s33, v4
	s_cmp_eq_u32 s2, 0
	v_cndmask_b32_e64 v6, 0, -1, vcc
	s_cselect_b64 vcc, -1, 0
	v_cndmask_b32_e32 v6, -1, v6, vcc
	v_mov_b32_e32 v7, s2
	v_mov_b32_e32 v8, s3
	v_cmp_ne_u32_e32 vcc, 0, v6
	v_cndmask_b32_e32 v6, v7, v8, vcc
	v_cndmask_b32_e32 v4, v4, v5, vcc
	v_cmp_le_u32_e32 vcc, s33, v2
	s_cmp_eq_u32 s1, 0
	v_cndmask_b32_e64 v5, 0, -1, vcc
	s_cselect_b64 vcc, -1, 0
	v_cndmask_b32_e32 v5, -1, v5, vcc
	v_cmp_ne_u32_e32 vcc, 0, v5
	v_mov_b32_e32 v7, s1
	v_cndmask_b32_e32 v2, v2, v4, vcc
	v_cndmask_b32_e32 v5, v7, v6, vcc
	v_xor_b32_e32 v2, s0, v2
	v_xor_b32_e32 v5, s0, v5
	v_mov_b32_e32 v6, s0
	v_subrev_co_u32_e32 v4, vcc, s0, v2
	v_subb_co_u32_e32 v5, vcc, v5, v6, vcc
	s_cbranch_execnz .LBB45_144
.LBB45_143:                             ;   in Loop: Header=BB45_17 Depth=1
	v_cvt_f32_u32_e32 v2, s33
	s_sub_i32 s0, 0, s33
	v_rcp_iflag_f32_e32 v2, v2
	v_mul_f32_e32 v2, 0x4f7ffffe, v2
	v_cvt_u32_f32_e32 v2, v2
	v_mul_lo_u32 v4, s0, v2
	v_mul_hi_u32 v4, v2, v4
	v_add_u32_e32 v2, v2, v4
	v_mul_hi_u32 v2, s87, v2
	v_mul_lo_u32 v2, v2, s33
	v_sub_u32_e32 v2, s87, v2
	v_subrev_u32_e32 v4, s33, v2
	v_cmp_le_u32_e32 vcc, s33, v2
	v_cndmask_b32_e32 v2, v2, v4, vcc
	v_subrev_u32_e32 v4, s33, v2
	v_cmp_le_u32_e32 vcc, s33, v2
	v_cndmask_b32_e32 v18, v2, v4, vcc
	v_pk_mov_b32 v[4:5], v[18:19], v[18:19] op_sel:[0,1]
.LBB45_144:                             ;   in Loop: Header=BB45_17 Depth=1
	v_mov_b32_e32 v2, s93
	v_sub_co_u32_e32 v8, vcc, s87, v4
	v_subb_co_u32_e32 v9, vcc, v2, v5, vcc
	v_cmp_gt_i64_e32 vcc, v[8:9], v[0:1]
	s_mov_b64 s[0:1], 0
                                        ; implicit-def: $vgpr6_vgpr7
	s_and_saveexec_b64 s[2:3], vcc
	s_cbranch_execz .LBB45_157
; %bb.145:                              ;   in Loop: Header=BB45_17 Depth=1
	s_mov_b64 s[8:9], 0
	v_pk_mov_b32 v[10:11], v[16:17], v[16:17] op_sel:[0,1]
	v_pk_mov_b32 v[12:13], v[0:1], v[0:1] op_sel:[0,1]
                                        ; implicit-def: $sgpr0_sgpr1
	s_branch .LBB45_147
.LBB45_146:                             ;   in Loop: Header=BB45_147 Depth=2
	s_or_b64 exec, exec, s[6:7]
	s_waitcnt lgkmcnt(0)
	s_barrier
	s_waitcnt vmcnt(0)
	ds_read_b128 v[4:7], v19 offset:3072
	v_mov_b32_e32 v2, s88
	v_add_co_u32_e64 v12, s[6:7], s33, v12
	v_addc_co_u32_e64 v13, s[6:7], v13, v2, s[6:7]
	s_waitcnt lgkmcnt(0)
	v_cmp_neq_f64_e32 vcc, 0, v[4:5]
	v_cmp_ge_i64_e64 s[6:7], v[12:13], v[8:9]
	s_or_b64 s[24:25], vcc, s[6:7]
	v_mov_b32_e32 v2, s83
	v_add_co_u32_e64 v10, s[6:7], s82, v10
	v_addc_co_u32_e64 v11, s[6:7], v11, v2, s[6:7]
	s_and_b64 s[6:7], exec, s[24:25]
	s_or_b64 s[8:9], s[6:7], s[8:9]
	s_andn2_b64 s[0:1], s[0:1], exec
	s_and_b64 s[6:7], vcc, exec
	s_or_b64 s[0:1], s[0:1], s[6:7]
	s_barrier
	s_andn2_b64 exec, exec, s[8:9]
	s_cbranch_execz .LBB45_156
.LBB45_147:                             ;   Parent Loop BB45_17 Depth=1
                                        ; =>  This Inner Loop Header: Depth=2
	v_cmp_gt_i64_e32 vcc, s[56:57], v[12:13]
	v_pk_mov_b32 v[4:5], 0, 0
	s_and_saveexec_b64 s[6:7], vcc
	s_cbranch_execz .LBB45_149
; %bb.148:                              ;   in Loop: Header=BB45_147 Depth=2
	global_load_dwordx2 v[4:5], v[10:11], off
.LBB45_149:                             ;   in Loop: Header=BB45_147 Depth=2
	s_or_b64 exec, exec, s[6:7]
	s_and_saveexec_b64 s[6:7], vcc
	s_cbranch_execz .LBB45_146
; %bb.150:                              ;   in Loop: Header=BB45_147 Depth=2
	s_waitcnt vmcnt(0)
	v_ashrrev_i32_e32 v2, 31, v5
	v_or_b32_e32 v6, 0x80000000, v2
	v_xor_b32_e32 v6, v6, v5
	v_xor_b32_e32 v2, v2, v4
	v_cmp_o_f64_e32 vcc, v[4:5], v[4:5]
	v_cndmask_b32_e32 v6, -1, v6, vcc
	v_cndmask_b32_e32 v2, -1, v2, vcc
	v_and_b32_e32 v7, s79, v6
	v_and_b32_e32 v6, s78, v2
	v_cmp_eq_u64_e32 vcc, s[80:81], v[6:7]
	s_and_b64 exec, exec, vcc
	s_cbranch_execz .LBB45_146
; %bb.151:                              ;   in Loop: Header=BB45_147 Depth=2
	v_mov_b32_e32 v2, v19
	ds_write_b128 v19, v[2:5] offset:3072
	s_branch .LBB45_146
.LBB45_152:                             ;   in Loop: Header=BB45_17 Depth=1
                                        ; implicit-def: $sgpr26_sgpr27
                                        ; implicit-def: $sgpr30_sgpr31
                                        ; implicit-def: $sgpr24_sgpr25
	s_branch .LBB45_171
.LBB45_153:                             ;   in Loop: Header=BB45_17 Depth=1
                                        ; implicit-def: $vgpr4_vgpr5
	s_branch .LBB45_98
.LBB45_154:                             ;   in Loop: Header=BB45_17 Depth=1
                                        ; implicit-def: $vgpr4_vgpr5
	s_branch .LBB45_113
.LBB45_155:                             ;   in Loop: Header=BB45_17 Depth=1
	s_mov_b64 s[26:27], -1
	s_mov_b64 s[0:1], 0
                                        ; implicit-def: $sgpr24_sgpr25
                                        ; implicit-def: $vgpr6_vgpr7
	s_mov_b64 s[30:31], s[26:27]
	s_cbranch_execnz .LBB45_158
	s_branch .LBB45_171
.LBB45_156:                             ;   in Loop: Header=BB45_17 Depth=1
	s_or_b64 exec, exec, s[8:9]
	s_and_b64 s[0:1], s[0:1], exec
.LBB45_157:                             ;   in Loop: Header=BB45_17 Depth=1
	s_or_b64 exec, exec, s[2:3]
	s_mov_b64 s[24:25], -1
	s_mov_b64 s[26:27], 0
	s_mov_b64 s[30:31], s[26:27]
	s_branch .LBB45_171
.LBB45_158:                             ;   in Loop: Header=BB45_17 Depth=1
	v_readlane_b32 s0, v64, 36
	s_add_u32 s6, s0, s34
	v_readlane_b32 s0, v64, 37
	s_addc_u32 s1, s0, s35
	s_mov_b32 s0, s85
	s_cmp_lg_u64 s[0:1], 0
	s_cbranch_scc0 .LBB45_201
; %bb.159:                              ;   in Loop: Header=BB45_17 Depth=1
	v_cvt_f32_u32_e32 v2, s33
	s_sub_u32 s0, 0, s33
	s_subb_u32 s2, 0, 0
	v_mac_f32_e32 v2, 0x4f800000, v47
	v_rcp_f32_e32 v2, v2
	v_mul_f32_e32 v2, 0x5f7ffffc, v2
	v_mul_f32_e32 v4, 0x2f800000, v2
	v_trunc_f32_e32 v4, v4
	v_mac_f32_e32 v2, 0xcf800000, v4
	v_cvt_u32_f32_e32 v4, v4
	v_cvt_u32_f32_e32 v2, v2
	v_readfirstlane_b32 s3, v4
	v_readfirstlane_b32 s7, v2
	s_mul_i32 s8, s0, s3
	s_mul_hi_u32 s24, s0, s7
	s_mul_i32 s9, s2, s7
	s_add_i32 s8, s24, s8
	s_mul_i32 s25, s0, s7
	s_add_i32 s8, s8, s9
	s_mul_hi_u32 s24, s7, s25
	s_mul_hi_u32 s9, s7, s8
	s_mul_i32 s7, s7, s8
	s_add_u32 s7, s24, s7
	s_addc_u32 s9, 0, s9
	s_mul_hi_u32 s26, s3, s25
	s_mul_i32 s25, s3, s25
	s_add_u32 s7, s7, s25
	s_mul_hi_u32 s24, s3, s8
	s_addc_u32 s7, s9, s26
	s_addc_u32 s9, s24, 0
	s_mul_i32 s8, s3, s8
	s_add_u32 s7, s7, s8
	s_addc_u32 s8, 0, s9
	v_add_co_u32_e32 v2, vcc, s7, v2
	s_cmp_lg_u64 vcc, 0
	s_addc_u32 s3, s3, s8
	v_readfirstlane_b32 s8, v2
	s_mul_i32 s7, s0, s3
	s_mul_hi_u32 s9, s0, s8
	s_add_i32 s7, s9, s7
	s_mul_i32 s2, s2, s8
	s_add_i32 s7, s7, s2
	s_mul_i32 s0, s0, s8
	s_mul_hi_u32 s9, s3, s0
	s_mul_i32 s24, s3, s0
	s_mul_i32 s26, s8, s7
	s_mul_hi_u32 s0, s8, s0
	s_mul_hi_u32 s25, s8, s7
	s_add_u32 s0, s0, s26
	s_addc_u32 s8, 0, s25
	s_add_u32 s0, s0, s24
	s_mul_hi_u32 s2, s3, s7
	s_addc_u32 s0, s8, s9
	s_addc_u32 s2, s2, 0
	s_mul_i32 s7, s3, s7
	s_add_u32 s0, s0, s7
	s_addc_u32 s2, 0, s2
	v_add_co_u32_e32 v2, vcc, s0, v2
	s_cmp_lg_u64 vcc, 0
	s_addc_u32 s0, s3, s2
	s_ashr_i32 s2, s1, 31
	s_add_u32 s8, s6, s2
	s_mov_b32 s3, s2
	s_addc_u32 s9, s1, s2
	s_xor_b64 s[8:9], s[8:9], s[2:3]
	v_readfirstlane_b32 s24, v2
	s_mul_i32 s7, s8, s0
	s_mul_hi_u32 s25, s8, s24
	s_mul_hi_u32 s3, s8, s0
	s_add_u32 s7, s25, s7
	s_addc_u32 s3, 0, s3
	s_mul_hi_u32 s26, s9, s24
	s_mul_i32 s24, s9, s24
	s_add_u32 s7, s7, s24
	s_mul_hi_u32 s25, s9, s0
	s_addc_u32 s3, s3, s26
	s_addc_u32 s7, s25, 0
	s_mul_i32 s0, s9, s0
	s_add_u32 s0, s3, s0
	s_addc_u32 s3, 0, s7
	s_mul_hi_u32 s7, s33, s0
	s_mul_i32 s0, s33, s0
	s_mul_i32 s3, s33, s3
	v_mov_b32_e32 v2, s0
	s_add_i32 s7, s7, s3
	v_sub_co_u32_e32 v2, vcc, s8, v2
	s_cmp_lg_u64 vcc, 0
	s_subb_u32 s0, s9, s7
	v_subrev_co_u32_e32 v4, vcc, s33, v2
	s_cmp_lg_u64 vcc, 0
	s_subb_u32 s3, s0, 0
	v_subrev_co_u32_e32 v5, vcc, s33, v4
	s_cmp_lg_u64 vcc, 0
	s_subb_u32 s7, s3, 0
	v_cmp_le_u32_e32 vcc, s33, v4
	s_cmp_eq_u32 s3, 0
	v_cndmask_b32_e64 v6, 0, -1, vcc
	s_cselect_b64 vcc, -1, 0
	v_cndmask_b32_e32 v6, -1, v6, vcc
	v_mov_b32_e32 v7, s3
	v_mov_b32_e32 v8, s7
	v_cmp_ne_u32_e32 vcc, 0, v6
	v_cndmask_b32_e32 v6, v7, v8, vcc
	v_cndmask_b32_e32 v4, v4, v5, vcc
	v_cmp_le_u32_e32 vcc, s33, v2
	s_cmp_eq_u32 s0, 0
	v_cndmask_b32_e64 v5, 0, -1, vcc
	s_cselect_b64 vcc, -1, 0
	v_cndmask_b32_e32 v5, -1, v5, vcc
	v_cmp_ne_u32_e32 vcc, 0, v5
	v_mov_b32_e32 v7, s0
	v_cndmask_b32_e32 v2, v2, v4, vcc
	v_cndmask_b32_e32 v5, v7, v6, vcc
	v_xor_b32_e32 v2, s2, v2
	v_xor_b32_e32 v5, s2, v5
	v_mov_b32_e32 v6, s2
	v_subrev_co_u32_e32 v4, vcc, s2, v2
	v_subb_co_u32_e32 v5, vcc, v5, v6, vcc
	s_cbranch_execnz .LBB45_161
.LBB45_160:                             ;   in Loop: Header=BB45_17 Depth=1
	v_cvt_f32_u32_e32 v2, s33
	s_sub_i32 s0, 0, s33
	v_rcp_iflag_f32_e32 v2, v2
	v_mul_f32_e32 v2, 0x4f7ffffe, v2
	v_cvt_u32_f32_e32 v2, v2
	v_mul_lo_u32 v4, s0, v2
	v_mul_hi_u32 v4, v2, v4
	v_add_u32_e32 v2, v2, v4
	v_mul_hi_u32 v2, s6, v2
	v_mul_lo_u32 v2, v2, s33
	v_sub_u32_e32 v2, s6, v2
	v_subrev_u32_e32 v4, s33, v2
	v_cmp_le_u32_e32 vcc, s33, v2
	v_cndmask_b32_e32 v2, v2, v4, vcc
	v_subrev_u32_e32 v4, s33, v2
	v_cmp_le_u32_e32 vcc, s33, v2
	v_cndmask_b32_e32 v18, v2, v4, vcc
	v_pk_mov_b32 v[4:5], v[18:19], v[18:19] op_sel:[0,1]
.LBB45_161:                             ;   in Loop: Header=BB45_17 Depth=1
	v_mov_b32_e32 v2, s1
	v_sub_co_u32_e32 v8, vcc, s6, v4
	v_subb_co_u32_e32 v9, vcc, v2, v5, vcc
	v_cmp_gt_i64_e32 vcc, v[8:9], v[0:1]
	s_mov_b64 s[0:1], 0
                                        ; implicit-def: $vgpr6_vgpr7
	s_and_saveexec_b64 s[2:3], vcc
	s_cbranch_execz .LBB45_170
; %bb.162:                              ;   in Loop: Header=BB45_17 Depth=1
	s_mov_b64 s[8:9], 0
	v_mov_b32_e32 v12, v39
	v_pk_mov_b32 v[10:11], v[0:1], v[0:1] op_sel:[0,1]
                                        ; implicit-def: $sgpr0_sgpr1
	s_branch .LBB45_164
.LBB45_163:                             ;   in Loop: Header=BB45_164 Depth=2
	s_or_b64 exec, exec, s[6:7]
	s_waitcnt lgkmcnt(0)
	s_barrier
	ds_read_b128 v[4:7], v19 offset:3072
	v_mov_b32_e32 v2, s88
	v_add_co_u32_e64 v10, s[6:7], s33, v10
	v_addc_co_u32_e64 v11, s[6:7], v11, v2, s[6:7]
	s_waitcnt lgkmcnt(0)
	v_cmp_neq_f64_e32 vcc, 0, v[4:5]
	v_cmp_ge_i64_e64 s[6:7], v[10:11], v[8:9]
	s_or_b64 s[6:7], vcc, s[6:7]
	s_and_b64 s[6:7], exec, s[6:7]
	s_or_b64 s[8:9], s[6:7], s[8:9]
	s_andn2_b64 s[0:1], s[0:1], exec
	s_and_b64 s[6:7], vcc, exec
	v_add_u32_e32 v12, s94, v12
	s_or_b64 s[0:1], s[0:1], s[6:7]
	s_barrier
	s_andn2_b64 exec, exec, s[8:9]
	s_cbranch_execz .LBB45_169
.LBB45_164:                             ;   Parent Loop BB45_17 Depth=1
                                        ; =>  This Inner Loop Header: Depth=2
	v_cmp_gt_i64_e32 vcc, s[34:35], v[10:11]
	v_pk_mov_b32 v[4:5], 0, 0
	s_and_saveexec_b64 s[6:7], vcc
	s_cbranch_execz .LBB45_166
; %bb.165:                              ;   in Loop: Header=BB45_164 Depth=2
	ds_read_b64 v[4:5], v12
.LBB45_166:                             ;   in Loop: Header=BB45_164 Depth=2
	s_or_b64 exec, exec, s[6:7]
	s_and_saveexec_b64 s[6:7], vcc
	s_cbranch_execz .LBB45_163
; %bb.167:                              ;   in Loop: Header=BB45_164 Depth=2
	s_waitcnt lgkmcnt(0)
	v_ashrrev_i32_e32 v2, 31, v5
	v_or_b32_e32 v6, 0x80000000, v2
	v_xor_b32_e32 v6, v6, v5
	v_xor_b32_e32 v2, v2, v4
	v_cmp_o_f64_e32 vcc, v[4:5], v[4:5]
	v_cndmask_b32_e32 v6, -1, v6, vcc
	v_cndmask_b32_e32 v2, -1, v2, vcc
	v_and_b32_e32 v7, s79, v6
	v_and_b32_e32 v6, s78, v2
	v_cmp_eq_u64_e32 vcc, s[80:81], v[6:7]
	s_and_b64 exec, exec, vcc
	s_cbranch_execz .LBB45_163
; %bb.168:                              ;   in Loop: Header=BB45_164 Depth=2
	v_mov_b32_e32 v2, v19
	ds_write_b128 v19, v[2:5] offset:3072
	s_branch .LBB45_163
.LBB45_169:                             ;   in Loop: Header=BB45_17 Depth=1
	s_or_b64 exec, exec, s[8:9]
	s_and_b64 s[0:1], s[0:1], exec
.LBB45_170:                             ;   in Loop: Header=BB45_17 Depth=1
	s_or_b64 exec, exec, s[2:3]
	s_mov_b64 s[30:31], -1
	s_mov_b64 s[26:27], 0
	s_mov_b64 s[24:25], 0
.LBB45_171:                             ;   in Loop: Header=BB45_17 Depth=1
	s_mov_b64 s[2:3], 0
                                        ; implicit-def: $sgpr46
	s_and_saveexec_b64 s[34:35], s[0:1]
	s_cbranch_execz .LBB45_282
; %bb.172:                              ;   in Loop: Header=BB45_17 Depth=1
	s_xor_b64 s[0:1], s[38:39], -1
	s_andn2_b64 vcc, exec, s[0:1]
	s_mov_b32 s46, 1
	s_cbranch_vccnz .LBB45_183
; %bb.173:                              ;   in Loop: Header=BB45_17 Depth=1
	s_waitcnt vmcnt(0)
	v_pk_mov_b32 v[4:5], s[36:37], s[36:37] op_sel:[0,1]
	v_cmp_gt_i64_e32 vcc, s[58:59], v[4:5]
	s_mov_b64 s[0:1], -1
                                        ; implicit-def: $sgpr46
                                        ; implicit-def: $sgpr2_sgpr3
                                        ; implicit-def: $sgpr6_sgpr7
	s_cbranch_vccnz .LBB45_179
; %bb.174:                              ;   in Loop: Header=BB45_17 Depth=1
	ds_read_b64 v[4:5], v19 offset:5120
	s_waitcnt lgkmcnt(0)
	v_cmp_ne_u64_e32 vcc, 0, v[4:5]
	s_cbranch_vccnz .LBB45_178
; %bb.175:                              ;   in Loop: Header=BB45_17 Depth=1
	s_mov_b64 s[0:1], exec
	v_readlane_b32 s2, v64, 12
	v_readlane_b32 s3, v64, 13
	s_and_b64 s[2:3], s[0:1], s[2:3]
	s_mov_b64 exec, s[2:3]
	s_cbranch_execz .LBB45_177
; %bb.176:                              ;   in Loop: Header=BB45_17 Depth=1
	v_pk_mov_b32 v[4:5], s[36:37], s[36:37] op_sel:[0,1]
	ds_write_b64 v19, v[4:5] offset:5128
.LBB45_177:                             ;   in Loop: Header=BB45_17 Depth=1
	s_or_b64 exec, exec, s[0:1]
	s_waitcnt lgkmcnt(0)
	s_barrier
.LBB45_178:                             ;   in Loop: Header=BB45_17 Depth=1
	s_lshl_b64 s[0:1], 1, s28
	s_and_b64 s[2:3], s[80:81], s[22:23]
	s_or_b64 s[2:3], s[2:3], s[0:1]
	s_or_b64 s[6:7], s[78:79], s[14:15]
	s_mov_b64 s[0:1], 0
	s_mov_b32 s46, 8
.LBB45_179:                             ;   in Loop: Header=BB45_17 Depth=1
	s_andn2_b64 vcc, exec, s[0:1]
	s_cbranch_vccnz .LBB45_181
; %bb.180:                              ;   in Loop: Header=BB45_17 Depth=1
	s_sub_u32 s58, s58, s36
	s_subb_u32 s59, s59, s37
	s_mov_b64 s[0:1], -1
	s_mov_b32 s46, 0
	s_mov_b64 s[2:3], s[80:81]
	s_mov_b64 s[6:7], s[78:79]
.LBB45_181:                             ;   in Loop: Header=BB45_17 Depth=1
	s_mov_b64 s[78:79], s[6:7]
	s_mov_b64 s[80:81], s[2:3]
	s_andn2_b64 vcc, exec, s[0:1]
	s_mov_b64 s[2:3], -1
	s_cbranch_vccz .LBB45_184
.LBB45_182:                             ;   in Loop: Header=BB45_17 Depth=1
                                        ; implicit-def: $sgpr38_sgpr39
                                        ; implicit-def: $sgpr40_sgpr41
                                        ; implicit-def: $sgpr36_sgpr37
	s_branch .LBB45_281
.LBB45_183:                             ;   in Loop: Header=BB45_17 Depth=1
	s_mov_b64 s[58:59], 1
	s_mov_b64 s[2:3], -1
	s_cbranch_execnz .LBB45_182
.LBB45_184:                             ;   in Loop: Header=BB45_17 Depth=1
	s_cmp_eq_u64 s[20:21], 1
	s_cselect_b64 s[0:1], -1, 0
	s_cmp_eq_u64 s[58:59], 1
	s_cselect_b64 s[2:3], -1, 0
	s_and_b64 s[44:45], s[0:1], s[2:3]
	s_mov_b64 s[0:1], -1
	s_and_b64 vcc, exec, s[44:45]
	s_cbranch_vccz .LBB45_199
; %bb.185:                              ;   in Loop: Header=BB45_17 Depth=1
	s_waitcnt vmcnt(0)
	ds_read_b64 v[4:5], v19 offset:5120
	s_waitcnt lgkmcnt(0)
	s_barrier
	v_readfirstlane_b32 s42, v4
	v_readfirstlane_b32 s43, v5
	s_mov_b64 s[0:1], exec
	v_readlane_b32 s2, v64, 24
	v_readlane_b32 s3, v64, 25
	s_and_b64 s[2:3], s[0:1], s[2:3]
	s_mov_b64 exec, s[2:3]
	s_cbranch_execz .LBB45_187
; %bb.186:                              ;   in Loop: Header=BB45_17 Depth=1
	v_mov_b32_e32 v18, v19
	ds_write_b64 v40, v[18:19]
.LBB45_187:                             ;   in Loop: Header=BB45_17 Depth=1
	s_or_b64 exec, exec, s[0:1]
	s_lshl_b64 s[0:1], 2, s28
	s_and_b64 s[2:3], s[80:81], s[22:23]
	s_or_b64 s[80:81], s[2:3], s[0:1]
	v_cmp_gt_i64_e64 s[0:1], s[42:43], 0
	s_or_b64 s[78:79], s[78:79], s[14:15]
	s_and_b64 vcc, exec, s[0:1]
	s_waitcnt lgkmcnt(0)
	s_barrier
	s_cbranch_vccnz .LBB45_202
; %bb.188:                              ;   in Loop: Header=BB45_17 Depth=1
	s_mov_b32 s92, s85
	s_cmp_lg_u64 s[92:93], 0
	s_cbranch_scc0 .LBB45_247
; %bb.189:                              ;   in Loop: Header=BB45_17 Depth=1
	v_cvt_f32_u32_e32 v2, s33
	s_sub_u32 s0, 0, s33
	s_subb_u32 s1, 0, 0
	v_mac_f32_e32 v2, 0x4f800000, v47
	v_rcp_f32_e32 v2, v2
	v_mul_f32_e32 v2, 0x5f7ffffc, v2
	v_mul_f32_e32 v4, 0x2f800000, v2
	v_trunc_f32_e32 v4, v4
	v_mac_f32_e32 v2, 0xcf800000, v4
	v_cvt_u32_f32_e32 v4, v4
	v_cvt_u32_f32_e32 v2, v2
	v_readfirstlane_b32 s2, v4
	v_readfirstlane_b32 s3, v2
	s_mul_i32 s6, s0, s2
	s_mul_hi_u32 s8, s0, s3
	s_mul_i32 s7, s1, s3
	s_add_i32 s6, s8, s6
	s_mul_i32 s9, s0, s3
	s_add_i32 s6, s6, s7
	s_mul_hi_u32 s8, s3, s9
	s_mul_hi_u32 s7, s3, s6
	s_mul_i32 s3, s3, s6
	s_add_u32 s3, s8, s3
	s_addc_u32 s7, 0, s7
	s_mul_hi_u32 s29, s2, s9
	s_mul_i32 s9, s2, s9
	s_add_u32 s3, s3, s9
	s_mul_hi_u32 s8, s2, s6
	s_addc_u32 s3, s7, s29
	s_addc_u32 s7, s8, 0
	s_mul_i32 s6, s2, s6
	s_add_u32 s3, s3, s6
	s_addc_u32 s6, 0, s7
	v_add_co_u32_e32 v2, vcc, s3, v2
	s_cmp_lg_u64 vcc, 0
	s_addc_u32 s2, s2, s6
	v_readfirstlane_b32 s6, v2
	s_mul_i32 s3, s0, s2
	s_mul_hi_u32 s7, s0, s6
	s_add_i32 s3, s7, s3
	s_mul_i32 s1, s1, s6
	s_add_i32 s3, s3, s1
	s_mul_i32 s0, s0, s6
	s_mul_hi_u32 s7, s2, s0
	s_mul_i32 s8, s2, s0
	s_mul_i32 s29, s6, s3
	s_mul_hi_u32 s0, s6, s0
	s_mul_hi_u32 s9, s6, s3
	s_add_u32 s0, s0, s29
	s_addc_u32 s6, 0, s9
	s_add_u32 s0, s0, s8
	s_mul_hi_u32 s1, s2, s3
	s_addc_u32 s0, s6, s7
	s_addc_u32 s1, s1, 0
	s_mul_i32 s3, s2, s3
	s_add_u32 s0, s0, s3
	s_addc_u32 s1, 0, s1
	v_add_co_u32_e32 v2, vcc, s0, v2
	s_cmp_lg_u64 vcc, 0
	s_addc_u32 s6, s2, s1
	s_ashr_i32 s0, s93, 31
	s_add_u32 s2, s87, s0
	s_mov_b32 s1, s0
	s_addc_u32 s3, s93, s0
	s_xor_b64 s[2:3], s[2:3], s[0:1]
	v_readfirstlane_b32 s8, v2
	s_mul_i32 s7, s2, s6
	s_mul_hi_u32 s9, s2, s8
	s_mul_hi_u32 s1, s2, s6
	s_add_u32 s7, s9, s7
	s_addc_u32 s1, 0, s1
	s_mul_hi_u32 s29, s3, s8
	s_mul_i32 s8, s3, s8
	s_add_u32 s7, s7, s8
	s_mul_hi_u32 s9, s3, s6
	s_addc_u32 s1, s1, s29
	s_addc_u32 s7, s9, 0
	s_mul_i32 s6, s3, s6
	s_add_u32 s1, s1, s6
	s_addc_u32 s6, 0, s7
	s_mul_hi_u32 s7, s33, s1
	s_mul_i32 s1, s33, s1
	s_mul_i32 s6, s33, s6
	v_mov_b32_e32 v2, s1
	s_add_i32 s7, s7, s6
	v_sub_co_u32_e32 v2, vcc, s2, v2
	s_cmp_lg_u64 vcc, 0
	s_subb_u32 s1, s3, s7
	v_subrev_co_u32_e32 v4, vcc, s33, v2
	s_cmp_lg_u64 vcc, 0
	s_subb_u32 s2, s1, 0
	v_subrev_co_u32_e32 v5, vcc, s33, v4
	s_cmp_lg_u64 vcc, 0
	s_subb_u32 s3, s2, 0
	v_cmp_le_u32_e32 vcc, s33, v4
	s_cmp_eq_u32 s2, 0
	v_cndmask_b32_e64 v6, 0, -1, vcc
	s_cselect_b64 vcc, -1, 0
	v_cndmask_b32_e32 v6, -1, v6, vcc
	v_mov_b32_e32 v7, s2
	v_mov_b32_e32 v8, s3
	v_cmp_ne_u32_e32 vcc, 0, v6
	v_cndmask_b32_e32 v6, v7, v8, vcc
	v_cndmask_b32_e32 v4, v4, v5, vcc
	v_cmp_le_u32_e32 vcc, s33, v2
	s_cmp_eq_u32 s1, 0
	v_cndmask_b32_e64 v5, 0, -1, vcc
	s_cselect_b64 vcc, -1, 0
	v_cndmask_b32_e32 v5, -1, v5, vcc
	v_cmp_ne_u32_e32 vcc, 0, v5
	v_mov_b32_e32 v7, s1
	v_cndmask_b32_e32 v2, v2, v4, vcc
	v_cndmask_b32_e32 v5, v7, v6, vcc
	v_xor_b32_e32 v2, s0, v2
	v_xor_b32_e32 v5, s0, v5
	v_mov_b32_e32 v6, s0
	v_subrev_co_u32_e32 v4, vcc, s0, v2
	v_subb_co_u32_e32 v5, vcc, v5, v6, vcc
	s_cbranch_execnz .LBB45_191
.LBB45_190:                             ;   in Loop: Header=BB45_17 Depth=1
	v_cvt_f32_u32_e32 v2, s33
	s_sub_i32 s0, 0, s33
	v_rcp_iflag_f32_e32 v2, v2
	v_mul_f32_e32 v2, 0x4f7ffffe, v2
	v_cvt_u32_f32_e32 v2, v2
	v_mul_lo_u32 v4, s0, v2
	v_mul_hi_u32 v4, v2, v4
	v_add_u32_e32 v2, v2, v4
	v_mul_hi_u32 v2, s87, v2
	v_mul_lo_u32 v2, v2, s33
	v_sub_u32_e32 v2, s87, v2
	v_subrev_u32_e32 v4, s33, v2
	v_cmp_le_u32_e32 vcc, s33, v2
	v_cndmask_b32_e32 v2, v2, v4, vcc
	v_subrev_u32_e32 v4, s33, v2
	v_cmp_le_u32_e32 vcc, s33, v2
	v_cndmask_b32_e32 v18, v2, v4, vcc
	v_pk_mov_b32 v[4:5], v[18:19], v[18:19] op_sel:[0,1]
.LBB45_191:                             ;   in Loop: Header=BB45_17 Depth=1
	v_mov_b32_e32 v2, s93
	v_sub_co_u32_e32 v8, vcc, s87, v4
	v_subb_co_u32_e32 v9, vcc, v2, v5, vcc
	v_cmp_gt_i64_e32 vcc, v[8:9], v[0:1]
	s_mov_b64 s[0:1], 0
                                        ; implicit-def: $vgpr6_vgpr7
	s_and_saveexec_b64 s[2:3], vcc
	s_cbranch_execz .LBB45_204
; %bb.192:                              ;   in Loop: Header=BB45_17 Depth=1
	s_mov_b64 s[8:9], 0
	v_pk_mov_b32 v[10:11], v[16:17], v[16:17] op_sel:[0,1]
	v_pk_mov_b32 v[12:13], v[0:1], v[0:1] op_sel:[0,1]
                                        ; implicit-def: $sgpr0_sgpr1
	s_branch .LBB45_194
.LBB45_193:                             ;   in Loop: Header=BB45_194 Depth=2
	s_or_b64 exec, exec, s[6:7]
	s_waitcnt lgkmcnt(0)
	s_barrier
	s_waitcnt vmcnt(0)
	ds_read_b128 v[4:7], v19 offset:3072
	v_mov_b32_e32 v2, s88
	v_add_co_u32_e64 v12, s[6:7], s33, v12
	v_addc_co_u32_e64 v13, s[6:7], v13, v2, s[6:7]
	s_waitcnt lgkmcnt(0)
	v_cmp_neq_f64_e32 vcc, 0, v[4:5]
	v_cmp_ge_i64_e64 s[6:7], v[12:13], v[8:9]
	s_or_b64 s[36:37], vcc, s[6:7]
	v_mov_b32_e32 v2, s83
	v_add_co_u32_e64 v10, s[6:7], s82, v10
	v_addc_co_u32_e64 v11, s[6:7], v11, v2, s[6:7]
	s_and_b64 s[6:7], exec, s[36:37]
	s_or_b64 s[8:9], s[6:7], s[8:9]
	s_andn2_b64 s[0:1], s[0:1], exec
	s_and_b64 s[6:7], vcc, exec
	s_or_b64 s[0:1], s[0:1], s[6:7]
	s_barrier
	s_andn2_b64 exec, exec, s[8:9]
	s_cbranch_execz .LBB45_203
.LBB45_194:                             ;   Parent Loop BB45_17 Depth=1
                                        ; =>  This Inner Loop Header: Depth=2
	v_cmp_gt_i64_e32 vcc, s[56:57], v[12:13]
	v_pk_mov_b32 v[4:5], 0, 0
	s_and_saveexec_b64 s[6:7], vcc
	s_cbranch_execz .LBB45_196
; %bb.195:                              ;   in Loop: Header=BB45_194 Depth=2
	global_load_dwordx2 v[4:5], v[10:11], off
.LBB45_196:                             ;   in Loop: Header=BB45_194 Depth=2
	s_or_b64 exec, exec, s[6:7]
	s_and_saveexec_b64 s[6:7], vcc
	s_cbranch_execz .LBB45_193
; %bb.197:                              ;   in Loop: Header=BB45_194 Depth=2
	s_waitcnt vmcnt(0)
	v_ashrrev_i32_e32 v2, 31, v5
	v_or_b32_e32 v6, 0x80000000, v2
	v_xor_b32_e32 v6, v6, v5
	v_xor_b32_e32 v2, v2, v4
	v_cmp_o_f64_e32 vcc, v[4:5], v[4:5]
	v_cndmask_b32_e32 v6, -1, v6, vcc
	v_cndmask_b32_e32 v2, -1, v2, vcc
	v_and_b32_e32 v7, s79, v6
	v_and_b32_e32 v6, s78, v2
	v_cmp_eq_u64_e32 vcc, s[80:81], v[6:7]
	s_and_b64 exec, exec, vcc
	s_cbranch_execz .LBB45_193
; %bb.198:                              ;   in Loop: Header=BB45_194 Depth=2
	v_mov_b32_e32 v2, v19
	ds_write_b128 v19, v[2:5] offset:3072
	s_branch .LBB45_193
.LBB45_199:                             ;   in Loop: Header=BB45_17 Depth=1
                                        ; implicit-def: $sgpr36_sgpr37
                                        ; implicit-def: $sgpr40_sgpr41
                                        ; implicit-def: $sgpr38_sgpr39
	s_branch .LBB45_218
.LBB45_200:                             ;   in Loop: Header=BB45_17 Depth=1
                                        ; implicit-def: $vgpr4_vgpr5
	s_branch .LBB45_143
.LBB45_201:                             ;   in Loop: Header=BB45_17 Depth=1
                                        ; implicit-def: $vgpr4_vgpr5
	s_branch .LBB45_160
.LBB45_202:                             ;   in Loop: Header=BB45_17 Depth=1
	s_mov_b64 s[36:37], -1
	s_mov_b64 s[0:1], 0
                                        ; implicit-def: $sgpr38_sgpr39
                                        ; implicit-def: $vgpr6_vgpr7
	s_mov_b64 s[40:41], s[36:37]
	s_cbranch_execnz .LBB45_205
	s_branch .LBB45_218
.LBB45_203:                             ;   in Loop: Header=BB45_17 Depth=1
	s_or_b64 exec, exec, s[8:9]
	s_and_b64 s[0:1], s[0:1], exec
.LBB45_204:                             ;   in Loop: Header=BB45_17 Depth=1
	s_or_b64 exec, exec, s[2:3]
	s_mov_b64 s[38:39], -1
	s_mov_b64 s[36:37], 0
	s_mov_b64 s[40:41], s[36:37]
	s_branch .LBB45_218
.LBB45_205:                             ;   in Loop: Header=BB45_17 Depth=1
	v_readlane_b32 s0, v64, 36
	s_add_u32 s6, s0, s42
	v_readlane_b32 s0, v64, 37
	s_addc_u32 s1, s0, s43
	s_mov_b32 s0, s85
	s_cmp_lg_u64 s[0:1], 0
	s_cbranch_scc0 .LBB45_248
; %bb.206:                              ;   in Loop: Header=BB45_17 Depth=1
	v_cvt_f32_u32_e32 v2, s33
	s_sub_u32 s0, 0, s33
	s_subb_u32 s2, 0, 0
	v_mac_f32_e32 v2, 0x4f800000, v47
	v_rcp_f32_e32 v2, v2
	v_mul_f32_e32 v2, 0x5f7ffffc, v2
	v_mul_f32_e32 v4, 0x2f800000, v2
	v_trunc_f32_e32 v4, v4
	v_mac_f32_e32 v2, 0xcf800000, v4
	v_cvt_u32_f32_e32 v4, v4
	v_cvt_u32_f32_e32 v2, v2
	v_readfirstlane_b32 s3, v4
	v_readfirstlane_b32 s7, v2
	s_mul_i32 s8, s0, s3
	s_mul_hi_u32 s29, s0, s7
	s_mul_i32 s9, s2, s7
	s_add_i32 s8, s29, s8
	s_mul_i32 s36, s0, s7
	s_add_i32 s8, s8, s9
	s_mul_hi_u32 s29, s7, s36
	s_mul_hi_u32 s9, s7, s8
	s_mul_i32 s7, s7, s8
	s_add_u32 s7, s29, s7
	s_addc_u32 s9, 0, s9
	s_mul_hi_u32 s37, s3, s36
	s_mul_i32 s36, s3, s36
	s_add_u32 s7, s7, s36
	s_mul_hi_u32 s29, s3, s8
	s_addc_u32 s7, s9, s37
	s_addc_u32 s9, s29, 0
	s_mul_i32 s8, s3, s8
	s_add_u32 s7, s7, s8
	s_addc_u32 s8, 0, s9
	v_add_co_u32_e32 v2, vcc, s7, v2
	s_cmp_lg_u64 vcc, 0
	s_addc_u32 s3, s3, s8
	v_readfirstlane_b32 s8, v2
	s_mul_i32 s7, s0, s3
	s_mul_hi_u32 s9, s0, s8
	s_add_i32 s7, s9, s7
	s_mul_i32 s2, s2, s8
	s_add_i32 s7, s7, s2
	s_mul_i32 s0, s0, s8
	s_mul_hi_u32 s9, s3, s0
	s_mul_i32 s29, s3, s0
	s_mul_i32 s37, s8, s7
	s_mul_hi_u32 s0, s8, s0
	s_mul_hi_u32 s36, s8, s7
	s_add_u32 s0, s0, s37
	s_addc_u32 s8, 0, s36
	s_add_u32 s0, s0, s29
	s_mul_hi_u32 s2, s3, s7
	s_addc_u32 s0, s8, s9
	s_addc_u32 s2, s2, 0
	s_mul_i32 s7, s3, s7
	s_add_u32 s0, s0, s7
	s_addc_u32 s2, 0, s2
	v_add_co_u32_e32 v2, vcc, s0, v2
	s_cmp_lg_u64 vcc, 0
	s_addc_u32 s0, s3, s2
	s_ashr_i32 s2, s1, 31
	s_add_u32 s8, s6, s2
	s_mov_b32 s3, s2
	s_addc_u32 s9, s1, s2
	s_xor_b64 s[8:9], s[8:9], s[2:3]
	v_readfirstlane_b32 s29, v2
	s_mul_i32 s7, s8, s0
	s_mul_hi_u32 s36, s8, s29
	s_mul_hi_u32 s3, s8, s0
	s_add_u32 s7, s36, s7
	s_addc_u32 s3, 0, s3
	s_mul_hi_u32 s37, s9, s29
	s_mul_i32 s29, s9, s29
	s_add_u32 s7, s7, s29
	s_mul_hi_u32 s36, s9, s0
	s_addc_u32 s3, s3, s37
	s_addc_u32 s7, s36, 0
	s_mul_i32 s0, s9, s0
	s_add_u32 s0, s3, s0
	s_addc_u32 s3, 0, s7
	s_mul_hi_u32 s7, s33, s0
	s_mul_i32 s0, s33, s0
	s_mul_i32 s3, s33, s3
	v_mov_b32_e32 v2, s0
	s_add_i32 s7, s7, s3
	v_sub_co_u32_e32 v2, vcc, s8, v2
	s_cmp_lg_u64 vcc, 0
	s_subb_u32 s0, s9, s7
	v_subrev_co_u32_e32 v4, vcc, s33, v2
	s_cmp_lg_u64 vcc, 0
	s_subb_u32 s3, s0, 0
	v_subrev_co_u32_e32 v5, vcc, s33, v4
	s_cmp_lg_u64 vcc, 0
	s_subb_u32 s7, s3, 0
	v_cmp_le_u32_e32 vcc, s33, v4
	s_cmp_eq_u32 s3, 0
	v_cndmask_b32_e64 v6, 0, -1, vcc
	s_cselect_b64 vcc, -1, 0
	v_cndmask_b32_e32 v6, -1, v6, vcc
	v_mov_b32_e32 v7, s3
	v_mov_b32_e32 v8, s7
	v_cmp_ne_u32_e32 vcc, 0, v6
	v_cndmask_b32_e32 v6, v7, v8, vcc
	v_cndmask_b32_e32 v4, v4, v5, vcc
	v_cmp_le_u32_e32 vcc, s33, v2
	s_cmp_eq_u32 s0, 0
	v_cndmask_b32_e64 v5, 0, -1, vcc
	s_cselect_b64 vcc, -1, 0
	v_cndmask_b32_e32 v5, -1, v5, vcc
	v_cmp_ne_u32_e32 vcc, 0, v5
	v_mov_b32_e32 v7, s0
	v_cndmask_b32_e32 v2, v2, v4, vcc
	v_cndmask_b32_e32 v5, v7, v6, vcc
	v_xor_b32_e32 v2, s2, v2
	v_xor_b32_e32 v5, s2, v5
	v_mov_b32_e32 v6, s2
	v_subrev_co_u32_e32 v4, vcc, s2, v2
	v_subb_co_u32_e32 v5, vcc, v5, v6, vcc
	s_cbranch_execnz .LBB45_208
.LBB45_207:                             ;   in Loop: Header=BB45_17 Depth=1
	v_cvt_f32_u32_e32 v2, s33
	s_sub_i32 s0, 0, s33
	v_rcp_iflag_f32_e32 v2, v2
	v_mul_f32_e32 v2, 0x4f7ffffe, v2
	v_cvt_u32_f32_e32 v2, v2
	v_mul_lo_u32 v4, s0, v2
	v_mul_hi_u32 v4, v2, v4
	v_add_u32_e32 v2, v2, v4
	v_mul_hi_u32 v2, s6, v2
	v_mul_lo_u32 v2, v2, s33
	v_sub_u32_e32 v2, s6, v2
	v_subrev_u32_e32 v4, s33, v2
	v_cmp_le_u32_e32 vcc, s33, v2
	v_cndmask_b32_e32 v2, v2, v4, vcc
	v_subrev_u32_e32 v4, s33, v2
	v_cmp_le_u32_e32 vcc, s33, v2
	v_cndmask_b32_e32 v18, v2, v4, vcc
	v_pk_mov_b32 v[4:5], v[18:19], v[18:19] op_sel:[0,1]
.LBB45_208:                             ;   in Loop: Header=BB45_17 Depth=1
	v_mov_b32_e32 v2, s1
	v_sub_co_u32_e32 v8, vcc, s6, v4
	v_subb_co_u32_e32 v9, vcc, v2, v5, vcc
	v_cmp_gt_i64_e32 vcc, v[8:9], v[0:1]
	s_mov_b64 s[0:1], 0
                                        ; implicit-def: $vgpr6_vgpr7
	s_and_saveexec_b64 s[2:3], vcc
	s_cbranch_execz .LBB45_217
; %bb.209:                              ;   in Loop: Header=BB45_17 Depth=1
	s_mov_b64 s[8:9], 0
	v_mov_b32_e32 v12, v39
	v_pk_mov_b32 v[10:11], v[0:1], v[0:1] op_sel:[0,1]
                                        ; implicit-def: $sgpr0_sgpr1
	s_branch .LBB45_211
.LBB45_210:                             ;   in Loop: Header=BB45_211 Depth=2
	s_or_b64 exec, exec, s[6:7]
	s_waitcnt lgkmcnt(0)
	s_barrier
	ds_read_b128 v[4:7], v19 offset:3072
	v_mov_b32_e32 v2, s88
	v_add_co_u32_e64 v10, s[6:7], s33, v10
	v_addc_co_u32_e64 v11, s[6:7], v11, v2, s[6:7]
	s_waitcnt lgkmcnt(0)
	v_cmp_neq_f64_e32 vcc, 0, v[4:5]
	v_cmp_ge_i64_e64 s[6:7], v[10:11], v[8:9]
	s_or_b64 s[6:7], vcc, s[6:7]
	s_and_b64 s[6:7], exec, s[6:7]
	s_or_b64 s[8:9], s[6:7], s[8:9]
	s_andn2_b64 s[0:1], s[0:1], exec
	s_and_b64 s[6:7], vcc, exec
	v_add_u32_e32 v12, s94, v12
	s_or_b64 s[0:1], s[0:1], s[6:7]
	s_barrier
	s_andn2_b64 exec, exec, s[8:9]
	s_cbranch_execz .LBB45_216
.LBB45_211:                             ;   Parent Loop BB45_17 Depth=1
                                        ; =>  This Inner Loop Header: Depth=2
	v_cmp_gt_i64_e32 vcc, s[42:43], v[10:11]
	v_pk_mov_b32 v[4:5], 0, 0
	s_and_saveexec_b64 s[6:7], vcc
	s_cbranch_execz .LBB45_213
; %bb.212:                              ;   in Loop: Header=BB45_211 Depth=2
	ds_read_b64 v[4:5], v12
.LBB45_213:                             ;   in Loop: Header=BB45_211 Depth=2
	s_or_b64 exec, exec, s[6:7]
	s_and_saveexec_b64 s[6:7], vcc
	s_cbranch_execz .LBB45_210
; %bb.214:                              ;   in Loop: Header=BB45_211 Depth=2
	s_waitcnt lgkmcnt(0)
	v_ashrrev_i32_e32 v2, 31, v5
	v_or_b32_e32 v6, 0x80000000, v2
	v_xor_b32_e32 v6, v6, v5
	v_xor_b32_e32 v2, v2, v4
	v_cmp_o_f64_e32 vcc, v[4:5], v[4:5]
	v_cndmask_b32_e32 v6, -1, v6, vcc
	v_cndmask_b32_e32 v2, -1, v2, vcc
	v_and_b32_e32 v7, s79, v6
	v_and_b32_e32 v6, s78, v2
	v_cmp_eq_u64_e32 vcc, s[80:81], v[6:7]
	s_and_b64 exec, exec, vcc
	s_cbranch_execz .LBB45_210
; %bb.215:                              ;   in Loop: Header=BB45_211 Depth=2
	v_mov_b32_e32 v2, v19
	ds_write_b128 v19, v[2:5] offset:3072
	s_branch .LBB45_210
.LBB45_216:                             ;   in Loop: Header=BB45_17 Depth=1
	s_or_b64 exec, exec, s[8:9]
	s_and_b64 s[0:1], s[0:1], exec
.LBB45_217:                             ;   in Loop: Header=BB45_17 Depth=1
	s_or_b64 exec, exec, s[2:3]
	s_mov_b64 s[40:41], -1
	s_mov_b64 s[36:37], 0
	s_mov_b64 s[38:39], 0
.LBB45_218:                             ;   in Loop: Header=BB45_17 Depth=1
	s_mov_b64 s[2:3], 0
                                        ; implicit-def: $sgpr46
	s_and_saveexec_b64 s[42:43], s[0:1]
	s_cbranch_execz .LBB45_280
; %bb.219:                              ;   in Loop: Header=BB45_17 Depth=1
	s_xor_b64 s[0:1], s[44:45], -1
	s_andn2_b64 vcc, exec, s[0:1]
	s_mov_b32 s46, 1
	s_cbranch_vccnz .LBB45_230
; %bb.220:                              ;   in Loop: Header=BB45_17 Depth=1
	s_waitcnt vmcnt(0)
	v_pk_mov_b32 v[4:5], s[20:21], s[20:21] op_sel:[0,1]
	v_cmp_gt_i64_e32 vcc, s[58:59], v[4:5]
	s_mov_b64 s[0:1], -1
                                        ; implicit-def: $sgpr46
                                        ; implicit-def: $sgpr2_sgpr3
                                        ; implicit-def: $sgpr6_sgpr7
	s_cbranch_vccnz .LBB45_226
; %bb.221:                              ;   in Loop: Header=BB45_17 Depth=1
	ds_read_b64 v[4:5], v19 offset:5120
	s_waitcnt lgkmcnt(0)
	v_cmp_ne_u64_e32 vcc, 0, v[4:5]
	s_cbranch_vccnz .LBB45_225
; %bb.222:                              ;   in Loop: Header=BB45_17 Depth=1
	s_mov_b64 s[0:1], exec
	v_readlane_b32 s2, v64, 12
	v_readlane_b32 s3, v64, 13
	s_and_b64 s[2:3], s[0:1], s[2:3]
	s_mov_b64 exec, s[2:3]
	s_cbranch_execz .LBB45_224
; %bb.223:                              ;   in Loop: Header=BB45_17 Depth=1
	v_pk_mov_b32 v[4:5], s[20:21], s[20:21] op_sel:[0,1]
	ds_write_b64 v19, v[4:5] offset:5128
.LBB45_224:                             ;   in Loop: Header=BB45_17 Depth=1
	s_or_b64 exec, exec, s[0:1]
	s_waitcnt lgkmcnt(0)
	s_barrier
.LBB45_225:                             ;   in Loop: Header=BB45_17 Depth=1
	s_lshl_b64 s[0:1], 2, s28
	s_and_b64 s[2:3], s[80:81], s[22:23]
	s_or_b64 s[2:3], s[2:3], s[0:1]
	s_or_b64 s[6:7], s[78:79], s[14:15]
	s_mov_b64 s[0:1], 0
	s_mov_b32 s46, 8
.LBB45_226:                             ;   in Loop: Header=BB45_17 Depth=1
	s_andn2_b64 vcc, exec, s[0:1]
	s_cbranch_vccnz .LBB45_228
; %bb.227:                              ;   in Loop: Header=BB45_17 Depth=1
	s_sub_u32 s58, s58, s20
	s_subb_u32 s59, s59, s21
	s_mov_b64 s[0:1], -1
	s_mov_b32 s46, 0
	s_mov_b64 s[2:3], s[80:81]
	s_mov_b64 s[6:7], s[78:79]
.LBB45_228:                             ;   in Loop: Header=BB45_17 Depth=1
	s_mov_b64 s[78:79], s[6:7]
	s_mov_b64 s[80:81], s[2:3]
	s_andn2_b64 vcc, exec, s[0:1]
	s_mov_b64 s[28:29], -1
	s_cbranch_vccz .LBB45_231
.LBB45_229:                             ;   in Loop: Header=BB45_17 Depth=1
                                        ; implicit-def: $sgpr0_sgpr1
                                        ; implicit-def: $sgpr6_sgpr7
                                        ; implicit-def: $sgpr2_sgpr3
	s_branch .LBB45_279
.LBB45_230:                             ;   in Loop: Header=BB45_17 Depth=1
	s_mov_b64 s[58:59], 1
	s_mov_b64 s[28:29], -1
	s_cbranch_execnz .LBB45_229
.LBB45_231:                             ;   in Loop: Header=BB45_17 Depth=1
	s_cmp_eq_u64 s[12:13], 1
	s_cselect_b64 s[0:1], -1, 0
	s_cmp_eq_u64 s[58:59], 1
	s_cselect_b64 s[2:3], -1, 0
	s_and_b64 s[20:21], s[0:1], s[2:3]
	s_mov_b64 s[8:9], -1
	s_and_b64 vcc, exec, s[20:21]
	s_cbranch_vccz .LBB45_246
; %bb.232:                              ;   in Loop: Header=BB45_17 Depth=1
	s_waitcnt vmcnt(0)
	ds_read_b64 v[4:5], v19 offset:5120
	s_waitcnt lgkmcnt(0)
	s_barrier
	v_readfirstlane_b32 s22, v4
	v_readfirstlane_b32 s23, v5
	s_mov_b64 s[0:1], exec
	v_readlane_b32 s2, v64, 24
	v_readlane_b32 s3, v64, 25
	s_and_b64 s[2:3], s[0:1], s[2:3]
	s_mov_b64 exec, s[2:3]
	s_cbranch_execz .LBB45_234
; %bb.233:                              ;   in Loop: Header=BB45_17 Depth=1
	v_mov_b32_e32 v18, v19
	ds_write_b64 v40, v[18:19]
.LBB45_234:                             ;   in Loop: Header=BB45_17 Depth=1
	s_or_b64 exec, exec, s[0:1]
	v_cmp_gt_i64_e64 s[0:1], s[22:23], 0
	s_or_b64 s[80:81], s[80:81], s[14:15]
	s_or_b64 s[78:79], s[78:79], s[14:15]
	s_and_b64 vcc, exec, s[0:1]
	s_waitcnt lgkmcnt(0)
	s_barrier
	s_cbranch_vccnz .LBB45_249
; %bb.235:                              ;   in Loop: Header=BB45_17 Depth=1
	s_mov_b32 s92, s85
	s_cmp_lg_u64 s[92:93], 0
	s_cbranch_scc0 .LBB45_285
; %bb.236:                              ;   in Loop: Header=BB45_17 Depth=1
	v_cvt_f32_u32_e32 v2, s33
	s_sub_u32 s0, 0, s33
	s_subb_u32 s1, 0, 0
	v_mac_f32_e32 v2, 0x4f800000, v47
	v_rcp_f32_e32 v2, v2
	v_mul_f32_e32 v2, 0x5f7ffffc, v2
	v_mul_f32_e32 v4, 0x2f800000, v2
	v_trunc_f32_e32 v4, v4
	v_mac_f32_e32 v2, 0xcf800000, v4
	v_cvt_u32_f32_e32 v4, v4
	v_cvt_u32_f32_e32 v2, v2
	v_readfirstlane_b32 s2, v4
	v_readfirstlane_b32 s3, v2
	s_mul_i32 s6, s0, s2
	s_mul_hi_u32 s8, s0, s3
	s_mul_i32 s7, s1, s3
	s_add_i32 s6, s8, s6
	s_mul_i32 s9, s0, s3
	s_add_i32 s6, s6, s7
	s_mul_hi_u32 s8, s3, s9
	s_mul_hi_u32 s7, s3, s6
	s_mul_i32 s3, s3, s6
	s_add_u32 s3, s8, s3
	s_addc_u32 s7, 0, s7
	s_mul_hi_u32 s28, s2, s9
	s_mul_i32 s9, s2, s9
	s_add_u32 s3, s3, s9
	s_mul_hi_u32 s8, s2, s6
	s_addc_u32 s3, s7, s28
	s_addc_u32 s7, s8, 0
	s_mul_i32 s6, s2, s6
	s_add_u32 s3, s3, s6
	s_addc_u32 s6, 0, s7
	v_add_co_u32_e32 v2, vcc, s3, v2
	s_cmp_lg_u64 vcc, 0
	s_addc_u32 s2, s2, s6
	v_readfirstlane_b32 s6, v2
	s_mul_i32 s3, s0, s2
	s_mul_hi_u32 s7, s0, s6
	s_add_i32 s3, s7, s3
	s_mul_i32 s1, s1, s6
	s_add_i32 s3, s3, s1
	s_mul_i32 s0, s0, s6
	s_mul_hi_u32 s7, s2, s0
	s_mul_i32 s8, s2, s0
	s_mul_i32 s28, s6, s3
	s_mul_hi_u32 s0, s6, s0
	s_mul_hi_u32 s9, s6, s3
	s_add_u32 s0, s0, s28
	s_addc_u32 s6, 0, s9
	s_add_u32 s0, s0, s8
	s_mul_hi_u32 s1, s2, s3
	s_addc_u32 s0, s6, s7
	s_addc_u32 s1, s1, 0
	s_mul_i32 s3, s2, s3
	s_add_u32 s0, s0, s3
	s_addc_u32 s1, 0, s1
	v_add_co_u32_e32 v2, vcc, s0, v2
	s_cmp_lg_u64 vcc, 0
	s_addc_u32 s6, s2, s1
	s_ashr_i32 s0, s93, 31
	s_add_u32 s2, s87, s0
	s_mov_b32 s1, s0
	s_addc_u32 s3, s93, s0
	s_xor_b64 s[2:3], s[2:3], s[0:1]
	v_readfirstlane_b32 s8, v2
	s_mul_i32 s7, s2, s6
	s_mul_hi_u32 s9, s2, s8
	s_mul_hi_u32 s1, s2, s6
	s_add_u32 s7, s9, s7
	s_addc_u32 s1, 0, s1
	s_mul_hi_u32 s28, s3, s8
	s_mul_i32 s8, s3, s8
	s_add_u32 s7, s7, s8
	s_mul_hi_u32 s9, s3, s6
	s_addc_u32 s1, s1, s28
	s_addc_u32 s7, s9, 0
	s_mul_i32 s6, s3, s6
	s_add_u32 s1, s1, s6
	s_addc_u32 s6, 0, s7
	s_mul_hi_u32 s7, s33, s1
	s_mul_i32 s1, s33, s1
	s_mul_i32 s6, s33, s6
	v_mov_b32_e32 v2, s1
	s_add_i32 s7, s7, s6
	v_sub_co_u32_e32 v2, vcc, s2, v2
	s_cmp_lg_u64 vcc, 0
	s_subb_u32 s1, s3, s7
	v_subrev_co_u32_e32 v4, vcc, s33, v2
	s_cmp_lg_u64 vcc, 0
	s_subb_u32 s2, s1, 0
	v_subrev_co_u32_e32 v5, vcc, s33, v4
	s_cmp_lg_u64 vcc, 0
	s_subb_u32 s3, s2, 0
	v_cmp_le_u32_e32 vcc, s33, v4
	s_cmp_eq_u32 s2, 0
	v_cndmask_b32_e64 v6, 0, -1, vcc
	s_cselect_b64 vcc, -1, 0
	v_cndmask_b32_e32 v6, -1, v6, vcc
	v_mov_b32_e32 v7, s2
	v_mov_b32_e32 v8, s3
	v_cmp_ne_u32_e32 vcc, 0, v6
	v_cndmask_b32_e32 v6, v7, v8, vcc
	v_cndmask_b32_e32 v4, v4, v5, vcc
	v_cmp_le_u32_e32 vcc, s33, v2
	s_cmp_eq_u32 s1, 0
	v_cndmask_b32_e64 v5, 0, -1, vcc
	s_cselect_b64 vcc, -1, 0
	v_cndmask_b32_e32 v5, -1, v5, vcc
	v_cmp_ne_u32_e32 vcc, 0, v5
	v_mov_b32_e32 v7, s1
	v_cndmask_b32_e32 v2, v2, v4, vcc
	v_cndmask_b32_e32 v5, v7, v6, vcc
	v_xor_b32_e32 v2, s0, v2
	v_xor_b32_e32 v5, s0, v5
	v_mov_b32_e32 v6, s0
	v_subrev_co_u32_e32 v4, vcc, s0, v2
	v_subb_co_u32_e32 v5, vcc, v5, v6, vcc
	s_cbranch_execnz .LBB45_238
.LBB45_237:                             ;   in Loop: Header=BB45_17 Depth=1
	v_cvt_f32_u32_e32 v2, s33
	s_sub_i32 s0, 0, s33
	v_rcp_iflag_f32_e32 v2, v2
	v_mul_f32_e32 v2, 0x4f7ffffe, v2
	v_cvt_u32_f32_e32 v2, v2
	v_mul_lo_u32 v4, s0, v2
	v_mul_hi_u32 v4, v2, v4
	v_add_u32_e32 v2, v2, v4
	v_mul_hi_u32 v2, s87, v2
	v_mul_lo_u32 v2, v2, s33
	v_sub_u32_e32 v2, s87, v2
	v_subrev_u32_e32 v4, s33, v2
	v_cmp_le_u32_e32 vcc, s33, v2
	v_cndmask_b32_e32 v2, v2, v4, vcc
	v_subrev_u32_e32 v4, s33, v2
	v_cmp_le_u32_e32 vcc, s33, v2
	v_cndmask_b32_e32 v18, v2, v4, vcc
	v_pk_mov_b32 v[4:5], v[18:19], v[18:19] op_sel:[0,1]
.LBB45_238:                             ;   in Loop: Header=BB45_17 Depth=1
	v_mov_b32_e32 v2, s93
	v_sub_co_u32_e32 v8, vcc, s87, v4
	v_subb_co_u32_e32 v9, vcc, v2, v5, vcc
	v_cmp_gt_i64_e32 vcc, v[8:9], v[0:1]
	s_mov_b64 s[8:9], 0
                                        ; implicit-def: $vgpr6_vgpr7
	s_and_saveexec_b64 s[0:1], vcc
	s_cbranch_execz .LBB45_251
; %bb.239:                              ;   in Loop: Header=BB45_17 Depth=1
	v_pk_mov_b32 v[10:11], v[16:17], v[16:17] op_sel:[0,1]
	v_pk_mov_b32 v[12:13], v[0:1], v[0:1] op_sel:[0,1]
                                        ; implicit-def: $sgpr2_sgpr3
	s_branch .LBB45_241
.LBB45_240:                             ;   in Loop: Header=BB45_241 Depth=2
	s_or_b64 exec, exec, s[6:7]
	s_waitcnt lgkmcnt(0)
	s_barrier
	s_waitcnt vmcnt(0)
	ds_read_b128 v[4:7], v19 offset:3072
	v_mov_b32_e32 v2, s88
	v_add_co_u32_e64 v12, s[6:7], s33, v12
	v_addc_co_u32_e64 v13, s[6:7], v13, v2, s[6:7]
	s_waitcnt lgkmcnt(0)
	v_cmp_neq_f64_e32 vcc, 0, v[4:5]
	v_cmp_ge_i64_e64 s[6:7], v[12:13], v[8:9]
	s_or_b64 s[28:29], vcc, s[6:7]
	v_mov_b32_e32 v2, s83
	v_add_co_u32_e64 v10, s[6:7], s82, v10
	v_addc_co_u32_e64 v11, s[6:7], v11, v2, s[6:7]
	s_and_b64 s[6:7], exec, s[28:29]
	s_or_b64 s[8:9], s[6:7], s[8:9]
	s_andn2_b64 s[2:3], s[2:3], exec
	s_and_b64 s[6:7], vcc, exec
	s_or_b64 s[2:3], s[2:3], s[6:7]
	s_barrier
	s_andn2_b64 exec, exec, s[8:9]
	s_cbranch_execz .LBB45_250
.LBB45_241:                             ;   Parent Loop BB45_17 Depth=1
                                        ; =>  This Inner Loop Header: Depth=2
	v_cmp_gt_i64_e32 vcc, s[56:57], v[12:13]
	v_pk_mov_b32 v[4:5], 0, 0
	s_and_saveexec_b64 s[6:7], vcc
	s_cbranch_execz .LBB45_243
; %bb.242:                              ;   in Loop: Header=BB45_241 Depth=2
	global_load_dwordx2 v[4:5], v[10:11], off
.LBB45_243:                             ;   in Loop: Header=BB45_241 Depth=2
	s_or_b64 exec, exec, s[6:7]
	s_and_saveexec_b64 s[6:7], vcc
	s_cbranch_execz .LBB45_240
; %bb.244:                              ;   in Loop: Header=BB45_241 Depth=2
	s_waitcnt vmcnt(0)
	v_ashrrev_i32_e32 v2, 31, v5
	v_or_b32_e32 v6, 0x80000000, v2
	v_xor_b32_e32 v6, v6, v5
	v_xor_b32_e32 v2, v2, v4
	v_cmp_o_f64_e32 vcc, v[4:5], v[4:5]
	v_cndmask_b32_e32 v6, -1, v6, vcc
	v_cndmask_b32_e32 v2, -1, v2, vcc
	v_and_b32_e32 v7, s79, v6
	v_and_b32_e32 v6, s78, v2
	v_cmp_eq_u64_e32 vcc, s[80:81], v[6:7]
	s_and_b64 exec, exec, vcc
	s_cbranch_execz .LBB45_240
; %bb.245:                              ;   in Loop: Header=BB45_241 Depth=2
	v_mov_b32_e32 v2, v19
	ds_write_b128 v19, v[2:5] offset:3072
	s_branch .LBB45_240
.LBB45_246:                             ;   in Loop: Header=BB45_17 Depth=1
                                        ; implicit-def: $sgpr0_sgpr1
                                        ; implicit-def: $sgpr6_sgpr7
                                        ; implicit-def: $sgpr2_sgpr3
	s_branch .LBB45_265
.LBB45_247:                             ;   in Loop: Header=BB45_17 Depth=1
                                        ; implicit-def: $vgpr4_vgpr5
	s_branch .LBB45_190
.LBB45_248:                             ;   in Loop: Header=BB45_17 Depth=1
                                        ; implicit-def: $vgpr4_vgpr5
	s_branch .LBB45_207
.LBB45_249:                             ;   in Loop: Header=BB45_17 Depth=1
	s_mov_b64 s[0:1], -1
	s_mov_b64 s[8:9], 0
                                        ; implicit-def: $sgpr2_sgpr3
                                        ; implicit-def: $vgpr6_vgpr7
	s_mov_b64 s[6:7], s[0:1]
	s_cbranch_execnz .LBB45_252
	s_branch .LBB45_265
.LBB45_250:                             ;   in Loop: Header=BB45_17 Depth=1
	s_or_b64 exec, exec, s[8:9]
	s_and_b64 s[8:9], s[2:3], exec
.LBB45_251:                             ;   in Loop: Header=BB45_17 Depth=1
	s_or_b64 exec, exec, s[0:1]
	s_mov_b64 s[2:3], -1
	s_mov_b64 s[0:1], 0
	s_mov_b64 s[6:7], s[0:1]
	s_branch .LBB45_265
.LBB45_252:                             ;   in Loop: Header=BB45_17 Depth=1
	v_readlane_b32 s0, v64, 36
	s_add_u32 s6, s0, s22
	v_readlane_b32 s0, v64, 37
	s_addc_u32 s1, s0, s23
	s_mov_b32 s0, s85
	s_cmp_lg_u64 s[0:1], 0
	s_cbranch_scc0 .LBB45_286
; %bb.253:                              ;   in Loop: Header=BB45_17 Depth=1
	v_cvt_f32_u32_e32 v2, s33
	s_sub_u32 s0, 0, s33
	s_subb_u32 s2, 0, 0
	v_mac_f32_e32 v2, 0x4f800000, v47
	v_rcp_f32_e32 v2, v2
	v_mul_f32_e32 v2, 0x5f7ffffc, v2
	v_mul_f32_e32 v4, 0x2f800000, v2
	v_trunc_f32_e32 v4, v4
	v_mac_f32_e32 v2, 0xcf800000, v4
	v_cvt_u32_f32_e32 v4, v4
	v_cvt_u32_f32_e32 v2, v2
	v_readfirstlane_b32 s3, v4
	v_readfirstlane_b32 s7, v2
	s_mul_i32 s8, s0, s3
	s_mul_hi_u32 s28, s0, s7
	s_mul_i32 s9, s2, s7
	s_add_i32 s8, s28, s8
	s_mul_i32 s29, s0, s7
	s_add_i32 s8, s8, s9
	s_mul_hi_u32 s28, s7, s29
	s_mul_hi_u32 s9, s7, s8
	s_mul_i32 s7, s7, s8
	s_add_u32 s7, s28, s7
	s_addc_u32 s9, 0, s9
	s_mul_hi_u32 s44, s3, s29
	s_mul_i32 s29, s3, s29
	s_add_u32 s7, s7, s29
	s_mul_hi_u32 s28, s3, s8
	s_addc_u32 s7, s9, s44
	s_addc_u32 s9, s28, 0
	s_mul_i32 s8, s3, s8
	s_add_u32 s7, s7, s8
	s_addc_u32 s8, 0, s9
	v_add_co_u32_e32 v2, vcc, s7, v2
	s_cmp_lg_u64 vcc, 0
	s_addc_u32 s3, s3, s8
	v_readfirstlane_b32 s8, v2
	s_mul_i32 s7, s0, s3
	s_mul_hi_u32 s9, s0, s8
	s_add_i32 s7, s9, s7
	s_mul_i32 s2, s2, s8
	s_add_i32 s7, s7, s2
	s_mul_i32 s0, s0, s8
	s_mul_hi_u32 s9, s3, s0
	s_mul_i32 s28, s3, s0
	s_mul_i32 s44, s8, s7
	s_mul_hi_u32 s0, s8, s0
	s_mul_hi_u32 s29, s8, s7
	s_add_u32 s0, s0, s44
	s_addc_u32 s8, 0, s29
	s_add_u32 s0, s0, s28
	s_mul_hi_u32 s2, s3, s7
	s_addc_u32 s0, s8, s9
	s_addc_u32 s2, s2, 0
	s_mul_i32 s7, s3, s7
	s_add_u32 s0, s0, s7
	s_addc_u32 s2, 0, s2
	v_add_co_u32_e32 v2, vcc, s0, v2
	s_cmp_lg_u64 vcc, 0
	s_addc_u32 s0, s3, s2
	s_ashr_i32 s2, s1, 31
	s_add_u32 s8, s6, s2
	s_mov_b32 s3, s2
	s_addc_u32 s9, s1, s2
	s_xor_b64 s[8:9], s[8:9], s[2:3]
	v_readfirstlane_b32 s28, v2
	s_mul_i32 s7, s8, s0
	s_mul_hi_u32 s29, s8, s28
	s_mul_hi_u32 s3, s8, s0
	s_add_u32 s7, s29, s7
	s_addc_u32 s3, 0, s3
	s_mul_hi_u32 s44, s9, s28
	s_mul_i32 s28, s9, s28
	s_add_u32 s7, s7, s28
	s_mul_hi_u32 s29, s9, s0
	s_addc_u32 s3, s3, s44
	s_addc_u32 s7, s29, 0
	s_mul_i32 s0, s9, s0
	s_add_u32 s0, s3, s0
	s_addc_u32 s3, 0, s7
	s_mul_hi_u32 s7, s33, s0
	s_mul_i32 s0, s33, s0
	s_mul_i32 s3, s33, s3
	v_mov_b32_e32 v2, s0
	s_add_i32 s7, s7, s3
	v_sub_co_u32_e32 v2, vcc, s8, v2
	s_cmp_lg_u64 vcc, 0
	s_subb_u32 s0, s9, s7
	v_subrev_co_u32_e32 v4, vcc, s33, v2
	s_cmp_lg_u64 vcc, 0
	s_subb_u32 s3, s0, 0
	v_subrev_co_u32_e32 v5, vcc, s33, v4
	s_cmp_lg_u64 vcc, 0
	s_subb_u32 s7, s3, 0
	v_cmp_le_u32_e32 vcc, s33, v4
	s_cmp_eq_u32 s3, 0
	v_cndmask_b32_e64 v6, 0, -1, vcc
	s_cselect_b64 vcc, -1, 0
	v_cndmask_b32_e32 v6, -1, v6, vcc
	v_mov_b32_e32 v7, s3
	v_mov_b32_e32 v8, s7
	v_cmp_ne_u32_e32 vcc, 0, v6
	v_cndmask_b32_e32 v6, v7, v8, vcc
	v_cndmask_b32_e32 v4, v4, v5, vcc
	v_cmp_le_u32_e32 vcc, s33, v2
	s_cmp_eq_u32 s0, 0
	v_cndmask_b32_e64 v5, 0, -1, vcc
	s_cselect_b64 vcc, -1, 0
	v_cndmask_b32_e32 v5, -1, v5, vcc
	v_cmp_ne_u32_e32 vcc, 0, v5
	v_mov_b32_e32 v7, s0
	v_cndmask_b32_e32 v2, v2, v4, vcc
	v_cndmask_b32_e32 v5, v7, v6, vcc
	v_xor_b32_e32 v2, s2, v2
	v_xor_b32_e32 v5, s2, v5
	v_mov_b32_e32 v6, s2
	v_subrev_co_u32_e32 v4, vcc, s2, v2
	v_subb_co_u32_e32 v5, vcc, v5, v6, vcc
	s_cbranch_execnz .LBB45_255
.LBB45_254:                             ;   in Loop: Header=BB45_17 Depth=1
	v_cvt_f32_u32_e32 v2, s33
	s_sub_i32 s0, 0, s33
	v_rcp_iflag_f32_e32 v2, v2
	v_mul_f32_e32 v2, 0x4f7ffffe, v2
	v_cvt_u32_f32_e32 v2, v2
	v_mul_lo_u32 v4, s0, v2
	v_mul_hi_u32 v4, v2, v4
	v_add_u32_e32 v2, v2, v4
	v_mul_hi_u32 v2, s6, v2
	v_mul_lo_u32 v2, v2, s33
	v_sub_u32_e32 v2, s6, v2
	v_subrev_u32_e32 v4, s33, v2
	v_cmp_le_u32_e32 vcc, s33, v2
	v_cndmask_b32_e32 v2, v2, v4, vcc
	v_subrev_u32_e32 v4, s33, v2
	v_cmp_le_u32_e32 vcc, s33, v2
	v_cndmask_b32_e32 v18, v2, v4, vcc
	v_pk_mov_b32 v[4:5], v[18:19], v[18:19] op_sel:[0,1]
.LBB45_255:                             ;   in Loop: Header=BB45_17 Depth=1
	v_mov_b32_e32 v2, s1
	v_sub_co_u32_e32 v8, vcc, s6, v4
	v_subb_co_u32_e32 v9, vcc, v2, v5, vcc
	v_cmp_gt_i64_e32 vcc, v[8:9], v[0:1]
	s_mov_b64 s[8:9], 0
                                        ; implicit-def: $vgpr6_vgpr7
	s_and_saveexec_b64 s[0:1], vcc
	s_cbranch_execz .LBB45_264
; %bb.256:                              ;   in Loop: Header=BB45_17 Depth=1
	v_mov_b32_e32 v12, v39
	v_pk_mov_b32 v[10:11], v[0:1], v[0:1] op_sel:[0,1]
                                        ; implicit-def: $sgpr2_sgpr3
	s_branch .LBB45_258
.LBB45_257:                             ;   in Loop: Header=BB45_258 Depth=2
	s_or_b64 exec, exec, s[6:7]
	s_waitcnt lgkmcnt(0)
	s_barrier
	ds_read_b128 v[4:7], v19 offset:3072
	v_mov_b32_e32 v2, s88
	v_add_co_u32_e64 v10, s[6:7], s33, v10
	v_addc_co_u32_e64 v11, s[6:7], v11, v2, s[6:7]
	s_waitcnt lgkmcnt(0)
	v_cmp_neq_f64_e32 vcc, 0, v[4:5]
	v_cmp_ge_i64_e64 s[6:7], v[10:11], v[8:9]
	s_or_b64 s[6:7], vcc, s[6:7]
	s_and_b64 s[6:7], exec, s[6:7]
	s_or_b64 s[8:9], s[6:7], s[8:9]
	s_andn2_b64 s[2:3], s[2:3], exec
	s_and_b64 s[6:7], vcc, exec
	v_add_u32_e32 v12, s94, v12
	s_or_b64 s[2:3], s[2:3], s[6:7]
	s_barrier
	s_andn2_b64 exec, exec, s[8:9]
	s_cbranch_execz .LBB45_263
.LBB45_258:                             ;   Parent Loop BB45_17 Depth=1
                                        ; =>  This Inner Loop Header: Depth=2
	v_cmp_gt_i64_e32 vcc, s[22:23], v[10:11]
	v_pk_mov_b32 v[4:5], 0, 0
	s_and_saveexec_b64 s[6:7], vcc
	s_cbranch_execz .LBB45_260
; %bb.259:                              ;   in Loop: Header=BB45_258 Depth=2
	ds_read_b64 v[4:5], v12
.LBB45_260:                             ;   in Loop: Header=BB45_258 Depth=2
	s_or_b64 exec, exec, s[6:7]
	s_and_saveexec_b64 s[6:7], vcc
	s_cbranch_execz .LBB45_257
; %bb.261:                              ;   in Loop: Header=BB45_258 Depth=2
	s_waitcnt lgkmcnt(0)
	v_ashrrev_i32_e32 v2, 31, v5
	v_or_b32_e32 v6, 0x80000000, v2
	v_xor_b32_e32 v6, v6, v5
	v_xor_b32_e32 v2, v2, v4
	v_cmp_o_f64_e32 vcc, v[4:5], v[4:5]
	v_cndmask_b32_e32 v6, -1, v6, vcc
	v_cndmask_b32_e32 v2, -1, v2, vcc
	v_and_b32_e32 v7, s79, v6
	v_and_b32_e32 v6, s78, v2
	v_cmp_eq_u64_e32 vcc, s[80:81], v[6:7]
	s_and_b64 exec, exec, vcc
	s_cbranch_execz .LBB45_257
; %bb.262:                              ;   in Loop: Header=BB45_258 Depth=2
	v_mov_b32_e32 v2, v19
	ds_write_b128 v19, v[2:5] offset:3072
	s_branch .LBB45_257
.LBB45_263:                             ;   in Loop: Header=BB45_17 Depth=1
	s_or_b64 exec, exec, s[8:9]
	s_and_b64 s[8:9], s[2:3], exec
.LBB45_264:                             ;   in Loop: Header=BB45_17 Depth=1
	s_or_b64 exec, exec, s[0:1]
	s_mov_b64 s[6:7], -1
	s_mov_b64 s[0:1], 0
	s_mov_b64 s[2:3], 0
.LBB45_265:                             ;   in Loop: Header=BB45_17 Depth=1
	s_mov_b64 s[28:29], 0
                                        ; implicit-def: $sgpr46
                                        ; implicit-def: $sgpr44_sgpr45
	s_and_saveexec_b64 s[22:23], s[8:9]
	s_cbranch_execz .LBB45_278
; %bb.266:                              ;   in Loop: Header=BB45_17 Depth=1
	s_xor_b64 s[8:9], s[20:21], -1
	s_mov_b64 s[44:45], 1
	s_andn2_b64 vcc, exec, s[8:9]
	s_mov_b32 s46, 1
	s_cbranch_vccnz .LBB45_277
; %bb.267:                              ;   in Loop: Header=BB45_17 Depth=1
	s_waitcnt vmcnt(0)
	v_pk_mov_b32 v[4:5], s[12:13], s[12:13] op_sel:[0,1]
	v_cmp_gt_i64_e32 vcc, s[58:59], v[4:5]
	s_cbranch_vccnz .LBB45_273
; %bb.268:                              ;   in Loop: Header=BB45_17 Depth=1
	ds_read_b64 v[4:5], v19 offset:5120
	s_waitcnt lgkmcnt(0)
	v_cmp_ne_u64_e32 vcc, 0, v[4:5]
	s_cbranch_vccnz .LBB45_272
; %bb.269:                              ;   in Loop: Header=BB45_17 Depth=1
	s_mov_b64 s[8:9], exec
	v_readlane_b32 s20, v64, 12
	v_readlane_b32 s21, v64, 13
	s_and_b64 s[20:21], s[8:9], s[20:21]
	s_mov_b64 exec, s[20:21]
	s_cbranch_execz .LBB45_271
; %bb.270:                              ;   in Loop: Header=BB45_17 Depth=1
	v_pk_mov_b32 v[4:5], s[12:13], s[12:13] op_sel:[0,1]
	ds_write_b64 v19, v[4:5] offset:5128
.LBB45_271:                             ;   in Loop: Header=BB45_17 Depth=1
	s_or_b64 exec, exec, s[8:9]
	s_waitcnt lgkmcnt(0)
	s_barrier
.LBB45_272:                             ;   in Loop: Header=BB45_17 Depth=1
	s_or_b64 s[8:9], s[80:81], s[14:15]
	s_or_b64 s[14:15], s[78:79], s[14:15]
	s_mov_b64 s[20:21], 0
	s_mov_b32 s46, 8
	s_branch .LBB45_274
.LBB45_273:                             ;   in Loop: Header=BB45_17 Depth=1
	s_mov_b64 s[20:21], -1
                                        ; implicit-def: $sgpr46
                                        ; implicit-def: $sgpr8_sgpr9
                                        ; implicit-def: $sgpr14_sgpr15
.LBB45_274:                             ;   in Loop: Header=BB45_17 Depth=1
	s_andn2_b64 vcc, exec, s[20:21]
	s_cbranch_vccnz .LBB45_276
; %bb.275:                              ;   in Loop: Header=BB45_17 Depth=1
	s_sub_u32 s58, s58, s12
	s_subb_u32 s59, s59, s13
	s_mov_b32 s46, 8
	s_mov_b64 s[8:9], s[80:81]
	s_mov_b64 s[14:15], s[78:79]
.LBB45_276:                             ;   in Loop: Header=BB45_17 Depth=1
	s_mov_b64 s[44:45], s[58:59]
	s_mov_b64 s[80:81], s[8:9]
	;; [unrolled: 1-line block ×3, first 2 shown]
.LBB45_277:                             ;   in Loop: Header=BB45_17 Depth=1
	s_mov_b64 s[28:29], exec
.LBB45_278:                             ;   in Loop: Header=BB45_17 Depth=1
	s_or_b64 exec, exec, s[22:23]
	s_mov_b64 s[58:59], s[44:45]
.LBB45_279:                             ;   in Loop: Header=BB45_17 Depth=1
	s_andn2_b64 s[8:9], s[36:37], exec
	s_and_b64 s[0:1], s[0:1], exec
	s_or_b64 s[36:37], s[8:9], s[0:1]
	s_andn2_b64 s[0:1], s[40:41], exec
	s_and_b64 s[6:7], s[6:7], exec
	s_or_b64 s[40:41], s[0:1], s[6:7]
	;; [unrolled: 3-line block ×3, first 2 shown]
	s_and_b64 s[2:3], s[28:29], exec
.LBB45_280:                             ;   in Loop: Header=BB45_17 Depth=1
	s_or_b64 exec, exec, s[42:43]
.LBB45_281:                             ;   in Loop: Header=BB45_17 Depth=1
	s_andn2_b64 s[0:1], s[26:27], exec
	s_and_b64 s[6:7], s[36:37], exec
	s_or_b64 s[26:27], s[0:1], s[6:7]
	s_andn2_b64 s[0:1], s[30:31], exec
	s_and_b64 s[6:7], s[40:41], exec
	s_or_b64 s[30:31], s[0:1], s[6:7]
	;; [unrolled: 3-line block ×3, first 2 shown]
	s_and_b64 s[2:3], s[2:3], exec
.LBB45_282:                             ;   in Loop: Header=BB45_17 Depth=1
	s_or_b64 exec, exec, s[34:35]
	s_and_saveexec_b64 s[0:1], s[2:3]
	s_xor_b64 s[0:1], exec, s[0:1]
	s_cbranch_execz .LBB45_15
.LBB45_283:                             ;   in Loop: Header=BB45_17 Depth=1
	s_and_b32 s2, s46, -9
	s_cmp_eq_u32 s2, 0
	s_cbranch_scc1 .LBB45_13
; %bb.284:                              ;   in Loop: Header=BB45_17 Depth=1
	s_mov_b64 s[2:3], -1
                                        ; implicit-def: $sgpr78_sgpr79
                                        ; implicit-def: $sgpr95
                                        ; implicit-def: $sgpr86
	s_mov_b64 s[6:7], -1
	s_branch .LBB45_14
.LBB45_285:                             ;   in Loop: Header=BB45_17 Depth=1
                                        ; implicit-def: $vgpr4_vgpr5
	s_branch .LBB45_237
.LBB45_286:                             ;   in Loop: Header=BB45_17 Depth=1
                                        ; implicit-def: $vgpr4_vgpr5
	s_branch .LBB45_254
.LBB45_287:
	s_or_b64 exec, exec, s[68:69]
	s_xor_b64 s[4:5], s[74:75], -1
	s_xor_b64 s[0:1], s[60:61], -1
	;; [unrolled: 1-line block ×3, first 2 shown]
	s_mov_b64 s[2:3], 0
	s_and_saveexec_b64 s[8:9], s[0:1]
	s_xor_b64 s[0:1], exec, s[8:9]
	s_cbranch_execnz .LBB45_292
; %bb.288:
	s_andn2_saveexec_b64 s[0:1], s[0:1]
	s_cbranch_execnz .LBB45_317
.LBB45_289:
	s_or_b64 exec, exec, s[0:1]
	s_and_saveexec_b64 s[0:1], s[2:3]
.LBB45_290:
	; divergent unreachable
.LBB45_291:
	s_endpgm
.LBB45_292:
	s_and_saveexec_b64 s[2:3], s[4:5]
	s_xor_b64 s[4:5], exec, s[2:3]
	s_cbranch_execz .LBB45_315
; %bb.293:
	s_and_saveexec_b64 s[2:3], s[6:7]
	s_xor_b64 s[2:3], exec, s[2:3]
; %bb.294:
	v_lshrrev_b32_e32 v2, 31, v5
	v_add_co_u32_e32 v2, vcc, -1, v2
	v_addc_co_u32_e64 v3, s[6:7], 0, -1, vcc
	v_or_b32_e32 v3, 0x80000000, v3
	v_xor_b32_e32 v7, v3, v5
	v_xor_b32_e32 v6, v2, v4
; %bb.295:
	s_or_b64 exec, exec, s[2:3]
	s_mov_b64 s[2:3], exec
	v_readlane_b32 s6, v64, 12
	v_readlane_b32 s7, v64, 13
	v_readlane_b32 s28, v64, 6
	s_and_b64 s[6:7], s[2:3], s[6:7]
	v_readlane_b32 s26, v64, 22
	v_readlane_b32 s29, v64, 7
	;; [unrolled: 1-line block ×3, first 2 shown]
	s_mov_b64 exec, s[6:7]
	s_cbranch_execz .LBB45_297
; %bb.296:
	v_mov_b32_e32 v2, 0
	v_mov_b32_e32 v3, s56
	ds_write_b32 v2, v3 offset:5140
.LBB45_297:
	s_or_b64 exec, exec, s[2:3]
	s_waitcnt lgkmcnt(0)
	s_barrier
	s_mov_b64 s[6:7], exec
	v_readlane_b32 s2, v64, 32
	v_readlane_b32 s3, v64, 33
	s_and_b64 s[2:3], s[6:7], s[2:3]
	s_mov_b64 exec, s[2:3]
	s_cbranch_execz .LBB45_312
; %bb.298:
	v_mov_b32_e32 v2, 0
	ds_read_b32 v4, v2 offset:5140
	v_cmp_u_f64_e32 vcc, v[6:7], v[6:7]
	s_mov_b64 s[8:9], 0
	s_xor_b64 s[10:11], vcc, -1
                                        ; implicit-def: $sgpr12_sgpr13
                                        ; implicit-def: $sgpr14_sgpr15
                                        ; implicit-def: $sgpr16_sgpr17
	s_waitcnt lgkmcnt(0)
	v_ashrrev_i32_e32 v5, 31, v4
	s_branch .LBB45_301
.LBB45_299:                             ;   in Loop: Header=BB45_301 Depth=1
	s_or_b64 exec, exec, s[22:23]
	s_andn2_b64 s[16:17], s[16:17], exec
	s_and_b64 s[2:3], s[2:3], exec
	s_or_b64 s[16:17], s[16:17], s[2:3]
	s_andn2_b64 s[2:3], s[14:15], exec
	s_and_b64 s[14:15], s[20:21], exec
	s_or_b64 s[14:15], s[2:3], s[14:15]
.LBB45_300:                             ;   in Loop: Header=BB45_301 Depth=1
	s_or_b64 exec, exec, s[18:19]
	s_and_b64 s[2:3], exec, s[14:15]
	s_or_b64 s[8:9], s[2:3], s[8:9]
	s_andn2_b64 s[2:3], s[12:13], exec
	s_and_b64 s[12:13], s[16:17], exec
	s_or_b64 s[12:13], s[2:3], s[12:13]
	s_andn2_b64 exec, exec, s[8:9]
	s_cbranch_execz .LBB45_307
.LBB45_301:                             ; =>This Inner Loop Header: Depth=1
	v_pk_mov_b32 v[2:3], v[0:1], v[0:1] op_sel:[0,1]
	v_cmp_lt_i64_e32 vcc, v[2:3], v[4:5]
	s_or_b64 s[16:17], s[16:17], exec
	s_or_b64 s[14:15], s[14:15], exec
                                        ; implicit-def: $vgpr0_vgpr1
	s_and_saveexec_b64 s[18:19], vcc
	s_cbranch_execz .LBB45_300
; %bb.302:                              ;   in Loop: Header=BB45_301 Depth=1
	global_load_dwordx2 v[0:1], v[16:17], off
	s_mov_b64 s[20:21], -1
	s_waitcnt vmcnt(0)
	v_cmp_o_f64_e64 s[2:3], v[0:1], v[0:1]
	v_cmp_neq_f64_e32 vcc, v[0:1], v[6:7]
	s_or_b64 s[2:3], s[2:3], s[10:11]
	s_and_b64 s[24:25], vcc, s[2:3]
	s_mov_b64 s[2:3], 0
                                        ; implicit-def: $vgpr0_vgpr1
	s_and_saveexec_b64 s[22:23], s[24:25]
	s_cbranch_execz .LBB45_299
; %bb.303:                              ;   in Loop: Header=BB45_301 Depth=1
	v_mov_b32_e32 v1, s88
	v_add_co_u32_e32 v0, vcc, s33, v2
	v_addc_co_u32_e32 v1, vcc, v3, v1, vcc
	v_mov_b32_e32 v3, s83
	v_add_co_u32_e32 v16, vcc, s82, v16
	v_addc_co_u32_e32 v17, vcc, v17, v3, vcc
	v_cmp_le_i64_e32 vcc, s[56:57], v[0:1]
	s_mov_b64 s[2:3], exec
	s_orn2_b64 s[20:21], vcc, exec
	s_branch .LBB45_299
.LBB45_304:
                                        ; implicit-def: $sgpr16_sgpr17
	s_branch .LBB45_3
.LBB45_305:
                                        ; implicit-def: $sgpr0_sgpr1
                                        ; kill: killed $sgpr0_sgpr1
	s_branch .LBB45_6
.LBB45_306:
                                        ; implicit-def: $sgpr0_sgpr1
                                        ; kill: killed $sgpr0_sgpr1
	s_load_dwordx2 s[0:1], s[4:5], 0x0
	s_branch .LBB45_9
.LBB45_307:
	s_or_b64 exec, exec, s[8:9]
	s_xor_b64 s[2:3], s[12:13], -1
	s_and_saveexec_b64 s[8:9], s[2:3]
	s_xor_b64 s[8:9], exec, s[8:9]
	s_cbranch_execz .LBB45_312
; %bb.308:
	s_mov_b64 s[2:3], exec
	s_brev_b32 s8, -2
.LBB45_309:                             ; =>This Inner Loop Header: Depth=1
	s_ff1_i32_b64 s9, s[2:3]
	v_readlane_b32 s12, v2, s9
	s_lshl_b64 s[10:11], 1, s9
	s_min_i32 s8, s8, s12
	s_andn2_b64 s[2:3], s[2:3], s[10:11]
	s_cmp_lg_u64 s[2:3], 0
	s_cbranch_scc1 .LBB45_309
; %bb.310:
	v_mbcnt_lo_u32_b32 v0, exec_lo, 0
	v_mbcnt_hi_u32_b32 v0, exec_hi, v0
	v_cmp_eq_u32_e32 vcc, 0, v0
	s_and_saveexec_b64 s[2:3], vcc
	s_xor_b64 s[2:3], exec, s[2:3]
	s_cbranch_execz .LBB45_312
; %bb.311:
	v_mov_b32_e32 v0, 0
	v_mov_b32_e32 v1, s8
	ds_min_i32 v0, v1 offset:5140
.LBB45_312:
	s_or_b64 exec, exec, s[6:7]
	s_waitcnt lgkmcnt(0)
	s_barrier
	s_mov_b64 s[2:3], exec
	v_readlane_b32 s6, v64, 12
	v_readlane_b32 s7, v64, 13
	s_and_b64 s[6:7], s[2:3], s[6:7]
	s_mov_b64 exec, s[6:7]
	s_cbranch_execz .LBB45_314
; %bb.313:
	v_readlane_b32 s8, v64, 0
	v_readlane_b32 s9, v64, 1
	;; [unrolled: 1-line block ×4, first 2 shown]
	s_mul_i32 s6, s10, s9
	s_mul_hi_u32 s7, s10, s8
	s_add_i32 s6, s7, s6
	s_mul_i32 s7, s11, s8
	s_add_i32 s6, s6, s7
	s_mul_i32 s7, s10, s8
	v_readlane_b32 s12, v64, 18
	s_sub_u32 s8, s26, s7
	v_readlane_b32 s14, v64, 20
	v_readlane_b32 s15, v64, 21
	s_subb_u32 s6, 0, s6
	s_mul_i32 s7, s8, s15
	s_mul_hi_u32 s9, s8, s14
	v_readlane_b32 s13, v64, 19
	s_add_i32 s7, s9, s7
	s_mul_i32 s6, s6, s14
	s_add_i32 s7, s7, s6
	s_mul_i32 s6, s8, s14
	s_mul_i32 s8, s10, s13
	s_mul_hi_u32 s9, s10, s12
	s_add_i32 s8, s9, s8
	s_mul_i32 s9, s11, s12
	v_readlane_b32 s14, v64, 4
	s_add_i32 s9, s8, s9
	s_mul_i32 s8, s10, s12
	v_readlane_b32 s15, v64, 5
	s_mul_i32 s10, s14, s29
	s_mul_hi_u32 s11, s14, s28
	s_add_i32 s10, s11, s10
	s_mul_i32 s11, s15, s28
	s_add_i32 s10, s10, s11
	s_mul_i32 s11, s14, s28
	v_readlane_b32 s16, v64, 14
	s_sub_u32 s12, s26, s11
	v_readlane_b32 s18, v64, 16
	v_readlane_b32 s19, v64, 17
	s_subb_u32 s10, 0, s10
	s_mul_i32 s11, s12, s19
	s_mul_hi_u32 s13, s12, s18
	v_readlane_b32 s17, v64, 15
	s_add_i32 s11, s13, s11
	s_mul_i32 s10, s10, s18
	s_add_i32 s11, s11, s10
	s_mul_i32 s10, s12, s18
	s_mul_i32 s12, s14, s17
	s_mul_hi_u32 s13, s14, s16
	s_add_i32 s12, s13, s12
	s_mul_i32 s13, s15, s16
	s_add_i32 s13, s12, s13
	s_mul_i32 s12, s14, s16
	s_lshl_b64 s[8:9], s[8:9], 3
	v_readlane_b32 s14, v64, 10
	v_readlane_b32 s15, v64, 11
	s_add_u32 s8, s14, s8
	s_addc_u32 s9, s15, s9
	s_lshl_b64 s[6:7], s[6:7], 3
	v_mov_b32_e32 v2, 0
	s_add_u32 s6, s8, s6
	ds_read_b32 v0, v2 offset:5140
	s_addc_u32 s7, s9, s7
	s_lshl_b64 s[8:9], s[12:13], 3
	v_readlane_b32 s12, v64, 8
	v_readlane_b32 s13, v64, 9
	s_add_u32 s12, s12, s8
	s_addc_u32 s13, s13, s9
	s_lshl_b64 s[8:9], s[10:11], 3
	s_add_u32 s8, s12, s8
	s_addc_u32 s9, s13, s9
	s_waitcnt lgkmcnt(0)
	v_ashrrev_i32_e32 v1, 31, v0
	global_store_dwordx2 v2, v[0:1], s[8:9]
	global_store_dwordx2 v2, v[6:7], s[6:7]
.LBB45_314:
	s_or_b64 exec, exec, s[2:3]
.LBB45_315:
	s_or_saveexec_b64 s[2:3], s[4:5]
	s_mov_b64 s[4:5], 0
	s_xor_b64 exec, exec, s[2:3]
	s_cbranch_execnz .LBB45_318
.LBB45_316:
	s_or_b64 exec, exec, s[2:3]
	s_and_b64 s[2:3], s[4:5], exec
	s_andn2_saveexec_b64 s[0:1], s[0:1]
	s_cbranch_execz .LBB45_289
.LBB45_317:
	s_or_b64 s[2:3], s[2:3], exec
	s_trap 2
	s_or_b64 exec, exec, s[0:1]
	s_and_saveexec_b64 s[0:1], s[2:3]
	s_cbranch_execnz .LBB45_290
	s_branch .LBB45_291
.LBB45_318:
	s_mov_b64 s[4:5], exec
	s_trap 2
	s_branch .LBB45_316
	.section	.rodata,"a",@progbits
	.p2align	6, 0x0
	.amdhsa_kernel _ZN2at6native12_GLOBAL__N_114gatherKthValueIdlLi2EEEvNS_4cuda6detail10TensorInfoIKT_T0_EES8_S8_S8_S8_NS5_IS6_S8_EENS5_IlS8_EE
		.amdhsa_group_segment_fixed_size 5144
		.amdhsa_private_segment_fixed_size 0
		.amdhsa_kernarg_size 1536
		.amdhsa_user_sgpr_count 6
		.amdhsa_user_sgpr_private_segment_buffer 1
		.amdhsa_user_sgpr_dispatch_ptr 0
		.amdhsa_user_sgpr_queue_ptr 0
		.amdhsa_user_sgpr_kernarg_segment_ptr 1
		.amdhsa_user_sgpr_dispatch_id 0
		.amdhsa_user_sgpr_flat_scratch_init 0
		.amdhsa_user_sgpr_kernarg_preload_length 0
		.amdhsa_user_sgpr_kernarg_preload_offset 0
		.amdhsa_user_sgpr_private_segment_size 0
		.amdhsa_uses_dynamic_stack 0
		.amdhsa_system_sgpr_private_segment_wavefront_offset 0
		.amdhsa_system_sgpr_workgroup_id_x 1
		.amdhsa_system_sgpr_workgroup_id_y 1
		.amdhsa_system_sgpr_workgroup_id_z 1
		.amdhsa_system_sgpr_workgroup_info 0
		.amdhsa_system_vgpr_workitem_id 0
		.amdhsa_next_free_vgpr 65
		.amdhsa_next_free_sgpr 96
		.amdhsa_accum_offset 68
		.amdhsa_reserve_vcc 1
		.amdhsa_reserve_flat_scratch 0
		.amdhsa_float_round_mode_32 0
		.amdhsa_float_round_mode_16_64 0
		.amdhsa_float_denorm_mode_32 3
		.amdhsa_float_denorm_mode_16_64 3
		.amdhsa_dx10_clamp 1
		.amdhsa_ieee_mode 1
		.amdhsa_fp16_overflow 0
		.amdhsa_tg_split 0
		.amdhsa_exception_fp_ieee_invalid_op 0
		.amdhsa_exception_fp_denorm_src 0
		.amdhsa_exception_fp_ieee_div_zero 0
		.amdhsa_exception_fp_ieee_overflow 0
		.amdhsa_exception_fp_ieee_underflow 0
		.amdhsa_exception_fp_ieee_inexact 0
		.amdhsa_exception_int_div_zero 0
	.end_amdhsa_kernel
	.section	.text._ZN2at6native12_GLOBAL__N_114gatherKthValueIdlLi2EEEvNS_4cuda6detail10TensorInfoIKT_T0_EES8_S8_S8_S8_NS5_IS6_S8_EENS5_IlS8_EE,"axG",@progbits,_ZN2at6native12_GLOBAL__N_114gatherKthValueIdlLi2EEEvNS_4cuda6detail10TensorInfoIKT_T0_EES8_S8_S8_S8_NS5_IS6_S8_EENS5_IlS8_EE,comdat
.Lfunc_end45:
	.size	_ZN2at6native12_GLOBAL__N_114gatherKthValueIdlLi2EEEvNS_4cuda6detail10TensorInfoIKT_T0_EES8_S8_S8_S8_NS5_IS6_S8_EENS5_IlS8_EE, .Lfunc_end45-_ZN2at6native12_GLOBAL__N_114gatherKthValueIdlLi2EEEvNS_4cuda6detail10TensorInfoIKT_T0_EES8_S8_S8_S8_NS5_IS6_S8_EENS5_IlS8_EE
                                        ; -- End function
	.section	.AMDGPU.csdata,"",@progbits
; Kernel info:
; codeLenInByte = 19308
; NumSgprs: 100
; NumVgprs: 65
; NumAgprs: 0
; TotalNumVgprs: 65
; ScratchSize: 0
; MemoryBound: 0
; FloatMode: 240
; IeeeMode: 1
; LDSByteSize: 5144 bytes/workgroup (compile time only)
; SGPRBlocks: 12
; VGPRBlocks: 8
; NumSGPRsForWavesPerEU: 100
; NumVGPRsForWavesPerEU: 65
; AccumOffset: 68
; Occupancy: 7
; WaveLimiterHint : 1
; COMPUTE_PGM_RSRC2:SCRATCH_EN: 0
; COMPUTE_PGM_RSRC2:USER_SGPR: 6
; COMPUTE_PGM_RSRC2:TRAP_HANDLER: 0
; COMPUTE_PGM_RSRC2:TGID_X_EN: 1
; COMPUTE_PGM_RSRC2:TGID_Y_EN: 1
; COMPUTE_PGM_RSRC2:TGID_Z_EN: 1
; COMPUTE_PGM_RSRC2:TIDIG_COMP_CNT: 0
; COMPUTE_PGM_RSRC3_GFX90A:ACCUM_OFFSET: 16
; COMPUTE_PGM_RSRC3_GFX90A:TG_SPLIT: 0
	.section	.text._ZN2at6native12_GLOBAL__N_114gatherKthValueIdlLi3EEEvNS_4cuda6detail10TensorInfoIKT_T0_EES8_S8_S8_S8_NS5_IS6_S8_EENS5_IlS8_EE,"axG",@progbits,_ZN2at6native12_GLOBAL__N_114gatherKthValueIdlLi3EEEvNS_4cuda6detail10TensorInfoIKT_T0_EES8_S8_S8_S8_NS5_IS6_S8_EENS5_IlS8_EE,comdat
	.globl	_ZN2at6native12_GLOBAL__N_114gatherKthValueIdlLi3EEEvNS_4cuda6detail10TensorInfoIKT_T0_EES8_S8_S8_S8_NS5_IS6_S8_EENS5_IlS8_EE ; -- Begin function _ZN2at6native12_GLOBAL__N_114gatherKthValueIdlLi3EEEvNS_4cuda6detail10TensorInfoIKT_T0_EES8_S8_S8_S8_NS5_IS6_S8_EENS5_IlS8_EE
	.p2align	8
	.type	_ZN2at6native12_GLOBAL__N_114gatherKthValueIdlLi3EEEvNS_4cuda6detail10TensorInfoIKT_T0_EES8_S8_S8_S8_NS5_IS6_S8_EENS5_IlS8_EE,@function
_ZN2at6native12_GLOBAL__N_114gatherKthValueIdlLi3EEEvNS_4cuda6detail10TensorInfoIKT_T0_EES8_S8_S8_S8_NS5_IS6_S8_EENS5_IlS8_EE: ; @_ZN2at6native12_GLOBAL__N_114gatherKthValueIdlLi3EEEvNS_4cuda6detail10TensorInfoIKT_T0_EES8_S8_S8_S8_NS5_IS6_S8_EENS5_IlS8_EE
; %bb.0:
	s_load_dwordx8 s[56:63], s[4:5], 0x1a0
	s_load_dwordx2 s[18:19], s[4:5], 0x500
	s_add_u32 s16, s4, 0x500
	s_addc_u32 s17, s5, 0
	s_mov_b32 s39, 0
	s_waitcnt lgkmcnt(0)
	v_mov_b32_e32 v2, s60
	s_mul_i32 s0, s19, s8
	s_add_i32 s0, s0, s7
	s_mul_i32 s0, s0, s18
	v_mov_b32_e32 v3, s61
	s_add_i32 s38, s0, s6
	v_cmp_ge_i64_e32 vcc, s[38:39], v[2:3]
	s_cbranch_vccnz .LBB46_308
; %bb.1:
	s_load_dwordx4 s[8:11], s[4:5], 0x10
	s_mov_b32 s0, s39
	s_waitcnt lgkmcnt(0)
	s_mov_b32 s1, s11
	s_cmp_lg_u64 s[0:1], 0
	s_cbranch_scc0 .LBB46_12
; %bb.2:
	s_ashr_i32 s2, s11, 31
	s_add_u32 s0, s10, s2
	s_mov_b32 s3, s2
	s_addc_u32 s1, s11, s2
	s_xor_b64 s[14:15], s[0:1], s[2:3]
	v_cvt_f32_u32_e32 v1, s14
	v_cvt_f32_u32_e32 v2, s15
	s_sub_u32 s0, 0, s14
	s_subb_u32 s1, 0, s15
	v_madmk_f32 v1, v2, 0x4f800000, v1
	v_rcp_f32_e32 v1, v1
	v_mul_f32_e32 v1, 0x5f7ffffc, v1
	v_mul_f32_e32 v2, 0x2f800000, v1
	v_trunc_f32_e32 v2, v2
	v_madmk_f32 v1, v2, 0xcf800000, v1
	v_cvt_u32_f32_e32 v2, v2
	v_cvt_u32_f32_e32 v1, v1
	v_readfirstlane_b32 s7, v2
	v_readfirstlane_b32 s19, v1
	s_mul_i32 s20, s0, s7
	s_mul_hi_u32 s22, s0, s19
	s_mul_i32 s21, s1, s19
	s_add_i32 s20, s22, s20
	s_add_i32 s20, s20, s21
	s_mul_i32 s23, s0, s19
	s_mul_hi_u32 s21, s19, s20
	s_mul_i32 s22, s19, s20
	s_mul_hi_u32 s19, s19, s23
	s_add_u32 s19, s19, s22
	s_addc_u32 s21, 0, s21
	s_mul_hi_u32 s24, s7, s23
	s_mul_i32 s23, s7, s23
	s_add_u32 s19, s19, s23
	s_mul_hi_u32 s22, s7, s20
	s_addc_u32 s19, s21, s24
	s_addc_u32 s21, s22, 0
	s_mul_i32 s20, s7, s20
	s_add_u32 s19, s19, s20
	s_addc_u32 s20, 0, s21
	v_add_co_u32_e32 v1, vcc, s19, v1
	s_cmp_lg_u64 vcc, 0
	s_addc_u32 s7, s7, s20
	v_readfirstlane_b32 s20, v1
	s_mul_i32 s19, s0, s7
	s_mul_hi_u32 s21, s0, s20
	s_add_i32 s19, s21, s19
	s_mul_i32 s1, s1, s20
	s_add_i32 s19, s19, s1
	s_mul_i32 s0, s0, s20
	s_mul_hi_u32 s21, s7, s0
	s_mul_i32 s22, s7, s0
	s_mul_i32 s24, s20, s19
	s_mul_hi_u32 s0, s20, s0
	s_mul_hi_u32 s23, s20, s19
	s_add_u32 s0, s0, s24
	s_addc_u32 s20, 0, s23
	s_add_u32 s0, s0, s22
	s_mul_hi_u32 s1, s7, s19
	s_addc_u32 s0, s20, s21
	s_addc_u32 s1, s1, 0
	s_mul_i32 s19, s7, s19
	s_add_u32 s0, s0, s19
	s_addc_u32 s1, 0, s1
	v_add_co_u32_e32 v1, vcc, s0, v1
	s_cmp_lg_u64 vcc, 0
	s_addc_u32 s7, s7, s1
	s_ashr_i32 s20, 0, 31
	s_add_u32 s0, s38, s20
	s_mov_b32 s21, s20
	s_addc_u32 s1, 0, s20
	s_xor_b64 s[22:23], s[0:1], s[20:21]
	v_readfirstlane_b32 s19, v1
	s_mul_i32 s1, s22, s7
	s_mul_hi_u32 s24, s22, s19
	s_mul_hi_u32 s0, s22, s7
	s_add_u32 s1, s24, s1
	s_addc_u32 s0, 0, s0
	s_mul_hi_u32 s25, s23, s19
	s_mul_i32 s19, s23, s19
	s_add_u32 s1, s1, s19
	s_mul_hi_u32 s24, s23, s7
	s_addc_u32 s0, s0, s25
	s_addc_u32 s1, s24, 0
	s_mul_i32 s7, s23, s7
	s_add_u32 s7, s0, s7
	s_addc_u32 s19, 0, s1
	s_mul_i32 s0, s14, s19
	s_mul_hi_u32 s1, s14, s7
	s_add_i32 s0, s1, s0
	s_mul_i32 s1, s15, s7
	s_add_i32 s24, s0, s1
	s_mul_i32 s1, s14, s7
	v_mov_b32_e32 v1, s1
	s_sub_i32 s0, s23, s24
	v_sub_co_u32_e32 v1, vcc, s22, v1
	s_cmp_lg_u64 vcc, 0
	s_subb_u32 s22, s0, s15
	v_subrev_co_u32_e64 v2, s[0:1], s14, v1
	s_cmp_lg_u64 s[0:1], 0
	s_subb_u32 s0, s22, 0
	s_cmp_ge_u32 s0, s15
	v_readfirstlane_b32 s22, v2
	s_cselect_b32 s1, -1, 0
	s_cmp_ge_u32 s22, s14
	s_cselect_b32 s22, -1, 0
	s_cmp_eq_u32 s0, s15
	s_cselect_b32 s0, s22, s1
	s_add_u32 s1, s7, 1
	s_addc_u32 s22, s19, 0
	s_add_u32 s25, s7, 2
	s_addc_u32 s26, s19, 0
	s_cmp_lg_u32 s0, 0
	s_cselect_b32 s0, s25, s1
	s_cselect_b32 s1, s26, s22
	s_cmp_lg_u64 vcc, 0
	s_subb_u32 s22, s23, s24
	s_cmp_ge_u32 s22, s15
	v_readfirstlane_b32 s24, v1
	s_cselect_b32 s23, -1, 0
	s_cmp_ge_u32 s24, s14
	s_cselect_b32 s14, -1, 0
	s_cmp_eq_u32 s22, s15
	s_cselect_b32 s14, s14, s23
	s_cmp_lg_u32 s14, 0
	s_cselect_b32 s1, s1, s19
	s_cselect_b32 s0, s0, s7
	s_xor_b64 s[2:3], s[20:21], s[2:3]
	s_xor_b64 s[0:1], s[0:1], s[2:3]
	s_sub_u32 s2, s0, s2
	s_subb_u32 s3, s1, s3
	s_cbranch_execnz .LBB46_4
.LBB46_3:
	v_cvt_f32_u32_e32 v1, s10
	s_sub_i32 s0, 0, s10
	s_mov_b32 s3, 0
	v_rcp_iflag_f32_e32 v1, v1
	v_mul_f32_e32 v1, 0x4f7ffffe, v1
	v_cvt_u32_f32_e32 v1, v1
	v_readfirstlane_b32 s1, v1
	s_mul_i32 s0, s0, s1
	s_mul_hi_u32 s0, s1, s0
	s_add_i32 s1, s1, s0
	s_mul_hi_u32 s0, s38, s1
	s_mul_i32 s2, s0, s10
	s_sub_i32 s2, s38, s2
	s_add_i32 s1, s0, 1
	s_sub_i32 s7, s2, s10
	s_cmp_ge_u32 s2, s10
	s_cselect_b32 s0, s1, s0
	s_cselect_b32 s2, s7, s2
	s_add_i32 s1, s0, 1
	s_cmp_ge_u32 s2, s10
	s_cselect_b32 s2, s1, s0
.LBB46_4:
	s_or_b64 s[0:1], s[2:3], s[8:9]
	s_mov_b32 s0, 0
	s_cmp_lg_u64 s[0:1], 0
	s_cbranch_scc0 .LBB46_13
; %bb.5:
	s_ashr_i32 s14, s9, 31
	s_add_u32 s0, s8, s14
	s_mov_b32 s15, s14
	s_addc_u32 s1, s9, s14
	s_xor_b64 s[20:21], s[0:1], s[14:15]
	v_cvt_f32_u32_e32 v1, s20
	v_cvt_f32_u32_e32 v2, s21
	s_sub_u32 s0, 0, s20
	s_subb_u32 s1, 0, s21
	v_madmk_f32 v1, v2, 0x4f800000, v1
	v_rcp_f32_e32 v1, v1
	v_mul_f32_e32 v1, 0x5f7ffffc, v1
	v_mul_f32_e32 v2, 0x2f800000, v1
	v_trunc_f32_e32 v2, v2
	v_madmk_f32 v1, v2, 0xcf800000, v1
	v_cvt_u32_f32_e32 v2, v2
	v_cvt_u32_f32_e32 v1, v1
	v_readfirstlane_b32 s7, v2
	v_readfirstlane_b32 s19, v1
	s_mul_i32 s22, s0, s7
	s_mul_hi_u32 s24, s0, s19
	s_mul_i32 s23, s1, s19
	s_add_i32 s22, s24, s22
	s_add_i32 s22, s22, s23
	s_mul_i32 s25, s0, s19
	s_mul_hi_u32 s23, s19, s22
	s_mul_i32 s24, s19, s22
	s_mul_hi_u32 s19, s19, s25
	s_add_u32 s19, s19, s24
	s_addc_u32 s23, 0, s23
	s_mul_hi_u32 s26, s7, s25
	s_mul_i32 s25, s7, s25
	s_add_u32 s19, s19, s25
	s_mul_hi_u32 s24, s7, s22
	s_addc_u32 s19, s23, s26
	s_addc_u32 s23, s24, 0
	s_mul_i32 s22, s7, s22
	s_add_u32 s19, s19, s22
	s_addc_u32 s22, 0, s23
	v_add_co_u32_e32 v1, vcc, s19, v1
	s_cmp_lg_u64 vcc, 0
	s_addc_u32 s7, s7, s22
	v_readfirstlane_b32 s22, v1
	s_mul_i32 s19, s0, s7
	s_mul_hi_u32 s23, s0, s22
	s_add_i32 s19, s23, s19
	s_mul_i32 s1, s1, s22
	s_add_i32 s19, s19, s1
	s_mul_i32 s0, s0, s22
	s_mul_hi_u32 s23, s7, s0
	s_mul_i32 s24, s7, s0
	s_mul_i32 s26, s22, s19
	s_mul_hi_u32 s0, s22, s0
	s_mul_hi_u32 s25, s22, s19
	s_add_u32 s0, s0, s26
	s_addc_u32 s22, 0, s25
	s_add_u32 s0, s0, s24
	s_mul_hi_u32 s1, s7, s19
	s_addc_u32 s0, s22, s23
	s_addc_u32 s1, s1, 0
	s_mul_i32 s19, s7, s19
	s_add_u32 s0, s0, s19
	s_addc_u32 s1, 0, s1
	v_add_co_u32_e32 v1, vcc, s0, v1
	s_cmp_lg_u64 vcc, 0
	s_addc_u32 s7, s7, s1
	s_ashr_i32 s22, s3, 31
	s_add_u32 s0, s2, s22
	s_mov_b32 s23, s22
	s_addc_u32 s1, s3, s22
	s_xor_b64 s[24:25], s[0:1], s[22:23]
	v_readfirstlane_b32 s19, v1
	s_mul_i32 s1, s24, s7
	s_mul_hi_u32 s26, s24, s19
	s_mul_hi_u32 s0, s24, s7
	s_add_u32 s1, s26, s1
	s_addc_u32 s0, 0, s0
	s_mul_hi_u32 s27, s25, s19
	s_mul_i32 s19, s25, s19
	s_add_u32 s1, s1, s19
	s_mul_hi_u32 s26, s25, s7
	s_addc_u32 s0, s0, s27
	s_addc_u32 s1, s26, 0
	s_mul_i32 s7, s25, s7
	s_add_u32 s7, s0, s7
	s_addc_u32 s19, 0, s1
	s_mul_i32 s0, s20, s19
	s_mul_hi_u32 s1, s20, s7
	s_add_i32 s0, s1, s0
	s_mul_i32 s1, s21, s7
	s_add_i32 s26, s0, s1
	s_mul_i32 s1, s20, s7
	v_mov_b32_e32 v1, s1
	s_sub_i32 s0, s25, s26
	v_sub_co_u32_e32 v1, vcc, s24, v1
	s_cmp_lg_u64 vcc, 0
	s_subb_u32 s24, s0, s21
	v_subrev_co_u32_e64 v2, s[0:1], s20, v1
	s_cmp_lg_u64 s[0:1], 0
	s_subb_u32 s0, s24, 0
	s_cmp_ge_u32 s0, s21
	v_readfirstlane_b32 s24, v2
	s_cselect_b32 s1, -1, 0
	s_cmp_ge_u32 s24, s20
	s_cselect_b32 s24, -1, 0
	s_cmp_eq_u32 s0, s21
	s_cselect_b32 s0, s24, s1
	s_add_u32 s1, s7, 1
	s_addc_u32 s24, s19, 0
	s_add_u32 s27, s7, 2
	s_addc_u32 s28, s19, 0
	s_cmp_lg_u32 s0, 0
	s_cselect_b32 s0, s27, s1
	s_cselect_b32 s1, s28, s24
	s_cmp_lg_u64 vcc, 0
	s_subb_u32 s24, s25, s26
	s_cmp_ge_u32 s24, s21
	v_readfirstlane_b32 s26, v1
	s_cselect_b32 s25, -1, 0
	s_cmp_ge_u32 s26, s20
	s_cselect_b32 s20, -1, 0
	s_cmp_eq_u32 s24, s21
	s_cselect_b32 s20, s20, s25
	s_cmp_lg_u32 s20, 0
	s_cselect_b32 s1, s1, s19
	s_cselect_b32 s0, s0, s7
	s_xor_b64 s[14:15], s[22:23], s[14:15]
	s_xor_b64 s[0:1], s[0:1], s[14:15]
	s_sub_u32 s20, s0, s14
	s_subb_u32 s21, s1, s15
	s_load_dwordx4 s[24:27], s[4:5], 0x1d0
	s_cbranch_execnz .LBB46_7
.LBB46_6:
	v_cvt_f32_u32_e32 v1, s8
	s_sub_i32 s0, 0, s8
	s_mov_b32 s21, 0
	v_rcp_iflag_f32_e32 v1, v1
	v_mul_f32_e32 v1, 0x4f7ffffe, v1
	v_cvt_u32_f32_e32 v1, v1
	v_readfirstlane_b32 s1, v1
	s_mul_i32 s0, s0, s1
	s_mul_hi_u32 s0, s1, s0
	s_add_i32 s1, s1, s0
	s_mul_hi_u32 s0, s2, s1
	s_mul_i32 s7, s0, s8
	s_sub_i32 s7, s2, s7
	s_add_i32 s1, s0, 1
	s_sub_i32 s12, s7, s8
	s_cmp_ge_u32 s7, s8
	s_cselect_b32 s0, s1, s0
	s_cselect_b32 s7, s12, s7
	s_add_i32 s1, s0, 1
	s_cmp_ge_u32 s7, s8
	s_cselect_b32 s20, s1, s0
.LBB46_7:
                                        ; implicit-def: $vgpr66 : SGPR spill to VGPR lane
	s_waitcnt lgkmcnt(0)
	s_mov_b32 s1, s27
	v_writelane_b32 v66, s24, 0
	s_mov_b32 s0, 0
	v_writelane_b32 v66, s25, 1
	s_cmp_lg_u64 s[0:1], 0
	v_writelane_b32 v66, s26, 2
	v_writelane_b32 v66, s27, 3
	s_cbranch_scc0 .LBB46_14
; %bb.8:
	s_ashr_i32 s12, s27, 31
	s_add_u32 s0, s26, s12
	s_mov_b32 s13, s12
	s_addc_u32 s1, s27, s12
	s_xor_b64 s[22:23], s[0:1], s[12:13]
	v_cvt_f32_u32_e32 v1, s22
	v_cvt_f32_u32_e32 v2, s23
	s_sub_u32 s0, 0, s22
	s_subb_u32 s1, 0, s23
	v_madmk_f32 v1, v2, 0x4f800000, v1
	v_rcp_f32_e32 v1, v1
	v_mul_f32_e32 v1, 0x5f7ffffc, v1
	v_mul_f32_e32 v2, 0x2f800000, v1
	v_trunc_f32_e32 v2, v2
	v_madmk_f32 v1, v2, 0xcf800000, v1
	v_cvt_u32_f32_e32 v2, v2
	v_cvt_u32_f32_e32 v1, v1
	v_readfirstlane_b32 s7, v2
	v_readfirstlane_b32 s19, v1
	s_mul_i32 s24, s0, s7
	s_mul_hi_u32 s26, s0, s19
	s_mul_i32 s25, s1, s19
	s_add_i32 s24, s26, s24
	s_add_i32 s24, s24, s25
	s_mul_i32 s27, s0, s19
	s_mul_hi_u32 s25, s19, s24
	s_mul_i32 s26, s19, s24
	s_mul_hi_u32 s19, s19, s27
	s_add_u32 s19, s19, s26
	s_addc_u32 s25, 0, s25
	s_mul_hi_u32 s28, s7, s27
	s_mul_i32 s27, s7, s27
	s_add_u32 s19, s19, s27
	s_mul_hi_u32 s26, s7, s24
	s_addc_u32 s19, s25, s28
	s_addc_u32 s25, s26, 0
	s_mul_i32 s24, s7, s24
	s_add_u32 s19, s19, s24
	s_addc_u32 s24, 0, s25
	v_add_co_u32_e32 v1, vcc, s19, v1
	s_cmp_lg_u64 vcc, 0
	s_addc_u32 s7, s7, s24
	v_readfirstlane_b32 s24, v1
	s_mul_i32 s19, s0, s7
	s_mul_hi_u32 s25, s0, s24
	s_add_i32 s19, s25, s19
	s_mul_i32 s1, s1, s24
	s_add_i32 s19, s19, s1
	s_mul_i32 s0, s0, s24
	s_mul_hi_u32 s25, s7, s0
	s_mul_i32 s26, s7, s0
	s_mul_i32 s28, s24, s19
	s_mul_hi_u32 s0, s24, s0
	s_mul_hi_u32 s27, s24, s19
	s_add_u32 s0, s0, s28
	s_addc_u32 s24, 0, s27
	s_add_u32 s0, s0, s26
	s_mul_hi_u32 s1, s7, s19
	s_addc_u32 s0, s24, s25
	s_addc_u32 s1, s1, 0
	s_mul_i32 s19, s7, s19
	s_add_u32 s0, s0, s19
	s_addc_u32 s1, 0, s1
	v_add_co_u32_e32 v1, vcc, s0, v1
	s_cmp_lg_u64 vcc, 0
	s_addc_u32 s7, s7, s1
	s_ashr_i32 s24, 0, 31
	s_add_u32 s0, s38, s24
	s_mov_b32 s25, s24
	s_addc_u32 s1, 0, s24
	s_xor_b64 s[26:27], s[0:1], s[24:25]
	v_readfirstlane_b32 s19, v1
	s_mul_i32 s1, s26, s7
	s_mul_hi_u32 s28, s26, s19
	s_mul_hi_u32 s0, s26, s7
	s_add_u32 s1, s28, s1
	s_addc_u32 s0, 0, s0
	s_mul_hi_u32 s29, s27, s19
	s_mul_i32 s19, s27, s19
	s_add_u32 s1, s1, s19
	s_mul_hi_u32 s28, s27, s7
	s_addc_u32 s0, s0, s29
	s_addc_u32 s1, s28, 0
	s_mul_i32 s7, s27, s7
	s_add_u32 s7, s0, s7
	s_addc_u32 s19, 0, s1
	s_mul_i32 s0, s22, s19
	s_mul_hi_u32 s1, s22, s7
	s_add_i32 s0, s1, s0
	s_mul_i32 s1, s23, s7
	s_add_i32 s28, s0, s1
	s_mul_i32 s1, s22, s7
	v_mov_b32_e32 v1, s1
	s_sub_i32 s0, s27, s28
	v_sub_co_u32_e32 v1, vcc, s26, v1
	s_cmp_lg_u64 vcc, 0
	s_subb_u32 s26, s0, s23
	v_subrev_co_u32_e64 v2, s[0:1], s22, v1
	s_cmp_lg_u64 s[0:1], 0
	s_subb_u32 s0, s26, 0
	s_cmp_ge_u32 s0, s23
	v_readfirstlane_b32 s26, v2
	s_cselect_b32 s1, -1, 0
	s_cmp_ge_u32 s26, s22
	s_cselect_b32 s26, -1, 0
	s_cmp_eq_u32 s0, s23
	s_cselect_b32 s0, s26, s1
	s_add_u32 s1, s7, 1
	s_addc_u32 s26, s19, 0
	s_add_u32 s29, s7, 2
	s_addc_u32 s30, s19, 0
	s_cmp_lg_u32 s0, 0
	s_cselect_b32 s0, s29, s1
	s_cselect_b32 s1, s30, s26
	s_cmp_lg_u64 vcc, 0
	s_subb_u32 s26, s27, s28
	s_cmp_ge_u32 s26, s23
	v_readfirstlane_b32 s28, v1
	s_cselect_b32 s27, -1, 0
	s_cmp_ge_u32 s28, s22
	s_cselect_b32 s22, -1, 0
	s_cmp_eq_u32 s26, s23
	s_cselect_b32 s22, s22, s27
	s_cmp_lg_u32 s22, 0
	s_cselect_b32 s1, s1, s19
	s_cselect_b32 s0, s0, s7
	s_xor_b64 s[12:13], s[24:25], s[12:13]
	s_load_dwordx4 s[24:27], s[4:5], 0x1d0
	s_xor_b64 s[0:1], s[0:1], s[12:13]
	s_sub_u32 s30, s0, s12
	s_subb_u32 s31, s1, s13
	s_cbranch_execnz .LBB46_10
.LBB46_9:
	s_waitcnt lgkmcnt(0)
	v_cvt_f32_u32_e32 v1, s26
	s_sub_i32 s0, 0, s26
	s_mov_b32 s31, 0
	v_rcp_iflag_f32_e32 v1, v1
	v_mul_f32_e32 v1, 0x4f7ffffe, v1
	v_cvt_u32_f32_e32 v1, v1
	v_readfirstlane_b32 s1, v1
	s_mul_i32 s0, s0, s1
	s_mul_hi_u32 s0, s1, s0
	s_add_i32 s1, s1, s0
	s_mul_hi_u32 s0, s38, s1
	s_mul_i32 s7, s0, s26
	s_sub_i32 s7, s38, s7
	s_add_i32 s1, s0, 1
	s_sub_i32 s12, s7, s26
	s_cmp_ge_u32 s7, s26
	s_cselect_b32 s0, s1, s0
	s_cselect_b32 s7, s12, s7
	s_add_i32 s1, s0, 1
	s_cmp_ge_u32 s7, s26
	s_cselect_b32 s30, s1, s0
.LBB46_10:
	s_waitcnt lgkmcnt(0)
	s_or_b64 s[0:1], s[30:31], s[24:25]
	s_mov_b32 s0, 0
	s_cmp_lg_u64 s[0:1], 0
	v_writelane_b32 v66, s30, 4
	v_writelane_b32 v66, s31, 5
	s_cbranch_scc0 .LBB46_15
; %bb.11:
	s_ashr_i32 s14, s25, 31
	s_add_u32 s0, s24, s14
	s_mov_b32 s15, s14
	s_addc_u32 s1, s25, s14
	s_xor_b64 s[22:23], s[0:1], s[14:15]
	v_cvt_f32_u32_e32 v1, s22
	v_cvt_f32_u32_e32 v2, s23
	s_sub_u32 s0, 0, s22
	s_subb_u32 s1, 0, s23
	s_mov_b64 s[12:13], 0
	v_madmk_f32 v1, v2, 0x4f800000, v1
	v_rcp_f32_e32 v1, v1
	v_mul_f32_e32 v1, 0x5f7ffffc, v1
	v_mul_f32_e32 v2, 0x2f800000, v1
	v_trunc_f32_e32 v2, v2
	v_madmk_f32 v1, v2, 0xcf800000, v1
	v_cvt_u32_f32_e32 v2, v2
	v_cvt_u32_f32_e32 v1, v1
	v_readfirstlane_b32 s7, v2
	v_readfirstlane_b32 s19, v1
	s_mul_i32 s24, s0, s7
	s_mul_hi_u32 s26, s0, s19
	s_mul_i32 s25, s1, s19
	s_add_i32 s24, s26, s24
	s_add_i32 s24, s24, s25
	s_mul_i32 s27, s0, s19
	s_mul_hi_u32 s25, s19, s24
	s_mul_i32 s26, s19, s24
	s_mul_hi_u32 s19, s19, s27
	s_add_u32 s19, s19, s26
	s_addc_u32 s25, 0, s25
	s_mul_hi_u32 s28, s7, s27
	s_mul_i32 s27, s7, s27
	s_add_u32 s19, s19, s27
	s_mul_hi_u32 s26, s7, s24
	s_addc_u32 s19, s25, s28
	s_addc_u32 s25, s26, 0
	s_mul_i32 s24, s7, s24
	s_add_u32 s19, s19, s24
	s_addc_u32 s24, 0, s25
	v_add_co_u32_e32 v1, vcc, s19, v1
	s_cmp_lg_u64 vcc, 0
	s_addc_u32 s7, s7, s24
	v_readfirstlane_b32 s24, v1
	s_mul_i32 s19, s0, s7
	s_mul_hi_u32 s25, s0, s24
	s_add_i32 s19, s25, s19
	s_mul_i32 s1, s1, s24
	s_add_i32 s19, s19, s1
	s_mul_i32 s0, s0, s24
	s_mul_hi_u32 s25, s7, s0
	s_mul_i32 s26, s7, s0
	s_mul_i32 s28, s24, s19
	s_mul_hi_u32 s0, s24, s0
	s_mul_hi_u32 s27, s24, s19
	s_add_u32 s0, s0, s28
	s_addc_u32 s24, 0, s27
	s_add_u32 s0, s0, s26
	s_mul_hi_u32 s1, s7, s19
	s_addc_u32 s0, s24, s25
	s_addc_u32 s1, s1, 0
	s_mul_i32 s19, s7, s19
	s_add_u32 s0, s0, s19
	s_addc_u32 s1, 0, s1
	v_add_co_u32_e32 v1, vcc, s0, v1
	s_cmp_lg_u64 vcc, 0
	s_addc_u32 s7, s7, s1
	s_ashr_i32 s24, s31, 31
	s_add_u32 s0, s30, s24
	s_mov_b32 s25, s24
	s_addc_u32 s1, s31, s24
	s_xor_b64 s[26:27], s[0:1], s[24:25]
	v_readfirstlane_b32 s19, v1
	s_mul_i32 s1, s26, s7
	s_mul_hi_u32 s28, s26, s19
	s_mul_hi_u32 s0, s26, s7
	s_add_u32 s1, s28, s1
	s_addc_u32 s0, 0, s0
	s_mul_hi_u32 s29, s27, s19
	s_mul_i32 s19, s27, s19
	s_add_u32 s1, s1, s19
	s_mul_hi_u32 s28, s27, s7
	s_addc_u32 s0, s0, s29
	s_addc_u32 s1, s28, 0
	s_mul_i32 s7, s27, s7
	s_add_u32 s7, s0, s7
	s_addc_u32 s19, 0, s1
	s_mul_i32 s0, s22, s19
	s_mul_hi_u32 s1, s22, s7
	s_add_i32 s0, s1, s0
	s_mul_i32 s1, s23, s7
	s_add_i32 s28, s0, s1
	s_mul_i32 s1, s22, s7
	v_mov_b32_e32 v1, s1
	s_sub_i32 s0, s27, s28
	v_sub_co_u32_e32 v1, vcc, s26, v1
	s_cmp_lg_u64 vcc, 0
	s_subb_u32 s26, s0, s23
	v_subrev_co_u32_e64 v2, s[0:1], s22, v1
	s_cmp_lg_u64 s[0:1], 0
	s_subb_u32 s0, s26, 0
	s_cmp_ge_u32 s0, s23
	v_readfirstlane_b32 s26, v2
	s_cselect_b32 s1, -1, 0
	s_cmp_ge_u32 s26, s22
	s_cselect_b32 s26, -1, 0
	s_cmp_eq_u32 s0, s23
	s_cselect_b32 s0, s26, s1
	s_add_u32 s1, s7, 1
	s_addc_u32 s26, s19, 0
	s_add_u32 s29, s7, 2
	s_addc_u32 s30, s19, 0
	s_cmp_lg_u32 s0, 0
	s_cselect_b32 s0, s29, s1
	s_cselect_b32 s1, s30, s26
	s_cmp_lg_u64 vcc, 0
	s_subb_u32 s26, s27, s28
	s_cmp_ge_u32 s26, s23
	v_readfirstlane_b32 s28, v1
	s_cselect_b32 s27, -1, 0
	s_cmp_ge_u32 s28, s22
	s_cselect_b32 s22, -1, 0
	s_cmp_eq_u32 s26, s23
	s_cselect_b32 s22, s22, s27
	s_cmp_lg_u32 s22, 0
	s_cselect_b32 s1, s1, s19
	s_cselect_b32 s0, s0, s7
	s_xor_b64 s[14:15], s[24:25], s[14:15]
	s_load_dwordx4 s[24:27], s[4:5], 0x1d0
	s_xor_b64 s[0:1], s[0:1], s[14:15]
	s_sub_u32 s14, s0, s14
	s_subb_u32 s15, s1, s15
	s_branch .LBB46_16
.LBB46_12:
                                        ; implicit-def: $sgpr2_sgpr3
	s_branch .LBB46_3
.LBB46_13:
                                        ; implicit-def: $sgpr20_sgpr21
	s_load_dwordx4 s[24:27], s[4:5], 0x1d0
	s_branch .LBB46_6
.LBB46_14:
                                        ; implicit-def: $sgpr30_sgpr31
	s_branch .LBB46_9
.LBB46_15:
	s_mov_b64 s[12:13], -1
                                        ; implicit-def: $sgpr14_sgpr15
.LBB46_16:
	s_load_dwordx4 s[28:31], s[4:5], 0x370
	s_andn2_b64 vcc, exec, s[12:13]
	s_waitcnt lgkmcnt(0)
	v_writelane_b32 v66, s28, 6
	v_writelane_b32 v66, s29, 7
	;; [unrolled: 1-line block ×4, first 2 shown]
	s_cbranch_vccnz .LBB46_18
; %bb.17:
	v_cvt_f32_u32_e32 v1, s24
	s_sub_i32 s0, 0, s24
	v_readlane_b32 s12, v66, 4
	s_mov_b32 s15, 0
	v_rcp_iflag_f32_e32 v1, v1
	v_readlane_b32 s13, v66, 5
	v_mul_f32_e32 v1, 0x4f7ffffe, v1
	v_cvt_u32_f32_e32 v1, v1
	v_readfirstlane_b32 s1, v1
	s_mul_i32 s0, s0, s1
	s_mul_hi_u32 s0, s1, s0
	s_add_i32 s1, s1, s0
	s_mul_hi_u32 s0, s12, s1
	s_mul_i32 s7, s0, s24
	s_sub_i32 s7, s12, s7
	s_add_i32 s1, s0, 1
	s_sub_i32 s12, s7, s24
	s_cmp_ge_u32 s7, s24
	s_cselect_b32 s0, s1, s0
	s_cselect_b32 s7, s12, s7
	s_add_i32 s1, s0, 1
	s_cmp_ge_u32 s7, s24
	s_cselect_b32 s14, s1, s0
.LBB46_18:
	s_load_dwordx4 s[24:27], s[4:5], 0x370
	s_mov_b32 s0, 0
	v_writelane_b32 v66, s14, 10
	v_writelane_b32 v66, s15, 11
	s_waitcnt lgkmcnt(0)
	s_mov_b32 s1, s27
	s_cmp_lg_u64 s[0:1], 0
	s_cbranch_scc0 .LBB46_23
; %bb.19:
	s_ashr_i32 s12, s27, 31
	s_add_u32 s0, s26, s12
	s_mov_b32 s13, s12
	s_addc_u32 s1, s27, s12
	s_xor_b64 s[22:23], s[0:1], s[12:13]
	v_cvt_f32_u32_e32 v1, s22
	v_cvt_f32_u32_e32 v2, s23
	s_sub_u32 s0, 0, s22
	s_subb_u32 s1, 0, s23
	v_madmk_f32 v1, v2, 0x4f800000, v1
	v_rcp_f32_e32 v1, v1
	v_mul_f32_e32 v1, 0x5f7ffffc, v1
	v_mul_f32_e32 v2, 0x2f800000, v1
	v_trunc_f32_e32 v2, v2
	v_madmk_f32 v1, v2, 0xcf800000, v1
	v_cvt_u32_f32_e32 v2, v2
	v_cvt_u32_f32_e32 v1, v1
	v_readfirstlane_b32 s7, v2
	v_readfirstlane_b32 s19, v1
	s_mul_i32 s24, s0, s7
	s_mul_hi_u32 s26, s0, s19
	s_mul_i32 s25, s1, s19
	s_add_i32 s24, s26, s24
	s_add_i32 s24, s24, s25
	s_mul_i32 s27, s0, s19
	s_mul_hi_u32 s25, s19, s24
	s_mul_i32 s26, s19, s24
	s_mul_hi_u32 s19, s19, s27
	s_add_u32 s19, s19, s26
	s_addc_u32 s25, 0, s25
	s_mul_hi_u32 s28, s7, s27
	s_mul_i32 s27, s7, s27
	s_add_u32 s19, s19, s27
	s_mul_hi_u32 s26, s7, s24
	s_addc_u32 s19, s25, s28
	s_addc_u32 s25, s26, 0
	s_mul_i32 s24, s7, s24
	s_add_u32 s19, s19, s24
	s_addc_u32 s24, 0, s25
	v_add_co_u32_e32 v1, vcc, s19, v1
	s_cmp_lg_u64 vcc, 0
	s_addc_u32 s7, s7, s24
	v_readfirstlane_b32 s24, v1
	s_mul_i32 s19, s0, s7
	s_mul_hi_u32 s25, s0, s24
	s_add_i32 s19, s25, s19
	s_mul_i32 s1, s1, s24
	s_add_i32 s19, s19, s1
	s_mul_i32 s0, s0, s24
	s_mul_hi_u32 s25, s7, s0
	s_mul_i32 s26, s7, s0
	s_mul_i32 s28, s24, s19
	s_mul_hi_u32 s0, s24, s0
	s_mul_hi_u32 s27, s24, s19
	s_add_u32 s0, s0, s28
	s_addc_u32 s24, 0, s27
	s_add_u32 s0, s0, s26
	s_mul_hi_u32 s1, s7, s19
	s_addc_u32 s0, s24, s25
	s_addc_u32 s1, s1, 0
	s_mul_i32 s19, s7, s19
	s_add_u32 s0, s0, s19
	s_addc_u32 s1, 0, s1
	v_add_co_u32_e32 v1, vcc, s0, v1
	s_cmp_lg_u64 vcc, 0
	s_addc_u32 s7, s7, s1
	s_ashr_i32 s24, 0, 31
	s_add_u32 s0, s38, s24
	s_mov_b32 s25, s24
	s_addc_u32 s1, 0, s24
	s_xor_b64 s[26:27], s[0:1], s[24:25]
	v_readfirstlane_b32 s19, v1
	s_mul_i32 s1, s26, s7
	s_mul_hi_u32 s28, s26, s19
	s_mul_hi_u32 s0, s26, s7
	s_add_u32 s1, s28, s1
	s_addc_u32 s0, 0, s0
	s_mul_hi_u32 s29, s27, s19
	s_mul_i32 s19, s27, s19
	s_add_u32 s1, s1, s19
	s_mul_hi_u32 s28, s27, s7
	s_addc_u32 s0, s0, s29
	s_addc_u32 s1, s28, 0
	s_mul_i32 s7, s27, s7
	s_add_u32 s7, s0, s7
	s_addc_u32 s19, 0, s1
	s_mul_i32 s0, s22, s19
	s_mul_hi_u32 s1, s22, s7
	s_add_i32 s0, s1, s0
	s_mul_i32 s1, s23, s7
	s_add_i32 s28, s0, s1
	s_mul_i32 s1, s22, s7
	v_mov_b32_e32 v1, s1
	s_sub_i32 s0, s27, s28
	v_sub_co_u32_e32 v1, vcc, s26, v1
	s_cmp_lg_u64 vcc, 0
	s_subb_u32 s26, s0, s23
	v_subrev_co_u32_e64 v2, s[0:1], s22, v1
	s_cmp_lg_u64 s[0:1], 0
	s_subb_u32 s0, s26, 0
	s_cmp_ge_u32 s0, s23
	v_readfirstlane_b32 s26, v2
	s_cselect_b32 s1, -1, 0
	s_cmp_ge_u32 s26, s22
	s_cselect_b32 s26, -1, 0
	s_cmp_eq_u32 s0, s23
	s_cselect_b32 s0, s26, s1
	s_add_u32 s1, s7, 1
	s_addc_u32 s26, s19, 0
	s_add_u32 s29, s7, 2
	s_addc_u32 s30, s19, 0
	s_cmp_lg_u32 s0, 0
	s_cselect_b32 s0, s29, s1
	s_cselect_b32 s1, s30, s26
	s_cmp_lg_u64 vcc, 0
	s_subb_u32 s26, s27, s28
	s_cmp_ge_u32 s26, s23
	v_readfirstlane_b32 s28, v1
	s_cselect_b32 s27, -1, 0
	s_cmp_ge_u32 s28, s22
	s_cselect_b32 s22, -1, 0
	s_cmp_eq_u32 s26, s23
	s_cselect_b32 s22, s22, s27
	s_cmp_lg_u32 s22, 0
	s_cselect_b32 s1, s1, s19
	s_cselect_b32 s0, s0, s7
	s_xor_b64 s[12:13], s[24:25], s[12:13]
	s_load_dwordx4 s[24:27], s[4:5], 0x370
	s_xor_b64 s[0:1], s[0:1], s[12:13]
	s_sub_u32 s36, s0, s12
	s_subb_u32 s37, s1, s13
	s_cbranch_execnz .LBB46_21
.LBB46_20:
	s_waitcnt lgkmcnt(0)
	v_cvt_f32_u32_e32 v1, s26
	s_sub_i32 s0, 0, s26
	s_mov_b32 s37, 0
	v_rcp_iflag_f32_e32 v1, v1
	v_mul_f32_e32 v1, 0x4f7ffffe, v1
	v_cvt_u32_f32_e32 v1, v1
	v_readfirstlane_b32 s1, v1
	s_mul_i32 s0, s0, s1
	s_mul_hi_u32 s0, s1, s0
	s_add_i32 s1, s1, s0
	s_mul_hi_u32 s0, s38, s1
	s_mul_i32 s7, s0, s26
	s_sub_i32 s7, s38, s7
	s_add_i32 s1, s0, 1
	s_sub_i32 s12, s7, s26
	s_cmp_ge_u32 s7, s26
	s_cselect_b32 s0, s1, s0
	s_cselect_b32 s7, s12, s7
	s_add_i32 s1, s0, 1
	s_cmp_ge_u32 s7, s26
	s_cselect_b32 s36, s1, s0
.LBB46_21:
	s_load_dwordx2 s[22:23], s[4:5], 0xe0
	s_load_dwordx4 s[12:15], s[4:5], 0xd0
	s_waitcnt lgkmcnt(0)
	s_or_b64 s[0:1], s[36:37], s[24:25]
	s_mov_b32 s0, 0
	s_cmp_lg_u64 s[0:1], 0
	v_writelane_b32 v66, s36, 12
	v_writelane_b32 v66, s37, 13
	s_cbranch_scc0 .LBB46_24
; %bb.22:
	s_ashr_i32 s26, s25, 31
	s_add_u32 s0, s24, s26
	s_mov_b32 s27, s26
	s_addc_u32 s1, s25, s26
	s_xor_b64 s[28:29], s[0:1], s[26:27]
	v_cvt_f32_u32_e32 v1, s28
	v_cvt_f32_u32_e32 v2, s29
	s_sub_u32 s0, 0, s28
	s_subb_u32 s1, 0, s29
	s_mov_b64 s[24:25], 0
	v_madmk_f32 v1, v2, 0x4f800000, v1
	v_rcp_f32_e32 v1, v1
	v_mul_f32_e32 v1, 0x5f7ffffc, v1
	v_mul_f32_e32 v2, 0x2f800000, v1
	v_trunc_f32_e32 v2, v2
	v_madmk_f32 v1, v2, 0xcf800000, v1
	v_cvt_u32_f32_e32 v2, v2
	v_cvt_u32_f32_e32 v1, v1
	v_readfirstlane_b32 s7, v2
	v_readfirstlane_b32 s19, v1
	s_mul_i32 s30, s0, s7
	s_mul_hi_u32 s33, s0, s19
	s_mul_i32 s31, s1, s19
	s_add_i32 s30, s33, s30
	s_add_i32 s30, s30, s31
	s_mul_i32 s34, s0, s19
	s_mul_hi_u32 s31, s19, s30
	s_mul_i32 s33, s19, s30
	s_mul_hi_u32 s19, s19, s34
	s_add_u32 s19, s19, s33
	s_addc_u32 s31, 0, s31
	s_mul_hi_u32 s35, s7, s34
	s_mul_i32 s34, s7, s34
	s_add_u32 s19, s19, s34
	s_mul_hi_u32 s33, s7, s30
	s_addc_u32 s19, s31, s35
	s_addc_u32 s31, s33, 0
	s_mul_i32 s30, s7, s30
	s_add_u32 s19, s19, s30
	s_addc_u32 s30, 0, s31
	v_add_co_u32_e32 v1, vcc, s19, v1
	s_cmp_lg_u64 vcc, 0
	s_addc_u32 s7, s7, s30
	v_readfirstlane_b32 s30, v1
	s_mul_i32 s19, s0, s7
	s_mul_hi_u32 s31, s0, s30
	s_add_i32 s19, s31, s19
	s_mul_i32 s1, s1, s30
	s_add_i32 s19, s19, s1
	s_mul_i32 s0, s0, s30
	s_mul_hi_u32 s31, s7, s0
	s_mul_i32 s33, s7, s0
	s_mul_i32 s35, s30, s19
	s_mul_hi_u32 s0, s30, s0
	s_mul_hi_u32 s34, s30, s19
	s_add_u32 s0, s0, s35
	s_addc_u32 s30, 0, s34
	s_add_u32 s0, s0, s33
	s_mul_hi_u32 s1, s7, s19
	s_addc_u32 s0, s30, s31
	s_addc_u32 s1, s1, 0
	s_mul_i32 s19, s7, s19
	s_add_u32 s0, s0, s19
	s_addc_u32 s1, 0, s1
	v_add_co_u32_e32 v1, vcc, s0, v1
	s_cmp_lg_u64 vcc, 0
	s_addc_u32 s7, s7, s1
	s_ashr_i32 s30, s37, 31
	s_add_u32 s0, s36, s30
	s_mov_b32 s31, s30
	s_addc_u32 s1, s37, s30
	s_xor_b64 s[34:35], s[0:1], s[30:31]
	v_readfirstlane_b32 s19, v1
	s_mul_i32 s1, s34, s7
	s_mul_hi_u32 s33, s34, s19
	s_mul_hi_u32 s0, s34, s7
	s_add_u32 s1, s33, s1
	s_addc_u32 s0, 0, s0
	s_mul_hi_u32 s36, s35, s19
	s_mul_i32 s19, s35, s19
	s_add_u32 s1, s1, s19
	s_mul_hi_u32 s33, s35, s7
	s_addc_u32 s0, s0, s36
	s_addc_u32 s1, s33, 0
	s_mul_i32 s7, s35, s7
	s_add_u32 s7, s0, s7
	s_addc_u32 s19, 0, s1
	s_mul_i32 s0, s28, s19
	s_mul_hi_u32 s1, s28, s7
	s_add_i32 s0, s1, s0
	s_mul_i32 s1, s29, s7
	s_add_i32 s33, s0, s1
	s_mul_i32 s1, s28, s7
	v_mov_b32_e32 v1, s1
	s_sub_i32 s0, s35, s33
	v_sub_co_u32_e32 v1, vcc, s34, v1
	s_cmp_lg_u64 vcc, 0
	s_subb_u32 s34, s0, s29
	v_subrev_co_u32_e64 v2, s[0:1], s28, v1
	s_cmp_lg_u64 s[0:1], 0
	s_subb_u32 s0, s34, 0
	s_cmp_ge_u32 s0, s29
	v_readfirstlane_b32 s34, v2
	s_cselect_b32 s1, -1, 0
	s_cmp_ge_u32 s34, s28
	s_cselect_b32 s34, -1, 0
	s_cmp_eq_u32 s0, s29
	s_cselect_b32 s0, s34, s1
	s_add_u32 s1, s7, 1
	s_addc_u32 s34, s19, 0
	s_add_u32 s36, s7, 2
	s_addc_u32 s37, s19, 0
	s_cmp_lg_u32 s0, 0
	s_cselect_b32 s0, s36, s1
	s_cselect_b32 s1, s37, s34
	s_cmp_lg_u64 vcc, 0
	s_subb_u32 s33, s35, s33
	s_cmp_ge_u32 s33, s29
	v_readfirstlane_b32 s35, v1
	s_cselect_b32 s34, -1, 0
	s_cmp_ge_u32 s35, s28
	s_cselect_b32 s28, -1, 0
	s_cmp_eq_u32 s33, s29
	s_cselect_b32 s28, s28, s34
	s_cmp_lg_u32 s28, 0
	s_cselect_b32 s1, s1, s19
	s_cselect_b32 s0, s0, s7
	s_xor_b64 s[26:27], s[30:31], s[26:27]
	s_xor_b64 s[0:1], s[0:1], s[26:27]
	s_sub_u32 s0, s0, s26
	s_subb_u32 s1, s1, s27
	v_writelane_b32 v66, s0, 26
	v_writelane_b32 v66, s1, 27
	s_branch .LBB46_25
.LBB46_23:
                                        ; implicit-def: $sgpr36_sgpr37
	s_branch .LBB46_20
.LBB46_24:
	s_mov_b64 s[24:25], -1
                                        ; implicit-def: $sgpr0_sgpr1
                                        ; kill: killed $sgpr0_sgpr1
.LBB46_25:
	s_load_dwordx2 s[0:1], s[4:5], 0x440
	s_load_dwordx4 s[28:31], s[4:5], 0x430
	s_andn2_b64 vcc, exec, s[24:25]
	s_waitcnt lgkmcnt(0)
	v_writelane_b32 v66, s0, 14
	v_writelane_b32 v66, s1, 15
	s_load_dwordx2 s[0:1], s[4:5], 0x2a0
	v_writelane_b32 v66, s28, 16
	v_writelane_b32 v66, s29, 17
	;; [unrolled: 1-line block ×4, first 2 shown]
	s_load_dwordx4 s[28:31], s[4:5], 0x290
	s_waitcnt lgkmcnt(0)
	v_writelane_b32 v66, s0, 20
	v_writelane_b32 v66, s1, 21
	s_load_dwordx2 s[0:1], s[4:5], 0x0
	v_writelane_b32 v66, s28, 22
	v_writelane_b32 v66, s29, 23
	;; [unrolled: 1-line block ×4, first 2 shown]
	s_cbranch_vccnz .LBB46_27
; %bb.26:
	s_load_dwordx4 s[28:31], s[4:5], 0x370
	v_readlane_b32 s26, v66, 12
	s_waitcnt lgkmcnt(0)
	s_mov_b32 s29, 0
	v_readlane_b32 s27, v66, 13
	v_cvt_f32_u32_e32 v1, s28
	s_sub_i32 s7, 0, s28
	v_rcp_iflag_f32_e32 v1, v1
	v_mul_f32_e32 v1, 0x4f7ffffe, v1
	v_cvt_u32_f32_e32 v1, v1
	v_readfirstlane_b32 s19, v1
	s_mul_i32 s7, s7, s19
	s_mul_hi_u32 s7, s19, s7
	s_add_i32 s19, s19, s7
	s_mul_hi_u32 s7, s26, s19
	s_mul_i32 s24, s7, s28
	s_sub_i32 s24, s26, s24
	s_add_i32 s19, s7, 1
	s_sub_i32 s25, s24, s28
	s_cmp_ge_u32 s24, s28
	s_cselect_b32 s7, s19, s7
	s_cselect_b32 s24, s25, s24
	s_add_i32 s19, s7, 1
	s_cmp_ge_u32 s24, s28
	s_cselect_b32 s28, s19, s7
	v_writelane_b32 v66, s28, 26
	v_writelane_b32 v66, s29, 27
.LBB46_27:
	s_load_dwordx2 s[24:25], s[4:5], 0x360
	s_mov_b32 s95, 0
	s_load_dwordx2 s[4:5], s[4:5], 0x1c0
	s_waitcnt lgkmcnt(0)
	v_writelane_b32 v66, s24, 28
	v_writelane_b32 v66, s25, 29
	;; [unrolled: 1-line block ×4, first 2 shown]
	v_cmp_eq_u32_e64 s[24:25], 0, v0
	s_mov_b64 s[4:5], exec
	v_writelane_b32 v66, s24, 32
	v_writelane_b32 v66, s25, 33
	s_and_b64 s[24:25], s[4:5], s[24:25]
	s_mov_b64 exec, s[24:25]
	s_cbranch_execz .LBB46_29
; %bb.28:
	v_mov_b32_e32 v2, 0
	v_mov_b32_e32 v4, s56
	;; [unrolled: 1-line block ×4, first 2 shown]
	ds_write_b32 v2, v2 offset:5136
	ds_write_b128 v2, v[2:5] offset:5120
.LBB46_29:
	s_or_b64 exec, exec, s[4:5]
	s_mul_i32 s4, s20, s9
	s_mul_hi_u32 s5, s20, s8
	s_add_i32 s4, s5, s4
	s_mul_i32 s5, s21, s8
	s_add_i32 s4, s4, s5
	s_mul_i32 s5, s20, s8
	s_sub_u32 s7, s2, s5
	s_subb_u32 s4, s3, s4
	s_mul_i32 s5, s7, s15
	s_mul_hi_u32 s8, s7, s14
	s_add_i32 s5, s8, s5
	s_mul_i32 s4, s4, s14
	s_add_i32 s5, s5, s4
	s_mul_i32 s4, s7, s14
	s_mul_i32 s7, s20, s13
	s_mul_hi_u32 s8, s20, s12
	s_add_i32 s7, s8, s7
	s_mul_i32 s8, s21, s12
	s_add_i32 s9, s7, s8
	s_mul_i32 s7, s2, s11
	s_mul_hi_u32 s11, s2, s10
	s_add_i32 s7, s11, s7
	s_mul_i32 s3, s3, s10
	s_add_i32 s7, s7, s3
	s_mul_i32 s2, s2, s10
	s_mov_b32 s10, s38
	v_writelane_b32 v66, s10, 34
	s_sub_u32 s2, s38, s2
	v_writelane_b32 v66, s11, 35
	s_subb_u32 s3, 0, s7
	s_mul_i32 s7, s2, s23
	s_mul_hi_u32 s10, s2, s22
	s_mul_i32 s8, s20, s12
	s_add_i32 s7, s10, s7
	s_mul_i32 s3, s3, s22
	s_add_i32 s3, s7, s3
	s_lshl_b64 s[8:9], s[8:9], 3
	s_add_u32 s7, s0, s8
	s_addc_u32 s12, s1, s9
	s_lshl_b64 s[10:11], s[4:5], 3
	s_mul_i32 s2, s2, s22
	s_add_u32 s4, s7, s10
	v_mbcnt_lo_u32_b32 v1, -1, 0
	s_addc_u32 s5, s12, s11
	s_lshl_b64 s[12:13], s[2:3], 3
	v_mbcnt_hi_u32_b32 v40, -1, v1
	s_add_u32 s14, s4, s12
	v_cmp_gt_u32_e32 vcc, 64, v0
	v_cmp_gt_i32_e64 s[2:3], 4, v40
	s_addc_u32 s15, s5, s13
	s_and_b64 s[48:49], vcc, s[2:3]
	v_cmp_gt_u32_e64 s[2:3], 2, v0
	v_mov_b32_e32 v2, 0x180
	v_writelane_b32 v66, s2, 36
	v_mov_b32_e32 v3, 0
	v_mov_b32_e32 v19, 0
	v_writelane_b32 v66, s3, 37
	v_cmp_gt_i64_e64 s[2:3], s[56:57], v[2:3]
	v_mov_b32_e32 v1, v19
	v_writelane_b32 v66, s2, 38
	v_writelane_b32 v66, s3, 39
	v_cmp_gt_u64_e64 s[2:3], s[56:57], v[0:1]
	v_writelane_b32 v66, s2, 40
	v_writelane_b32 v66, s3, 41
	v_mad_u64_u32 v[2:3], s[2:3], v0, s62, 0
	v_mov_b32_e32 v4, v3
	v_mad_u64_u32 v[4:5], s[2:3], v0, s63, v[4:5]
	v_mov_b32_e32 v6, s15
	v_writelane_b32 v66, s14, 42
	v_writelane_b32 v66, s15, 43
	v_cmp_gt_i64_e64 s[2:3], s[56:57], v[0:1]
	v_writelane_b32 v66, s2, 44
	s_waitcnt lgkmcnt(0)
	s_barrier
	v_writelane_b32 v66, s3, 45
	s_load_dword s2, s[16:17], 0xc
	v_mov_b32_e32 v3, v4
	v_lshlrev_b64 v[4:5], 3, v[2:3]
	v_add_co_u32_e32 v20, vcc, s14, v4
	s_waitcnt lgkmcnt(0)
	s_and_b32 s33, s2, 0xffff
	s_bfe_u32 s3, s2, 0xa0006
	s_add_u32 s7, s33, -1
	v_cmp_gt_u16_e64 s[14:15], s2, 63
	s_addc_u32 s2, 0, -1
	v_writelane_b32 v66, s14, 46
	s_add_u32 s75, s7, s56
	v_writelane_b32 v66, s15, 47
	s_addc_u32 s73, s2, s57
	v_writelane_b32 v66, s7, 48
	s_cmp_lt_u32 s6, s18
	v_writelane_b32 v66, s2, 49
	s_cselect_b32 s2, 12, 18
	s_add_u32 s50, s16, s2
	s_addc_u32 s51, s17, 0
	s_add_i32 s2, s3, -1
	s_bfe_u32 s6, s33, 0x30006
	s_cmp_gt_u32 s2, 6
	s_cselect_b64 s[14:15], -1, 0
	v_writelane_b32 v66, s14, 50
	s_and_b32 s91, s3, 0x3f8
	v_writelane_b32 v66, s15, 51
	s_cmp_lg_u32 s6, 0
	v_writelane_b32 v66, s6, 52
	s_cselect_b64 s[2:3], -1, 0
	v_writelane_b32 v66, s2, 53
	v_writelane_b32 v66, s3, 54
	s_add_u32 s2, s8, s12
	v_addc_co_u32_e32 v21, vcc, v6, v5, vcc
	v_lshrrev_b32_e32 v6, 4, v0
	s_addc_u32 s3, s9, s13
	v_and_b32_e32 v43, 60, v6
	v_lshlrev_b32_e32 v6, 2, v40
	s_add_u32 s2, s2, s10
	v_and_b32_e32 v44, 0x100, v6
	v_lshlrev_b64 v[6:7], v40, -1
	s_addc_u32 s3, s3, s11
	v_lshlrev_b32_e32 v45, 5, v0
	v_not_b32_e32 v25, v7
	s_add_u32 s2, s0, s2
	v_or_b32_e32 v7, 24, v45
	s_addc_u32 s3, s1, s3
	v_mad_u64_u32 v[26:27], s[0:1], s62, v7, 0
	v_not_b32_e32 v24, v6
	v_mov_b32_e32 v6, v27
	v_mad_u64_u32 v[6:7], s[0:1], s63, v7, v[6:7]
	s_lshl_b64 s[0:1], s[62:63], 5
	v_writelane_b32 v66, s0, 55
	v_or_b32_e32 v7, 16, v45
	v_writelane_b32 v66, s1, 56
	v_mad_u64_u32 v[28:29], s[0:1], s62, v7, 0
	v_mov_b32_e32 v27, v6
	v_mov_b32_e32 v6, v29
	v_mad_u64_u32 v[6:7], s[0:1], s63, v7, v[6:7]
	v_or_b32_e32 v7, 8, v45
	v_lshlrev_b64 v[32:33], 5, v[2:3]
	v_mov_b32_e32 v2, s57
	v_add_co_u32_e32 v46, vcc, s56, v0
	v_mad_u64_u32 v[30:31], s[0:1], s62, v7, 0
	v_addc_co_u32_e32 v47, vcc, 0, v2, vcc
	v_mov_b32_e32 v2, 0xc00
	v_mov_b32_e32 v29, v6
	;; [unrolled: 1-line block ×3, first 2 shown]
	v_lshl_or_b32 v48, v40, 3, v2
	v_mov_b32_e32 v2, s3
	v_writelane_b32 v66, s2, 57
	v_mad_u64_u32 v[6:7], s[0:1], s63, v7, v[6:7]
	v_writelane_b32 v66, s3, 58
	s_mul_i32 s0, s63, s33
	s_mul_hi_u32 s1, s62, s33
	v_writelane_b32 v66, s48, 59
	v_lshlrev_b32_e32 v41, 3, v0
	v_add_co_u32_e32 v16, vcc, s2, v4
	s_add_i32 s1, s1, s0
	s_mul_i32 s0, s62, s33
	v_writelane_b32 v66, s49, 60
	v_cmp_eq_u32_e64 s[4:5], 0, v40
	v_add_u32_e32 v42, 0xc00, v41
	v_lshlrev_b32_e32 v22, 2, v0
	v_mov_b32_e32 v23, v19
	s_mov_b32 s90, s95
	s_lshl_b64 s[84:85], s[62:63], 3
	v_mov_b32_e32 v31, v6
	v_addc_co_u32_e32 v17, vcc, v2, v5, vcc
	s_lshl_b64 s[88:89], s[0:1], 3
	s_lshl_b32 s86, s33, 3
	s_mov_b32 s87, 62
	s_mov_b64 s[66:67], 0
	v_pk_mov_b32 v[6:7], 0, 0
	v_mov_b32_e32 v3, 0x3ff00000
	v_cvt_f32_ubyte0_e32 v49, 0
	s_mov_b32 s74, 0
	s_mov_b64 s[54:55], 0
	s_mov_b64 s[78:79], 0
	v_writelane_b32 v66, s50, 61
                                        ; implicit-def: $sgpr68_sgpr69
                                        ; implicit-def: $sgpr60_sgpr61
                                        ; implicit-def: $sgpr70_sgpr71
                                        ; implicit-def: $sgpr82_sgpr83
                                        ; implicit-def: $sgpr10_sgpr11
                                        ; implicit-def: $sgpr76_sgpr77
	v_writelane_b32 v66, s51, 62
	s_branch .LBB46_34
.LBB46_30:                              ;   in Loop: Header=BB46_34 Depth=1
	s_xor_b32 s74, s74, 1
	s_add_i32 s8, s87, -2
	s_cmp_eq_u32 s87, 0
	s_mov_b64 s[2:3], 0
	s_cselect_b64 s[6:7], -1, 0
	s_mov_b32 s87, s8
.LBB46_31:                              ;   in Loop: Header=BB46_34 Depth=1
	s_andn2_b64 s[8:9], s[26:27], exec
	s_and_b64 s[2:3], s[2:3], exec
	s_or_b64 s[26:27], s[8:9], s[2:3]
	s_andn2_b64 s[30:31], s[30:31], exec
	s_andn2_b64 s[24:25], s[24:25], exec
	s_orn2_b64 s[18:19], s[6:7], exec
.LBB46_32:                              ;   in Loop: Header=BB46_34 Depth=1
	s_or_b64 exec, exec, s[0:1]
	s_andn2_b64 s[0:1], s[76:77], exec
	s_and_b64 s[2:3], s[26:27], exec
	s_or_b64 s[76:77], s[0:1], s[2:3]
	s_andn2_b64 s[0:1], s[10:11], exec
	s_and_b64 s[2:3], s[30:31], exec
	s_or_b64 s[10:11], s[0:1], s[2:3]
	s_andn2_b64 s[0:1], s[82:83], exec
	s_and_b64 s[2:3], s[24:25], exec
	s_or_b64 s[82:83], s[0:1], s[2:3]
	s_orn2_b64 s[18:19], s[18:19], exec
.LBB46_33:                              ;   in Loop: Header=BB46_34 Depth=1
	s_or_b64 exec, exec, s[16:17]
	s_and_b64 s[0:1], exec, s[18:19]
	s_or_b64 s[66:67], s[0:1], s[66:67]
	s_andn2_b64 s[0:1], s[70:71], exec
	s_and_b64 s[2:3], s[76:77], exec
	s_or_b64 s[70:71], s[0:1], s[2:3]
	s_andn2_b64 s[0:1], s[60:61], exec
	s_and_b64 s[2:3], s[10:11], exec
	;; [unrolled: 3-line block ×3, first 2 shown]
	s_waitcnt vmcnt(0)
	v_pk_mov_b32 v[4:5], s[54:55], s[54:55] op_sel:[0,1]
	s_or_b64 s[68:69], s[0:1], s[2:3]
	s_andn2_b64 exec, exec, s[66:67]
	s_cbranch_execz .LBB46_304
.LBB46_34:                              ; =>This Loop Header: Depth=1
                                        ;     Child Loop BB46_42 Depth 2
                                        ;     Child Loop BB46_61 Depth 2
	;; [unrolled: 1-line block ×16, first 2 shown]
	ds_read_b128 v[8:11], v19 offset:5120
	s_waitcnt lgkmcnt(0)
	v_readfirstlane_b32 s1, v9
	v_readfirstlane_b32 s0, v8
	v_cmp_gt_i64_e64 s[2:3], s[0:1], 0
	s_and_b64 vcc, exec, s[2:3]
	s_cbranch_vccnz .LBB46_68
; %bb.35:                               ;   in Loop: Header=BB46_34 Depth=1
	v_readlane_b32 s2, v66, 38
	v_readlane_b32 s3, v66, 39
	s_and_b64 vcc, exec, s[2:3]
	s_cbranch_vccz .LBB46_50
; %bb.36:                               ;   in Loop: Header=BB46_34 Depth=1
	s_mov_b64 s[2:3], 0x181
	v_cmp_gt_i64_e32 vcc, s[2:3], v[10:11]
	s_mov_b64 s[2:3], 0
	s_mov_b64 s[6:7], 0
	s_cbranch_vccz .LBB46_55
; %bb.37:                               ;   in Loop: Header=BB46_34 Depth=1
	v_pk_mov_b32 v[4:5], 0, 0
	s_mov_b64 s[0:1], exec
	v_readlane_b32 s6, v66, 40
	v_readlane_b32 s7, v66, 41
	s_and_b64 s[6:7], s[0:1], s[6:7]
	s_mov_b64 exec, s[6:7]
	s_cbranch_execz .LBB46_39
; %bb.38:                               ;   in Loop: Header=BB46_34 Depth=1
	global_load_dwordx2 v[4:5], v[20:21], off
.LBB46_39:                              ;   in Loop: Header=BB46_34 Depth=1
	s_or_b64 exec, exec, s[0:1]
	s_mov_b64 s[0:1], exec
	v_readlane_b32 s6, v66, 40
	v_readlane_b32 s7, v66, 41
	s_and_b64 s[6:7], s[0:1], s[6:7]
	s_mov_b64 exec, s[6:7]
	s_cbranch_execz .LBB46_51
; %bb.40:                               ;   in Loop: Header=BB46_34 Depth=1
	global_load_ushort v2, v19, s[50:51]
	v_readlane_b32 s6, v66, 57
	v_readlane_b32 s7, v66, 58
	v_pk_mov_b32 v[8:9], s[6:7], s[6:7] op_sel:[0,1]
	s_mov_b64 s[8:9], 0
	s_waitcnt vmcnt(0)
	v_readfirstlane_b32 s6, v2
	s_and_b32 s6, 0xffff, s6
	v_add_u32_e32 v11, s6, v0
	s_mul_i32 s12, s85, s6
	s_mul_hi_u32 s13, s84, s6
	s_mul_i32 s20, s84, s6
	v_mad_u64_u32 v[8:9], s[6:7], s84, v11, v[8:9]
	v_mov_b32_e32 v10, v9
	v_mad_u64_u32 v[10:11], s[6:7], s85, v11, v[10:11]
	s_add_i32 s21, s13, s12
	v_mov_b32_e32 v9, v10
	v_pk_mov_b32 v[10:11], v[0:1], v[0:1] op_sel:[0,1]
	s_branch .LBB46_42
.LBB46_41:                              ;   in Loop: Header=BB46_42 Depth=2
	s_or_b64 exec, exec, s[6:7]
	v_mov_b32_e32 v4, s21
	v_add_co_u32_e32 v8, vcc, s20, v8
	v_addc_co_u32_e32 v9, vcc, v9, v4, vcc
	s_waitcnt vmcnt(0)
	v_pk_mov_b32 v[4:5], v[12:13], v[12:13] op_sel:[0,1]
	s_andn2_b64 exec, exec, s[8:9]
	s_cbranch_execz .LBB46_51
.LBB46_42:                              ;   Parent Loop BB46_34 Depth=1
                                        ; =>  This Inner Loop Header: Depth=2
	v_add_co_u32_sdwa v10, vcc, v10, v2 dst_sel:DWORD dst_unused:UNUSED_PAD src0_sel:DWORD src1_sel:WORD_0
	v_addc_co_u32_e32 v11, vcc, 0, v11, vcc
	v_cmp_gt_i64_e64 s[6:7], s[56:57], v[10:11]
	v_cmp_le_i64_e32 vcc, s[56:57], v[10:11]
	v_pk_mov_b32 v[12:13], 0, 0
	s_and_saveexec_b64 s[12:13], s[6:7]
	s_cbranch_execz .LBB46_44
; %bb.43:                               ;   in Loop: Header=BB46_42 Depth=2
	global_load_dwordx2 v[12:13], v[8:9], off
.LBB46_44:                              ;   in Loop: Header=BB46_42 Depth=2
	s_or_b64 exec, exec, s[12:13]
	s_waitcnt lgkmcnt(0)
	v_ashrrev_i32_e32 v14, 31, v5
	v_or_b32_e32 v15, 0x80000000, v14
	v_xor_b32_e32 v15, v15, v5
	v_xor_b32_e32 v14, v14, v4
	v_cmp_o_f64_e64 s[6:7], v[4:5], v[4:5]
	v_cndmask_b32_e64 v15, -1, v15, s[6:7]
	v_cndmask_b32_e64 v14, -1, v14, s[6:7]
	v_and_b32_e32 v15, s79, v15
	v_and_b32_e32 v14, s78, v14
	v_cmp_eq_u64_e64 s[12:13], s[54:55], v[14:15]
	s_cmp_lg_u64 s[12:13], 0
	s_cselect_b64 s[6:7], -1, 0
	s_and_b64 s[6:7], s[4:5], s[6:7]
	v_mov_b32_e32 v14, 0
	s_and_saveexec_b64 s[14:15], s[6:7]
	s_cbranch_execz .LBB46_48
; %bb.45:                               ;   in Loop: Header=BB46_42 Depth=2
	s_mov_b64 s[18:19], exec
	v_mbcnt_lo_u32_b32 v14, s18, 0
	v_mbcnt_hi_u32_b32 v14, s19, v14
	s_bcnt1_i32_b64 s22, s[12:13]
	v_cmp_eq_u32_e64 s[6:7], 0, v14
                                        ; implicit-def: $vgpr15
	s_and_saveexec_b64 s[16:17], s[6:7]
	s_cbranch_execz .LBB46_47
; %bb.46:                               ;   in Loop: Header=BB46_42 Depth=2
	s_bcnt1_i32_b64 s6, s[18:19]
	s_mul_i32 s6, s22, s6
	v_mov_b32_e32 v15, s6
	ds_add_rtn_u32 v15, v19, v15 offset:5136
.LBB46_47:                              ;   in Loop: Header=BB46_42 Depth=2
	s_or_b64 exec, exec, s[16:17]
	s_waitcnt lgkmcnt(0)
	v_readfirstlane_b32 s6, v15
	v_mov_b32_e32 v15, s6
	v_mad_u32_u24 v14, s22, v14, v15
.LBB46_48:                              ;   in Loop: Header=BB46_42 Depth=2
	s_or_b64 exec, exec, s[14:15]
	ds_bpermute_b32 v14, v44, v14
	s_and_b64 s[6:7], exec, vcc
	s_or_b64 s[8:9], s[6:7], s[8:9]
	s_and_saveexec_b64 s[6:7], s[12:13]
	s_cbranch_execz .LBB46_41
; %bb.49:                               ;   in Loop: Header=BB46_42 Depth=2
	v_and_b32_e32 v18, s12, v24
	v_and_b32_e32 v15, s13, v25
	v_bcnt_u32_b32 v18, v18, 0
	v_bcnt_u32_b32 v15, v15, v18
	v_lshlrev_b32_e32 v15, 3, v15
	s_waitcnt lgkmcnt(0)
	v_lshl_add_u32 v14, v14, 3, v15
	ds_write_b64 v14, v[4:5]
	s_branch .LBB46_41
.LBB46_50:                              ;   in Loop: Header=BB46_34 Depth=1
	s_mov_b64 s[2:3], -1
	s_mov_b64 s[6:7], 0
	s_branch .LBB46_54
.LBB46_51:                              ;   in Loop: Header=BB46_34 Depth=1
	s_or_b64 exec, exec, s[0:1]
	s_waitcnt lgkmcnt(0)
	s_barrier
	s_mov_b64 s[0:1], exec
	v_readlane_b32 s6, v66, 32
	v_readlane_b32 s7, v66, 33
	s_and_b64 s[6:7], s[0:1], s[6:7]
	s_mov_b64 exec, s[6:7]
	s_cbranch_execz .LBB46_53
; %bb.52:                               ;   in Loop: Header=BB46_34 Depth=1
	s_waitcnt vmcnt(0)
	ds_read_b32 v4, v19 offset:5136
	s_waitcnt lgkmcnt(0)
	v_ashrrev_i32_e32 v5, 31, v4
	ds_write_b64 v19, v[4:5] offset:5120
.LBB46_53:                              ;   in Loop: Header=BB46_34 Depth=1
	s_or_b64 exec, exec, s[0:1]
	s_waitcnt lgkmcnt(0)
	s_barrier
	s_mov_b64 s[6:7], -1
.LBB46_54:                              ;   in Loop: Header=BB46_34 Depth=1
                                        ; implicit-def: $sgpr0_sgpr1
.LBB46_55:                              ;   in Loop: Header=BB46_34 Depth=1
	s_and_b64 vcc, exec, s[2:3]
	s_cbranch_vccz .LBB46_66
; %bb.56:                               ;   in Loop: Header=BB46_34 Depth=1
	s_waitcnt vmcnt(0)
	v_pk_mov_b32 v[4:5], 0, 0
	s_mov_b64 s[0:1], exec
	v_readlane_b32 s2, v66, 44
	v_readlane_b32 s3, v66, 45
	s_and_b64 s[2:3], s[0:1], s[2:3]
	s_mov_b64 exec, s[2:3]
	s_cbranch_execz .LBB46_58
; %bb.57:                               ;   in Loop: Header=BB46_34 Depth=1
	global_load_dwordx2 v[4:5], v[20:21], off
.LBB46_58:                              ;   in Loop: Header=BB46_34 Depth=1
	s_or_b64 exec, exec, s[0:1]
	s_mov_b64 s[0:1], exec
	v_readlane_b32 s2, v66, 44
	v_readlane_b32 s3, v66, 45
	s_and_b64 s[2:3], s[0:1], s[2:3]
	s_mov_b64 exec, s[2:3]
	s_cbranch_execz .LBB46_63
; %bb.59:                               ;   in Loop: Header=BB46_34 Depth=1
	global_load_ushort v2, v19, s[50:51]
	v_readlane_b32 s2, v66, 57
	v_readlane_b32 s3, v66, 58
	v_pk_mov_b32 v[8:9], s[2:3], s[2:3] op_sel:[0,1]
	s_mov_b64 s[2:3], 0
	v_mov_b32_e32 v14, v41
	s_waitcnt vmcnt(0)
	v_readfirstlane_b32 s6, v2
	s_and_b32 s6, 0xffff, s6
	v_add_u32_e32 v11, s6, v0
	s_lshl_b32 s12, s6, 3
	s_mul_i32 s8, s85, s6
	s_mul_hi_u32 s9, s84, s6
	s_mul_i32 s13, s84, s6
	v_mad_u64_u32 v[8:9], s[6:7], s84, v11, v[8:9]
	v_mov_b32_e32 v10, v9
	v_mad_u64_u32 v[10:11], s[6:7], s85, v11, v[10:11]
	s_add_i32 s14, s9, s8
	v_mov_b32_e32 v9, v10
	v_pk_mov_b32 v[10:11], v[0:1], v[0:1] op_sel:[0,1]
	s_branch .LBB46_61
.LBB46_60:                              ;   in Loop: Header=BB46_61 Depth=2
	s_or_b64 exec, exec, s[8:9]
	s_and_b64 s[6:7], exec, vcc
	ds_write_b64 v14, v[4:5]
	v_mov_b32_e32 v4, s14
	v_add_co_u32_e32 v8, vcc, s13, v8
	s_or_b64 s[2:3], s[6:7], s[2:3]
	v_add_u32_e32 v14, s12, v14
	v_addc_co_u32_e32 v9, vcc, v9, v4, vcc
	s_waitcnt vmcnt(0)
	v_pk_mov_b32 v[4:5], v[12:13], v[12:13] op_sel:[0,1]
	s_andn2_b64 exec, exec, s[2:3]
	s_cbranch_execz .LBB46_63
.LBB46_61:                              ;   Parent Loop BB46_34 Depth=1
                                        ; =>  This Inner Loop Header: Depth=2
	v_add_co_u32_sdwa v10, vcc, v10, v2 dst_sel:DWORD dst_unused:UNUSED_PAD src0_sel:DWORD src1_sel:WORD_0
	v_addc_co_u32_e32 v11, vcc, 0, v11, vcc
	v_cmp_gt_i64_e64 s[6:7], s[56:57], v[10:11]
	v_cmp_le_i64_e32 vcc, s[56:57], v[10:11]
	v_pk_mov_b32 v[12:13], 0, 0
	s_and_saveexec_b64 s[8:9], s[6:7]
	s_cbranch_execz .LBB46_60
; %bb.62:                               ;   in Loop: Header=BB46_61 Depth=2
	global_load_dwordx2 v[12:13], v[8:9], off
	s_branch .LBB46_60
.LBB46_63:                              ;   in Loop: Header=BB46_34 Depth=1
	s_or_b64 exec, exec, s[0:1]
	s_waitcnt lgkmcnt(0)
	s_barrier
	s_mov_b64 s[0:1], exec
	v_readlane_b32 s2, v66, 32
	v_readlane_b32 s3, v66, 33
	s_and_b64 s[2:3], s[0:1], s[2:3]
	s_mov_b64 exec, s[2:3]
	s_cbranch_execz .LBB46_65
; %bb.64:                               ;   in Loop: Header=BB46_34 Depth=1
	s_waitcnt vmcnt(0)
	v_pk_mov_b32 v[4:5], s[56:57], s[56:57] op_sel:[0,1]
	ds_write_b64 v19, v[4:5] offset:5120
.LBB46_65:                              ;   in Loop: Header=BB46_34 Depth=1
	s_or_b64 exec, exec, s[0:1]
	s_mov_b64 s[6:7], -1
	s_waitcnt lgkmcnt(0)
	s_barrier
                                        ; implicit-def: $sgpr0_sgpr1
.LBB46_66:                              ;   in Loop: Header=BB46_34 Depth=1
	s_and_b64 vcc, exec, s[6:7]
	s_cbranch_vccz .LBB46_68
; %bb.67:                               ;   in Loop: Header=BB46_34 Depth=1
	s_waitcnt vmcnt(0)
	ds_read_b64 v[4:5], v19 offset:5120
	s_waitcnt lgkmcnt(0)
	v_readfirstlane_b32 s0, v4
.LBB46_68:                              ;   in Loop: Header=BB46_34 Depth=1
	s_cmp_lt_i32 s0, 1
	s_cbranch_scc0 .LBB46_83
; %bb.69:                               ;   in Loop: Header=BB46_34 Depth=1
	global_load_ushort v2, v19, s[50:51]
	s_mov_b32 s2, s95
	s_mov_b32 s3, s57
	s_waitcnt vmcnt(0)
	v_readfirstlane_b32 s1, v2
	s_and_b32 s1, 0xffff, s1
	s_lshl_b32 s1, s1, 2
	s_cmp_lg_u64 s[2:3], 0
	s_cbranch_scc0 .LBB46_103
; %bb.70:                               ;   in Loop: Header=BB46_34 Depth=1
	v_cvt_f32_u32_e32 v4, s1
	s_sub_u32 s2, 0, s1
	s_subb_u32 s3, 0, 0
	v_mac_f32_e32 v4, 0x4f800000, v49
	v_rcp_f32_e32 v4, v4
	v_mul_f32_e32 v4, 0x5f7ffffc, v4
	v_mul_f32_e32 v5, 0x2f800000, v4
	v_trunc_f32_e32 v5, v5
	v_mac_f32_e32 v4, 0xcf800000, v5
	v_cvt_u32_f32_e32 v5, v5
	v_cvt_u32_f32_e32 v4, v4
	v_readfirstlane_b32 s6, v5
	v_readfirstlane_b32 s7, v4
	s_mul_i32 s8, s2, s6
	s_mul_hi_u32 s12, s2, s7
	s_mul_i32 s9, s3, s7
	s_add_i32 s8, s12, s8
	s_mul_i32 s13, s2, s7
	s_add_i32 s8, s8, s9
	s_mul_hi_u32 s12, s7, s13
	s_mul_hi_u32 s9, s7, s8
	s_mul_i32 s7, s7, s8
	s_add_u32 s7, s12, s7
	s_addc_u32 s9, 0, s9
	s_mul_hi_u32 s14, s6, s13
	s_mul_i32 s13, s6, s13
	s_add_u32 s7, s7, s13
	s_mul_hi_u32 s12, s6, s8
	s_addc_u32 s7, s9, s14
	s_addc_u32 s9, s12, 0
	s_mul_i32 s8, s6, s8
	s_add_u32 s7, s7, s8
	s_addc_u32 s8, 0, s9
	v_add_co_u32_e32 v4, vcc, s7, v4
	s_cmp_lg_u64 vcc, 0
	s_addc_u32 s6, s6, s8
	v_readfirstlane_b32 s8, v4
	s_mul_i32 s7, s2, s6
	s_mul_hi_u32 s9, s2, s8
	s_add_i32 s7, s9, s7
	s_mul_i32 s3, s3, s8
	s_add_i32 s7, s7, s3
	s_mul_i32 s2, s2, s8
	s_mul_hi_u32 s9, s6, s2
	s_mul_i32 s12, s6, s2
	s_mul_i32 s14, s8, s7
	s_mul_hi_u32 s2, s8, s2
	s_mul_hi_u32 s13, s8, s7
	s_add_u32 s2, s2, s14
	s_addc_u32 s8, 0, s13
	s_add_u32 s2, s2, s12
	s_mul_hi_u32 s3, s6, s7
	s_addc_u32 s2, s8, s9
	s_addc_u32 s3, s3, 0
	s_mul_i32 s7, s6, s7
	s_add_u32 s2, s2, s7
	s_addc_u32 s3, 0, s3
	v_add_co_u32_e32 v4, vcc, s2, v4
	s_cmp_lg_u64 vcc, 0
	s_addc_u32 s8, s6, s3
	s_ashr_i32 s2, s57, 31
	s_add_u32 s6, s56, s2
	s_mov_b32 s3, s2
	s_addc_u32 s7, s57, s2
	s_xor_b64 s[6:7], s[6:7], s[2:3]
	v_readfirstlane_b32 s12, v4
	s_mul_i32 s9, s6, s8
	s_mul_hi_u32 s13, s6, s12
	s_mul_hi_u32 s3, s6, s8
	s_add_u32 s9, s13, s9
	s_addc_u32 s3, 0, s3
	s_mul_hi_u32 s14, s7, s12
	s_mul_i32 s12, s7, s12
	s_add_u32 s9, s9, s12
	s_mul_hi_u32 s13, s7, s8
	s_addc_u32 s3, s3, s14
	s_addc_u32 s9, s13, 0
	s_mul_i32 s8, s7, s8
	s_add_u32 s3, s3, s8
	s_addc_u32 s8, 0, s9
	s_mul_hi_u32 s9, s1, s3
	s_mul_i32 s3, s1, s3
	s_mul_i32 s8, s1, s8
	v_mov_b32_e32 v4, s3
	s_add_i32 s9, s9, s8
	v_sub_co_u32_e32 v4, vcc, s6, v4
	s_cmp_lg_u64 vcc, 0
	s_subb_u32 s3, s7, s9
	v_subrev_co_u32_e32 v5, vcc, s1, v4
	s_cmp_lg_u64 vcc, 0
	s_subb_u32 s6, s3, 0
	v_subrev_co_u32_e32 v8, vcc, s1, v5
	s_cmp_lg_u64 vcc, 0
	s_subb_u32 s7, s6, 0
	v_cmp_le_u32_e32 vcc, s1, v5
	s_cmp_eq_u32 s6, 0
	v_cndmask_b32_e64 v9, 0, -1, vcc
	s_cselect_b64 vcc, -1, 0
	v_cndmask_b32_e32 v9, -1, v9, vcc
	v_mov_b32_e32 v10, s6
	v_mov_b32_e32 v11, s7
	v_cmp_ne_u32_e32 vcc, 0, v9
	v_cndmask_b32_e32 v9, v10, v11, vcc
	v_cndmask_b32_e32 v5, v5, v8, vcc
	v_cmp_le_u32_e32 vcc, s1, v4
	s_cmp_eq_u32 s3, 0
	v_cndmask_b32_e64 v8, 0, -1, vcc
	s_cselect_b64 vcc, -1, 0
	v_cndmask_b32_e32 v8, -1, v8, vcc
	v_cmp_ne_u32_e32 vcc, 0, v8
	v_mov_b32_e32 v10, s3
	v_cndmask_b32_e32 v4, v4, v5, vcc
	v_cndmask_b32_e32 v8, v10, v9, vcc
	v_xor_b32_e32 v4, s2, v4
	v_xor_b32_e32 v5, s2, v8
	v_mov_b32_e32 v8, s2
	v_subrev_co_u32_e32 v4, vcc, s2, v4
	v_subb_co_u32_e32 v5, vcc, v5, v8, vcc
	s_cbranch_execnz .LBB46_72
.LBB46_71:                              ;   in Loop: Header=BB46_34 Depth=1
	v_cvt_f32_u32_e32 v4, s1
	s_sub_i32 s2, 0, s1
	v_rcp_iflag_f32_e32 v4, v4
	v_mul_f32_e32 v4, 0x4f7ffffe, v4
	v_cvt_u32_f32_e32 v4, v4
	v_mul_lo_u32 v5, s2, v4
	v_mul_hi_u32 v5, v4, v5
	v_add_u32_e32 v4, v4, v5
	v_mul_hi_u32 v4, s56, v4
	v_mul_lo_u32 v4, v4, s1
	v_sub_u32_e32 v4, s56, v4
	v_subrev_u32_e32 v5, s1, v4
	v_cmp_le_u32_e32 vcc, s1, v4
	v_cndmask_b32_e32 v4, v4, v5, vcc
	v_subrev_u32_e32 v5, s1, v4
	v_cmp_le_u32_e32 vcc, s1, v4
	v_cndmask_b32_e32 v18, v4, v5, vcc
	v_pk_mov_b32 v[4:5], v[18:19], v[18:19] op_sel:[0,1]
.LBB46_72:                              ;   in Loop: Header=BB46_34 Depth=1
	v_mov_b32_e32 v8, s57
	v_sub_co_u32_e32 v34, vcc, s56, v4
	v_subb_co_u32_e32 v35, vcc, v8, v5, vcc
	v_pk_mov_b32 v[8:9], 0, 0
	v_and_b32_e32 v2, 0xffff, v2
	v_cmp_gt_i64_e32 vcc, v[34:35], v[22:23]
	s_mov_b64 s[92:93], 0
	v_pk_mov_b32 v[10:11], v[8:9], v[8:9] op_sel:[0,1]
	v_pk_mov_b32 v[12:13], v[8:9], v[8:9] op_sel:[0,1]
	;; [unrolled: 1-line block ×3, first 2 shown]
	s_and_saveexec_b64 s[8:9], vcc
	s_cbranch_execz .LBB46_76
; %bb.73:                               ;   in Loop: Header=BB46_34 Depth=1
	v_readlane_b32 s2, v66, 55
	v_readlane_b32 s3, v66, 56
	v_mul_lo_u32 v8, s3, v2
	v_mul_hi_u32 v9, s2, v2
	v_mul_lo_u32 v51, s2, v2
	v_readlane_b32 s2, v66, 42
	v_readlane_b32 s3, v66, 43
	s_and_b32 s72, s87, 0xfe
	v_add_u32_e32 v50, v9, v8
	v_pk_mov_b32 v[36:37], s[2:3], s[2:3] op_sel:[0,1]
	s_mov_b64 s[2:3], 0
	s_mov_b64 s[80:81], 0
	;; [unrolled: 1-line block ×4, first 2 shown]
	v_pk_mov_b32 v[38:39], v[22:23], v[22:23] op_sel:[0,1]
.LBB46_74:                              ;   Parent Loop BB46_34 Depth=1
                                        ; =>  This Inner Loop Header: Depth=2
	v_add_co_u32_e32 v14, vcc, v36, v32
	v_addc_co_u32_e32 v15, vcc, v37, v33, vcc
	v_add_co_u32_e32 v52, vcc, v36, v30
	v_addc_co_u32_e32 v53, vcc, v37, v31, vcc
	;; [unrolled: 2-line block ×4, first 2 shown]
	global_load_dwordx2 v[14:15], v[14:15], off
	s_nop 0
	global_load_dwordx2 v[52:53], v[52:53], off
	s_nop 0
	;; [unrolled: 2-line block ×3, first 2 shown]
	global_load_dwordx2 v[56:57], v[56:57], off
	v_mov_b32_e32 v9, v19
	v_mov_b32_e32 v11, v19
	;; [unrolled: 1-line block ×3, first 2 shown]
	v_add_co_u32_e32 v38, vcc, s1, v38
	v_addc_co_u32_e32 v39, vcc, 0, v39, vcc
	v_add_co_u32_e32 v36, vcc, v36, v51
	v_addc_co_u32_e32 v37, vcc, v37, v50, vcc
	v_cmp_ge_i64_e32 vcc, v[38:39], v[34:35]
	s_waitcnt vmcnt(3)
	v_ashrrev_i32_e32 v8, 31, v15
	s_waitcnt vmcnt(2)
	v_ashrrev_i32_e32 v10, 31, v53
	v_xor_b32_e32 v58, v10, v52
	v_cmp_o_f64_e64 s[6:7], v[52:53], v[52:53]
	v_or_b32_e32 v52, 0x80000000, v8
	s_waitcnt vmcnt(1)
	v_ashrrev_i32_e32 v12, 31, v55
	s_waitcnt vmcnt(0)
	v_ashrrev_i32_e32 v18, 31, v57
	v_xor_b32_e32 v8, v8, v14
	v_or_b32_e32 v10, 0x80000000, v10
	v_cmp_o_f64_e64 s[16:17], v[14:15], v[14:15]
	v_xor_b32_e32 v15, v52, v15
	v_xor_b32_e32 v59, v12, v54
	v_cmp_o_f64_e64 s[12:13], v[54:55], v[54:55]
	v_xor_b32_e32 v60, v18, v56
	v_or_b32_e32 v12, 0x80000000, v12
	v_or_b32_e32 v18, 0x80000000, v18
	v_xor_b32_e32 v10, v10, v53
	v_cndmask_b32_e64 v14, -1, v8, s[16:17]
	v_cndmask_b32_e64 v15, -1, v15, s[16:17]
	v_cmp_o_f64_e64 s[14:15], v[56:57], v[56:57]
	v_xor_b32_e32 v12, v12, v55
	v_xor_b32_e32 v18, v18, v57
	v_cndmask_b32_e64 v52, -1, v58, s[6:7]
	v_cndmask_b32_e64 v54, -1, v59, s[12:13]
	;; [unrolled: 1-line block ×3, first 2 shown]
	v_and_b32_e32 v58, s78, v14
	v_and_b32_e32 v59, s79, v15
	v_lshrrev_b64 v[14:15], s72, v[14:15]
	v_cndmask_b32_e64 v56, -1, v60, s[14:15]
	v_cndmask_b32_e64 v55, -1, v12, s[12:13]
	;; [unrolled: 1-line block ×3, first 2 shown]
	v_and_b32_e32 v60, s78, v52
	v_and_b32_e32 v61, s79, v53
	v_lshrrev_b64 v[52:53], s72, v[52:53]
	v_and_b32_e32 v18, 3, v14
	v_and_b32_e32 v62, s78, v54
	;; [unrolled: 1-line block ×3, first 2 shown]
	v_lshrrev_b64 v[54:55], s72, v[54:55]
	v_cmp_eq_u64_e64 s[18:19], s[54:55], v[58:59]
	v_and_b32_e32 v8, 3, v52
	v_cmp_eq_u64_e64 s[6:7], 0, v[18:19]
	v_and_b32_e32 v64, s78, v56
	v_and_b32_e32 v65, s79, v57
	v_lshrrev_b64 v[56:57], s72, v[56:57]
	v_cmp_eq_u64_e64 s[16:17], s[54:55], v[60:61]
	v_and_b32_e32 v10, 3, v54
	v_cmp_eq_u64_e64 s[30:31], 0, v[8:9]
	s_and_b64 s[6:7], s[18:19], s[6:7]
	v_cmp_eq_u64_e64 s[14:15], s[54:55], v[62:63]
	v_and_b32_e32 v12, 3, v56
	v_cmp_eq_u64_e64 s[34:35], 0, v[10:11]
	v_cmp_eq_u64_e64 s[40:41], 1, v[8:9]
	;; [unrolled: 1-line block ×4, first 2 shown]
	v_cndmask_b32_e64 v8, 0, 1, s[6:7]
	s_and_b64 s[6:7], s[16:17], s[30:31]
	v_cmp_eq_u64_e64 s[12:13], s[54:55], v[64:65]
	v_cmp_eq_u64_e64 s[36:37], 0, v[12:13]
	v_cndmask_b32_e64 v9, 0, 1, s[6:7]
	s_and_b64 s[6:7], s[14:15], s[34:35]
	v_cmp_eq_u64_e64 s[42:43], 1, v[10:11]
	v_cmp_eq_u64_e64 s[50:51], 2, v[10:11]
	;; [unrolled: 1-line block ×3, first 2 shown]
	v_cndmask_b32_e64 v10, 0, 1, s[6:7]
	s_and_b64 s[6:7], s[12:13], s[36:37]
	v_cndmask_b32_e64 v11, 0, 1, s[6:7]
	v_cmp_ne_u32_e64 s[6:7], 0, v8
	v_cmp_ne_u32_e64 s[30:31], 0, v9
	;; [unrolled: 1-line block ×4, first 2 shown]
	s_bcnt1_i32_b64 s6, s[6:7]
	s_bcnt1_i32_b64 s7, s[30:31]
	;; [unrolled: 1-line block ×4, first 2 shown]
	s_add_u32 s6, s6, s64
	s_addc_u32 s34, 0, s65
	s_add_u32 s6, s6, s7
	s_addc_u32 s7, s34, 0
	;; [unrolled: 2-line block ×3, first 2 shown]
	v_cmp_eq_u64_e64 s[38:39], 1, v[18:19]
	s_add_u32 s64, s6, s31
	s_addc_u32 s65, s7, 0
	s_and_b64 s[6:7], s[18:19], s[38:39]
	v_cndmask_b32_e64 v10, 0, 1, s[6:7]
	s_and_b64 s[6:7], s[16:17], s[40:41]
	v_cmp_eq_u64_e64 s[44:45], 1, v[12:13]
	v_cndmask_b32_e64 v11, 0, 1, s[6:7]
	s_and_b64 s[6:7], s[14:15], s[42:43]
	v_cmp_eq_u64_e64 s[52:53], 2, v[12:13]
	v_cmp_eq_u64_e64 s[20:21], 3, v[12:13]
	v_cndmask_b32_e64 v12, 0, 1, s[6:7]
	s_and_b64 s[6:7], s[12:13], s[44:45]
	v_cndmask_b32_e64 v13, 0, 1, s[6:7]
	v_cmp_ne_u32_e64 s[6:7], 0, v10
	v_cmp_ne_u32_e64 s[30:31], 0, v11
	v_cmp_ne_u32_e64 s[34:35], 0, v12
	v_cmp_ne_u32_e64 s[36:37], 0, v13
	s_bcnt1_i32_b64 s6, s[6:7]
	s_bcnt1_i32_b64 s7, s[30:31]
	;; [unrolled: 1-line block ×4, first 2 shown]
	s_add_u32 s6, s6, s28
	s_addc_u32 s28, 0, s29
	s_add_u32 s6, s6, s7
	s_addc_u32 s7, s28, 0
	;; [unrolled: 2-line block ×3, first 2 shown]
	v_cmp_eq_u64_e64 s[46:47], 2, v[18:19]
	s_add_u32 s28, s6, s31
	s_addc_u32 s29, s7, 0
	s_and_b64 s[6:7], s[18:19], s[46:47]
	v_cndmask_b32_e64 v12, 0, 1, s[6:7]
	s_and_b64 s[6:7], s[16:17], s[48:49]
	v_cndmask_b32_e64 v13, 0, 1, s[6:7]
	;; [unrolled: 2-line block ×4, first 2 shown]
	v_cmp_ne_u32_e64 s[6:7], 0, v12
	v_cmp_ne_u32_e64 s[30:31], 0, v13
	;; [unrolled: 1-line block ×4, first 2 shown]
	s_bcnt1_i32_b64 s6, s[6:7]
	s_bcnt1_i32_b64 s7, s[30:31]
	;; [unrolled: 1-line block ×4, first 2 shown]
	s_add_u32 s6, s6, s80
	s_addc_u32 s34, 0, s81
	s_add_u32 s6, s6, s7
	s_addc_u32 s7, s34, 0
	;; [unrolled: 2-line block ×3, first 2 shown]
	v_cmp_eq_u64_e64 s[26:27], 3, v[18:19]
	s_add_u32 s80, s6, s31
	s_addc_u32 s81, s7, 0
	s_and_b64 s[6:7], s[18:19], s[26:27]
	v_cndmask_b32_e64 v14, 0, 1, s[6:7]
	s_and_b64 s[6:7], s[16:17], s[24:25]
	v_cndmask_b32_e64 v15, 0, 1, s[6:7]
	;; [unrolled: 2-line block ×4, first 2 shown]
	v_cmp_ne_u32_e64 s[6:7], 0, v14
	v_cmp_ne_u32_e64 s[12:13], 0, v15
	;; [unrolled: 1-line block ×4, first 2 shown]
	s_bcnt1_i32_b64 s6, s[6:7]
	s_bcnt1_i32_b64 s7, s[12:13]
	;; [unrolled: 1-line block ×4, first 2 shown]
	s_add_u32 s2, s6, s2
	s_addc_u32 s3, 0, s3
	s_add_u32 s2, s2, s7
	s_addc_u32 s3, s3, 0
	;; [unrolled: 2-line block ×4, first 2 shown]
	v_pk_mov_b32 v[8:9], s[64:65], s[64:65] op_sel:[0,1]
	v_pk_mov_b32 v[10:11], s[28:29], s[28:29] op_sel:[0,1]
	;; [unrolled: 1-line block ×3, first 2 shown]
	s_or_b64 s[92:93], vcc, s[92:93]
	v_pk_mov_b32 v[14:15], s[2:3], s[2:3] op_sel:[0,1]
	s_andn2_b64 exec, exec, s[92:93]
	s_cbranch_execnz .LBB46_74
; %bb.75:                               ;   in Loop: Header=BB46_34 Depth=1
	s_or_b64 exec, exec, s[92:93]
	v_readlane_b32 s48, v66, 59
	v_readlane_b32 s50, v66, 61
	;; [unrolled: 1-line block ×4, first 2 shown]
.LBB46_76:                              ;   in Loop: Header=BB46_34 Depth=1
	s_or_b64 exec, exec, s[8:9]
	v_add_co_u32_e32 v34, vcc, v34, v0
	v_addc_co_u32_e32 v35, vcc, 0, v35, vcc
	v_cmp_gt_i64_e32 vcc, s[56:57], v[34:35]
	v_pk_mov_b32 v[36:37], 0, 0
	s_and_saveexec_b64 s[2:3], vcc
	s_cbranch_execz .LBB46_78
; %bb.77:                               ;   in Loop: Header=BB46_34 Depth=1
	v_mul_lo_u32 v18, v35, s62
	v_mul_lo_u32 v38, v34, s63
	v_mad_u64_u32 v[36:37], s[6:7], v34, s62, 0
	v_add3_u32 v37, v37, v38, v18
	v_readlane_b32 s6, v66, 42
	v_lshlrev_b64 v[36:37], 3, v[36:37]
	v_readlane_b32 s7, v66, 43
	v_mov_b32_e32 v18, s7
	v_add_co_u32_e64 v36, s[6:7], s6, v36
	v_addc_co_u32_e64 v37, s[6:7], v18, v37, s[6:7]
	global_load_dwordx2 v[36:37], v[36:37], off
.LBB46_78:                              ;   in Loop: Header=BB46_34 Depth=1
	s_or_b64 exec, exec, s[2:3]
	s_and_saveexec_b64 s[2:3], vcc
	s_cbranch_execz .LBB46_85
; %bb.79:                               ;   in Loop: Header=BB46_34 Depth=1
	v_add_co_u32_e32 v18, vcc, v46, v2
	v_addc_co_u32_e32 v38, vcc, 0, v47, vcc
	v_sub_co_u32_e32 v18, vcc, v18, v4
	v_readlane_b32 s6, v66, 57
	v_subb_co_u32_e32 v4, vcc, v38, v5, vcc
	v_readlane_b32 s7, v66, 58
	v_mul_lo_u32 v38, s84, v4
	v_pk_mov_b32 v[4:5], s[6:7], s[6:7] op_sel:[0,1]
	v_mul_lo_u32 v39, s85, v18
	v_mad_u64_u32 v[4:5], s[6:7], s84, v18, v[4:5]
	v_add3_u32 v5, v39, v5, v38
	v_mul_lo_u32 v18, s85, v2
	v_mul_hi_u32 v38, s84, v2
	s_and_b32 s1, s87, 0xfe
	v_add_u32_e32 v50, v38, v18
	v_mul_lo_u32 v51, s84, v2
	s_mov_b64 s[8:9], 0
	s_branch .LBB46_81
.LBB46_80:                              ;   in Loop: Header=BB46_81 Depth=2
	s_or_b64 exec, exec, s[12:13]
	s_waitcnt vmcnt(0)
	v_ashrrev_i32_e32 v18, 31, v37
	v_or_b32_e32 v52, 0x80000000, v18
	s_and_b64 s[6:7], exec, vcc
	v_xor_b32_e32 v52, v52, v37
	v_xor_b32_e32 v18, v18, v36
	v_cmp_o_f64_e32 vcc, v[36:37], v[36:37]
	v_cndmask_b32_e32 v37, -1, v52, vcc
	v_cndmask_b32_e32 v36, -1, v18, vcc
	v_and_b32_e32 v53, s79, v37
	v_and_b32_e32 v52, s78, v36
	v_lshrrev_b64 v[36:37], s1, v[36:37]
	v_and_b32_e32 v18, 3, v36
	s_or_b64 s[8:9], s[6:7], s[8:9]
	v_cmp_eq_u64_e32 vcc, s[54:55], v[52:53]
	v_cmp_eq_u64_e64 s[6:7], 0, v[18:19]
	s_and_b64 s[6:7], vcc, s[6:7]
	v_cndmask_b32_e64 v36, 0, 1, s[6:7]
	v_cmp_ne_u32_e64 s[6:7], 0, v36
	s_bcnt1_i32_b64 s6, s[6:7]
	v_add_co_u32_e64 v8, s[6:7], s6, v8
	v_addc_co_u32_e64 v9, s[6:7], 0, v9, s[6:7]
	v_cmp_eq_u64_e64 s[6:7], 1, v[18:19]
	s_and_b64 s[6:7], vcc, s[6:7]
	v_cndmask_b32_e64 v36, 0, 1, s[6:7]
	v_cmp_ne_u32_e64 s[6:7], 0, v36
	s_bcnt1_i32_b64 s6, s[6:7]
	v_add_co_u32_e64 v10, s[6:7], s6, v10
	v_addc_co_u32_e64 v11, s[6:7], 0, v11, s[6:7]
	;; [unrolled: 7-line block ×3, first 2 shown]
	v_cmp_eq_u64_e64 s[6:7], 3, v[18:19]
	s_and_b64 s[6:7], vcc, s[6:7]
	v_cndmask_b32_e64 v18, 0, 1, s[6:7]
	v_cmp_ne_u32_e32 vcc, 0, v18
	s_bcnt1_i32_b64 s6, vcc
	v_add_co_u32_e32 v14, vcc, s6, v14
	v_addc_co_u32_e32 v15, vcc, 0, v15, vcc
	v_add_co_u32_e32 v4, vcc, v4, v51
	v_addc_co_u32_e32 v5, vcc, v5, v50, vcc
	v_pk_mov_b32 v[36:37], v[38:39], v[38:39] op_sel:[0,1]
	s_andn2_b64 exec, exec, s[8:9]
	s_cbranch_execz .LBB46_84
.LBB46_81:                              ;   Parent Loop BB46_34 Depth=1
                                        ; =>  This Inner Loop Header: Depth=2
	v_add_co_u32_e32 v34, vcc, v34, v2
	v_addc_co_u32_e32 v35, vcc, 0, v35, vcc
	v_cmp_gt_i64_e64 s[6:7], s[56:57], v[34:35]
	v_cmp_le_i64_e32 vcc, s[56:57], v[34:35]
	v_pk_mov_b32 v[38:39], 0, 0
	s_and_saveexec_b64 s[12:13], s[6:7]
	s_cbranch_execz .LBB46_80
; %bb.82:                               ;   in Loop: Header=BB46_81 Depth=2
	global_load_dwordx2 v[38:39], v[4:5], off
	s_branch .LBB46_80
.LBB46_83:                              ;   in Loop: Header=BB46_34 Depth=1
                                        ; implicit-def: $vgpr14_vgpr15
                                        ; implicit-def: $vgpr10_vgpr11
	s_cbranch_execnz .LBB46_86
	s_branch .LBB46_95
.LBB46_84:                              ;   in Loop: Header=BB46_34 Depth=1
	s_or_b64 exec, exec, s[8:9]
.LBB46_85:                              ;   in Loop: Header=BB46_34 Depth=1
	s_or_b64 exec, exec, s[2:3]
	s_branch .LBB46_95
.LBB46_86:                              ;   in Loop: Header=BB46_34 Depth=1
	global_load_ushort v2, v19, s[50:51]
	v_pk_mov_b32 v[8:9], 0, 0
	s_mov_b64 s[8:9], 0
	v_pk_mov_b32 v[10:11], v[8:9], v[8:9] op_sel:[0,1]
	v_pk_mov_b32 v[12:13], v[8:9], v[8:9] op_sel:[0,1]
	;; [unrolled: 1-line block ×3, first 2 shown]
	s_waitcnt vmcnt(0)
	v_readfirstlane_b32 s1, v2
	s_and_b32 s1, 0xffff, s1
	s_lshl_b32 s1, s1, 2
	v_cvt_f32_u32_e32 v4, s1
	s_sub_i32 s2, 0, s1
	v_and_b32_e32 v2, 0xffff, v2
	v_rcp_iflag_f32_e32 v4, v4
	v_mul_f32_e32 v4, 0x4f7ffffe, v4
	v_cvt_u32_f32_e32 v4, v4
	v_readfirstlane_b32 s3, v4
	s_mul_i32 s2, s2, s3
	s_mul_hi_u32 s2, s3, s2
	s_add_i32 s3, s3, s2
	s_mul_hi_u32 s2, s0, s3
	s_mul_i32 s2, s2, s1
	s_sub_i32 s2, s0, s2
	s_sub_i32 s3, s2, s1
	s_cmp_ge_u32 s2, s1
	s_cselect_b32 s2, s3, s2
	s_sub_i32 s3, s2, s1
	s_cmp_ge_u32 s2, s1
	s_cselect_b32 s2, s3, s2
	s_sub_i32 s94, s0, s2
	v_cmp_gt_u32_e32 vcc, s94, v22
	s_and_saveexec_b64 s[92:93], vcc
	s_cbranch_execz .LBB46_90
; %bb.87:                               ;   in Loop: Header=BB46_34 Depth=1
	s_and_b32 s72, s87, 0xfe
	v_lshlrev_b32_e32 v50, 5, v2
	v_mov_b32_e32 v51, v45
	s_mov_b64 s[2:3], 0
	s_mov_b64 s[28:29], 0
	;; [unrolled: 1-line block ×4, first 2 shown]
	v_pk_mov_b32 v[4:5], v[22:23], v[22:23] op_sel:[0,1]
.LBB46_88:                              ;   Parent Loop BB46_34 Depth=1
                                        ; =>  This Inner Loop Header: Depth=2
	ds_read_b128 v[12:15], v51
	ds_read_b128 v[8:11], v51 offset:16
	v_mov_b32_e32 v35, v19
	v_mov_b32_e32 v37, v19
	v_mov_b32_e32 v39, v19
	s_waitcnt lgkmcnt(1)
	v_ashrrev_i32_e32 v18, 31, v13
	v_ashrrev_i32_e32 v34, 31, v15
	s_waitcnt lgkmcnt(0)
	v_ashrrev_i32_e32 v36, 31, v9
	v_ashrrev_i32_e32 v38, 31, v11
	v_xor_b32_e32 v52, v34, v14
	v_cmp_o_f64_e64 s[6:7], v[14:15], v[14:15]
	v_xor_b32_e32 v14, v36, v8
	v_cmp_o_f64_e64 s[12:13], v[8:9], v[8:9]
	v_or_b32_e32 v8, 0x80000000, v18
	v_xor_b32_e32 v53, v38, v10
	v_cmp_o_f64_e64 s[14:15], v[10:11], v[10:11]
	v_xor_b32_e32 v10, v18, v12
	v_or_b32_e32 v18, 0x80000000, v34
	v_or_b32_e32 v34, 0x80000000, v36
	v_cmp_o_f64_e64 s[16:17], v[12:13], v[12:13]
	v_xor_b32_e32 v13, v8, v13
	v_or_b32_e32 v36, 0x80000000, v38
	v_xor_b32_e32 v15, v18, v15
	v_xor_b32_e32 v18, v34, v9
	v_cndmask_b32_e64 v8, -1, v10, s[16:17]
	v_cndmask_b32_e64 v9, -1, v13, s[16:17]
	v_xor_b32_e32 v34, v36, v11
	v_cndmask_b32_e64 v10, -1, v52, s[6:7]
	v_cndmask_b32_e64 v12, -1, v14, s[12:13]
	;; [unrolled: 1-line block ×4, first 2 shown]
	v_and_b32_e32 v52, s78, v8
	v_and_b32_e32 v53, s79, v9
	v_lshrrev_b64 v[8:9], s72, v[8:9]
	v_cndmask_b32_e64 v13, -1, v18, s[12:13]
	v_and_b32_e32 v54, s78, v10
	v_and_b32_e32 v55, s79, v11
	v_lshrrev_b64 v[10:11], s72, v[10:11]
	v_and_b32_e32 v18, 3, v8
	v_cndmask_b32_e64 v15, -1, v34, s[14:15]
	v_and_b32_e32 v56, s78, v12
	v_and_b32_e32 v57, s79, v13
	v_lshrrev_b64 v[12:13], s72, v[12:13]
	v_cmp_eq_u64_e64 s[18:19], s[54:55], v[52:53]
	v_and_b32_e32 v34, 3, v10
	v_cmp_eq_u64_e64 s[6:7], 0, v[18:19]
	v_and_b32_e32 v58, s78, v14
	v_and_b32_e32 v59, s79, v15
	v_lshrrev_b64 v[14:15], s72, v[14:15]
	v_cmp_eq_u64_e64 s[16:17], s[54:55], v[54:55]
	v_and_b32_e32 v36, 3, v12
	v_cmp_eq_u64_e64 s[30:31], 0, v[34:35]
	s_and_b64 s[6:7], s[18:19], s[6:7]
	v_cmp_eq_u64_e64 s[14:15], s[54:55], v[56:57]
	v_and_b32_e32 v38, 3, v14
	v_cmp_eq_u64_e64 s[34:35], 0, v[36:37]
	v_cndmask_b32_e64 v8, 0, 1, s[6:7]
	s_and_b64 s[6:7], s[16:17], s[30:31]
	v_cmp_eq_u64_e64 s[12:13], s[54:55], v[58:59]
	v_cmp_eq_u64_e64 s[36:37], 0, v[38:39]
	v_cndmask_b32_e64 v9, 0, 1, s[6:7]
	s_and_b64 s[6:7], s[14:15], s[34:35]
	v_cndmask_b32_e64 v10, 0, 1, s[6:7]
	s_and_b64 s[6:7], s[12:13], s[36:37]
	v_cndmask_b32_e64 v11, 0, 1, s[6:7]
	v_cmp_ne_u32_e64 s[6:7], 0, v8
	v_cmp_ne_u32_e64 s[30:31], 0, v9
	v_cmp_ne_u32_e64 s[34:35], 0, v10
	v_cmp_ne_u32_e64 s[36:37], 0, v11
	s_bcnt1_i32_b64 s6, s[6:7]
	s_bcnt1_i32_b64 s7, s[30:31]
	s_bcnt1_i32_b64 s30, s[34:35]
	s_bcnt1_i32_b64 s31, s[36:37]
	s_add_u32 s6, s6, s80
	s_addc_u32 s34, 0, s81
	s_add_u32 s6, s6, s7
	s_addc_u32 s7, s34, 0
	s_add_u32 s6, s6, s30
	s_addc_u32 s7, s7, 0
	v_cmp_eq_u64_e64 s[38:39], 1, v[18:19]
	s_add_u32 s80, s6, s31
	v_cmp_eq_u64_e64 s[40:41], 1, v[34:35]
	s_addc_u32 s81, s7, 0
	s_and_b64 s[6:7], s[18:19], s[38:39]
	v_cmp_eq_u64_e64 s[42:43], 1, v[36:37]
	v_cndmask_b32_e64 v10, 0, 1, s[6:7]
	s_and_b64 s[6:7], s[16:17], s[40:41]
	v_cmp_eq_u64_e64 s[44:45], 1, v[38:39]
	v_cndmask_b32_e64 v11, 0, 1, s[6:7]
	s_and_b64 s[6:7], s[14:15], s[42:43]
	v_cndmask_b32_e64 v12, 0, 1, s[6:7]
	s_and_b64 s[6:7], s[12:13], s[44:45]
	v_cndmask_b32_e64 v13, 0, 1, s[6:7]
	v_cmp_ne_u32_e64 s[6:7], 0, v10
	v_cmp_ne_u32_e64 s[30:31], 0, v11
	v_cmp_ne_u32_e64 s[34:35], 0, v12
	v_cmp_ne_u32_e64 s[36:37], 0, v13
	s_bcnt1_i32_b64 s6, s[6:7]
	s_bcnt1_i32_b64 s7, s[30:31]
	s_bcnt1_i32_b64 s30, s[34:35]
	s_bcnt1_i32_b64 s31, s[36:37]
	s_add_u32 s6, s6, s64
	s_addc_u32 s34, 0, s65
	s_add_u32 s6, s6, s7
	s_addc_u32 s7, s34, 0
	s_add_u32 s6, s6, s30
	s_addc_u32 s7, s7, 0
	v_cmp_eq_u64_e64 s[46:47], 2, v[18:19]
	s_add_u32 s64, s6, s31
	v_cmp_eq_u64_e64 s[48:49], 2, v[34:35]
	s_addc_u32 s65, s7, 0
	s_and_b64 s[6:7], s[18:19], s[46:47]
	v_cmp_eq_u64_e64 s[50:51], 2, v[36:37]
	v_cndmask_b32_e64 v12, 0, 1, s[6:7]
	s_and_b64 s[6:7], s[16:17], s[48:49]
	;; [unrolled: 28-line block ×3, first 2 shown]
	v_cmp_eq_u64_e64 s[20:21], 3, v[38:39]
	v_cndmask_b32_e64 v15, 0, 1, s[6:7]
	s_and_b64 s[6:7], s[14:15], s[22:23]
	v_cndmask_b32_e64 v18, 0, 1, s[6:7]
	s_and_b64 s[6:7], s[12:13], s[20:21]
	v_cndmask_b32_e64 v34, 0, 1, s[6:7]
	v_cmp_ne_u32_e64 s[6:7], 0, v14
	v_cmp_ne_u32_e64 s[12:13], 0, v15
	;; [unrolled: 1-line block ×4, first 2 shown]
	s_bcnt1_i32_b64 s6, s[6:7]
	s_bcnt1_i32_b64 s7, s[12:13]
	;; [unrolled: 1-line block ×4, first 2 shown]
	s_add_u32 s2, s6, s2
	s_addc_u32 s3, 0, s3
	s_add_u32 s2, s2, s7
	s_addc_u32 s3, s3, 0
	s_add_u32 s2, s2, s12
	v_add_co_u32_e32 v4, vcc, s1, v4
	s_addc_u32 s3, s3, 0
	v_addc_co_u32_e32 v5, vcc, 0, v5, vcc
	s_add_u32 s2, s2, s13
	v_cmp_le_u64_e32 vcc, s[94:95], v[4:5]
	s_addc_u32 s3, s3, 0
	v_add_u32_e32 v51, v51, v50
	v_pk_mov_b32 v[8:9], s[80:81], s[80:81] op_sel:[0,1]
	v_pk_mov_b32 v[10:11], s[64:65], s[64:65] op_sel:[0,1]
	;; [unrolled: 1-line block ×3, first 2 shown]
	s_or_b64 s[8:9], vcc, s[8:9]
	v_pk_mov_b32 v[14:15], s[2:3], s[2:3] op_sel:[0,1]
	s_andn2_b64 exec, exec, s[8:9]
	s_cbranch_execnz .LBB46_88
; %bb.89:                               ;   in Loop: Header=BB46_34 Depth=1
	s_or_b64 exec, exec, s[8:9]
	v_readlane_b32 s48, v66, 59
	v_readlane_b32 s50, v66, 61
	;; [unrolled: 1-line block ×4, first 2 shown]
.LBB46_90:                              ;   in Loop: Header=BB46_34 Depth=1
	s_or_b64 exec, exec, s[92:93]
	v_add_u32_e32 v18, s94, v0
	v_cmp_gt_u32_e32 vcc, s0, v18
	s_and_saveexec_b64 s[2:3], vcc
	s_cbranch_execz .LBB46_94
; %bb.91:                               ;   in Loop: Header=BB46_34 Depth=1
	s_and_b32 s94, s0, 0x7fffffff
	s_and_b32 s8, s87, 0xfe
	v_lshlrev_b32_e32 v34, 3, v18
	v_lshlrev_b32_e32 v35, 3, v2
	s_mov_b64 s[0:1], 0
	v_pk_mov_b32 v[4:5], v[18:19], v[18:19] op_sel:[0,1]
.LBB46_92:                              ;   Parent Loop BB46_34 Depth=1
                                        ; =>  This Inner Loop Header: Depth=2
	ds_read_b64 v[36:37], v34
	v_add_co_u32_e32 v4, vcc, v4, v2
	v_addc_co_u32_e32 v5, vcc, 0, v5, vcc
	s_waitcnt lgkmcnt(0)
	v_ashrrev_i32_e32 v18, 31, v37
	v_or_b32_e32 v38, 0x80000000, v18
	v_xor_b32_e32 v18, v18, v36
	v_cmp_o_f64_e64 s[6:7], v[36:37], v[36:37]
	v_xor_b32_e32 v37, v38, v37
	v_cndmask_b32_e64 v36, -1, v18, s[6:7]
	v_cndmask_b32_e64 v37, -1, v37, s[6:7]
	v_and_b32_e32 v38, s78, v36
	v_and_b32_e32 v39, s79, v37
	v_lshrrev_b64 v[36:37], s8, v[36:37]
	v_and_b32_e32 v18, 3, v36
	v_cmp_eq_u64_e64 s[6:7], s[54:55], v[38:39]
	v_cmp_eq_u64_e64 s[12:13], 0, v[18:19]
	;; [unrolled: 1-line block ×3, first 2 shown]
	s_and_b64 s[12:13], s[6:7], s[12:13]
	v_cmp_eq_u64_e64 s[16:17], 2, v[18:19]
	v_cmp_eq_u64_e64 s[18:19], 3, v[18:19]
	v_cndmask_b32_e64 v18, 0, 1, s[12:13]
	s_and_b64 s[12:13], s[6:7], s[14:15]
	v_cndmask_b32_e64 v36, 0, 1, s[12:13]
	s_and_b64 s[12:13], s[6:7], s[16:17]
	s_and_b64 s[6:7], s[6:7], s[18:19]
	v_cndmask_b32_e64 v37, 0, 1, s[12:13]
	v_cndmask_b32_e64 v38, 0, 1, s[6:7]
	v_cmp_ne_u32_e64 s[6:7], 0, v18
	v_cmp_ne_u32_e64 s[12:13], 0, v36
	v_cmp_ne_u32_e64 s[14:15], 0, v37
	v_cmp_ne_u32_e64 s[16:17], 0, v38
	v_cmp_le_u64_e32 vcc, s[94:95], v[4:5]
	s_bcnt1_i32_b64 s6, s[6:7]
	s_bcnt1_i32_b64 s7, s[12:13]
	;; [unrolled: 1-line block ×4, first 2 shown]
	s_or_b64 s[0:1], vcc, s[0:1]
	v_add_co_u32_e32 v8, vcc, s6, v8
	v_addc_co_u32_e32 v9, vcc, 0, v9, vcc
	v_add_co_u32_e32 v10, vcc, s7, v10
	v_addc_co_u32_e32 v11, vcc, 0, v11, vcc
	;; [unrolled: 2-line block ×3, first 2 shown]
	v_add_co_u32_e32 v14, vcc, s12, v14
	v_add_u32_e32 v34, v34, v35
	v_addc_co_u32_e32 v15, vcc, 0, v15, vcc
	s_andn2_b64 exec, exec, s[0:1]
	s_cbranch_execnz .LBB46_92
; %bb.93:                               ;   in Loop: Header=BB46_34 Depth=1
	s_or_b64 exec, exec, s[0:1]
.LBB46_94:                              ;   in Loop: Header=BB46_34 Depth=1
	s_or_b64 exec, exec, s[2:3]
.LBB46_95:                              ;   in Loop: Header=BB46_34 Depth=1
	s_lshl_b32 s2, s74, 6
	s_and_saveexec_b64 s[0:1], s[4:5]
	s_cbranch_execz .LBB46_97
; %bb.96:                               ;   in Loop: Header=BB46_34 Depth=1
	v_or_b32_e32 v2, s2, v43
	v_lshlrev_b32_e32 v2, 3, v2
	ds_write_b128 v2, v[8:11] offset:3072
	ds_write_b128 v2, v[12:15] offset:3088
.LBB46_97:                              ;   in Loop: Header=BB46_34 Depth=1
	s_or_b64 exec, exec, s[0:1]
	s_waitcnt lgkmcnt(0)
	s_barrier
	s_and_saveexec_b64 s[0:1], s[48:49]
	s_cbranch_execz .LBB46_109
; %bb.98:                               ;   in Loop: Header=BB46_34 Depth=1
	v_readlane_b32 s6, v66, 46
	v_readlane_b32 s7, v66, 47
	s_andn2_b64 vcc, exec, s[6:7]
	s_waitcnt vmcnt(0)
	v_pk_mov_b32 v[4:5], 0, 0
	s_cbranch_vccnz .LBB46_108
; %bb.99:                               ;   in Loop: Header=BB46_34 Depth=1
	v_readlane_b32 s6, v66, 50
	v_readlane_b32 s7, v66, 51
	s_andn2_b64 vcc, exec, s[6:7]
	s_cbranch_vccnz .LBB46_104
; %bb.100:                              ;   in Loop: Header=BB46_34 Depth=1
	v_lshl_add_u32 v2, s74, 9, v48
	s_mov_b32 s3, 0
	v_pk_mov_b32 v[4:5], 0, 0
.LBB46_101:                             ;   Parent Loop BB46_34 Depth=1
                                        ; =>  This Inner Loop Header: Depth=2
	ds_read2_b64 v[8:11], v2 offset1:4
	ds_read2_b64 v[12:15], v2 offset0:8 offset1:12
	ds_read2_b64 v[34:37], v2 offset0:16 offset1:20
	;; [unrolled: 1-line block ×3, first 2 shown]
	s_add_i32 s3, s3, 8
	s_waitcnt lgkmcnt(3)
	v_add_co_u32_e32 v4, vcc, v8, v4
	v_addc_co_u32_e32 v5, vcc, v9, v5, vcc
	v_add_co_u32_e32 v4, vcc, v10, v4
	v_addc_co_u32_e32 v5, vcc, v11, v5, vcc
	s_waitcnt lgkmcnt(2)
	v_add_co_u32_e32 v4, vcc, v12, v4
	v_addc_co_u32_e32 v5, vcc, v13, v5, vcc
	v_add_co_u32_e32 v4, vcc, v14, v4
	v_addc_co_u32_e32 v5, vcc, v15, v5, vcc
	;; [unrolled: 5-line block ×3, first 2 shown]
	s_waitcnt lgkmcnt(0)
	v_add_co_u32_e32 v4, vcc, v50, v4
	v_addc_co_u32_e32 v5, vcc, v51, v5, vcc
	v_add_co_u32_e32 v4, vcc, v52, v4
	v_add_u32_e32 v2, 0x100, v2
	s_cmp_eq_u32 s91, s3
	v_addc_co_u32_e32 v5, vcc, v53, v5, vcc
	s_cbranch_scc0 .LBB46_101
; %bb.102:                              ;   in Loop: Header=BB46_34 Depth=1
	s_mov_b32 s3, s91
	s_branch .LBB46_105
.LBB46_103:                             ;   in Loop: Header=BB46_34 Depth=1
                                        ; implicit-def: $vgpr4_vgpr5
	s_branch .LBB46_71
.LBB46_104:                             ;   in Loop: Header=BB46_34 Depth=1
	s_mov_b32 s3, 0
	v_pk_mov_b32 v[4:5], 0, 0
.LBB46_105:                             ;   in Loop: Header=BB46_34 Depth=1
	v_readlane_b32 s6, v66, 53
	v_readlane_b32 s7, v66, 54
	s_andn2_b64 vcc, exec, s[6:7]
	s_cbranch_vccnz .LBB46_108
; %bb.106:                              ;   in Loop: Header=BB46_34 Depth=1
	s_lshl_b32 s6, s74, 9
	s_lshl_b32 s3, s3, 5
	s_add_i32 s6, s6, s3
	v_add_u32_e32 v2, s6, v48
	v_readlane_b32 s3, v66, 52
.LBB46_107:                             ;   Parent Loop BB46_34 Depth=1
                                        ; =>  This Inner Loop Header: Depth=2
	ds_read_b64 v[8:9], v2
	s_add_i32 s3, s3, -1
	v_add_u32_e32 v2, 32, v2
	s_cmp_lg_u32 s3, 0
	s_waitcnt lgkmcnt(0)
	v_add_co_u32_e32 v4, vcc, v8, v4
	v_addc_co_u32_e32 v5, vcc, v9, v5, vcc
	s_cbranch_scc1 .LBB46_107
.LBB46_108:                             ;   in Loop: Header=BB46_34 Depth=1
	v_add_lshl_u32 v2, s2, v40, 3
	ds_write_b64 v2, v[4:5] offset:3072
.LBB46_109:                             ;   in Loop: Header=BB46_34 Depth=1
	s_or_b64 exec, exec, s[0:1]
	s_lshl_b32 s0, s2, 3
	v_mov_b32_e32 v2, s0
	s_waitcnt lgkmcnt(0)
	s_barrier
	ds_read_b128 v[8:11], v2 offset:3072
	ds_read_b128 v[12:15], v2 offset:3088
	s_and_b32 s28, s87, 0xfe
	s_lshl_b64 s[14:15], 3, s28
	s_not_b64 s[22:23], s[14:15]
	s_waitcnt lgkmcnt(1)
	v_readfirstlane_b32 s1, v9
	v_readfirstlane_b32 s0, v8
	s_cmp_eq_u64 s[0:1], 1
	s_cselect_b64 s[2:3], -1, 0
	s_cmp_eq_u64 s[58:59], 1
	s_cselect_b64 s[6:7], -1, 0
	s_and_b64 s[24:25], s[2:3], s[6:7]
	v_readfirstlane_b32 s36, v10
	v_readfirstlane_b32 s37, v11
	s_waitcnt lgkmcnt(0)
	v_readfirstlane_b32 s20, v12
	v_readfirstlane_b32 s21, v13
	;; [unrolled: 1-line block ×4, first 2 shown]
	s_mov_b64 s[18:19], -1
	s_and_b64 vcc, exec, s[24:25]
	s_cbranch_vccz .LBB46_124
; %bb.110:                              ;   in Loop: Header=BB46_34 Depth=1
	s_waitcnt vmcnt(0)
	ds_read_b64 v[4:5], v19 offset:5120
	s_waitcnt lgkmcnt(0)
	s_barrier
	v_readfirstlane_b32 s16, v4
	v_readfirstlane_b32 s17, v5
	s_mov_b64 s[2:3], exec
	v_readlane_b32 s6, v66, 36
	v_readlane_b32 s7, v66, 37
	s_and_b64 s[6:7], s[2:3], s[6:7]
	s_mov_b64 exec, s[6:7]
	s_cbranch_execz .LBB46_112
; %bb.111:                              ;   in Loop: Header=BB46_34 Depth=1
	v_mov_b32_e32 v18, v19
	ds_write_b64 v42, v[18:19]
.LBB46_112:                             ;   in Loop: Header=BB46_34 Depth=1
	s_or_b64 exec, exec, s[2:3]
	v_cmp_lt_i64_e64 s[2:3], s[16:17], 1
	s_and_b64 s[54:55], s[54:55], s[22:23]
	s_or_b64 s[78:79], s[78:79], s[14:15]
	s_and_b64 vcc, exec, s[2:3]
	s_waitcnt lgkmcnt(0)
	s_barrier
	s_cbranch_vccz .LBB46_125
; %bb.113:                              ;   in Loop: Header=BB46_34 Depth=1
	s_mov_b32 s72, s95
	s_cmp_lg_u64 s[72:73], 0
	s_cbranch_scc0 .LBB46_170
; %bb.114:                              ;   in Loop: Header=BB46_34 Depth=1
	v_cvt_f32_u32_e32 v2, s33
	s_sub_u32 s2, 0, s33
	s_subb_u32 s3, 0, 0
	v_mac_f32_e32 v2, 0x4f800000, v49
	v_rcp_f32_e32 v2, v2
	v_mul_f32_e32 v2, 0x5f7ffffc, v2
	v_mul_f32_e32 v4, 0x2f800000, v2
	v_trunc_f32_e32 v4, v4
	v_mac_f32_e32 v2, 0xcf800000, v4
	v_cvt_u32_f32_e32 v4, v4
	v_cvt_u32_f32_e32 v2, v2
	v_readfirstlane_b32 s6, v4
	v_readfirstlane_b32 s7, v2
	s_mul_i32 s8, s2, s6
	s_mul_hi_u32 s26, s2, s7
	s_mul_i32 s9, s3, s7
	s_add_i32 s8, s26, s8
	s_mul_i32 s27, s2, s7
	s_add_i32 s8, s8, s9
	s_mul_hi_u32 s26, s7, s27
	s_mul_hi_u32 s9, s7, s8
	s_mul_i32 s7, s7, s8
	s_add_u32 s7, s26, s7
	s_addc_u32 s9, 0, s9
	s_mul_hi_u32 s29, s6, s27
	s_mul_i32 s27, s6, s27
	s_add_u32 s7, s7, s27
	s_mul_hi_u32 s26, s6, s8
	s_addc_u32 s7, s9, s29
	s_addc_u32 s9, s26, 0
	s_mul_i32 s8, s6, s8
	s_add_u32 s7, s7, s8
	s_addc_u32 s8, 0, s9
	v_add_co_u32_e32 v2, vcc, s7, v2
	s_cmp_lg_u64 vcc, 0
	s_addc_u32 s6, s6, s8
	v_readfirstlane_b32 s8, v2
	s_mul_i32 s7, s2, s6
	s_mul_hi_u32 s9, s2, s8
	s_add_i32 s7, s9, s7
	s_mul_i32 s3, s3, s8
	s_add_i32 s7, s7, s3
	s_mul_i32 s2, s2, s8
	s_mul_hi_u32 s9, s6, s2
	s_mul_i32 s26, s6, s2
	s_mul_i32 s29, s8, s7
	s_mul_hi_u32 s2, s8, s2
	s_mul_hi_u32 s27, s8, s7
	s_add_u32 s2, s2, s29
	s_addc_u32 s8, 0, s27
	s_add_u32 s2, s2, s26
	s_mul_hi_u32 s3, s6, s7
	s_addc_u32 s2, s8, s9
	s_addc_u32 s3, s3, 0
	s_mul_i32 s7, s6, s7
	s_add_u32 s2, s2, s7
	s_addc_u32 s3, 0, s3
	v_add_co_u32_e32 v2, vcc, s2, v2
	s_cmp_lg_u64 vcc, 0
	s_addc_u32 s8, s6, s3
	s_ashr_i32 s2, s73, 31
	s_add_u32 s6, s75, s2
	s_mov_b32 s3, s2
	s_addc_u32 s7, s73, s2
	s_xor_b64 s[6:7], s[6:7], s[2:3]
	v_readfirstlane_b32 s26, v2
	s_mul_i32 s9, s6, s8
	s_mul_hi_u32 s27, s6, s26
	s_mul_hi_u32 s3, s6, s8
	s_add_u32 s9, s27, s9
	s_addc_u32 s3, 0, s3
	s_mul_hi_u32 s29, s7, s26
	s_mul_i32 s26, s7, s26
	s_add_u32 s9, s9, s26
	s_mul_hi_u32 s27, s7, s8
	s_addc_u32 s3, s3, s29
	s_addc_u32 s9, s27, 0
	s_mul_i32 s8, s7, s8
	s_add_u32 s3, s3, s8
	s_addc_u32 s8, 0, s9
	s_mul_hi_u32 s9, s33, s3
	s_mul_i32 s3, s33, s3
	s_mul_i32 s8, s33, s8
	v_mov_b32_e32 v2, s3
	s_add_i32 s9, s9, s8
	v_sub_co_u32_e32 v2, vcc, s6, v2
	s_cmp_lg_u64 vcc, 0
	s_subb_u32 s3, s7, s9
	v_subrev_co_u32_e32 v4, vcc, s33, v2
	s_cmp_lg_u64 vcc, 0
	s_subb_u32 s6, s3, 0
	v_subrev_co_u32_e32 v5, vcc, s33, v4
	s_cmp_lg_u64 vcc, 0
	s_subb_u32 s7, s6, 0
	v_cmp_le_u32_e32 vcc, s33, v4
	s_cmp_eq_u32 s6, 0
	v_cndmask_b32_e64 v6, 0, -1, vcc
	s_cselect_b64 vcc, -1, 0
	v_cndmask_b32_e32 v6, -1, v6, vcc
	v_mov_b32_e32 v7, s6
	v_mov_b32_e32 v8, s7
	v_cmp_ne_u32_e32 vcc, 0, v6
	v_cndmask_b32_e32 v6, v7, v8, vcc
	v_cndmask_b32_e32 v4, v4, v5, vcc
	v_cmp_le_u32_e32 vcc, s33, v2
	s_cmp_eq_u32 s3, 0
	v_cndmask_b32_e64 v5, 0, -1, vcc
	s_cselect_b64 vcc, -1, 0
	v_cndmask_b32_e32 v5, -1, v5, vcc
	v_cmp_ne_u32_e32 vcc, 0, v5
	v_mov_b32_e32 v7, s3
	v_cndmask_b32_e32 v2, v2, v4, vcc
	v_cndmask_b32_e32 v5, v7, v6, vcc
	v_xor_b32_e32 v2, s2, v2
	v_xor_b32_e32 v5, s2, v5
	v_mov_b32_e32 v6, s2
	v_subrev_co_u32_e32 v4, vcc, s2, v2
	v_subb_co_u32_e32 v5, vcc, v5, v6, vcc
	s_cbranch_execnz .LBB46_116
.LBB46_115:                             ;   in Loop: Header=BB46_34 Depth=1
	v_cvt_f32_u32_e32 v2, s33
	s_sub_i32 s2, 0, s33
	v_rcp_iflag_f32_e32 v2, v2
	v_mul_f32_e32 v2, 0x4f7ffffe, v2
	v_cvt_u32_f32_e32 v2, v2
	v_mul_lo_u32 v4, s2, v2
	v_mul_hi_u32 v4, v2, v4
	v_add_u32_e32 v2, v2, v4
	s_mov_b32 s2, s75
	v_mul_hi_u32 v2, s2, v2
	v_mul_lo_u32 v2, v2, s33
	v_sub_u32_e32 v2, s2, v2
	v_subrev_u32_e32 v4, s33, v2
	v_cmp_le_u32_e32 vcc, s33, v2
	v_cndmask_b32_e32 v2, v2, v4, vcc
	v_subrev_u32_e32 v4, s33, v2
	v_cmp_le_u32_e32 vcc, s33, v2
	v_cndmask_b32_e32 v18, v2, v4, vcc
	v_pk_mov_b32 v[4:5], v[18:19], v[18:19] op_sel:[0,1]
.LBB46_116:                             ;   in Loop: Header=BB46_34 Depth=1
	v_mov_b32_e32 v2, s73
	v_sub_co_u32_e32 v8, vcc, s75, v4
	v_subb_co_u32_e32 v9, vcc, v2, v5, vcc
	v_cmp_gt_i64_e32 vcc, v[8:9], v[0:1]
	s_mov_b64 s[2:3], 0
                                        ; implicit-def: $vgpr6_vgpr7
	s_and_saveexec_b64 s[8:9], vcc
	s_cbranch_execz .LBB46_127
; %bb.117:                              ;   in Loop: Header=BB46_34 Depth=1
	s_mov_b64 s[26:27], 0
	v_pk_mov_b32 v[10:11], v[16:17], v[16:17] op_sel:[0,1]
	v_pk_mov_b32 v[12:13], v[0:1], v[0:1] op_sel:[0,1]
                                        ; implicit-def: $sgpr2_sgpr3
	s_branch .LBB46_119
.LBB46_118:                             ;   in Loop: Header=BB46_119 Depth=2
	s_or_b64 exec, exec, s[6:7]
	s_waitcnt lgkmcnt(0)
	s_barrier
	s_waitcnt vmcnt(0)
	ds_read_b128 v[4:7], v19 offset:3072
	v_mov_b32_e32 v2, s90
	v_add_co_u32_e64 v12, s[6:7], s33, v12
	v_addc_co_u32_e64 v13, s[6:7], v13, v2, s[6:7]
	s_waitcnt lgkmcnt(0)
	v_cmp_neq_f64_e32 vcc, 0, v[4:5]
	v_cmp_ge_i64_e64 s[6:7], v[12:13], v[8:9]
	s_or_b64 s[30:31], vcc, s[6:7]
	v_mov_b32_e32 v2, s89
	v_add_co_u32_e64 v10, s[6:7], s88, v10
	v_addc_co_u32_e64 v11, s[6:7], v11, v2, s[6:7]
	s_and_b64 s[6:7], exec, s[30:31]
	s_or_b64 s[26:27], s[6:7], s[26:27]
	s_andn2_b64 s[2:3], s[2:3], exec
	s_and_b64 s[6:7], vcc, exec
	s_or_b64 s[2:3], s[2:3], s[6:7]
	s_barrier
	s_andn2_b64 exec, exec, s[26:27]
	s_cbranch_execz .LBB46_126
.LBB46_119:                             ;   Parent Loop BB46_34 Depth=1
                                        ; =>  This Inner Loop Header: Depth=2
	v_cmp_gt_i64_e32 vcc, s[56:57], v[12:13]
	v_pk_mov_b32 v[4:5], 0, 0
	s_and_saveexec_b64 s[6:7], vcc
	s_cbranch_execz .LBB46_121
; %bb.120:                              ;   in Loop: Header=BB46_119 Depth=2
	global_load_dwordx2 v[4:5], v[10:11], off
.LBB46_121:                             ;   in Loop: Header=BB46_119 Depth=2
	s_or_b64 exec, exec, s[6:7]
	s_and_saveexec_b64 s[6:7], vcc
	s_cbranch_execz .LBB46_118
; %bb.122:                              ;   in Loop: Header=BB46_119 Depth=2
	s_waitcnt vmcnt(0)
	v_ashrrev_i32_e32 v2, 31, v5
	v_or_b32_e32 v6, 0x80000000, v2
	v_xor_b32_e32 v6, v6, v5
	v_xor_b32_e32 v2, v2, v4
	v_cmp_o_f64_e32 vcc, v[4:5], v[4:5]
	v_cndmask_b32_e32 v6, -1, v6, vcc
	v_cndmask_b32_e32 v2, -1, v2, vcc
	v_and_b32_e32 v7, s79, v6
	v_and_b32_e32 v6, s78, v2
	v_cmp_eq_u64_e32 vcc, s[54:55], v[6:7]
	s_and_b64 exec, exec, vcc
	s_cbranch_execz .LBB46_118
; %bb.123:                              ;   in Loop: Header=BB46_119 Depth=2
	v_mov_b32_e32 v2, v19
	ds_write_b128 v19, v[2:5] offset:3072
	s_branch .LBB46_118
.LBB46_124:                             ;   in Loop: Header=BB46_34 Depth=1
	s_mov_b64 s[2:3], -1
                                        ; implicit-def: $sgpr6_sgpr7
                                        ; implicit-def: $sgpr26_sgpr27
                                        ; implicit-def: $sgpr8_sgpr9
	s_branch .LBB46_141
.LBB46_125:                             ;   in Loop: Header=BB46_34 Depth=1
	s_mov_b64 s[6:7], -1
	s_mov_b64 s[2:3], 0
                                        ; implicit-def: $sgpr8_sgpr9
                                        ; implicit-def: $vgpr6_vgpr7
	s_mov_b64 s[26:27], s[6:7]
	s_cbranch_execnz .LBB46_128
	s_branch .LBB46_141
.LBB46_126:                             ;   in Loop: Header=BB46_34 Depth=1
	s_or_b64 exec, exec, s[26:27]
	s_and_b64 s[2:3], s[2:3], exec
.LBB46_127:                             ;   in Loop: Header=BB46_34 Depth=1
	s_or_b64 exec, exec, s[8:9]
	s_mov_b64 s[8:9], -1
	s_mov_b64 s[6:7], 0
	s_mov_b64 s[26:27], s[6:7]
	s_branch .LBB46_141
.LBB46_128:                             ;   in Loop: Header=BB46_34 Depth=1
	v_readlane_b32 s2, v66, 48
	s_add_u32 s8, s2, s16
	v_readlane_b32 s2, v66, 49
	s_addc_u32 s3, s2, s17
	s_mov_b32 s2, s95
	s_cmp_lg_u64 s[2:3], 0
	s_cbranch_scc0 .LBB46_171
; %bb.129:                              ;   in Loop: Header=BB46_34 Depth=1
	v_cvt_f32_u32_e32 v2, s33
	s_sub_u32 s2, 0, s33
	s_subb_u32 s6, 0, 0
	v_mac_f32_e32 v2, 0x4f800000, v49
	v_rcp_f32_e32 v2, v2
	v_mul_f32_e32 v2, 0x5f7ffffc, v2
	v_mul_f32_e32 v4, 0x2f800000, v2
	v_trunc_f32_e32 v4, v4
	v_mac_f32_e32 v2, 0xcf800000, v4
	v_cvt_u32_f32_e32 v4, v4
	v_cvt_u32_f32_e32 v2, v2
	v_readfirstlane_b32 s7, v4
	v_readfirstlane_b32 s9, v2
	s_mul_i32 s26, s2, s7
	s_mul_hi_u32 s29, s2, s9
	s_mul_i32 s27, s6, s9
	s_add_i32 s26, s29, s26
	s_mul_i32 s30, s2, s9
	s_add_i32 s26, s26, s27
	s_mul_hi_u32 s29, s9, s30
	s_mul_hi_u32 s27, s9, s26
	s_mul_i32 s9, s9, s26
	s_add_u32 s9, s29, s9
	s_addc_u32 s27, 0, s27
	s_mul_hi_u32 s31, s7, s30
	s_mul_i32 s30, s7, s30
	s_add_u32 s9, s9, s30
	s_mul_hi_u32 s29, s7, s26
	s_addc_u32 s9, s27, s31
	s_addc_u32 s27, s29, 0
	s_mul_i32 s26, s7, s26
	s_add_u32 s9, s9, s26
	s_addc_u32 s26, 0, s27
	v_add_co_u32_e32 v2, vcc, s9, v2
	s_cmp_lg_u64 vcc, 0
	s_addc_u32 s7, s7, s26
	v_readfirstlane_b32 s26, v2
	s_mul_i32 s9, s2, s7
	s_mul_hi_u32 s27, s2, s26
	s_add_i32 s9, s27, s9
	s_mul_i32 s6, s6, s26
	s_add_i32 s9, s9, s6
	s_mul_i32 s2, s2, s26
	s_mul_hi_u32 s27, s7, s2
	s_mul_i32 s29, s7, s2
	s_mul_i32 s31, s26, s9
	s_mul_hi_u32 s2, s26, s2
	s_mul_hi_u32 s30, s26, s9
	s_add_u32 s2, s2, s31
	s_addc_u32 s26, 0, s30
	s_add_u32 s2, s2, s29
	s_mul_hi_u32 s6, s7, s9
	s_addc_u32 s2, s26, s27
	s_addc_u32 s6, s6, 0
	s_mul_i32 s9, s7, s9
	s_add_u32 s2, s2, s9
	s_addc_u32 s6, 0, s6
	v_add_co_u32_e32 v2, vcc, s2, v2
	s_cmp_lg_u64 vcc, 0
	s_addc_u32 s2, s7, s6
	s_ashr_i32 s6, s3, 31
	s_add_u32 s26, s8, s6
	s_mov_b32 s7, s6
	s_addc_u32 s27, s3, s6
	s_xor_b64 s[26:27], s[26:27], s[6:7]
	v_readfirstlane_b32 s29, v2
	s_mul_i32 s9, s26, s2
	s_mul_hi_u32 s30, s26, s29
	s_mul_hi_u32 s7, s26, s2
	s_add_u32 s9, s30, s9
	s_addc_u32 s7, 0, s7
	s_mul_hi_u32 s31, s27, s29
	s_mul_i32 s29, s27, s29
	s_add_u32 s9, s9, s29
	s_mul_hi_u32 s30, s27, s2
	s_addc_u32 s7, s7, s31
	s_addc_u32 s9, s30, 0
	s_mul_i32 s2, s27, s2
	s_add_u32 s2, s7, s2
	s_addc_u32 s7, 0, s9
	s_mul_hi_u32 s9, s33, s2
	s_mul_i32 s2, s33, s2
	s_mul_i32 s7, s33, s7
	v_mov_b32_e32 v2, s2
	s_add_i32 s9, s9, s7
	v_sub_co_u32_e32 v2, vcc, s26, v2
	s_cmp_lg_u64 vcc, 0
	s_subb_u32 s2, s27, s9
	v_subrev_co_u32_e32 v4, vcc, s33, v2
	s_cmp_lg_u64 vcc, 0
	s_subb_u32 s7, s2, 0
	v_subrev_co_u32_e32 v5, vcc, s33, v4
	s_cmp_lg_u64 vcc, 0
	s_subb_u32 s9, s7, 0
	v_cmp_le_u32_e32 vcc, s33, v4
	s_cmp_eq_u32 s7, 0
	v_cndmask_b32_e64 v6, 0, -1, vcc
	s_cselect_b64 vcc, -1, 0
	v_cndmask_b32_e32 v6, -1, v6, vcc
	v_mov_b32_e32 v7, s7
	v_mov_b32_e32 v8, s9
	v_cmp_ne_u32_e32 vcc, 0, v6
	v_cndmask_b32_e32 v6, v7, v8, vcc
	v_cndmask_b32_e32 v4, v4, v5, vcc
	v_cmp_le_u32_e32 vcc, s33, v2
	s_cmp_eq_u32 s2, 0
	v_cndmask_b32_e64 v5, 0, -1, vcc
	s_cselect_b64 vcc, -1, 0
	v_cndmask_b32_e32 v5, -1, v5, vcc
	v_cmp_ne_u32_e32 vcc, 0, v5
	v_mov_b32_e32 v7, s2
	v_cndmask_b32_e32 v2, v2, v4, vcc
	v_cndmask_b32_e32 v5, v7, v6, vcc
	v_xor_b32_e32 v2, s6, v2
	v_xor_b32_e32 v5, s6, v5
	v_mov_b32_e32 v6, s6
	v_subrev_co_u32_e32 v4, vcc, s6, v2
	v_subb_co_u32_e32 v5, vcc, v5, v6, vcc
	s_cbranch_execnz .LBB46_131
.LBB46_130:                             ;   in Loop: Header=BB46_34 Depth=1
	v_cvt_f32_u32_e32 v2, s33
	s_sub_i32 s2, 0, s33
	v_rcp_iflag_f32_e32 v2, v2
	v_mul_f32_e32 v2, 0x4f7ffffe, v2
	v_cvt_u32_f32_e32 v2, v2
	v_mul_lo_u32 v4, s2, v2
	v_mul_hi_u32 v4, v2, v4
	v_add_u32_e32 v2, v2, v4
	v_mul_hi_u32 v2, s8, v2
	v_mul_lo_u32 v2, v2, s33
	v_sub_u32_e32 v2, s8, v2
	v_subrev_u32_e32 v4, s33, v2
	v_cmp_le_u32_e32 vcc, s33, v2
	v_cndmask_b32_e32 v2, v2, v4, vcc
	v_subrev_u32_e32 v4, s33, v2
	v_cmp_le_u32_e32 vcc, s33, v2
	v_cndmask_b32_e32 v18, v2, v4, vcc
	v_pk_mov_b32 v[4:5], v[18:19], v[18:19] op_sel:[0,1]
.LBB46_131:                             ;   in Loop: Header=BB46_34 Depth=1
	v_mov_b32_e32 v2, s3
	v_sub_co_u32_e32 v8, vcc, s8, v4
	v_subb_co_u32_e32 v9, vcc, v2, v5, vcc
	v_cmp_gt_i64_e32 vcc, v[8:9], v[0:1]
	s_mov_b64 s[2:3], 0
                                        ; implicit-def: $vgpr6_vgpr7
	s_and_saveexec_b64 s[8:9], vcc
	s_cbranch_execz .LBB46_140
; %bb.132:                              ;   in Loop: Header=BB46_34 Depth=1
	s_mov_b64 s[26:27], 0
	v_mov_b32_e32 v12, v41
	v_pk_mov_b32 v[10:11], v[0:1], v[0:1] op_sel:[0,1]
                                        ; implicit-def: $sgpr2_sgpr3
	s_branch .LBB46_134
.LBB46_133:                             ;   in Loop: Header=BB46_134 Depth=2
	s_or_b64 exec, exec, s[6:7]
	s_waitcnt lgkmcnt(0)
	s_barrier
	ds_read_b128 v[4:7], v19 offset:3072
	v_mov_b32_e32 v2, s90
	v_add_co_u32_e64 v10, s[6:7], s33, v10
	v_addc_co_u32_e64 v11, s[6:7], v11, v2, s[6:7]
	s_waitcnt lgkmcnt(0)
	v_cmp_neq_f64_e32 vcc, 0, v[4:5]
	v_cmp_ge_i64_e64 s[6:7], v[10:11], v[8:9]
	s_or_b64 s[6:7], vcc, s[6:7]
	s_and_b64 s[6:7], exec, s[6:7]
	s_or_b64 s[26:27], s[6:7], s[26:27]
	s_andn2_b64 s[2:3], s[2:3], exec
	s_and_b64 s[6:7], vcc, exec
	v_add_u32_e32 v12, s86, v12
	s_or_b64 s[2:3], s[2:3], s[6:7]
	s_barrier
	s_andn2_b64 exec, exec, s[26:27]
	s_cbranch_execz .LBB46_139
.LBB46_134:                             ;   Parent Loop BB46_34 Depth=1
                                        ; =>  This Inner Loop Header: Depth=2
	v_cmp_gt_i64_e32 vcc, s[16:17], v[10:11]
	v_pk_mov_b32 v[4:5], 0, 0
	s_and_saveexec_b64 s[6:7], vcc
	s_cbranch_execz .LBB46_136
; %bb.135:                              ;   in Loop: Header=BB46_134 Depth=2
	ds_read_b64 v[4:5], v12
.LBB46_136:                             ;   in Loop: Header=BB46_134 Depth=2
	s_or_b64 exec, exec, s[6:7]
	s_and_saveexec_b64 s[6:7], vcc
	s_cbranch_execz .LBB46_133
; %bb.137:                              ;   in Loop: Header=BB46_134 Depth=2
	s_waitcnt lgkmcnt(0)
	v_ashrrev_i32_e32 v2, 31, v5
	v_or_b32_e32 v6, 0x80000000, v2
	v_xor_b32_e32 v6, v6, v5
	v_xor_b32_e32 v2, v2, v4
	v_cmp_o_f64_e32 vcc, v[4:5], v[4:5]
	v_cndmask_b32_e32 v6, -1, v6, vcc
	v_cndmask_b32_e32 v2, -1, v2, vcc
	v_and_b32_e32 v7, s79, v6
	v_and_b32_e32 v6, s78, v2
	v_cmp_eq_u64_e32 vcc, s[54:55], v[6:7]
	s_and_b64 exec, exec, vcc
	s_cbranch_execz .LBB46_133
; %bb.138:                              ;   in Loop: Header=BB46_134 Depth=2
	v_mov_b32_e32 v2, v19
	ds_write_b128 v19, v[2:5] offset:3072
	s_branch .LBB46_133
.LBB46_139:                             ;   in Loop: Header=BB46_34 Depth=1
	s_or_b64 exec, exec, s[26:27]
	s_and_b64 s[2:3], s[2:3], exec
.LBB46_140:                             ;   in Loop: Header=BB46_34 Depth=1
	s_or_b64 exec, exec, s[8:9]
	s_mov_b64 s[26:27], -1
	s_mov_b64 s[6:7], 0
	s_mov_b64 s[8:9], 0
.LBB46_141:                             ;   in Loop: Header=BB46_34 Depth=1
	s_andn2_b64 s[16:17], s[76:77], exec
	s_and_b64 s[6:7], s[6:7], exec
	s_or_b64 s[76:77], s[16:17], s[6:7]
	s_andn2_b64 s[6:7], s[10:11], exec
	s_and_b64 s[10:11], s[26:27], exec
	s_or_b64 s[10:11], s[6:7], s[10:11]
	;; [unrolled: 3-line block ×3, first 2 shown]
	s_and_saveexec_b64 s[16:17], s[2:3]
	s_cbranch_execz .LBB46_33
; %bb.142:                              ;   in Loop: Header=BB46_34 Depth=1
	s_xor_b64 s[2:3], s[24:25], -1
	s_andn2_b64 vcc, exec, s[2:3]
	s_mov_b32 s46, 1
	s_cbranch_vccnz .LBB46_153
; %bb.143:                              ;   in Loop: Header=BB46_34 Depth=1
	s_waitcnt vmcnt(0)
	v_pk_mov_b32 v[4:5], s[0:1], s[0:1] op_sel:[0,1]
	v_cmp_gt_i64_e32 vcc, s[58:59], v[4:5]
	s_mov_b64 s[2:3], -1
                                        ; implicit-def: $sgpr46
                                        ; implicit-def: $sgpr6_sgpr7
                                        ; implicit-def: $sgpr8_sgpr9
	s_cbranch_vccnz .LBB46_149
; %bb.144:                              ;   in Loop: Header=BB46_34 Depth=1
	ds_read_b64 v[4:5], v19 offset:5120
	s_waitcnt lgkmcnt(0)
	v_cmp_ne_u64_e32 vcc, 0, v[4:5]
	s_cbranch_vccnz .LBB46_148
; %bb.145:                              ;   in Loop: Header=BB46_34 Depth=1
	s_mov_b64 s[2:3], exec
	v_readlane_b32 s6, v66, 32
	v_readlane_b32 s7, v66, 33
	s_and_b64 s[6:7], s[2:3], s[6:7]
	s_mov_b64 exec, s[6:7]
	s_cbranch_execz .LBB46_147
; %bb.146:                              ;   in Loop: Header=BB46_34 Depth=1
	v_pk_mov_b32 v[4:5], s[0:1], s[0:1] op_sel:[0,1]
	ds_write_b64 v19, v[4:5] offset:5128
.LBB46_147:                             ;   in Loop: Header=BB46_34 Depth=1
	s_or_b64 exec, exec, s[2:3]
	s_waitcnt lgkmcnt(0)
	s_barrier
.LBB46_148:                             ;   in Loop: Header=BB46_34 Depth=1
	s_and_b64 s[6:7], s[54:55], s[22:23]
	s_or_b64 s[8:9], s[78:79], s[14:15]
	s_mov_b64 s[2:3], 0
	s_mov_b32 s46, 8
.LBB46_149:                             ;   in Loop: Header=BB46_34 Depth=1
	s_andn2_b64 vcc, exec, s[2:3]
	s_cbranch_vccnz .LBB46_151
; %bb.150:                              ;   in Loop: Header=BB46_34 Depth=1
	s_sub_u32 s58, s58, s0
	s_subb_u32 s59, s59, s1
	s_mov_b64 s[2:3], -1
	s_mov_b32 s46, 0
	s_mov_b64 s[6:7], s[54:55]
	s_mov_b64 s[8:9], s[78:79]
.LBB46_151:                             ;   in Loop: Header=BB46_34 Depth=1
	s_mov_b64 s[78:79], s[8:9]
	s_mov_b64 s[54:55], s[6:7]
	s_mov_b64 s[18:19], -1
	s_and_b64 vcc, exec, s[2:3]
	s_cbranch_vccnz .LBB46_154
.LBB46_152:                             ;   in Loop: Header=BB46_34 Depth=1
	s_mov_b64 s[6:7], -1
                                        ; implicit-def: $sgpr24_sgpr25
                                        ; implicit-def: $sgpr30_sgpr31
                                        ; implicit-def: $sgpr26_sgpr27
	s_and_saveexec_b64 s[0:1], s[6:7]
	s_xor_b64 s[0:1], exec, s[0:1]
	s_cbranch_execz .LBB46_32
	s_branch .LBB46_300
.LBB46_153:                             ;   in Loop: Header=BB46_34 Depth=1
	s_mov_b64 s[58:59], 1
	s_mov_b64 s[18:19], -1
	s_branch .LBB46_152
.LBB46_154:                             ;   in Loop: Header=BB46_34 Depth=1
	s_cmp_eq_u64 s[36:37], 1
	s_cselect_b64 s[0:1], -1, 0
	s_cmp_eq_u64 s[58:59], 1
	s_cselect_b64 s[2:3], -1, 0
	s_and_b64 s[0:1], s[0:1], s[2:3]
	s_mov_b64 s[2:3], -1
	s_and_b64 vcc, exec, s[0:1]
	s_cbranch_vccz .LBB46_169
; %bb.155:                              ;   in Loop: Header=BB46_34 Depth=1
	s_waitcnt vmcnt(0)
	ds_read_b64 v[4:5], v19 offset:5120
	s_waitcnt lgkmcnt(0)
	s_barrier
	v_readfirstlane_b32 s34, v4
	v_readfirstlane_b32 s35, v5
	s_mov_b64 s[2:3], exec
	v_readlane_b32 s6, v66, 36
	v_readlane_b32 s7, v66, 37
	s_and_b64 s[6:7], s[2:3], s[6:7]
	s_mov_b64 exec, s[6:7]
	s_cbranch_execz .LBB46_157
; %bb.156:                              ;   in Loop: Header=BB46_34 Depth=1
	v_mov_b32_e32 v18, v19
	ds_write_b64 v42, v[18:19]
.LBB46_157:                             ;   in Loop: Header=BB46_34 Depth=1
	s_or_b64 exec, exec, s[2:3]
	s_lshl_b64 s[2:3], 1, s28
	s_and_b64 s[6:7], s[54:55], s[22:23]
	s_or_b64 s[54:55], s[6:7], s[2:3]
	v_cmp_gt_i64_e64 s[2:3], s[34:35], 0
	s_or_b64 s[78:79], s[78:79], s[14:15]
	s_and_b64 vcc, exec, s[2:3]
	s_waitcnt lgkmcnt(0)
	s_barrier
	s_cbranch_vccnz .LBB46_172
; %bb.158:                              ;   in Loop: Header=BB46_34 Depth=1
	s_mov_b32 s72, s95
	s_cmp_lg_u64 s[72:73], 0
	s_cbranch_scc0 .LBB46_217
; %bb.159:                              ;   in Loop: Header=BB46_34 Depth=1
	v_cvt_f32_u32_e32 v2, s33
	s_sub_u32 s2, 0, s33
	s_subb_u32 s3, 0, 0
	v_mac_f32_e32 v2, 0x4f800000, v49
	v_rcp_f32_e32 v2, v2
	v_mul_f32_e32 v2, 0x5f7ffffc, v2
	v_mul_f32_e32 v4, 0x2f800000, v2
	v_trunc_f32_e32 v4, v4
	v_mac_f32_e32 v2, 0xcf800000, v4
	v_cvt_u32_f32_e32 v4, v4
	v_cvt_u32_f32_e32 v2, v2
	v_readfirstlane_b32 s6, v4
	v_readfirstlane_b32 s7, v2
	s_mul_i32 s8, s2, s6
	s_mul_hi_u32 s24, s2, s7
	s_mul_i32 s9, s3, s7
	s_add_i32 s8, s24, s8
	s_mul_i32 s25, s2, s7
	s_add_i32 s8, s8, s9
	s_mul_hi_u32 s24, s7, s25
	s_mul_hi_u32 s9, s7, s8
	s_mul_i32 s7, s7, s8
	s_add_u32 s7, s24, s7
	s_addc_u32 s9, 0, s9
	s_mul_hi_u32 s26, s6, s25
	s_mul_i32 s25, s6, s25
	s_add_u32 s7, s7, s25
	s_mul_hi_u32 s24, s6, s8
	s_addc_u32 s7, s9, s26
	s_addc_u32 s9, s24, 0
	s_mul_i32 s8, s6, s8
	s_add_u32 s7, s7, s8
	s_addc_u32 s8, 0, s9
	v_add_co_u32_e32 v2, vcc, s7, v2
	s_cmp_lg_u64 vcc, 0
	s_addc_u32 s6, s6, s8
	v_readfirstlane_b32 s8, v2
	s_mul_i32 s7, s2, s6
	s_mul_hi_u32 s9, s2, s8
	s_add_i32 s7, s9, s7
	s_mul_i32 s3, s3, s8
	s_add_i32 s7, s7, s3
	s_mul_i32 s2, s2, s8
	s_mul_hi_u32 s9, s6, s2
	s_mul_i32 s24, s6, s2
	s_mul_i32 s26, s8, s7
	s_mul_hi_u32 s2, s8, s2
	s_mul_hi_u32 s25, s8, s7
	s_add_u32 s2, s2, s26
	s_addc_u32 s8, 0, s25
	s_add_u32 s2, s2, s24
	s_mul_hi_u32 s3, s6, s7
	s_addc_u32 s2, s8, s9
	s_addc_u32 s3, s3, 0
	s_mul_i32 s7, s6, s7
	s_add_u32 s2, s2, s7
	s_addc_u32 s3, 0, s3
	v_add_co_u32_e32 v2, vcc, s2, v2
	s_cmp_lg_u64 vcc, 0
	s_addc_u32 s8, s6, s3
	s_ashr_i32 s2, s73, 31
	s_add_u32 s6, s75, s2
	s_mov_b32 s3, s2
	s_addc_u32 s7, s73, s2
	s_xor_b64 s[6:7], s[6:7], s[2:3]
	v_readfirstlane_b32 s24, v2
	s_mul_i32 s9, s6, s8
	s_mul_hi_u32 s25, s6, s24
	s_mul_hi_u32 s3, s6, s8
	s_add_u32 s9, s25, s9
	s_addc_u32 s3, 0, s3
	s_mul_hi_u32 s26, s7, s24
	s_mul_i32 s24, s7, s24
	s_add_u32 s9, s9, s24
	s_mul_hi_u32 s25, s7, s8
	s_addc_u32 s3, s3, s26
	s_addc_u32 s9, s25, 0
	s_mul_i32 s8, s7, s8
	s_add_u32 s3, s3, s8
	s_addc_u32 s8, 0, s9
	s_mul_hi_u32 s9, s33, s3
	s_mul_i32 s3, s33, s3
	s_mul_i32 s8, s33, s8
	v_mov_b32_e32 v2, s3
	s_add_i32 s9, s9, s8
	v_sub_co_u32_e32 v2, vcc, s6, v2
	s_cmp_lg_u64 vcc, 0
	s_subb_u32 s3, s7, s9
	v_subrev_co_u32_e32 v4, vcc, s33, v2
	s_cmp_lg_u64 vcc, 0
	s_subb_u32 s6, s3, 0
	v_subrev_co_u32_e32 v5, vcc, s33, v4
	s_cmp_lg_u64 vcc, 0
	s_subb_u32 s7, s6, 0
	v_cmp_le_u32_e32 vcc, s33, v4
	s_cmp_eq_u32 s6, 0
	v_cndmask_b32_e64 v6, 0, -1, vcc
	s_cselect_b64 vcc, -1, 0
	v_cndmask_b32_e32 v6, -1, v6, vcc
	v_mov_b32_e32 v7, s6
	v_mov_b32_e32 v8, s7
	v_cmp_ne_u32_e32 vcc, 0, v6
	v_cndmask_b32_e32 v6, v7, v8, vcc
	v_cndmask_b32_e32 v4, v4, v5, vcc
	v_cmp_le_u32_e32 vcc, s33, v2
	s_cmp_eq_u32 s3, 0
	v_cndmask_b32_e64 v5, 0, -1, vcc
	s_cselect_b64 vcc, -1, 0
	v_cndmask_b32_e32 v5, -1, v5, vcc
	v_cmp_ne_u32_e32 vcc, 0, v5
	v_mov_b32_e32 v7, s3
	v_cndmask_b32_e32 v2, v2, v4, vcc
	v_cndmask_b32_e32 v5, v7, v6, vcc
	v_xor_b32_e32 v2, s2, v2
	v_xor_b32_e32 v5, s2, v5
	v_mov_b32_e32 v6, s2
	v_subrev_co_u32_e32 v4, vcc, s2, v2
	v_subb_co_u32_e32 v5, vcc, v5, v6, vcc
	s_cbranch_execnz .LBB46_161
.LBB46_160:                             ;   in Loop: Header=BB46_34 Depth=1
	v_cvt_f32_u32_e32 v2, s33
	s_sub_i32 s2, 0, s33
	v_rcp_iflag_f32_e32 v2, v2
	v_mul_f32_e32 v2, 0x4f7ffffe, v2
	v_cvt_u32_f32_e32 v2, v2
	v_mul_lo_u32 v4, s2, v2
	v_mul_hi_u32 v4, v2, v4
	v_add_u32_e32 v2, v2, v4
	s_mov_b32 s2, s75
	v_mul_hi_u32 v2, s2, v2
	v_mul_lo_u32 v2, v2, s33
	v_sub_u32_e32 v2, s2, v2
	v_subrev_u32_e32 v4, s33, v2
	v_cmp_le_u32_e32 vcc, s33, v2
	v_cndmask_b32_e32 v2, v2, v4, vcc
	v_subrev_u32_e32 v4, s33, v2
	v_cmp_le_u32_e32 vcc, s33, v2
	v_cndmask_b32_e32 v18, v2, v4, vcc
	v_pk_mov_b32 v[4:5], v[18:19], v[18:19] op_sel:[0,1]
.LBB46_161:                             ;   in Loop: Header=BB46_34 Depth=1
	v_mov_b32_e32 v2, s73
	v_sub_co_u32_e32 v8, vcc, s75, v4
	v_subb_co_u32_e32 v9, vcc, v2, v5, vcc
	v_cmp_gt_i64_e32 vcc, v[8:9], v[0:1]
	s_mov_b64 s[2:3], 0
                                        ; implicit-def: $vgpr6_vgpr7
	s_and_saveexec_b64 s[8:9], vcc
	s_cbranch_execz .LBB46_174
; %bb.162:                              ;   in Loop: Header=BB46_34 Depth=1
	s_mov_b64 s[24:25], 0
	v_pk_mov_b32 v[10:11], v[16:17], v[16:17] op_sel:[0,1]
	v_pk_mov_b32 v[12:13], v[0:1], v[0:1] op_sel:[0,1]
                                        ; implicit-def: $sgpr2_sgpr3
	s_branch .LBB46_164
.LBB46_163:                             ;   in Loop: Header=BB46_164 Depth=2
	s_or_b64 exec, exec, s[6:7]
	s_waitcnt lgkmcnt(0)
	s_barrier
	s_waitcnt vmcnt(0)
	ds_read_b128 v[4:7], v19 offset:3072
	v_mov_b32_e32 v2, s90
	v_add_co_u32_e64 v12, s[6:7], s33, v12
	v_addc_co_u32_e64 v13, s[6:7], v13, v2, s[6:7]
	s_waitcnt lgkmcnt(0)
	v_cmp_neq_f64_e32 vcc, 0, v[4:5]
	v_cmp_ge_i64_e64 s[6:7], v[12:13], v[8:9]
	s_or_b64 s[26:27], vcc, s[6:7]
	v_mov_b32_e32 v2, s89
	v_add_co_u32_e64 v10, s[6:7], s88, v10
	v_addc_co_u32_e64 v11, s[6:7], v11, v2, s[6:7]
	s_and_b64 s[6:7], exec, s[26:27]
	s_or_b64 s[24:25], s[6:7], s[24:25]
	s_andn2_b64 s[2:3], s[2:3], exec
	s_and_b64 s[6:7], vcc, exec
	s_or_b64 s[2:3], s[2:3], s[6:7]
	s_barrier
	s_andn2_b64 exec, exec, s[24:25]
	s_cbranch_execz .LBB46_173
.LBB46_164:                             ;   Parent Loop BB46_34 Depth=1
                                        ; =>  This Inner Loop Header: Depth=2
	v_cmp_gt_i64_e32 vcc, s[56:57], v[12:13]
	v_pk_mov_b32 v[4:5], 0, 0
	s_and_saveexec_b64 s[6:7], vcc
	s_cbranch_execz .LBB46_166
; %bb.165:                              ;   in Loop: Header=BB46_164 Depth=2
	global_load_dwordx2 v[4:5], v[10:11], off
.LBB46_166:                             ;   in Loop: Header=BB46_164 Depth=2
	s_or_b64 exec, exec, s[6:7]
	s_and_saveexec_b64 s[6:7], vcc
	s_cbranch_execz .LBB46_163
; %bb.167:                              ;   in Loop: Header=BB46_164 Depth=2
	s_waitcnt vmcnt(0)
	v_ashrrev_i32_e32 v2, 31, v5
	v_or_b32_e32 v6, 0x80000000, v2
	v_xor_b32_e32 v6, v6, v5
	v_xor_b32_e32 v2, v2, v4
	v_cmp_o_f64_e32 vcc, v[4:5], v[4:5]
	v_cndmask_b32_e32 v6, -1, v6, vcc
	v_cndmask_b32_e32 v2, -1, v2, vcc
	v_and_b32_e32 v7, s79, v6
	v_and_b32_e32 v6, s78, v2
	v_cmp_eq_u64_e32 vcc, s[54:55], v[6:7]
	s_and_b64 exec, exec, vcc
	s_cbranch_execz .LBB46_163
; %bb.168:                              ;   in Loop: Header=BB46_164 Depth=2
	v_mov_b32_e32 v2, v19
	ds_write_b128 v19, v[2:5] offset:3072
	s_branch .LBB46_163
.LBB46_169:                             ;   in Loop: Header=BB46_34 Depth=1
                                        ; implicit-def: $sgpr26_sgpr27
                                        ; implicit-def: $sgpr30_sgpr31
                                        ; implicit-def: $sgpr24_sgpr25
	s_branch .LBB46_188
.LBB46_170:                             ;   in Loop: Header=BB46_34 Depth=1
                                        ; implicit-def: $vgpr4_vgpr5
	s_branch .LBB46_115
.LBB46_171:                             ;   in Loop: Header=BB46_34 Depth=1
                                        ; implicit-def: $vgpr4_vgpr5
	s_branch .LBB46_130
.LBB46_172:                             ;   in Loop: Header=BB46_34 Depth=1
	s_mov_b64 s[26:27], -1
	s_mov_b64 s[2:3], 0
                                        ; implicit-def: $sgpr24_sgpr25
                                        ; implicit-def: $vgpr6_vgpr7
	s_mov_b64 s[30:31], s[26:27]
	s_cbranch_execnz .LBB46_175
	s_branch .LBB46_188
.LBB46_173:                             ;   in Loop: Header=BB46_34 Depth=1
	s_or_b64 exec, exec, s[24:25]
	s_and_b64 s[2:3], s[2:3], exec
.LBB46_174:                             ;   in Loop: Header=BB46_34 Depth=1
	s_or_b64 exec, exec, s[8:9]
	s_mov_b64 s[24:25], -1
	s_mov_b64 s[26:27], 0
	s_mov_b64 s[30:31], s[26:27]
	s_branch .LBB46_188
.LBB46_175:                             ;   in Loop: Header=BB46_34 Depth=1
	v_readlane_b32 s2, v66, 48
	s_add_u32 s8, s2, s34
	v_readlane_b32 s2, v66, 49
	s_addc_u32 s3, s2, s35
	s_mov_b32 s2, s95
	s_cmp_lg_u64 s[2:3], 0
	s_cbranch_scc0 .LBB46_218
; %bb.176:                              ;   in Loop: Header=BB46_34 Depth=1
	v_cvt_f32_u32_e32 v2, s33
	s_sub_u32 s2, 0, s33
	s_subb_u32 s6, 0, 0
	v_mac_f32_e32 v2, 0x4f800000, v49
	v_rcp_f32_e32 v2, v2
	v_mul_f32_e32 v2, 0x5f7ffffc, v2
	v_mul_f32_e32 v4, 0x2f800000, v2
	v_trunc_f32_e32 v4, v4
	v_mac_f32_e32 v2, 0xcf800000, v4
	v_cvt_u32_f32_e32 v4, v4
	v_cvt_u32_f32_e32 v2, v2
	v_readfirstlane_b32 s7, v4
	v_readfirstlane_b32 s9, v2
	s_mul_i32 s24, s2, s7
	s_mul_hi_u32 s26, s2, s9
	s_mul_i32 s25, s6, s9
	s_add_i32 s24, s26, s24
	s_mul_i32 s27, s2, s9
	s_add_i32 s24, s24, s25
	s_mul_hi_u32 s26, s9, s27
	s_mul_hi_u32 s25, s9, s24
	s_mul_i32 s9, s9, s24
	s_add_u32 s9, s26, s9
	s_addc_u32 s25, 0, s25
	s_mul_hi_u32 s29, s7, s27
	s_mul_i32 s27, s7, s27
	s_add_u32 s9, s9, s27
	s_mul_hi_u32 s26, s7, s24
	s_addc_u32 s9, s25, s29
	s_addc_u32 s25, s26, 0
	s_mul_i32 s24, s7, s24
	s_add_u32 s9, s9, s24
	s_addc_u32 s24, 0, s25
	v_add_co_u32_e32 v2, vcc, s9, v2
	s_cmp_lg_u64 vcc, 0
	s_addc_u32 s7, s7, s24
	v_readfirstlane_b32 s24, v2
	s_mul_i32 s9, s2, s7
	s_mul_hi_u32 s25, s2, s24
	s_add_i32 s9, s25, s9
	s_mul_i32 s6, s6, s24
	s_add_i32 s9, s9, s6
	s_mul_i32 s2, s2, s24
	s_mul_hi_u32 s25, s7, s2
	s_mul_i32 s26, s7, s2
	s_mul_i32 s29, s24, s9
	s_mul_hi_u32 s2, s24, s2
	s_mul_hi_u32 s27, s24, s9
	s_add_u32 s2, s2, s29
	s_addc_u32 s24, 0, s27
	s_add_u32 s2, s2, s26
	s_mul_hi_u32 s6, s7, s9
	s_addc_u32 s2, s24, s25
	s_addc_u32 s6, s6, 0
	s_mul_i32 s9, s7, s9
	s_add_u32 s2, s2, s9
	s_addc_u32 s6, 0, s6
	v_add_co_u32_e32 v2, vcc, s2, v2
	s_cmp_lg_u64 vcc, 0
	s_addc_u32 s2, s7, s6
	s_ashr_i32 s6, s3, 31
	s_add_u32 s24, s8, s6
	s_mov_b32 s7, s6
	s_addc_u32 s25, s3, s6
	s_xor_b64 s[24:25], s[24:25], s[6:7]
	v_readfirstlane_b32 s26, v2
	s_mul_i32 s9, s24, s2
	s_mul_hi_u32 s27, s24, s26
	s_mul_hi_u32 s7, s24, s2
	s_add_u32 s9, s27, s9
	s_addc_u32 s7, 0, s7
	s_mul_hi_u32 s29, s25, s26
	s_mul_i32 s26, s25, s26
	s_add_u32 s9, s9, s26
	s_mul_hi_u32 s27, s25, s2
	s_addc_u32 s7, s7, s29
	s_addc_u32 s9, s27, 0
	s_mul_i32 s2, s25, s2
	s_add_u32 s2, s7, s2
	s_addc_u32 s7, 0, s9
	s_mul_hi_u32 s9, s33, s2
	s_mul_i32 s2, s33, s2
	s_mul_i32 s7, s33, s7
	v_mov_b32_e32 v2, s2
	s_add_i32 s9, s9, s7
	v_sub_co_u32_e32 v2, vcc, s24, v2
	s_cmp_lg_u64 vcc, 0
	s_subb_u32 s2, s25, s9
	v_subrev_co_u32_e32 v4, vcc, s33, v2
	s_cmp_lg_u64 vcc, 0
	s_subb_u32 s7, s2, 0
	v_subrev_co_u32_e32 v5, vcc, s33, v4
	s_cmp_lg_u64 vcc, 0
	s_subb_u32 s9, s7, 0
	v_cmp_le_u32_e32 vcc, s33, v4
	s_cmp_eq_u32 s7, 0
	v_cndmask_b32_e64 v6, 0, -1, vcc
	s_cselect_b64 vcc, -1, 0
	v_cndmask_b32_e32 v6, -1, v6, vcc
	v_mov_b32_e32 v7, s7
	v_mov_b32_e32 v8, s9
	v_cmp_ne_u32_e32 vcc, 0, v6
	v_cndmask_b32_e32 v6, v7, v8, vcc
	v_cndmask_b32_e32 v4, v4, v5, vcc
	v_cmp_le_u32_e32 vcc, s33, v2
	s_cmp_eq_u32 s2, 0
	v_cndmask_b32_e64 v5, 0, -1, vcc
	s_cselect_b64 vcc, -1, 0
	v_cndmask_b32_e32 v5, -1, v5, vcc
	v_cmp_ne_u32_e32 vcc, 0, v5
	v_mov_b32_e32 v7, s2
	v_cndmask_b32_e32 v2, v2, v4, vcc
	v_cndmask_b32_e32 v5, v7, v6, vcc
	v_xor_b32_e32 v2, s6, v2
	v_xor_b32_e32 v5, s6, v5
	v_mov_b32_e32 v6, s6
	v_subrev_co_u32_e32 v4, vcc, s6, v2
	v_subb_co_u32_e32 v5, vcc, v5, v6, vcc
	s_cbranch_execnz .LBB46_178
.LBB46_177:                             ;   in Loop: Header=BB46_34 Depth=1
	v_cvt_f32_u32_e32 v2, s33
	s_sub_i32 s2, 0, s33
	v_rcp_iflag_f32_e32 v2, v2
	v_mul_f32_e32 v2, 0x4f7ffffe, v2
	v_cvt_u32_f32_e32 v2, v2
	v_mul_lo_u32 v4, s2, v2
	v_mul_hi_u32 v4, v2, v4
	v_add_u32_e32 v2, v2, v4
	v_mul_hi_u32 v2, s8, v2
	v_mul_lo_u32 v2, v2, s33
	v_sub_u32_e32 v2, s8, v2
	v_subrev_u32_e32 v4, s33, v2
	v_cmp_le_u32_e32 vcc, s33, v2
	v_cndmask_b32_e32 v2, v2, v4, vcc
	v_subrev_u32_e32 v4, s33, v2
	v_cmp_le_u32_e32 vcc, s33, v2
	v_cndmask_b32_e32 v18, v2, v4, vcc
	v_pk_mov_b32 v[4:5], v[18:19], v[18:19] op_sel:[0,1]
.LBB46_178:                             ;   in Loop: Header=BB46_34 Depth=1
	v_mov_b32_e32 v2, s3
	v_sub_co_u32_e32 v8, vcc, s8, v4
	v_subb_co_u32_e32 v9, vcc, v2, v5, vcc
	v_cmp_gt_i64_e32 vcc, v[8:9], v[0:1]
	s_mov_b64 s[2:3], 0
                                        ; implicit-def: $vgpr6_vgpr7
	s_and_saveexec_b64 s[8:9], vcc
	s_cbranch_execz .LBB46_187
; %bb.179:                              ;   in Loop: Header=BB46_34 Depth=1
	s_mov_b64 s[24:25], 0
	v_mov_b32_e32 v12, v41
	v_pk_mov_b32 v[10:11], v[0:1], v[0:1] op_sel:[0,1]
                                        ; implicit-def: $sgpr2_sgpr3
	s_branch .LBB46_181
.LBB46_180:                             ;   in Loop: Header=BB46_181 Depth=2
	s_or_b64 exec, exec, s[6:7]
	s_waitcnt lgkmcnt(0)
	s_barrier
	ds_read_b128 v[4:7], v19 offset:3072
	v_mov_b32_e32 v2, s90
	v_add_co_u32_e64 v10, s[6:7], s33, v10
	v_addc_co_u32_e64 v11, s[6:7], v11, v2, s[6:7]
	s_waitcnt lgkmcnt(0)
	v_cmp_neq_f64_e32 vcc, 0, v[4:5]
	v_cmp_ge_i64_e64 s[6:7], v[10:11], v[8:9]
	s_or_b64 s[6:7], vcc, s[6:7]
	s_and_b64 s[6:7], exec, s[6:7]
	s_or_b64 s[24:25], s[6:7], s[24:25]
	s_andn2_b64 s[2:3], s[2:3], exec
	s_and_b64 s[6:7], vcc, exec
	v_add_u32_e32 v12, s86, v12
	s_or_b64 s[2:3], s[2:3], s[6:7]
	s_barrier
	s_andn2_b64 exec, exec, s[24:25]
	s_cbranch_execz .LBB46_186
.LBB46_181:                             ;   Parent Loop BB46_34 Depth=1
                                        ; =>  This Inner Loop Header: Depth=2
	v_cmp_gt_i64_e32 vcc, s[34:35], v[10:11]
	v_pk_mov_b32 v[4:5], 0, 0
	s_and_saveexec_b64 s[6:7], vcc
	s_cbranch_execz .LBB46_183
; %bb.182:                              ;   in Loop: Header=BB46_181 Depth=2
	ds_read_b64 v[4:5], v12
.LBB46_183:                             ;   in Loop: Header=BB46_181 Depth=2
	s_or_b64 exec, exec, s[6:7]
	s_and_saveexec_b64 s[6:7], vcc
	s_cbranch_execz .LBB46_180
; %bb.184:                              ;   in Loop: Header=BB46_181 Depth=2
	s_waitcnt lgkmcnt(0)
	v_ashrrev_i32_e32 v2, 31, v5
	v_or_b32_e32 v6, 0x80000000, v2
	v_xor_b32_e32 v6, v6, v5
	v_xor_b32_e32 v2, v2, v4
	v_cmp_o_f64_e32 vcc, v[4:5], v[4:5]
	v_cndmask_b32_e32 v6, -1, v6, vcc
	v_cndmask_b32_e32 v2, -1, v2, vcc
	v_and_b32_e32 v7, s79, v6
	v_and_b32_e32 v6, s78, v2
	v_cmp_eq_u64_e32 vcc, s[54:55], v[6:7]
	s_and_b64 exec, exec, vcc
	s_cbranch_execz .LBB46_180
; %bb.185:                              ;   in Loop: Header=BB46_181 Depth=2
	v_mov_b32_e32 v2, v19
	ds_write_b128 v19, v[2:5] offset:3072
	s_branch .LBB46_180
.LBB46_186:                             ;   in Loop: Header=BB46_34 Depth=1
	s_or_b64 exec, exec, s[24:25]
	s_and_b64 s[2:3], s[2:3], exec
.LBB46_187:                             ;   in Loop: Header=BB46_34 Depth=1
	s_or_b64 exec, exec, s[8:9]
	s_mov_b64 s[30:31], -1
	s_mov_b64 s[26:27], 0
	s_mov_b64 s[24:25], 0
.LBB46_188:                             ;   in Loop: Header=BB46_34 Depth=1
	s_mov_b64 s[6:7], 0
                                        ; implicit-def: $sgpr46
	s_and_saveexec_b64 s[34:35], s[2:3]
	s_cbranch_execz .LBB46_299
; %bb.189:                              ;   in Loop: Header=BB46_34 Depth=1
	s_xor_b64 s[0:1], s[0:1], -1
	s_andn2_b64 vcc, exec, s[0:1]
	s_mov_b32 s46, 1
	s_cbranch_vccnz .LBB46_200
; %bb.190:                              ;   in Loop: Header=BB46_34 Depth=1
	s_waitcnt vmcnt(0)
	v_pk_mov_b32 v[4:5], s[36:37], s[36:37] op_sel:[0,1]
	v_cmp_gt_i64_e32 vcc, s[58:59], v[4:5]
	s_mov_b64 s[0:1], -1
                                        ; implicit-def: $sgpr46
                                        ; implicit-def: $sgpr2_sgpr3
                                        ; implicit-def: $sgpr6_sgpr7
	s_cbranch_vccnz .LBB46_196
; %bb.191:                              ;   in Loop: Header=BB46_34 Depth=1
	ds_read_b64 v[4:5], v19 offset:5120
	s_waitcnt lgkmcnt(0)
	v_cmp_ne_u64_e32 vcc, 0, v[4:5]
	s_cbranch_vccnz .LBB46_195
; %bb.192:                              ;   in Loop: Header=BB46_34 Depth=1
	s_mov_b64 s[0:1], exec
	v_readlane_b32 s2, v66, 32
	v_readlane_b32 s3, v66, 33
	s_and_b64 s[2:3], s[0:1], s[2:3]
	s_mov_b64 exec, s[2:3]
	s_cbranch_execz .LBB46_194
; %bb.193:                              ;   in Loop: Header=BB46_34 Depth=1
	v_pk_mov_b32 v[4:5], s[36:37], s[36:37] op_sel:[0,1]
	ds_write_b64 v19, v[4:5] offset:5128
.LBB46_194:                             ;   in Loop: Header=BB46_34 Depth=1
	s_or_b64 exec, exec, s[0:1]
	s_waitcnt lgkmcnt(0)
	s_barrier
.LBB46_195:                             ;   in Loop: Header=BB46_34 Depth=1
	s_lshl_b64 s[0:1], 1, s28
	s_and_b64 s[2:3], s[54:55], s[22:23]
	s_or_b64 s[2:3], s[2:3], s[0:1]
	s_or_b64 s[6:7], s[78:79], s[14:15]
	s_mov_b64 s[0:1], 0
	s_mov_b32 s46, 8
.LBB46_196:                             ;   in Loop: Header=BB46_34 Depth=1
	s_andn2_b64 vcc, exec, s[0:1]
	s_cbranch_vccnz .LBB46_198
; %bb.197:                              ;   in Loop: Header=BB46_34 Depth=1
	s_sub_u32 s58, s58, s36
	s_subb_u32 s59, s59, s37
	s_mov_b64 s[0:1], -1
	s_mov_b32 s46, 0
	s_mov_b64 s[2:3], s[54:55]
	s_mov_b64 s[6:7], s[78:79]
.LBB46_198:                             ;   in Loop: Header=BB46_34 Depth=1
	s_mov_b64 s[78:79], s[6:7]
	s_mov_b64 s[54:55], s[2:3]
	s_andn2_b64 vcc, exec, s[0:1]
	s_mov_b64 s[6:7], -1
	s_cbranch_vccz .LBB46_201
.LBB46_199:                             ;   in Loop: Header=BB46_34 Depth=1
                                        ; implicit-def: $sgpr36_sgpr37
                                        ; implicit-def: $sgpr38_sgpr39
                                        ; implicit-def: $sgpr0_sgpr1
	s_branch .LBB46_298
.LBB46_200:                             ;   in Loop: Header=BB46_34 Depth=1
	s_mov_b64 s[58:59], 1
	s_mov_b64 s[6:7], -1
	s_cbranch_execnz .LBB46_199
.LBB46_201:                             ;   in Loop: Header=BB46_34 Depth=1
	s_cmp_eq_u64 s[20:21], 1
	s_cselect_b64 s[0:1], -1, 0
	s_cmp_eq_u64 s[58:59], 1
	s_cselect_b64 s[2:3], -1, 0
	s_and_b64 s[42:43], s[0:1], s[2:3]
	s_mov_b64 s[2:3], -1
	s_and_b64 vcc, exec, s[42:43]
	s_cbranch_vccz .LBB46_216
; %bb.202:                              ;   in Loop: Header=BB46_34 Depth=1
	s_waitcnt vmcnt(0)
	ds_read_b64 v[4:5], v19 offset:5120
	s_waitcnt lgkmcnt(0)
	s_barrier
	v_readfirstlane_b32 s40, v4
	v_readfirstlane_b32 s41, v5
	s_mov_b64 s[0:1], exec
	v_readlane_b32 s2, v66, 36
	v_readlane_b32 s3, v66, 37
	s_and_b64 s[2:3], s[0:1], s[2:3]
	s_mov_b64 exec, s[2:3]
	s_cbranch_execz .LBB46_204
; %bb.203:                              ;   in Loop: Header=BB46_34 Depth=1
	v_mov_b32_e32 v18, v19
	ds_write_b64 v42, v[18:19]
.LBB46_204:                             ;   in Loop: Header=BB46_34 Depth=1
	s_or_b64 exec, exec, s[0:1]
	s_lshl_b64 s[0:1], 2, s28
	s_and_b64 s[2:3], s[54:55], s[22:23]
	s_or_b64 s[54:55], s[2:3], s[0:1]
	v_cmp_gt_i64_e64 s[0:1], s[40:41], 0
	s_or_b64 s[78:79], s[78:79], s[14:15]
	s_and_b64 vcc, exec, s[0:1]
	s_waitcnt lgkmcnt(0)
	s_barrier
	s_cbranch_vccnz .LBB46_219
; %bb.205:                              ;   in Loop: Header=BB46_34 Depth=1
	s_mov_b32 s72, s95
	s_cmp_lg_u64 s[72:73], 0
	s_cbranch_scc0 .LBB46_264
; %bb.206:                              ;   in Loop: Header=BB46_34 Depth=1
	v_cvt_f32_u32_e32 v2, s33
	s_sub_u32 s0, 0, s33
	s_subb_u32 s1, 0, 0
	v_mac_f32_e32 v2, 0x4f800000, v49
	v_rcp_f32_e32 v2, v2
	v_mul_f32_e32 v2, 0x5f7ffffc, v2
	v_mul_f32_e32 v4, 0x2f800000, v2
	v_trunc_f32_e32 v4, v4
	v_mac_f32_e32 v2, 0xcf800000, v4
	v_cvt_u32_f32_e32 v4, v4
	v_cvt_u32_f32_e32 v2, v2
	v_readfirstlane_b32 s2, v4
	v_readfirstlane_b32 s3, v2
	s_mul_i32 s6, s0, s2
	s_mul_hi_u32 s8, s0, s3
	s_mul_i32 s7, s1, s3
	s_add_i32 s6, s8, s6
	s_mul_i32 s9, s0, s3
	s_add_i32 s6, s6, s7
	s_mul_hi_u32 s8, s3, s9
	s_mul_hi_u32 s7, s3, s6
	s_mul_i32 s3, s3, s6
	s_add_u32 s3, s8, s3
	s_addc_u32 s7, 0, s7
	s_mul_hi_u32 s29, s2, s9
	s_mul_i32 s9, s2, s9
	s_add_u32 s3, s3, s9
	s_mul_hi_u32 s8, s2, s6
	s_addc_u32 s3, s7, s29
	s_addc_u32 s7, s8, 0
	s_mul_i32 s6, s2, s6
	s_add_u32 s3, s3, s6
	s_addc_u32 s6, 0, s7
	v_add_co_u32_e32 v2, vcc, s3, v2
	s_cmp_lg_u64 vcc, 0
	s_addc_u32 s2, s2, s6
	v_readfirstlane_b32 s6, v2
	s_mul_i32 s3, s0, s2
	s_mul_hi_u32 s7, s0, s6
	s_add_i32 s3, s7, s3
	s_mul_i32 s1, s1, s6
	s_add_i32 s3, s3, s1
	s_mul_i32 s0, s0, s6
	s_mul_hi_u32 s7, s2, s0
	s_mul_i32 s8, s2, s0
	s_mul_i32 s29, s6, s3
	s_mul_hi_u32 s0, s6, s0
	s_mul_hi_u32 s9, s6, s3
	s_add_u32 s0, s0, s29
	s_addc_u32 s6, 0, s9
	s_add_u32 s0, s0, s8
	s_mul_hi_u32 s1, s2, s3
	s_addc_u32 s0, s6, s7
	s_addc_u32 s1, s1, 0
	s_mul_i32 s3, s2, s3
	s_add_u32 s0, s0, s3
	s_addc_u32 s1, 0, s1
	v_add_co_u32_e32 v2, vcc, s0, v2
	s_cmp_lg_u64 vcc, 0
	s_addc_u32 s6, s2, s1
	s_ashr_i32 s0, s73, 31
	s_add_u32 s2, s75, s0
	s_mov_b32 s1, s0
	s_addc_u32 s3, s73, s0
	s_xor_b64 s[2:3], s[2:3], s[0:1]
	v_readfirstlane_b32 s8, v2
	s_mul_i32 s7, s2, s6
	s_mul_hi_u32 s9, s2, s8
	s_mul_hi_u32 s1, s2, s6
	s_add_u32 s7, s9, s7
	s_addc_u32 s1, 0, s1
	s_mul_hi_u32 s29, s3, s8
	s_mul_i32 s8, s3, s8
	s_add_u32 s7, s7, s8
	s_mul_hi_u32 s9, s3, s6
	s_addc_u32 s1, s1, s29
	s_addc_u32 s7, s9, 0
	s_mul_i32 s6, s3, s6
	s_add_u32 s1, s1, s6
	s_addc_u32 s6, 0, s7
	s_mul_hi_u32 s7, s33, s1
	s_mul_i32 s1, s33, s1
	s_mul_i32 s6, s33, s6
	v_mov_b32_e32 v2, s1
	s_add_i32 s7, s7, s6
	v_sub_co_u32_e32 v2, vcc, s2, v2
	s_cmp_lg_u64 vcc, 0
	s_subb_u32 s1, s3, s7
	v_subrev_co_u32_e32 v4, vcc, s33, v2
	s_cmp_lg_u64 vcc, 0
	s_subb_u32 s2, s1, 0
	v_subrev_co_u32_e32 v5, vcc, s33, v4
	s_cmp_lg_u64 vcc, 0
	s_subb_u32 s3, s2, 0
	v_cmp_le_u32_e32 vcc, s33, v4
	s_cmp_eq_u32 s2, 0
	v_cndmask_b32_e64 v6, 0, -1, vcc
	s_cselect_b64 vcc, -1, 0
	v_cndmask_b32_e32 v6, -1, v6, vcc
	v_mov_b32_e32 v7, s2
	v_mov_b32_e32 v8, s3
	v_cmp_ne_u32_e32 vcc, 0, v6
	v_cndmask_b32_e32 v6, v7, v8, vcc
	v_cndmask_b32_e32 v4, v4, v5, vcc
	v_cmp_le_u32_e32 vcc, s33, v2
	s_cmp_eq_u32 s1, 0
	v_cndmask_b32_e64 v5, 0, -1, vcc
	s_cselect_b64 vcc, -1, 0
	v_cndmask_b32_e32 v5, -1, v5, vcc
	v_cmp_ne_u32_e32 vcc, 0, v5
	v_mov_b32_e32 v7, s1
	v_cndmask_b32_e32 v2, v2, v4, vcc
	v_cndmask_b32_e32 v5, v7, v6, vcc
	v_xor_b32_e32 v2, s0, v2
	v_xor_b32_e32 v5, s0, v5
	v_mov_b32_e32 v6, s0
	v_subrev_co_u32_e32 v4, vcc, s0, v2
	v_subb_co_u32_e32 v5, vcc, v5, v6, vcc
	s_cbranch_execnz .LBB46_208
.LBB46_207:                             ;   in Loop: Header=BB46_34 Depth=1
	v_cvt_f32_u32_e32 v2, s33
	s_sub_i32 s0, 0, s33
	v_rcp_iflag_f32_e32 v2, v2
	v_mul_f32_e32 v2, 0x4f7ffffe, v2
	v_cvt_u32_f32_e32 v2, v2
	v_mul_lo_u32 v4, s0, v2
	v_mul_hi_u32 v4, v2, v4
	v_add_u32_e32 v2, v2, v4
	s_mov_b32 s0, s75
	v_mul_hi_u32 v2, s0, v2
	v_mul_lo_u32 v2, v2, s33
	v_sub_u32_e32 v2, s0, v2
	v_subrev_u32_e32 v4, s33, v2
	v_cmp_le_u32_e32 vcc, s33, v2
	v_cndmask_b32_e32 v2, v2, v4, vcc
	v_subrev_u32_e32 v4, s33, v2
	v_cmp_le_u32_e32 vcc, s33, v2
	v_cndmask_b32_e32 v18, v2, v4, vcc
	v_pk_mov_b32 v[4:5], v[18:19], v[18:19] op_sel:[0,1]
.LBB46_208:                             ;   in Loop: Header=BB46_34 Depth=1
	v_mov_b32_e32 v2, s73
	v_sub_co_u32_e32 v8, vcc, s75, v4
	v_subb_co_u32_e32 v9, vcc, v2, v5, vcc
	v_cmp_gt_i64_e32 vcc, v[8:9], v[0:1]
	s_mov_b64 s[2:3], 0
                                        ; implicit-def: $vgpr6_vgpr7
	s_and_saveexec_b64 s[0:1], vcc
	s_cbranch_execz .LBB46_221
; %bb.209:                              ;   in Loop: Header=BB46_34 Depth=1
	s_mov_b64 s[8:9], 0
	v_pk_mov_b32 v[10:11], v[16:17], v[16:17] op_sel:[0,1]
	v_pk_mov_b32 v[12:13], v[0:1], v[0:1] op_sel:[0,1]
                                        ; implicit-def: $sgpr2_sgpr3
	s_branch .LBB46_211
.LBB46_210:                             ;   in Loop: Header=BB46_211 Depth=2
	s_or_b64 exec, exec, s[6:7]
	s_waitcnt lgkmcnt(0)
	s_barrier
	s_waitcnt vmcnt(0)
	ds_read_b128 v[4:7], v19 offset:3072
	v_mov_b32_e32 v2, s90
	v_add_co_u32_e64 v12, s[6:7], s33, v12
	v_addc_co_u32_e64 v13, s[6:7], v13, v2, s[6:7]
	s_waitcnt lgkmcnt(0)
	v_cmp_neq_f64_e32 vcc, 0, v[4:5]
	v_cmp_ge_i64_e64 s[6:7], v[12:13], v[8:9]
	s_or_b64 s[36:37], vcc, s[6:7]
	v_mov_b32_e32 v2, s89
	v_add_co_u32_e64 v10, s[6:7], s88, v10
	v_addc_co_u32_e64 v11, s[6:7], v11, v2, s[6:7]
	s_and_b64 s[6:7], exec, s[36:37]
	s_or_b64 s[8:9], s[6:7], s[8:9]
	s_andn2_b64 s[2:3], s[2:3], exec
	s_and_b64 s[6:7], vcc, exec
	s_or_b64 s[2:3], s[2:3], s[6:7]
	s_barrier
	s_andn2_b64 exec, exec, s[8:9]
	s_cbranch_execz .LBB46_220
.LBB46_211:                             ;   Parent Loop BB46_34 Depth=1
                                        ; =>  This Inner Loop Header: Depth=2
	v_cmp_gt_i64_e32 vcc, s[56:57], v[12:13]
	v_pk_mov_b32 v[4:5], 0, 0
	s_and_saveexec_b64 s[6:7], vcc
	s_cbranch_execz .LBB46_213
; %bb.212:                              ;   in Loop: Header=BB46_211 Depth=2
	global_load_dwordx2 v[4:5], v[10:11], off
.LBB46_213:                             ;   in Loop: Header=BB46_211 Depth=2
	s_or_b64 exec, exec, s[6:7]
	s_and_saveexec_b64 s[6:7], vcc
	s_cbranch_execz .LBB46_210
; %bb.214:                              ;   in Loop: Header=BB46_211 Depth=2
	s_waitcnt vmcnt(0)
	v_ashrrev_i32_e32 v2, 31, v5
	v_or_b32_e32 v6, 0x80000000, v2
	v_xor_b32_e32 v6, v6, v5
	v_xor_b32_e32 v2, v2, v4
	v_cmp_o_f64_e32 vcc, v[4:5], v[4:5]
	v_cndmask_b32_e32 v6, -1, v6, vcc
	v_cndmask_b32_e32 v2, -1, v2, vcc
	v_and_b32_e32 v7, s79, v6
	v_and_b32_e32 v6, s78, v2
	v_cmp_eq_u64_e32 vcc, s[54:55], v[6:7]
	s_and_b64 exec, exec, vcc
	s_cbranch_execz .LBB46_210
; %bb.215:                              ;   in Loop: Header=BB46_211 Depth=2
	v_mov_b32_e32 v2, v19
	ds_write_b128 v19, v[2:5] offset:3072
	s_branch .LBB46_210
.LBB46_216:                             ;   in Loop: Header=BB46_34 Depth=1
                                        ; implicit-def: $sgpr0_sgpr1
                                        ; implicit-def: $sgpr38_sgpr39
                                        ; implicit-def: $sgpr36_sgpr37
	s_branch .LBB46_235
.LBB46_217:                             ;   in Loop: Header=BB46_34 Depth=1
                                        ; implicit-def: $vgpr4_vgpr5
	s_branch .LBB46_160
.LBB46_218:                             ;   in Loop: Header=BB46_34 Depth=1
                                        ; implicit-def: $vgpr4_vgpr5
	s_branch .LBB46_177
.LBB46_219:                             ;   in Loop: Header=BB46_34 Depth=1
	s_mov_b64 s[0:1], -1
	s_mov_b64 s[2:3], 0
                                        ; implicit-def: $sgpr36_sgpr37
                                        ; implicit-def: $vgpr6_vgpr7
	s_mov_b64 s[38:39], s[0:1]
	s_cbranch_execnz .LBB46_222
	s_branch .LBB46_235
.LBB46_220:                             ;   in Loop: Header=BB46_34 Depth=1
	s_or_b64 exec, exec, s[8:9]
	s_and_b64 s[2:3], s[2:3], exec
.LBB46_221:                             ;   in Loop: Header=BB46_34 Depth=1
	s_or_b64 exec, exec, s[0:1]
	s_mov_b64 s[36:37], -1
	s_mov_b64 s[0:1], 0
	s_mov_b64 s[38:39], s[0:1]
	s_branch .LBB46_235
.LBB46_222:                             ;   in Loop: Header=BB46_34 Depth=1
	v_readlane_b32 s0, v66, 48
	s_add_u32 s6, s0, s40
	v_readlane_b32 s0, v66, 49
	s_addc_u32 s1, s0, s41
	s_mov_b32 s0, s95
	s_cmp_lg_u64 s[0:1], 0
	s_cbranch_scc0 .LBB46_265
; %bb.223:                              ;   in Loop: Header=BB46_34 Depth=1
	v_cvt_f32_u32_e32 v2, s33
	s_sub_u32 s0, 0, s33
	s_subb_u32 s2, 0, 0
	v_mac_f32_e32 v2, 0x4f800000, v49
	v_rcp_f32_e32 v2, v2
	v_mul_f32_e32 v2, 0x5f7ffffc, v2
	v_mul_f32_e32 v4, 0x2f800000, v2
	v_trunc_f32_e32 v4, v4
	v_mac_f32_e32 v2, 0xcf800000, v4
	v_cvt_u32_f32_e32 v4, v4
	v_cvt_u32_f32_e32 v2, v2
	v_readfirstlane_b32 s3, v4
	v_readfirstlane_b32 s7, v2
	s_mul_i32 s8, s0, s3
	s_mul_hi_u32 s29, s0, s7
	s_mul_i32 s9, s2, s7
	s_add_i32 s8, s29, s8
	s_mul_i32 s36, s0, s7
	s_add_i32 s8, s8, s9
	s_mul_hi_u32 s29, s7, s36
	s_mul_hi_u32 s9, s7, s8
	s_mul_i32 s7, s7, s8
	s_add_u32 s7, s29, s7
	s_addc_u32 s9, 0, s9
	s_mul_hi_u32 s37, s3, s36
	s_mul_i32 s36, s3, s36
	s_add_u32 s7, s7, s36
	s_mul_hi_u32 s29, s3, s8
	s_addc_u32 s7, s9, s37
	s_addc_u32 s9, s29, 0
	s_mul_i32 s8, s3, s8
	s_add_u32 s7, s7, s8
	s_addc_u32 s8, 0, s9
	v_add_co_u32_e32 v2, vcc, s7, v2
	s_cmp_lg_u64 vcc, 0
	s_addc_u32 s3, s3, s8
	v_readfirstlane_b32 s8, v2
	s_mul_i32 s7, s0, s3
	s_mul_hi_u32 s9, s0, s8
	s_add_i32 s7, s9, s7
	s_mul_i32 s2, s2, s8
	s_add_i32 s7, s7, s2
	s_mul_i32 s0, s0, s8
	s_mul_hi_u32 s9, s3, s0
	s_mul_i32 s29, s3, s0
	s_mul_i32 s37, s8, s7
	s_mul_hi_u32 s0, s8, s0
	s_mul_hi_u32 s36, s8, s7
	s_add_u32 s0, s0, s37
	s_addc_u32 s8, 0, s36
	s_add_u32 s0, s0, s29
	s_mul_hi_u32 s2, s3, s7
	s_addc_u32 s0, s8, s9
	s_addc_u32 s2, s2, 0
	s_mul_i32 s7, s3, s7
	s_add_u32 s0, s0, s7
	s_addc_u32 s2, 0, s2
	v_add_co_u32_e32 v2, vcc, s0, v2
	s_cmp_lg_u64 vcc, 0
	s_addc_u32 s0, s3, s2
	s_ashr_i32 s2, s1, 31
	s_add_u32 s8, s6, s2
	s_mov_b32 s3, s2
	s_addc_u32 s9, s1, s2
	s_xor_b64 s[8:9], s[8:9], s[2:3]
	v_readfirstlane_b32 s29, v2
	s_mul_i32 s7, s8, s0
	s_mul_hi_u32 s36, s8, s29
	s_mul_hi_u32 s3, s8, s0
	s_add_u32 s7, s36, s7
	s_addc_u32 s3, 0, s3
	s_mul_hi_u32 s37, s9, s29
	s_mul_i32 s29, s9, s29
	s_add_u32 s7, s7, s29
	s_mul_hi_u32 s36, s9, s0
	s_addc_u32 s3, s3, s37
	s_addc_u32 s7, s36, 0
	s_mul_i32 s0, s9, s0
	s_add_u32 s0, s3, s0
	s_addc_u32 s3, 0, s7
	s_mul_hi_u32 s7, s33, s0
	s_mul_i32 s0, s33, s0
	s_mul_i32 s3, s33, s3
	v_mov_b32_e32 v2, s0
	s_add_i32 s7, s7, s3
	v_sub_co_u32_e32 v2, vcc, s8, v2
	s_cmp_lg_u64 vcc, 0
	s_subb_u32 s0, s9, s7
	v_subrev_co_u32_e32 v4, vcc, s33, v2
	s_cmp_lg_u64 vcc, 0
	s_subb_u32 s3, s0, 0
	v_subrev_co_u32_e32 v5, vcc, s33, v4
	s_cmp_lg_u64 vcc, 0
	s_subb_u32 s7, s3, 0
	v_cmp_le_u32_e32 vcc, s33, v4
	s_cmp_eq_u32 s3, 0
	v_cndmask_b32_e64 v6, 0, -1, vcc
	s_cselect_b64 vcc, -1, 0
	v_cndmask_b32_e32 v6, -1, v6, vcc
	v_mov_b32_e32 v7, s3
	v_mov_b32_e32 v8, s7
	v_cmp_ne_u32_e32 vcc, 0, v6
	v_cndmask_b32_e32 v6, v7, v8, vcc
	v_cndmask_b32_e32 v4, v4, v5, vcc
	v_cmp_le_u32_e32 vcc, s33, v2
	s_cmp_eq_u32 s0, 0
	v_cndmask_b32_e64 v5, 0, -1, vcc
	s_cselect_b64 vcc, -1, 0
	v_cndmask_b32_e32 v5, -1, v5, vcc
	v_cmp_ne_u32_e32 vcc, 0, v5
	v_mov_b32_e32 v7, s0
	v_cndmask_b32_e32 v2, v2, v4, vcc
	v_cndmask_b32_e32 v5, v7, v6, vcc
	v_xor_b32_e32 v2, s2, v2
	v_xor_b32_e32 v5, s2, v5
	v_mov_b32_e32 v6, s2
	v_subrev_co_u32_e32 v4, vcc, s2, v2
	v_subb_co_u32_e32 v5, vcc, v5, v6, vcc
	s_cbranch_execnz .LBB46_225
.LBB46_224:                             ;   in Loop: Header=BB46_34 Depth=1
	v_cvt_f32_u32_e32 v2, s33
	s_sub_i32 s0, 0, s33
	v_rcp_iflag_f32_e32 v2, v2
	v_mul_f32_e32 v2, 0x4f7ffffe, v2
	v_cvt_u32_f32_e32 v2, v2
	v_mul_lo_u32 v4, s0, v2
	v_mul_hi_u32 v4, v2, v4
	v_add_u32_e32 v2, v2, v4
	v_mul_hi_u32 v2, s6, v2
	v_mul_lo_u32 v2, v2, s33
	v_sub_u32_e32 v2, s6, v2
	v_subrev_u32_e32 v4, s33, v2
	v_cmp_le_u32_e32 vcc, s33, v2
	v_cndmask_b32_e32 v2, v2, v4, vcc
	v_subrev_u32_e32 v4, s33, v2
	v_cmp_le_u32_e32 vcc, s33, v2
	v_cndmask_b32_e32 v18, v2, v4, vcc
	v_pk_mov_b32 v[4:5], v[18:19], v[18:19] op_sel:[0,1]
.LBB46_225:                             ;   in Loop: Header=BB46_34 Depth=1
	v_mov_b32_e32 v2, s1
	v_sub_co_u32_e32 v8, vcc, s6, v4
	v_subb_co_u32_e32 v9, vcc, v2, v5, vcc
	v_cmp_gt_i64_e32 vcc, v[8:9], v[0:1]
	s_mov_b64 s[2:3], 0
                                        ; implicit-def: $vgpr6_vgpr7
	s_and_saveexec_b64 s[0:1], vcc
	s_cbranch_execz .LBB46_234
; %bb.226:                              ;   in Loop: Header=BB46_34 Depth=1
	s_mov_b64 s[8:9], 0
	v_mov_b32_e32 v12, v41
	v_pk_mov_b32 v[10:11], v[0:1], v[0:1] op_sel:[0,1]
                                        ; implicit-def: $sgpr2_sgpr3
	s_branch .LBB46_228
.LBB46_227:                             ;   in Loop: Header=BB46_228 Depth=2
	s_or_b64 exec, exec, s[6:7]
	s_waitcnt lgkmcnt(0)
	s_barrier
	ds_read_b128 v[4:7], v19 offset:3072
	v_mov_b32_e32 v2, s90
	v_add_co_u32_e64 v10, s[6:7], s33, v10
	v_addc_co_u32_e64 v11, s[6:7], v11, v2, s[6:7]
	s_waitcnt lgkmcnt(0)
	v_cmp_neq_f64_e32 vcc, 0, v[4:5]
	v_cmp_ge_i64_e64 s[6:7], v[10:11], v[8:9]
	s_or_b64 s[6:7], vcc, s[6:7]
	s_and_b64 s[6:7], exec, s[6:7]
	s_or_b64 s[8:9], s[6:7], s[8:9]
	s_andn2_b64 s[2:3], s[2:3], exec
	s_and_b64 s[6:7], vcc, exec
	v_add_u32_e32 v12, s86, v12
	s_or_b64 s[2:3], s[2:3], s[6:7]
	s_barrier
	s_andn2_b64 exec, exec, s[8:9]
	s_cbranch_execz .LBB46_233
.LBB46_228:                             ;   Parent Loop BB46_34 Depth=1
                                        ; =>  This Inner Loop Header: Depth=2
	v_cmp_gt_i64_e32 vcc, s[40:41], v[10:11]
	v_pk_mov_b32 v[4:5], 0, 0
	s_and_saveexec_b64 s[6:7], vcc
	s_cbranch_execz .LBB46_230
; %bb.229:                              ;   in Loop: Header=BB46_228 Depth=2
	ds_read_b64 v[4:5], v12
.LBB46_230:                             ;   in Loop: Header=BB46_228 Depth=2
	s_or_b64 exec, exec, s[6:7]
	s_and_saveexec_b64 s[6:7], vcc
	s_cbranch_execz .LBB46_227
; %bb.231:                              ;   in Loop: Header=BB46_228 Depth=2
	s_waitcnt lgkmcnt(0)
	v_ashrrev_i32_e32 v2, 31, v5
	v_or_b32_e32 v6, 0x80000000, v2
	v_xor_b32_e32 v6, v6, v5
	v_xor_b32_e32 v2, v2, v4
	v_cmp_o_f64_e32 vcc, v[4:5], v[4:5]
	v_cndmask_b32_e32 v6, -1, v6, vcc
	v_cndmask_b32_e32 v2, -1, v2, vcc
	v_and_b32_e32 v7, s79, v6
	v_and_b32_e32 v6, s78, v2
	v_cmp_eq_u64_e32 vcc, s[54:55], v[6:7]
	s_and_b64 exec, exec, vcc
	s_cbranch_execz .LBB46_227
; %bb.232:                              ;   in Loop: Header=BB46_228 Depth=2
	v_mov_b32_e32 v2, v19
	ds_write_b128 v19, v[2:5] offset:3072
	s_branch .LBB46_227
.LBB46_233:                             ;   in Loop: Header=BB46_34 Depth=1
	s_or_b64 exec, exec, s[8:9]
	s_and_b64 s[2:3], s[2:3], exec
.LBB46_234:                             ;   in Loop: Header=BB46_34 Depth=1
	s_or_b64 exec, exec, s[0:1]
	s_mov_b64 s[38:39], -1
	s_mov_b64 s[0:1], 0
	s_mov_b64 s[36:37], 0
.LBB46_235:                             ;   in Loop: Header=BB46_34 Depth=1
	s_mov_b64 s[6:7], 0
                                        ; implicit-def: $sgpr46
	s_and_saveexec_b64 s[40:41], s[2:3]
	s_cbranch_execz .LBB46_297
; %bb.236:                              ;   in Loop: Header=BB46_34 Depth=1
	s_xor_b64 s[2:3], s[42:43], -1
	s_andn2_b64 vcc, exec, s[2:3]
	s_mov_b32 s46, 1
	s_cbranch_vccnz .LBB46_247
; %bb.237:                              ;   in Loop: Header=BB46_34 Depth=1
	s_waitcnt vmcnt(0)
	v_pk_mov_b32 v[4:5], s[20:21], s[20:21] op_sel:[0,1]
	v_cmp_gt_i64_e32 vcc, s[58:59], v[4:5]
	s_mov_b64 s[2:3], -1
                                        ; implicit-def: $sgpr46
                                        ; implicit-def: $sgpr6_sgpr7
                                        ; implicit-def: $sgpr8_sgpr9
	s_cbranch_vccnz .LBB46_243
; %bb.238:                              ;   in Loop: Header=BB46_34 Depth=1
	ds_read_b64 v[4:5], v19 offset:5120
	s_waitcnt lgkmcnt(0)
	v_cmp_ne_u64_e32 vcc, 0, v[4:5]
	s_cbranch_vccnz .LBB46_242
; %bb.239:                              ;   in Loop: Header=BB46_34 Depth=1
	s_mov_b64 s[2:3], exec
	v_readlane_b32 s6, v66, 32
	v_readlane_b32 s7, v66, 33
	s_and_b64 s[6:7], s[2:3], s[6:7]
	s_mov_b64 exec, s[6:7]
	s_cbranch_execz .LBB46_241
; %bb.240:                              ;   in Loop: Header=BB46_34 Depth=1
	v_pk_mov_b32 v[4:5], s[20:21], s[20:21] op_sel:[0,1]
	ds_write_b64 v19, v[4:5] offset:5128
.LBB46_241:                             ;   in Loop: Header=BB46_34 Depth=1
	s_or_b64 exec, exec, s[2:3]
	s_waitcnt lgkmcnt(0)
	s_barrier
.LBB46_242:                             ;   in Loop: Header=BB46_34 Depth=1
	s_lshl_b64 s[2:3], 2, s28
	s_and_b64 s[6:7], s[54:55], s[22:23]
	s_or_b64 s[6:7], s[6:7], s[2:3]
	s_or_b64 s[8:9], s[78:79], s[14:15]
	s_mov_b64 s[2:3], 0
	s_mov_b32 s46, 8
.LBB46_243:                             ;   in Loop: Header=BB46_34 Depth=1
	s_andn2_b64 vcc, exec, s[2:3]
	s_cbranch_vccnz .LBB46_245
; %bb.244:                              ;   in Loop: Header=BB46_34 Depth=1
	s_sub_u32 s58, s58, s20
	s_subb_u32 s59, s59, s21
	s_mov_b64 s[2:3], -1
	s_mov_b32 s46, 0
	s_mov_b64 s[6:7], s[54:55]
	s_mov_b64 s[8:9], s[78:79]
.LBB46_245:                             ;   in Loop: Header=BB46_34 Depth=1
	s_mov_b64 s[78:79], s[8:9]
	s_mov_b64 s[54:55], s[6:7]
	s_andn2_b64 vcc, exec, s[2:3]
	s_mov_b64 s[42:43], -1
	s_cbranch_vccz .LBB46_248
.LBB46_246:                             ;   in Loop: Header=BB46_34 Depth=1
                                        ; implicit-def: $sgpr2_sgpr3
                                        ; implicit-def: $sgpr8_sgpr9
                                        ; implicit-def: $sgpr6_sgpr7
	s_branch .LBB46_296
.LBB46_247:                             ;   in Loop: Header=BB46_34 Depth=1
	s_mov_b64 s[58:59], 1
	s_mov_b64 s[42:43], -1
	s_cbranch_execnz .LBB46_246
.LBB46_248:                             ;   in Loop: Header=BB46_34 Depth=1
	s_cmp_eq_u64 s[12:13], 1
	s_cselect_b64 s[2:3], -1, 0
	s_cmp_eq_u64 s[58:59], 1
	s_cselect_b64 s[6:7], -1, 0
	s_and_b64 s[20:21], s[2:3], s[6:7]
	s_mov_b64 s[28:29], -1
	s_and_b64 vcc, exec, s[20:21]
	s_cbranch_vccz .LBB46_263
; %bb.249:                              ;   in Loop: Header=BB46_34 Depth=1
	s_waitcnt vmcnt(0)
	ds_read_b64 v[4:5], v19 offset:5120
	s_waitcnt lgkmcnt(0)
	s_barrier
	v_readfirstlane_b32 s22, v4
	v_readfirstlane_b32 s23, v5
	s_mov_b64 s[2:3], exec
	v_readlane_b32 s6, v66, 36
	v_readlane_b32 s7, v66, 37
	s_and_b64 s[6:7], s[2:3], s[6:7]
	s_mov_b64 exec, s[6:7]
	s_cbranch_execz .LBB46_251
; %bb.250:                              ;   in Loop: Header=BB46_34 Depth=1
	v_mov_b32_e32 v18, v19
	ds_write_b64 v42, v[18:19]
.LBB46_251:                             ;   in Loop: Header=BB46_34 Depth=1
	s_or_b64 exec, exec, s[2:3]
	v_cmp_gt_i64_e64 s[2:3], s[22:23], 0
	s_or_b64 s[54:55], s[54:55], s[14:15]
	s_or_b64 s[78:79], s[78:79], s[14:15]
	s_and_b64 vcc, exec, s[2:3]
	s_waitcnt lgkmcnt(0)
	s_barrier
	s_cbranch_vccnz .LBB46_266
; %bb.252:                              ;   in Loop: Header=BB46_34 Depth=1
	s_mov_b32 s72, s95
	s_cmp_lg_u64 s[72:73], 0
	s_cbranch_scc0 .LBB46_302
; %bb.253:                              ;   in Loop: Header=BB46_34 Depth=1
	v_cvt_f32_u32_e32 v2, s33
	s_sub_u32 s2, 0, s33
	s_subb_u32 s3, 0, 0
	v_mac_f32_e32 v2, 0x4f800000, v49
	v_rcp_f32_e32 v2, v2
	v_mul_f32_e32 v2, 0x5f7ffffc, v2
	v_mul_f32_e32 v4, 0x2f800000, v2
	v_trunc_f32_e32 v4, v4
	v_mac_f32_e32 v2, 0xcf800000, v4
	v_cvt_u32_f32_e32 v4, v4
	v_cvt_u32_f32_e32 v2, v2
	v_readfirstlane_b32 s6, v4
	v_readfirstlane_b32 s7, v2
	s_mul_i32 s8, s2, s6
	s_mul_hi_u32 s28, s2, s7
	s_mul_i32 s9, s3, s7
	s_add_i32 s8, s28, s8
	s_mul_i32 s29, s2, s7
	s_add_i32 s8, s8, s9
	s_mul_hi_u32 s28, s7, s29
	s_mul_hi_u32 s9, s7, s8
	s_mul_i32 s7, s7, s8
	s_add_u32 s7, s28, s7
	s_addc_u32 s9, 0, s9
	s_mul_hi_u32 s42, s6, s29
	s_mul_i32 s29, s6, s29
	s_add_u32 s7, s7, s29
	s_mul_hi_u32 s28, s6, s8
	s_addc_u32 s7, s9, s42
	s_addc_u32 s9, s28, 0
	s_mul_i32 s8, s6, s8
	s_add_u32 s7, s7, s8
	s_addc_u32 s8, 0, s9
	v_add_co_u32_e32 v2, vcc, s7, v2
	s_cmp_lg_u64 vcc, 0
	s_addc_u32 s6, s6, s8
	v_readfirstlane_b32 s8, v2
	s_mul_i32 s7, s2, s6
	s_mul_hi_u32 s9, s2, s8
	s_add_i32 s7, s9, s7
	s_mul_i32 s3, s3, s8
	s_add_i32 s7, s7, s3
	s_mul_i32 s2, s2, s8
	s_mul_hi_u32 s9, s6, s2
	s_mul_i32 s28, s6, s2
	s_mul_i32 s42, s8, s7
	s_mul_hi_u32 s2, s8, s2
	s_mul_hi_u32 s29, s8, s7
	s_add_u32 s2, s2, s42
	s_addc_u32 s8, 0, s29
	s_add_u32 s2, s2, s28
	s_mul_hi_u32 s3, s6, s7
	s_addc_u32 s2, s8, s9
	s_addc_u32 s3, s3, 0
	s_mul_i32 s7, s6, s7
	s_add_u32 s2, s2, s7
	s_addc_u32 s3, 0, s3
	v_add_co_u32_e32 v2, vcc, s2, v2
	s_cmp_lg_u64 vcc, 0
	s_addc_u32 s8, s6, s3
	s_ashr_i32 s2, s73, 31
	s_add_u32 s6, s75, s2
	s_mov_b32 s3, s2
	s_addc_u32 s7, s73, s2
	s_xor_b64 s[6:7], s[6:7], s[2:3]
	v_readfirstlane_b32 s28, v2
	s_mul_i32 s9, s6, s8
	s_mul_hi_u32 s29, s6, s28
	s_mul_hi_u32 s3, s6, s8
	s_add_u32 s9, s29, s9
	s_addc_u32 s3, 0, s3
	s_mul_hi_u32 s42, s7, s28
	s_mul_i32 s28, s7, s28
	s_add_u32 s9, s9, s28
	s_mul_hi_u32 s29, s7, s8
	s_addc_u32 s3, s3, s42
	s_addc_u32 s9, s29, 0
	s_mul_i32 s8, s7, s8
	s_add_u32 s3, s3, s8
	s_addc_u32 s8, 0, s9
	s_mul_hi_u32 s9, s33, s3
	s_mul_i32 s3, s33, s3
	s_mul_i32 s8, s33, s8
	v_mov_b32_e32 v2, s3
	s_add_i32 s9, s9, s8
	v_sub_co_u32_e32 v2, vcc, s6, v2
	s_cmp_lg_u64 vcc, 0
	s_subb_u32 s3, s7, s9
	v_subrev_co_u32_e32 v4, vcc, s33, v2
	s_cmp_lg_u64 vcc, 0
	s_subb_u32 s6, s3, 0
	v_subrev_co_u32_e32 v5, vcc, s33, v4
	s_cmp_lg_u64 vcc, 0
	s_subb_u32 s7, s6, 0
	v_cmp_le_u32_e32 vcc, s33, v4
	s_cmp_eq_u32 s6, 0
	v_cndmask_b32_e64 v6, 0, -1, vcc
	s_cselect_b64 vcc, -1, 0
	v_cndmask_b32_e32 v6, -1, v6, vcc
	v_mov_b32_e32 v7, s6
	v_mov_b32_e32 v8, s7
	v_cmp_ne_u32_e32 vcc, 0, v6
	v_cndmask_b32_e32 v6, v7, v8, vcc
	v_cndmask_b32_e32 v4, v4, v5, vcc
	v_cmp_le_u32_e32 vcc, s33, v2
	s_cmp_eq_u32 s3, 0
	v_cndmask_b32_e64 v5, 0, -1, vcc
	s_cselect_b64 vcc, -1, 0
	v_cndmask_b32_e32 v5, -1, v5, vcc
	v_cmp_ne_u32_e32 vcc, 0, v5
	v_mov_b32_e32 v7, s3
	v_cndmask_b32_e32 v2, v2, v4, vcc
	v_cndmask_b32_e32 v5, v7, v6, vcc
	v_xor_b32_e32 v2, s2, v2
	v_xor_b32_e32 v5, s2, v5
	v_mov_b32_e32 v6, s2
	v_subrev_co_u32_e32 v4, vcc, s2, v2
	v_subb_co_u32_e32 v5, vcc, v5, v6, vcc
	s_cbranch_execnz .LBB46_255
.LBB46_254:                             ;   in Loop: Header=BB46_34 Depth=1
	v_cvt_f32_u32_e32 v2, s33
	s_sub_i32 s2, 0, s33
	v_rcp_iflag_f32_e32 v2, v2
	v_mul_f32_e32 v2, 0x4f7ffffe, v2
	v_cvt_u32_f32_e32 v2, v2
	v_mul_lo_u32 v4, s2, v2
	v_mul_hi_u32 v4, v2, v4
	v_add_u32_e32 v2, v2, v4
	s_mov_b32 s2, s75
	v_mul_hi_u32 v2, s2, v2
	v_mul_lo_u32 v2, v2, s33
	v_sub_u32_e32 v2, s2, v2
	v_subrev_u32_e32 v4, s33, v2
	v_cmp_le_u32_e32 vcc, s33, v2
	v_cndmask_b32_e32 v2, v2, v4, vcc
	v_subrev_u32_e32 v4, s33, v2
	v_cmp_le_u32_e32 vcc, s33, v2
	v_cndmask_b32_e32 v18, v2, v4, vcc
	v_pk_mov_b32 v[4:5], v[18:19], v[18:19] op_sel:[0,1]
.LBB46_255:                             ;   in Loop: Header=BB46_34 Depth=1
	v_mov_b32_e32 v2, s73
	v_sub_co_u32_e32 v8, vcc, s75, v4
	v_subb_co_u32_e32 v9, vcc, v2, v5, vcc
	v_cmp_gt_i64_e32 vcc, v[8:9], v[0:1]
	s_mov_b64 s[28:29], 0
                                        ; implicit-def: $vgpr6_vgpr7
	s_and_saveexec_b64 s[2:3], vcc
	s_cbranch_execz .LBB46_268
; %bb.256:                              ;   in Loop: Header=BB46_34 Depth=1
	v_pk_mov_b32 v[10:11], v[16:17], v[16:17] op_sel:[0,1]
	v_pk_mov_b32 v[12:13], v[0:1], v[0:1] op_sel:[0,1]
                                        ; implicit-def: $sgpr8_sgpr9
	s_branch .LBB46_258
.LBB46_257:                             ;   in Loop: Header=BB46_258 Depth=2
	s_or_b64 exec, exec, s[6:7]
	s_waitcnt lgkmcnt(0)
	s_barrier
	s_waitcnt vmcnt(0)
	ds_read_b128 v[4:7], v19 offset:3072
	v_mov_b32_e32 v2, s90
	v_add_co_u32_e64 v12, s[6:7], s33, v12
	v_addc_co_u32_e64 v13, s[6:7], v13, v2, s[6:7]
	s_waitcnt lgkmcnt(0)
	v_cmp_neq_f64_e32 vcc, 0, v[4:5]
	v_cmp_ge_i64_e64 s[6:7], v[12:13], v[8:9]
	s_or_b64 s[42:43], vcc, s[6:7]
	v_mov_b32_e32 v2, s89
	v_add_co_u32_e64 v10, s[6:7], s88, v10
	v_addc_co_u32_e64 v11, s[6:7], v11, v2, s[6:7]
	s_and_b64 s[6:7], exec, s[42:43]
	s_or_b64 s[28:29], s[6:7], s[28:29]
	s_andn2_b64 s[6:7], s[8:9], exec
	s_and_b64 s[8:9], vcc, exec
	s_or_b64 s[8:9], s[6:7], s[8:9]
	s_barrier
	s_andn2_b64 exec, exec, s[28:29]
	s_cbranch_execz .LBB46_267
.LBB46_258:                             ;   Parent Loop BB46_34 Depth=1
                                        ; =>  This Inner Loop Header: Depth=2
	v_cmp_gt_i64_e32 vcc, s[56:57], v[12:13]
	v_pk_mov_b32 v[4:5], 0, 0
	s_and_saveexec_b64 s[6:7], vcc
	s_cbranch_execz .LBB46_260
; %bb.259:                              ;   in Loop: Header=BB46_258 Depth=2
	global_load_dwordx2 v[4:5], v[10:11], off
.LBB46_260:                             ;   in Loop: Header=BB46_258 Depth=2
	s_or_b64 exec, exec, s[6:7]
	s_and_saveexec_b64 s[6:7], vcc
	s_cbranch_execz .LBB46_257
; %bb.261:                              ;   in Loop: Header=BB46_258 Depth=2
	s_waitcnt vmcnt(0)
	v_ashrrev_i32_e32 v2, 31, v5
	v_or_b32_e32 v6, 0x80000000, v2
	v_xor_b32_e32 v6, v6, v5
	v_xor_b32_e32 v2, v2, v4
	v_cmp_o_f64_e32 vcc, v[4:5], v[4:5]
	v_cndmask_b32_e32 v6, -1, v6, vcc
	v_cndmask_b32_e32 v2, -1, v2, vcc
	v_and_b32_e32 v7, s79, v6
	v_and_b32_e32 v6, s78, v2
	v_cmp_eq_u64_e32 vcc, s[54:55], v[6:7]
	s_and_b64 exec, exec, vcc
	s_cbranch_execz .LBB46_257
; %bb.262:                              ;   in Loop: Header=BB46_258 Depth=2
	v_mov_b32_e32 v2, v19
	ds_write_b128 v19, v[2:5] offset:3072
	s_branch .LBB46_257
.LBB46_263:                             ;   in Loop: Header=BB46_34 Depth=1
                                        ; implicit-def: $sgpr2_sgpr3
                                        ; implicit-def: $sgpr8_sgpr9
                                        ; implicit-def: $sgpr6_sgpr7
	s_branch .LBB46_282
.LBB46_264:                             ;   in Loop: Header=BB46_34 Depth=1
                                        ; implicit-def: $vgpr4_vgpr5
	s_branch .LBB46_207
.LBB46_265:                             ;   in Loop: Header=BB46_34 Depth=1
                                        ; implicit-def: $vgpr4_vgpr5
	s_branch .LBB46_224
.LBB46_266:                             ;   in Loop: Header=BB46_34 Depth=1
	s_mov_b64 s[2:3], -1
	s_mov_b64 s[28:29], 0
                                        ; implicit-def: $sgpr6_sgpr7
                                        ; implicit-def: $vgpr6_vgpr7
	s_mov_b64 s[8:9], s[2:3]
	s_cbranch_execnz .LBB46_269
	s_branch .LBB46_282
.LBB46_267:                             ;   in Loop: Header=BB46_34 Depth=1
	s_or_b64 exec, exec, s[28:29]
	s_and_b64 s[28:29], s[8:9], exec
.LBB46_268:                             ;   in Loop: Header=BB46_34 Depth=1
	s_or_b64 exec, exec, s[2:3]
	s_mov_b64 s[6:7], -1
	s_mov_b64 s[2:3], 0
	s_mov_b64 s[8:9], s[2:3]
	s_branch .LBB46_282
.LBB46_269:                             ;   in Loop: Header=BB46_34 Depth=1
	v_readlane_b32 s2, v66, 48
	s_add_u32 s8, s2, s22
	v_readlane_b32 s2, v66, 49
	s_addc_u32 s3, s2, s23
	s_mov_b32 s2, s95
	s_cmp_lg_u64 s[2:3], 0
	s_cbranch_scc0 .LBB46_303
; %bb.270:                              ;   in Loop: Header=BB46_34 Depth=1
	v_cvt_f32_u32_e32 v2, s33
	s_sub_u32 s2, 0, s33
	s_subb_u32 s6, 0, 0
	v_mac_f32_e32 v2, 0x4f800000, v49
	v_rcp_f32_e32 v2, v2
	v_mul_f32_e32 v2, 0x5f7ffffc, v2
	v_mul_f32_e32 v4, 0x2f800000, v2
	v_trunc_f32_e32 v4, v4
	v_mac_f32_e32 v2, 0xcf800000, v4
	v_cvt_u32_f32_e32 v4, v4
	v_cvt_u32_f32_e32 v2, v2
	v_readfirstlane_b32 s7, v4
	v_readfirstlane_b32 s9, v2
	s_mul_i32 s28, s2, s7
	s_mul_hi_u32 s42, s2, s9
	s_mul_i32 s29, s6, s9
	s_add_i32 s28, s42, s28
	s_mul_i32 s43, s2, s9
	s_add_i32 s28, s28, s29
	s_mul_hi_u32 s42, s9, s43
	s_mul_hi_u32 s29, s9, s28
	s_mul_i32 s9, s9, s28
	s_add_u32 s9, s42, s9
	s_addc_u32 s29, 0, s29
	s_mul_hi_u32 s44, s7, s43
	s_mul_i32 s43, s7, s43
	s_add_u32 s9, s9, s43
	s_mul_hi_u32 s42, s7, s28
	s_addc_u32 s9, s29, s44
	s_addc_u32 s29, s42, 0
	s_mul_i32 s28, s7, s28
	s_add_u32 s9, s9, s28
	s_addc_u32 s28, 0, s29
	v_add_co_u32_e32 v2, vcc, s9, v2
	s_cmp_lg_u64 vcc, 0
	s_addc_u32 s7, s7, s28
	v_readfirstlane_b32 s28, v2
	s_mul_i32 s9, s2, s7
	s_mul_hi_u32 s29, s2, s28
	s_add_i32 s9, s29, s9
	s_mul_i32 s6, s6, s28
	s_add_i32 s9, s9, s6
	s_mul_i32 s2, s2, s28
	s_mul_hi_u32 s29, s7, s2
	s_mul_i32 s42, s7, s2
	s_mul_i32 s44, s28, s9
	s_mul_hi_u32 s2, s28, s2
	s_mul_hi_u32 s43, s28, s9
	s_add_u32 s2, s2, s44
	s_addc_u32 s28, 0, s43
	s_add_u32 s2, s2, s42
	s_mul_hi_u32 s6, s7, s9
	s_addc_u32 s2, s28, s29
	s_addc_u32 s6, s6, 0
	s_mul_i32 s9, s7, s9
	s_add_u32 s2, s2, s9
	s_addc_u32 s6, 0, s6
	v_add_co_u32_e32 v2, vcc, s2, v2
	s_cmp_lg_u64 vcc, 0
	s_addc_u32 s2, s7, s6
	s_ashr_i32 s6, s3, 31
	s_add_u32 s28, s8, s6
	s_mov_b32 s7, s6
	s_addc_u32 s29, s3, s6
	s_xor_b64 s[28:29], s[28:29], s[6:7]
	v_readfirstlane_b32 s42, v2
	s_mul_i32 s9, s28, s2
	s_mul_hi_u32 s43, s28, s42
	s_mul_hi_u32 s7, s28, s2
	s_add_u32 s9, s43, s9
	s_addc_u32 s7, 0, s7
	s_mul_hi_u32 s44, s29, s42
	s_mul_i32 s42, s29, s42
	s_add_u32 s9, s9, s42
	s_mul_hi_u32 s43, s29, s2
	s_addc_u32 s7, s7, s44
	s_addc_u32 s9, s43, 0
	s_mul_i32 s2, s29, s2
	s_add_u32 s2, s7, s2
	s_addc_u32 s7, 0, s9
	s_mul_hi_u32 s9, s33, s2
	s_mul_i32 s2, s33, s2
	s_mul_i32 s7, s33, s7
	v_mov_b32_e32 v2, s2
	s_add_i32 s9, s9, s7
	v_sub_co_u32_e32 v2, vcc, s28, v2
	s_cmp_lg_u64 vcc, 0
	s_subb_u32 s2, s29, s9
	v_subrev_co_u32_e32 v4, vcc, s33, v2
	s_cmp_lg_u64 vcc, 0
	s_subb_u32 s7, s2, 0
	v_subrev_co_u32_e32 v5, vcc, s33, v4
	s_cmp_lg_u64 vcc, 0
	s_subb_u32 s9, s7, 0
	v_cmp_le_u32_e32 vcc, s33, v4
	s_cmp_eq_u32 s7, 0
	v_cndmask_b32_e64 v6, 0, -1, vcc
	s_cselect_b64 vcc, -1, 0
	v_cndmask_b32_e32 v6, -1, v6, vcc
	v_mov_b32_e32 v7, s7
	v_mov_b32_e32 v8, s9
	v_cmp_ne_u32_e32 vcc, 0, v6
	v_cndmask_b32_e32 v6, v7, v8, vcc
	v_cndmask_b32_e32 v4, v4, v5, vcc
	v_cmp_le_u32_e32 vcc, s33, v2
	s_cmp_eq_u32 s2, 0
	v_cndmask_b32_e64 v5, 0, -1, vcc
	s_cselect_b64 vcc, -1, 0
	v_cndmask_b32_e32 v5, -1, v5, vcc
	v_cmp_ne_u32_e32 vcc, 0, v5
	v_mov_b32_e32 v7, s2
	v_cndmask_b32_e32 v2, v2, v4, vcc
	v_cndmask_b32_e32 v5, v7, v6, vcc
	v_xor_b32_e32 v2, s6, v2
	v_xor_b32_e32 v5, s6, v5
	v_mov_b32_e32 v6, s6
	v_subrev_co_u32_e32 v4, vcc, s6, v2
	v_subb_co_u32_e32 v5, vcc, v5, v6, vcc
	s_cbranch_execnz .LBB46_272
.LBB46_271:                             ;   in Loop: Header=BB46_34 Depth=1
	v_cvt_f32_u32_e32 v2, s33
	s_sub_i32 s2, 0, s33
	v_rcp_iflag_f32_e32 v2, v2
	v_mul_f32_e32 v2, 0x4f7ffffe, v2
	v_cvt_u32_f32_e32 v2, v2
	v_mul_lo_u32 v4, s2, v2
	v_mul_hi_u32 v4, v2, v4
	v_add_u32_e32 v2, v2, v4
	v_mul_hi_u32 v2, s8, v2
	v_mul_lo_u32 v2, v2, s33
	v_sub_u32_e32 v2, s8, v2
	v_subrev_u32_e32 v4, s33, v2
	v_cmp_le_u32_e32 vcc, s33, v2
	v_cndmask_b32_e32 v2, v2, v4, vcc
	v_subrev_u32_e32 v4, s33, v2
	v_cmp_le_u32_e32 vcc, s33, v2
	v_cndmask_b32_e32 v18, v2, v4, vcc
	v_pk_mov_b32 v[4:5], v[18:19], v[18:19] op_sel:[0,1]
.LBB46_272:                             ;   in Loop: Header=BB46_34 Depth=1
	v_mov_b32_e32 v2, s3
	v_sub_co_u32_e32 v8, vcc, s8, v4
	v_subb_co_u32_e32 v9, vcc, v2, v5, vcc
	v_cmp_gt_i64_e32 vcc, v[8:9], v[0:1]
	s_mov_b64 s[28:29], 0
                                        ; implicit-def: $vgpr6_vgpr7
	s_and_saveexec_b64 s[2:3], vcc
	s_cbranch_execz .LBB46_281
; %bb.273:                              ;   in Loop: Header=BB46_34 Depth=1
	v_mov_b32_e32 v12, v41
	v_pk_mov_b32 v[10:11], v[0:1], v[0:1] op_sel:[0,1]
                                        ; implicit-def: $sgpr8_sgpr9
	s_branch .LBB46_275
.LBB46_274:                             ;   in Loop: Header=BB46_275 Depth=2
	s_or_b64 exec, exec, s[6:7]
	s_waitcnt lgkmcnt(0)
	s_barrier
	ds_read_b128 v[4:7], v19 offset:3072
	v_mov_b32_e32 v2, s90
	v_add_co_u32_e64 v10, s[6:7], s33, v10
	v_addc_co_u32_e64 v11, s[6:7], v11, v2, s[6:7]
	s_waitcnt lgkmcnt(0)
	v_cmp_neq_f64_e32 vcc, 0, v[4:5]
	v_cmp_ge_i64_e64 s[6:7], v[10:11], v[8:9]
	s_or_b64 s[6:7], vcc, s[6:7]
	s_and_b64 s[6:7], exec, s[6:7]
	s_or_b64 s[28:29], s[6:7], s[28:29]
	s_andn2_b64 s[6:7], s[8:9], exec
	s_and_b64 s[8:9], vcc, exec
	v_add_u32_e32 v12, s86, v12
	s_or_b64 s[8:9], s[6:7], s[8:9]
	s_barrier
	s_andn2_b64 exec, exec, s[28:29]
	s_cbranch_execz .LBB46_280
.LBB46_275:                             ;   Parent Loop BB46_34 Depth=1
                                        ; =>  This Inner Loop Header: Depth=2
	v_cmp_gt_i64_e32 vcc, s[22:23], v[10:11]
	v_pk_mov_b32 v[4:5], 0, 0
	s_and_saveexec_b64 s[6:7], vcc
	s_cbranch_execz .LBB46_277
; %bb.276:                              ;   in Loop: Header=BB46_275 Depth=2
	ds_read_b64 v[4:5], v12
.LBB46_277:                             ;   in Loop: Header=BB46_275 Depth=2
	s_or_b64 exec, exec, s[6:7]
	s_and_saveexec_b64 s[6:7], vcc
	s_cbranch_execz .LBB46_274
; %bb.278:                              ;   in Loop: Header=BB46_275 Depth=2
	s_waitcnt lgkmcnt(0)
	v_ashrrev_i32_e32 v2, 31, v5
	v_or_b32_e32 v6, 0x80000000, v2
	v_xor_b32_e32 v6, v6, v5
	v_xor_b32_e32 v2, v2, v4
	v_cmp_o_f64_e32 vcc, v[4:5], v[4:5]
	v_cndmask_b32_e32 v6, -1, v6, vcc
	v_cndmask_b32_e32 v2, -1, v2, vcc
	v_and_b32_e32 v7, s79, v6
	v_and_b32_e32 v6, s78, v2
	v_cmp_eq_u64_e32 vcc, s[54:55], v[6:7]
	s_and_b64 exec, exec, vcc
	s_cbranch_execz .LBB46_274
; %bb.279:                              ;   in Loop: Header=BB46_275 Depth=2
	v_mov_b32_e32 v2, v19
	ds_write_b128 v19, v[2:5] offset:3072
	s_branch .LBB46_274
.LBB46_280:                             ;   in Loop: Header=BB46_34 Depth=1
	s_or_b64 exec, exec, s[28:29]
	s_and_b64 s[28:29], s[8:9], exec
.LBB46_281:                             ;   in Loop: Header=BB46_34 Depth=1
	s_or_b64 exec, exec, s[2:3]
	s_mov_b64 s[8:9], -1
	s_mov_b64 s[2:3], 0
	s_mov_b64 s[6:7], 0
.LBB46_282:                             ;   in Loop: Header=BB46_34 Depth=1
	s_mov_b64 s[42:43], 0
                                        ; implicit-def: $sgpr46
                                        ; implicit-def: $sgpr44_sgpr45
	s_and_saveexec_b64 s[22:23], s[28:29]
	s_cbranch_execz .LBB46_295
; %bb.283:                              ;   in Loop: Header=BB46_34 Depth=1
	s_xor_b64 s[20:21], s[20:21], -1
	s_mov_b64 s[44:45], 1
	s_andn2_b64 vcc, exec, s[20:21]
	s_mov_b32 s46, 1
	s_cbranch_vccnz .LBB46_294
; %bb.284:                              ;   in Loop: Header=BB46_34 Depth=1
	s_waitcnt vmcnt(0)
	v_pk_mov_b32 v[4:5], s[12:13], s[12:13] op_sel:[0,1]
	v_cmp_gt_i64_e32 vcc, s[58:59], v[4:5]
	s_cbranch_vccnz .LBB46_290
; %bb.285:                              ;   in Loop: Header=BB46_34 Depth=1
	ds_read_b64 v[4:5], v19 offset:5120
	s_waitcnt lgkmcnt(0)
	v_cmp_ne_u64_e32 vcc, 0, v[4:5]
	s_cbranch_vccnz .LBB46_289
; %bb.286:                              ;   in Loop: Header=BB46_34 Depth=1
	s_mov_b64 s[20:21], exec
	v_readlane_b32 s28, v66, 32
	v_readlane_b32 s29, v66, 33
	s_and_b64 s[28:29], s[20:21], s[28:29]
	s_mov_b64 exec, s[28:29]
	s_cbranch_execz .LBB46_288
; %bb.287:                              ;   in Loop: Header=BB46_34 Depth=1
	v_pk_mov_b32 v[4:5], s[12:13], s[12:13] op_sel:[0,1]
	ds_write_b64 v19, v[4:5] offset:5128
.LBB46_288:                             ;   in Loop: Header=BB46_34 Depth=1
	s_or_b64 exec, exec, s[20:21]
	s_waitcnt lgkmcnt(0)
	s_barrier
.LBB46_289:                             ;   in Loop: Header=BB46_34 Depth=1
	s_or_b64 s[20:21], s[54:55], s[14:15]
	s_or_b64 s[14:15], s[78:79], s[14:15]
	s_mov_b64 s[28:29], 0
	s_mov_b32 s46, 8
	s_branch .LBB46_291
.LBB46_290:                             ;   in Loop: Header=BB46_34 Depth=1
	s_mov_b64 s[28:29], -1
                                        ; implicit-def: $sgpr46
                                        ; implicit-def: $sgpr20_sgpr21
                                        ; implicit-def: $sgpr14_sgpr15
.LBB46_291:                             ;   in Loop: Header=BB46_34 Depth=1
	s_andn2_b64 vcc, exec, s[28:29]
	s_cbranch_vccnz .LBB46_293
; %bb.292:                              ;   in Loop: Header=BB46_34 Depth=1
	s_sub_u32 s58, s58, s12
	s_subb_u32 s59, s59, s13
	s_mov_b32 s46, 8
	s_mov_b64 s[20:21], s[54:55]
	s_mov_b64 s[14:15], s[78:79]
.LBB46_293:                             ;   in Loop: Header=BB46_34 Depth=1
	s_mov_b64 s[44:45], s[58:59]
	s_mov_b64 s[54:55], s[20:21]
	s_mov_b64 s[78:79], s[14:15]
.LBB46_294:                             ;   in Loop: Header=BB46_34 Depth=1
	s_mov_b64 s[42:43], exec
.LBB46_295:                             ;   in Loop: Header=BB46_34 Depth=1
	s_or_b64 exec, exec, s[22:23]
	s_mov_b64 s[58:59], s[44:45]
.LBB46_296:                             ;   in Loop: Header=BB46_34 Depth=1
	s_andn2_b64 s[0:1], s[0:1], exec
	s_and_b64 s[2:3], s[2:3], exec
	s_or_b64 s[0:1], s[0:1], s[2:3]
	s_andn2_b64 s[2:3], s[38:39], exec
	s_and_b64 s[8:9], s[8:9], exec
	s_or_b64 s[38:39], s[2:3], s[8:9]
	;; [unrolled: 3-line block ×3, first 2 shown]
	s_and_b64 s[6:7], s[42:43], exec
.LBB46_297:                             ;   in Loop: Header=BB46_34 Depth=1
	s_or_b64 exec, exec, s[40:41]
.LBB46_298:                             ;   in Loop: Header=BB46_34 Depth=1
	s_andn2_b64 s[2:3], s[26:27], exec
	s_and_b64 s[0:1], s[0:1], exec
	s_or_b64 s[26:27], s[2:3], s[0:1]
	s_andn2_b64 s[0:1], s[30:31], exec
	s_and_b64 s[2:3], s[38:39], exec
	s_or_b64 s[30:31], s[0:1], s[2:3]
	;; [unrolled: 3-line block ×3, first 2 shown]
	s_and_b64 s[6:7], s[6:7], exec
.LBB46_299:                             ;   in Loop: Header=BB46_34 Depth=1
	s_or_b64 exec, exec, s[34:35]
	s_and_saveexec_b64 s[0:1], s[6:7]
	s_xor_b64 s[0:1], exec, s[0:1]
	s_cbranch_execz .LBB46_32
.LBB46_300:                             ;   in Loop: Header=BB46_34 Depth=1
	s_and_b32 s2, s46, -9
	s_cmp_eq_u32 s2, 0
	s_cbranch_scc1 .LBB46_30
; %bb.301:                              ;   in Loop: Header=BB46_34 Depth=1
	s_mov_b64 s[2:3], -1
                                        ; implicit-def: $sgpr78_sgpr79
                                        ; implicit-def: $sgpr87
                                        ; implicit-def: $sgpr74
	s_mov_b64 s[6:7], -1
	s_branch .LBB46_31
.LBB46_302:                             ;   in Loop: Header=BB46_34 Depth=1
                                        ; implicit-def: $vgpr4_vgpr5
	s_branch .LBB46_254
.LBB46_303:                             ;   in Loop: Header=BB46_34 Depth=1
                                        ; implicit-def: $vgpr4_vgpr5
	s_branch .LBB46_271
.LBB46_304:
	s_or_b64 exec, exec, s[66:67]
	s_xor_b64 s[4:5], s[60:61], -1
	s_xor_b64 s[0:1], s[68:69], -1
	;; [unrolled: 1-line block ×3, first 2 shown]
	s_mov_b64 s[2:3], 0
	s_and_saveexec_b64 s[8:9], s[0:1]
	s_xor_b64 s[0:1], exec, s[8:9]
	s_cbranch_execnz .LBB46_309
; %bb.305:
	s_andn2_saveexec_b64 s[0:1], s[0:1]
	s_cbranch_execnz .LBB46_331
.LBB46_306:
	s_or_b64 exec, exec, s[0:1]
	s_and_saveexec_b64 s[0:1], s[2:3]
.LBB46_307:
	; divergent unreachable
.LBB46_308:
	s_endpgm
.LBB46_309:
	s_and_saveexec_b64 s[2:3], s[4:5]
	s_xor_b64 s[4:5], exec, s[2:3]
	s_cbranch_execz .LBB46_329
; %bb.310:
	s_and_saveexec_b64 s[2:3], s[6:7]
	s_xor_b64 s[2:3], exec, s[2:3]
; %bb.311:
	v_lshrrev_b32_e32 v2, 31, v5
	v_add_co_u32_e32 v2, vcc, -1, v2
	v_addc_co_u32_e64 v3, s[6:7], 0, -1, vcc
	v_or_b32_e32 v3, 0x80000000, v3
	v_xor_b32_e32 v7, v3, v5
	v_xor_b32_e32 v6, v2, v4
; %bb.312:
	s_or_b64 exec, exec, s[2:3]
	s_mov_b64 s[2:3], exec
	v_readlane_b32 s6, v66, 32
	v_readlane_b32 s7, v66, 33
	s_and_b64 s[6:7], s[2:3], s[6:7]
	v_readlane_b32 s26, v66, 34
	v_readlane_b32 s27, v66, 35
	s_mov_b64 exec, s[6:7]
	s_cbranch_execz .LBB46_314
; %bb.313:
	v_mov_b32_e32 v2, 0
	v_mov_b32_e32 v3, s56
	ds_write_b32 v2, v3 offset:5140
.LBB46_314:
	s_or_b64 exec, exec, s[2:3]
	s_waitcnt lgkmcnt(0)
	s_barrier
	s_mov_b64 s[6:7], exec
	v_readlane_b32 s2, v66, 44
	v_readlane_b32 s3, v66, 45
	s_and_b64 s[2:3], s[6:7], s[2:3]
	s_mov_b64 exec, s[2:3]
	s_cbranch_execz .LBB46_326
; %bb.315:
	v_mov_b32_e32 v2, 0
	ds_read_b32 v4, v2 offset:5140
	v_cmp_u_f64_e32 vcc, v[6:7], v[6:7]
	s_mov_b64 s[8:9], 0
	s_xor_b64 s[10:11], vcc, -1
                                        ; implicit-def: $sgpr12_sgpr13
                                        ; implicit-def: $sgpr14_sgpr15
                                        ; implicit-def: $sgpr16_sgpr17
	s_waitcnt lgkmcnt(0)
	v_ashrrev_i32_e32 v5, 31, v4
	s_branch .LBB46_318
.LBB46_316:                             ;   in Loop: Header=BB46_318 Depth=1
	s_or_b64 exec, exec, s[22:23]
	s_andn2_b64 s[16:17], s[16:17], exec
	s_and_b64 s[2:3], s[2:3], exec
	s_or_b64 s[16:17], s[16:17], s[2:3]
	s_andn2_b64 s[2:3], s[14:15], exec
	s_and_b64 s[14:15], s[20:21], exec
	s_or_b64 s[14:15], s[2:3], s[14:15]
.LBB46_317:                             ;   in Loop: Header=BB46_318 Depth=1
	s_or_b64 exec, exec, s[18:19]
	s_and_b64 s[2:3], exec, s[14:15]
	s_or_b64 s[8:9], s[2:3], s[8:9]
	s_andn2_b64 s[2:3], s[12:13], exec
	s_and_b64 s[12:13], s[16:17], exec
	s_or_b64 s[12:13], s[2:3], s[12:13]
	s_andn2_b64 exec, exec, s[8:9]
	s_cbranch_execz .LBB46_321
.LBB46_318:                             ; =>This Inner Loop Header: Depth=1
	v_pk_mov_b32 v[2:3], v[0:1], v[0:1] op_sel:[0,1]
	v_cmp_lt_i64_e32 vcc, v[2:3], v[4:5]
	s_or_b64 s[16:17], s[16:17], exec
	s_or_b64 s[14:15], s[14:15], exec
                                        ; implicit-def: $vgpr0_vgpr1
	s_and_saveexec_b64 s[18:19], vcc
	s_cbranch_execz .LBB46_317
; %bb.319:                              ;   in Loop: Header=BB46_318 Depth=1
	global_load_dwordx2 v[0:1], v[16:17], off
	s_mov_b64 s[20:21], -1
	s_waitcnt vmcnt(0)
	v_cmp_o_f64_e64 s[2:3], v[0:1], v[0:1]
	v_cmp_neq_f64_e32 vcc, v[0:1], v[6:7]
	s_or_b64 s[2:3], s[2:3], s[10:11]
	s_and_b64 s[24:25], vcc, s[2:3]
	s_mov_b64 s[2:3], 0
                                        ; implicit-def: $vgpr0_vgpr1
	s_and_saveexec_b64 s[22:23], s[24:25]
	s_cbranch_execz .LBB46_316
; %bb.320:                              ;   in Loop: Header=BB46_318 Depth=1
	v_mov_b32_e32 v1, s90
	v_add_co_u32_e32 v0, vcc, s33, v2
	v_addc_co_u32_e32 v1, vcc, v3, v1, vcc
	v_mov_b32_e32 v3, s89
	v_add_co_u32_e32 v16, vcc, s88, v16
	v_addc_co_u32_e32 v17, vcc, v17, v3, vcc
	v_cmp_le_i64_e32 vcc, s[56:57], v[0:1]
	s_mov_b64 s[2:3], exec
	s_orn2_b64 s[20:21], vcc, exec
	s_branch .LBB46_316
.LBB46_321:
	s_or_b64 exec, exec, s[8:9]
	s_xor_b64 s[2:3], s[12:13], -1
	s_and_saveexec_b64 s[8:9], s[2:3]
	s_xor_b64 s[8:9], exec, s[8:9]
	s_cbranch_execz .LBB46_326
; %bb.322:
	s_mov_b64 s[2:3], exec
	s_brev_b32 s8, -2
.LBB46_323:                             ; =>This Inner Loop Header: Depth=1
	s_ff1_i32_b64 s9, s[2:3]
	v_readlane_b32 s12, v2, s9
	s_lshl_b64 s[10:11], 1, s9
	s_min_i32 s8, s8, s12
	s_andn2_b64 s[2:3], s[2:3], s[10:11]
	s_cmp_lg_u64 s[2:3], 0
	s_cbranch_scc1 .LBB46_323
; %bb.324:
	v_mbcnt_lo_u32_b32 v0, exec_lo, 0
	v_mbcnt_hi_u32_b32 v0, exec_hi, v0
	v_cmp_eq_u32_e32 vcc, 0, v0
	s_and_saveexec_b64 s[2:3], vcc
	s_xor_b64 s[2:3], exec, s[2:3]
	s_cbranch_execz .LBB46_326
; %bb.325:
	v_mov_b32_e32 v0, 0
	v_mov_b32_e32 v1, s8
	ds_min_i32 v0, v1 offset:5140
.LBB46_326:
	s_or_b64 exec, exec, s[6:7]
	s_waitcnt lgkmcnt(0)
	s_barrier
	s_mov_b64 s[2:3], exec
	v_readlane_b32 s6, v66, 32
	v_readlane_b32 s7, v66, 33
	s_and_b64 s[6:7], s[2:3], s[6:7]
	s_mov_b64 exec, s[6:7]
	s_cbranch_execz .LBB46_328
; %bb.327:
	v_readlane_b32 s20, v66, 6
	v_readlane_b32 s22, v66, 8
	;; [unrolled: 1-line block ×5, first 2 shown]
	s_mul_i32 s6, s24, s23
	s_mul_hi_u32 s7, s24, s22
	s_add_i32 s6, s7, s6
	s_mul_i32 s7, s25, s22
	s_add_i32 s6, s6, s7
	s_mul_i32 s7, s24, s22
	v_readlane_b32 s10, v66, 14
	s_sub_u32 s8, s26, s7
	v_readlane_b32 s11, v66, 15
	s_subb_u32 s6, 0, s6
	s_mul_i32 s7, s8, s11
	s_mul_hi_u32 s9, s8, s10
	v_readlane_b32 s12, v66, 0
	s_add_i32 s7, s9, s7
	s_mul_i32 s6, s6, s10
	v_readlane_b32 s13, v66, 1
	v_readlane_b32 s18, v66, 10
	s_add_i32 s7, s7, s6
	s_mul_i32 s6, s8, s10
	v_readlane_b32 s19, v66, 11
	s_mul_i32 s8, s18, s13
	s_mul_hi_u32 s9, s18, s12
	s_add_i32 s8, s9, s8
	s_mul_i32 s9, s19, s12
	s_add_i32 s8, s8, s9
	s_mul_i32 s9, s18, s12
	v_readlane_b32 s16, v66, 4
	v_readlane_b32 s28, v66, 22
	;; [unrolled: 1-line block ×3, first 2 shown]
	s_sub_u32 s10, s16, s9
	v_readlane_b32 s30, v66, 24
	v_readlane_b32 s31, v66, 25
	s_subb_u32 s8, s17, s8
	s_mul_i32 s9, s10, s31
	s_mul_hi_u32 s11, s10, s30
	v_readlane_b32 s14, v66, 2
	v_readlane_b32 s15, v66, 3
	;; [unrolled: 1-line block ×3, first 2 shown]
	s_add_i32 s9, s11, s9
	s_mul_i32 s8, s8, s30
	s_add_i32 s9, s9, s8
	s_mul_i32 s8, s10, s30
	s_mul_i32 s10, s18, s29
	s_mul_hi_u32 s11, s18, s28
	s_mul_i32 s12, s16, s15
	s_mul_hi_u32 s13, s16, s14
	s_add_i32 s10, s11, s10
	s_mul_i32 s11, s19, s28
	s_add_i32 s12, s13, s12
	s_mul_i32 s13, s17, s14
	s_add_i32 s11, s10, s11
	s_add_i32 s12, s12, s13
	s_mul_i32 s13, s16, s14
	v_readlane_b32 s16, v66, 20
	s_sub_u32 s14, s26, s13
	v_readlane_b32 s17, v66, 21
	s_subb_u32 s12, 0, s12
	s_mul_i32 s13, s14, s17
	s_mul_hi_u32 s15, s14, s16
	v_readlane_b32 s21, v66, 7
	s_mul_i32 s10, s18, s28
	s_add_i32 s13, s15, s13
	s_mul_i32 s12, s12, s16
	v_readlane_b32 s18, v66, 26
	s_add_i32 s13, s13, s12
	s_mul_i32 s12, s14, s16
	v_readlane_b32 s19, v66, 27
	s_mul_i32 s14, s18, s21
	s_mul_hi_u32 s15, s18, s20
	s_add_i32 s14, s15, s14
	s_mul_i32 s15, s19, s20
	s_add_i32 s14, s14, s15
	s_mul_i32 s15, s18, s20
	v_readlane_b32 s20, v66, 16
	s_sub_u32 s16, s24, s15
	v_readlane_b32 s22, v66, 18
	v_readlane_b32 s23, v66, 19
	s_subb_u32 s14, s25, s14
	s_mul_i32 s15, s16, s23
	s_mul_hi_u32 s17, s16, s22
	v_readlane_b32 s21, v66, 17
	s_add_i32 s15, s17, s15
	s_mul_i32 s14, s14, s22
	s_add_i32 s15, s15, s14
	s_mul_i32 s14, s16, s22
	s_mul_i32 s16, s18, s21
	s_mul_hi_u32 s17, s18, s20
	s_add_i32 s16, s17, s16
	s_mul_i32 s17, s19, s20
	s_add_i32 s17, s16, s17
	s_mul_i32 s16, s18, s20
	s_lshl_b64 s[10:11], s[10:11], 3
	v_readlane_b32 s18, v66, 30
	v_readlane_b32 s19, v66, 31
	s_add_u32 s10, s18, s10
	s_addc_u32 s11, s19, s11
	s_lshl_b64 s[8:9], s[8:9], 3
	s_add_u32 s10, s10, s8
	s_addc_u32 s11, s11, s9
	s_lshl_b64 s[8:9], s[12:13], 3
	;; [unrolled: 3-line block ×3, first 2 shown]
	v_readlane_b32 s12, v66, 28
	v_mov_b32_e32 v2, 0
	v_readlane_b32 s13, v66, 29
	s_add_u32 s12, s12, s10
	ds_read_b32 v0, v2 offset:5140
	s_addc_u32 s13, s13, s11
	s_lshl_b64 s[10:11], s[14:15], 3
	s_add_u32 s10, s12, s10
	s_addc_u32 s11, s13, s11
	s_lshl_b64 s[6:7], s[6:7], 3
	s_add_u32 s6, s10, s6
	s_addc_u32 s7, s11, s7
	s_waitcnt lgkmcnt(0)
	v_ashrrev_i32_e32 v1, 31, v0
	global_store_dwordx2 v2, v[0:1], s[6:7]
	global_store_dwordx2 v2, v[6:7], s[8:9]
.LBB46_328:
	s_or_b64 exec, exec, s[2:3]
.LBB46_329:
	s_or_saveexec_b64 s[2:3], s[4:5]
	s_mov_b64 s[4:5], 0
	s_xor_b64 exec, exec, s[2:3]
	s_cbranch_execnz .LBB46_332
.LBB46_330:
	s_or_b64 exec, exec, s[2:3]
	s_and_b64 s[2:3], s[4:5], exec
	s_andn2_saveexec_b64 s[0:1], s[0:1]
	s_cbranch_execz .LBB46_306
.LBB46_331:
	s_or_b64 s[2:3], s[2:3], exec
	s_trap 2
	s_or_b64 exec, exec, s[0:1]
	s_and_saveexec_b64 s[0:1], s[2:3]
	s_cbranch_execnz .LBB46_307
	s_branch .LBB46_308
.LBB46_332:
	s_mov_b64 s[4:5], exec
	s_trap 2
	s_branch .LBB46_330
	.section	.rodata,"a",@progbits
	.p2align	6, 0x0
	.amdhsa_kernel _ZN2at6native12_GLOBAL__N_114gatherKthValueIdlLi3EEEvNS_4cuda6detail10TensorInfoIKT_T0_EES8_S8_S8_S8_NS5_IS6_S8_EENS5_IlS8_EE
		.amdhsa_group_segment_fixed_size 5144
		.amdhsa_private_segment_fixed_size 0
		.amdhsa_kernarg_size 1536
		.amdhsa_user_sgpr_count 6
		.amdhsa_user_sgpr_private_segment_buffer 1
		.amdhsa_user_sgpr_dispatch_ptr 0
		.amdhsa_user_sgpr_queue_ptr 0
		.amdhsa_user_sgpr_kernarg_segment_ptr 1
		.amdhsa_user_sgpr_dispatch_id 0
		.amdhsa_user_sgpr_flat_scratch_init 0
		.amdhsa_user_sgpr_kernarg_preload_length 0
		.amdhsa_user_sgpr_kernarg_preload_offset 0
		.amdhsa_user_sgpr_private_segment_size 0
		.amdhsa_uses_dynamic_stack 0
		.amdhsa_system_sgpr_private_segment_wavefront_offset 0
		.amdhsa_system_sgpr_workgroup_id_x 1
		.amdhsa_system_sgpr_workgroup_id_y 1
		.amdhsa_system_sgpr_workgroup_id_z 1
		.amdhsa_system_sgpr_workgroup_info 0
		.amdhsa_system_vgpr_workitem_id 0
		.amdhsa_next_free_vgpr 67
		.amdhsa_next_free_sgpr 96
		.amdhsa_accum_offset 68
		.amdhsa_reserve_vcc 1
		.amdhsa_reserve_flat_scratch 0
		.amdhsa_float_round_mode_32 0
		.amdhsa_float_round_mode_16_64 0
		.amdhsa_float_denorm_mode_32 3
		.amdhsa_float_denorm_mode_16_64 3
		.amdhsa_dx10_clamp 1
		.amdhsa_ieee_mode 1
		.amdhsa_fp16_overflow 0
		.amdhsa_tg_split 0
		.amdhsa_exception_fp_ieee_invalid_op 0
		.amdhsa_exception_fp_denorm_src 0
		.amdhsa_exception_fp_ieee_div_zero 0
		.amdhsa_exception_fp_ieee_overflow 0
		.amdhsa_exception_fp_ieee_underflow 0
		.amdhsa_exception_fp_ieee_inexact 0
		.amdhsa_exception_int_div_zero 0
	.end_amdhsa_kernel
	.section	.text._ZN2at6native12_GLOBAL__N_114gatherKthValueIdlLi3EEEvNS_4cuda6detail10TensorInfoIKT_T0_EES8_S8_S8_S8_NS5_IS6_S8_EENS5_IlS8_EE,"axG",@progbits,_ZN2at6native12_GLOBAL__N_114gatherKthValueIdlLi3EEEvNS_4cuda6detail10TensorInfoIKT_T0_EES8_S8_S8_S8_NS5_IS6_S8_EENS5_IlS8_EE,comdat
.Lfunc_end46:
	.size	_ZN2at6native12_GLOBAL__N_114gatherKthValueIdlLi3EEEvNS_4cuda6detail10TensorInfoIKT_T0_EES8_S8_S8_S8_NS5_IS6_S8_EENS5_IlS8_EE, .Lfunc_end46-_ZN2at6native12_GLOBAL__N_114gatherKthValueIdlLi3EEEvNS_4cuda6detail10TensorInfoIKT_T0_EES8_S8_S8_S8_NS5_IS6_S8_EENS5_IlS8_EE
                                        ; -- End function
	.section	.AMDGPU.csdata,"",@progbits
; Kernel info:
; codeLenInByte = 21864
; NumSgprs: 100
; NumVgprs: 67
; NumAgprs: 0
; TotalNumVgprs: 67
; ScratchSize: 0
; MemoryBound: 0
; FloatMode: 240
; IeeeMode: 1
; LDSByteSize: 5144 bytes/workgroup (compile time only)
; SGPRBlocks: 12
; VGPRBlocks: 8
; NumSGPRsForWavesPerEU: 100
; NumVGPRsForWavesPerEU: 67
; AccumOffset: 68
; Occupancy: 7
; WaveLimiterHint : 1
; COMPUTE_PGM_RSRC2:SCRATCH_EN: 0
; COMPUTE_PGM_RSRC2:USER_SGPR: 6
; COMPUTE_PGM_RSRC2:TRAP_HANDLER: 0
; COMPUTE_PGM_RSRC2:TGID_X_EN: 1
; COMPUTE_PGM_RSRC2:TGID_Y_EN: 1
; COMPUTE_PGM_RSRC2:TGID_Z_EN: 1
; COMPUTE_PGM_RSRC2:TIDIG_COMP_CNT: 0
; COMPUTE_PGM_RSRC3_GFX90A:ACCUM_OFFSET: 16
; COMPUTE_PGM_RSRC3_GFX90A:TG_SPLIT: 0
	.section	.text._ZN2at6native12_GLOBAL__N_114gatherKthValueIdlLin1EEEvNS_4cuda6detail10TensorInfoIKT_T0_EES8_S8_S8_S8_NS5_IS6_S8_EENS5_IlS8_EE,"axG",@progbits,_ZN2at6native12_GLOBAL__N_114gatherKthValueIdlLin1EEEvNS_4cuda6detail10TensorInfoIKT_T0_EES8_S8_S8_S8_NS5_IS6_S8_EENS5_IlS8_EE,comdat
	.globl	_ZN2at6native12_GLOBAL__N_114gatherKthValueIdlLin1EEEvNS_4cuda6detail10TensorInfoIKT_T0_EES8_S8_S8_S8_NS5_IS6_S8_EENS5_IlS8_EE ; -- Begin function _ZN2at6native12_GLOBAL__N_114gatherKthValueIdlLin1EEEvNS_4cuda6detail10TensorInfoIKT_T0_EES8_S8_S8_S8_NS5_IS6_S8_EENS5_IlS8_EE
	.p2align	8
	.type	_ZN2at6native12_GLOBAL__N_114gatherKthValueIdlLin1EEEvNS_4cuda6detail10TensorInfoIKT_T0_EES8_S8_S8_S8_NS5_IS6_S8_EENS5_IlS8_EE,@function
_ZN2at6native12_GLOBAL__N_114gatherKthValueIdlLin1EEEvNS_4cuda6detail10TensorInfoIKT_T0_EES8_S8_S8_S8_NS5_IS6_S8_EENS5_IlS8_EE: ; @_ZN2at6native12_GLOBAL__N_114gatherKthValueIdlLin1EEEvNS_4cuda6detail10TensorInfoIKT_T0_EES8_S8_S8_S8_NS5_IS6_S8_EENS5_IlS8_EE
; %bb.0:
	s_load_dwordx8 s[56:63], s[4:5], 0x1a0
	s_load_dwordx2 s[12:13], s[4:5], 0x500
	s_add_u32 s10, s4, 0x500
	s_addc_u32 s11, s5, 0
	s_mov_b32 s9, 0
	s_waitcnt lgkmcnt(0)
	v_mov_b32_e32 v2, s60
	s_mul_i32 s0, s13, s8
	s_add_i32 s0, s0, s7
	s_mul_i32 s0, s0, s12
	v_mov_b32_e32 v3, s61
	s_add_i32 s8, s0, s6
	v_cmp_ge_i64_e32 vcc, s[8:9], v[2:3]
	s_cbranch_vccnz .LBB47_307
; %bb.1:
	s_load_dword s0, s[4:5], 0x198
	s_mov_b64 s[2:3], 0
	s_mov_b64 s[14:15], s[8:9]
	s_waitcnt lgkmcnt(0)
	s_cmp_lt_i32 s0, 2
	s_cbranch_scc1 .LBB47_9
; %bb.2:
	s_mov_b32 s16, 0
	s_add_i32 s7, s0, 1
	s_add_i32 s0, s0, -1
	s_mov_b32 s1, s16
	s_lshl_b64 s[0:1], s[0:1], 3
	s_add_u32 s0, s0, s4
	s_addc_u32 s1, s1, s5
	s_add_u32 s18, s0, 8
	s_addc_u32 s19, s1, 0
	s_mov_b64 s[20:21], s[8:9]
.LBB47_3:                               ; =>This Inner Loop Header: Depth=1
	s_load_dwordx2 s[22:23], s[18:19], 0x0
	s_waitcnt lgkmcnt(0)
	s_or_b64 s[0:1], s[20:21], s[22:23]
	s_mov_b32 s17, s1
	s_cmp_lg_u64 s[16:17], 0
	s_cbranch_scc0 .LBB47_8
; %bb.4:                                ;   in Loop: Header=BB47_3 Depth=1
	s_ashr_i32 s14, s23, 31
	s_add_u32 s0, s22, s14
	s_mov_b32 s15, s14
	s_addc_u32 s1, s23, s14
	s_xor_b64 s[24:25], s[0:1], s[14:15]
	v_cvt_f32_u32_e32 v1, s24
	v_cvt_f32_u32_e32 v2, s25
	s_sub_u32 s0, 0, s24
	s_subb_u32 s1, 0, s25
	v_mac_f32_e32 v1, 0x4f800000, v2
	v_rcp_f32_e32 v1, v1
	v_mul_f32_e32 v1, 0x5f7ffffc, v1
	v_mul_f32_e32 v2, 0x2f800000, v1
	v_trunc_f32_e32 v2, v2
	v_mac_f32_e32 v1, 0xcf800000, v2
	v_cvt_u32_f32_e32 v2, v2
	v_cvt_u32_f32_e32 v1, v1
	v_readfirstlane_b32 s13, v2
	v_readfirstlane_b32 s17, v1
	s_mul_i32 s26, s0, s13
	s_mul_hi_u32 s28, s0, s17
	s_mul_i32 s27, s1, s17
	s_add_i32 s26, s28, s26
	s_add_i32 s26, s26, s27
	s_mul_i32 s29, s0, s17
	s_mul_hi_u32 s27, s17, s26
	s_mul_i32 s28, s17, s26
	s_mul_hi_u32 s17, s17, s29
	s_add_u32 s17, s17, s28
	s_addc_u32 s27, 0, s27
	s_mul_hi_u32 s30, s13, s29
	s_mul_i32 s29, s13, s29
	s_add_u32 s17, s17, s29
	s_mul_hi_u32 s28, s13, s26
	s_addc_u32 s17, s27, s30
	s_addc_u32 s27, s28, 0
	s_mul_i32 s26, s13, s26
	s_add_u32 s17, s17, s26
	s_addc_u32 s26, 0, s27
	v_add_co_u32_e32 v1, vcc, s17, v1
	s_cmp_lg_u64 vcc, 0
	s_addc_u32 s13, s13, s26
	v_readfirstlane_b32 s26, v1
	s_mul_i32 s17, s0, s13
	s_mul_hi_u32 s27, s0, s26
	s_add_i32 s17, s27, s17
	s_mul_i32 s1, s1, s26
	s_add_i32 s17, s17, s1
	s_mul_i32 s0, s0, s26
	s_mul_hi_u32 s27, s13, s0
	s_mul_i32 s28, s13, s0
	s_mul_i32 s30, s26, s17
	s_mul_hi_u32 s0, s26, s0
	s_mul_hi_u32 s29, s26, s17
	s_add_u32 s0, s0, s30
	s_addc_u32 s26, 0, s29
	s_add_u32 s0, s0, s28
	s_mul_hi_u32 s1, s13, s17
	s_addc_u32 s0, s26, s27
	s_addc_u32 s1, s1, 0
	s_mul_i32 s17, s13, s17
	s_add_u32 s0, s0, s17
	s_addc_u32 s1, 0, s1
	v_add_co_u32_e32 v1, vcc, s0, v1
	s_cmp_lg_u64 vcc, 0
	s_addc_u32 s13, s13, s1
	s_ashr_i32 s26, s21, 31
	s_add_u32 s0, s20, s26
	s_mov_b32 s27, s26
	s_addc_u32 s1, s21, s26
	s_xor_b64 s[28:29], s[0:1], s[26:27]
	v_readfirstlane_b32 s17, v1
	s_mul_i32 s1, s28, s13
	s_mul_hi_u32 s30, s28, s17
	s_mul_hi_u32 s0, s28, s13
	s_add_u32 s1, s30, s1
	s_addc_u32 s0, 0, s0
	s_mul_hi_u32 s31, s29, s17
	s_mul_i32 s17, s29, s17
	s_add_u32 s1, s1, s17
	s_mul_hi_u32 s30, s29, s13
	s_addc_u32 s0, s0, s31
	s_addc_u32 s1, s30, 0
	s_mul_i32 s13, s29, s13
	s_add_u32 s13, s0, s13
	s_addc_u32 s17, 0, s1
	s_mul_i32 s0, s24, s17
	s_mul_hi_u32 s1, s24, s13
	s_add_i32 s0, s1, s0
	s_mul_i32 s1, s25, s13
	s_add_i32 s30, s0, s1
	s_mul_i32 s1, s24, s13
	v_mov_b32_e32 v1, s1
	s_sub_i32 s0, s29, s30
	v_sub_co_u32_e32 v1, vcc, s28, v1
	s_cmp_lg_u64 vcc, 0
	s_subb_u32 s28, s0, s25
	v_subrev_co_u32_e64 v2, s[0:1], s24, v1
	s_cmp_lg_u64 s[0:1], 0
	s_subb_u32 s0, s28, 0
	s_cmp_ge_u32 s0, s25
	v_readfirstlane_b32 s28, v2
	s_cselect_b32 s1, -1, 0
	s_cmp_ge_u32 s28, s24
	s_cselect_b32 s28, -1, 0
	s_cmp_eq_u32 s0, s25
	s_cselect_b32 s0, s28, s1
	s_add_u32 s1, s13, 1
	s_addc_u32 s28, s17, 0
	s_add_u32 s31, s13, 2
	s_addc_u32 s33, s17, 0
	s_cmp_lg_u32 s0, 0
	s_cselect_b32 s0, s31, s1
	s_cselect_b32 s1, s33, s28
	s_cmp_lg_u64 vcc, 0
	s_subb_u32 s28, s29, s30
	s_cmp_ge_u32 s28, s25
	v_readfirstlane_b32 s30, v1
	s_cselect_b32 s29, -1, 0
	s_cmp_ge_u32 s30, s24
	s_cselect_b32 s24, -1, 0
	s_cmp_eq_u32 s28, s25
	s_cselect_b32 s24, s24, s29
	s_cmp_lg_u32 s24, 0
	s_cselect_b32 s1, s1, s17
	s_cselect_b32 s0, s0, s13
	s_xor_b64 s[14:15], s[26:27], s[14:15]
	s_xor_b64 s[0:1], s[0:1], s[14:15]
	s_sub_u32 s14, s0, s14
	s_subb_u32 s15, s1, s15
	s_cbranch_execnz .LBB47_6
.LBB47_5:                               ;   in Loop: Header=BB47_3 Depth=1
	v_cvt_f32_u32_e32 v1, s22
	s_sub_i32 s0, 0, s22
	s_mov_b32 s15, s16
	v_rcp_iflag_f32_e32 v1, v1
	v_mul_f32_e32 v1, 0x4f7ffffe, v1
	v_cvt_u32_f32_e32 v1, v1
	v_readfirstlane_b32 s1, v1
	s_mul_i32 s0, s0, s1
	s_mul_hi_u32 s0, s1, s0
	s_add_i32 s1, s1, s0
	s_mul_hi_u32 s0, s20, s1
	s_mul_i32 s13, s0, s22
	s_sub_i32 s13, s20, s13
	s_add_i32 s1, s0, 1
	s_sub_i32 s14, s13, s22
	s_cmp_ge_u32 s13, s22
	s_cselect_b32 s0, s1, s0
	s_cselect_b32 s13, s14, s13
	s_add_i32 s1, s0, 1
	s_cmp_ge_u32 s13, s22
	s_cselect_b32 s14, s1, s0
.LBB47_6:                               ;   in Loop: Header=BB47_3 Depth=1
	s_mul_i32 s0, s14, s23
	s_mul_hi_u32 s1, s14, s22
	s_add_i32 s13, s1, s0
	s_load_dwordx2 s[0:1], s[18:19], 0xc8
	s_mul_i32 s17, s15, s22
	s_add_i32 s13, s13, s17
	s_mul_i32 s17, s14, s22
	s_sub_u32 s17, s20, s17
	s_subb_u32 s13, s21, s13
	s_waitcnt lgkmcnt(0)
	s_mul_i32 s13, s0, s13
	s_mul_hi_u32 s20, s0, s17
	s_add_i32 s13, s20, s13
	s_mul_i32 s1, s1, s17
	s_add_i32 s13, s13, s1
	s_mul_i32 s0, s0, s17
	s_add_u32 s2, s0, s2
	s_addc_u32 s3, s13, s3
	s_add_i32 s7, s7, -1
	s_add_u32 s18, s18, -8
	s_addc_u32 s19, s19, -1
	s_cmp_gt_u32 s7, 2
	s_cbranch_scc0 .LBB47_9
; %bb.7:                                ;   in Loop: Header=BB47_3 Depth=1
	s_mov_b64 s[20:21], s[14:15]
	s_branch .LBB47_3
.LBB47_8:                               ;   in Loop: Header=BB47_3 Depth=1
                                        ; implicit-def: $sgpr14_sgpr15
	s_branch .LBB47_5
.LBB47_9:
	s_load_dword s0, s[4:5], 0x358
	s_load_dwordx2 s[16:17], s[4:5], 0xd0
	s_add_u32 s18, s4, 0x1c0
	s_addc_u32 s19, s5, 0
	s_mov_b64 s[40:41], 0
	s_waitcnt lgkmcnt(0)
	s_cmp_lt_i32 s0, 2
	s_mov_b64 s[28:29], s[8:9]
	s_cbranch_scc1 .LBB47_17
; %bb.10:
	s_mov_b32 s20, 0
	s_add_i32 s7, s0, 1
	s_add_i32 s0, s0, -1
	s_mov_b32 s1, s20
	s_lshl_b64 s[0:1], s[0:1], 3
	s_add_u32 s0, s0, s18
	s_addc_u32 s1, s1, s19
	s_add_u32 s22, s0, 8
	s_addc_u32 s23, s1, 0
	s_mov_b64 s[24:25], s[8:9]
.LBB47_11:                              ; =>This Inner Loop Header: Depth=1
	s_load_dwordx2 s[26:27], s[22:23], 0x0
	s_waitcnt lgkmcnt(0)
	s_or_b64 s[0:1], s[24:25], s[26:27]
	s_mov_b32 s21, s1
	s_cmp_lg_u64 s[20:21], 0
	s_cbranch_scc0 .LBB47_16
; %bb.12:                               ;   in Loop: Header=BB47_11 Depth=1
	s_ashr_i32 s28, s27, 31
	s_add_u32 s0, s26, s28
	s_mov_b32 s29, s28
	s_addc_u32 s1, s27, s28
	s_xor_b64 s[30:31], s[0:1], s[28:29]
	v_cvt_f32_u32_e32 v1, s30
	v_cvt_f32_u32_e32 v2, s31
	s_sub_u32 s0, 0, s30
	s_subb_u32 s1, 0, s31
	v_mac_f32_e32 v1, 0x4f800000, v2
	v_rcp_f32_e32 v1, v1
	v_mul_f32_e32 v1, 0x5f7ffffc, v1
	v_mul_f32_e32 v2, 0x2f800000, v1
	v_trunc_f32_e32 v2, v2
	v_mac_f32_e32 v1, 0xcf800000, v2
	v_cvt_u32_f32_e32 v2, v2
	v_cvt_u32_f32_e32 v1, v1
	v_readfirstlane_b32 s13, v2
	v_readfirstlane_b32 s21, v1
	s_mul_i32 s33, s0, s13
	s_mul_hi_u32 s35, s0, s21
	s_mul_i32 s34, s1, s21
	s_add_i32 s33, s35, s33
	s_add_i32 s33, s33, s34
	s_mul_i32 s36, s0, s21
	s_mul_hi_u32 s34, s21, s33
	s_mul_i32 s35, s21, s33
	s_mul_hi_u32 s21, s21, s36
	s_add_u32 s21, s21, s35
	s_addc_u32 s34, 0, s34
	s_mul_hi_u32 s37, s13, s36
	s_mul_i32 s36, s13, s36
	s_add_u32 s21, s21, s36
	s_mul_hi_u32 s35, s13, s33
	s_addc_u32 s21, s34, s37
	s_addc_u32 s34, s35, 0
	s_mul_i32 s33, s13, s33
	s_add_u32 s21, s21, s33
	s_addc_u32 s33, 0, s34
	v_add_co_u32_e32 v1, vcc, s21, v1
	s_cmp_lg_u64 vcc, 0
	s_addc_u32 s13, s13, s33
	v_readfirstlane_b32 s33, v1
	s_mul_i32 s21, s0, s13
	s_mul_hi_u32 s34, s0, s33
	s_add_i32 s21, s34, s21
	s_mul_i32 s1, s1, s33
	s_add_i32 s21, s21, s1
	s_mul_i32 s0, s0, s33
	s_mul_hi_u32 s34, s13, s0
	s_mul_i32 s35, s13, s0
	s_mul_i32 s37, s33, s21
	s_mul_hi_u32 s0, s33, s0
	s_mul_hi_u32 s36, s33, s21
	s_add_u32 s0, s0, s37
	s_addc_u32 s33, 0, s36
	s_add_u32 s0, s0, s35
	s_mul_hi_u32 s1, s13, s21
	s_addc_u32 s0, s33, s34
	s_addc_u32 s1, s1, 0
	s_mul_i32 s21, s13, s21
	s_add_u32 s0, s0, s21
	s_addc_u32 s1, 0, s1
	v_add_co_u32_e32 v1, vcc, s0, v1
	s_cmp_lg_u64 vcc, 0
	s_addc_u32 s13, s13, s1
	s_ashr_i32 s34, s25, 31
	s_add_u32 s0, s24, s34
	s_mov_b32 s35, s34
	s_addc_u32 s1, s25, s34
	s_xor_b64 s[36:37], s[0:1], s[34:35]
	v_readfirstlane_b32 s21, v1
	s_mul_i32 s1, s36, s13
	s_mul_hi_u32 s33, s36, s21
	s_mul_hi_u32 s0, s36, s13
	s_add_u32 s1, s33, s1
	s_addc_u32 s0, 0, s0
	s_mul_hi_u32 s38, s37, s21
	s_mul_i32 s21, s37, s21
	s_add_u32 s1, s1, s21
	s_mul_hi_u32 s33, s37, s13
	s_addc_u32 s0, s0, s38
	s_addc_u32 s1, s33, 0
	s_mul_i32 s13, s37, s13
	s_add_u32 s13, s0, s13
	s_addc_u32 s21, 0, s1
	s_mul_i32 s0, s30, s21
	s_mul_hi_u32 s1, s30, s13
	s_add_i32 s0, s1, s0
	s_mul_i32 s1, s31, s13
	s_add_i32 s33, s0, s1
	s_mul_i32 s1, s30, s13
	v_mov_b32_e32 v1, s1
	s_sub_i32 s0, s37, s33
	v_sub_co_u32_e32 v1, vcc, s36, v1
	s_cmp_lg_u64 vcc, 0
	s_subb_u32 s36, s0, s31
	v_subrev_co_u32_e64 v2, s[0:1], s30, v1
	s_cmp_lg_u64 s[0:1], 0
	s_subb_u32 s0, s36, 0
	s_cmp_ge_u32 s0, s31
	v_readfirstlane_b32 s36, v2
	s_cselect_b32 s1, -1, 0
	s_cmp_ge_u32 s36, s30
	s_cselect_b32 s36, -1, 0
	s_cmp_eq_u32 s0, s31
	s_cselect_b32 s0, s36, s1
	s_add_u32 s1, s13, 1
	s_addc_u32 s36, s21, 0
	s_add_u32 s38, s13, 2
	s_addc_u32 s39, s21, 0
	s_cmp_lg_u32 s0, 0
	s_cselect_b32 s0, s38, s1
	s_cselect_b32 s1, s39, s36
	s_cmp_lg_u64 vcc, 0
	s_subb_u32 s33, s37, s33
	s_cmp_ge_u32 s33, s31
	v_readfirstlane_b32 s37, v1
	s_cselect_b32 s36, -1, 0
	s_cmp_ge_u32 s37, s30
	s_cselect_b32 s30, -1, 0
	s_cmp_eq_u32 s33, s31
	s_cselect_b32 s30, s30, s36
	s_cmp_lg_u32 s30, 0
	s_cselect_b32 s1, s1, s21
	s_cselect_b32 s0, s0, s13
	s_xor_b64 s[28:29], s[34:35], s[28:29]
	s_xor_b64 s[0:1], s[0:1], s[28:29]
	s_sub_u32 s28, s0, s28
	s_subb_u32 s29, s1, s29
	s_cbranch_execnz .LBB47_14
.LBB47_13:                              ;   in Loop: Header=BB47_11 Depth=1
	v_cvt_f32_u32_e32 v1, s26
	s_sub_i32 s0, 0, s26
	s_mov_b32 s29, s20
	v_rcp_iflag_f32_e32 v1, v1
	v_mul_f32_e32 v1, 0x4f7ffffe, v1
	v_cvt_u32_f32_e32 v1, v1
	v_readfirstlane_b32 s1, v1
	s_mul_i32 s0, s0, s1
	s_mul_hi_u32 s0, s1, s0
	s_add_i32 s1, s1, s0
	s_mul_hi_u32 s0, s24, s1
	s_mul_i32 s13, s0, s26
	s_sub_i32 s13, s24, s13
	s_add_i32 s1, s0, 1
	s_sub_i32 s21, s13, s26
	s_cmp_ge_u32 s13, s26
	s_cselect_b32 s0, s1, s0
	s_cselect_b32 s13, s21, s13
	s_add_i32 s1, s0, 1
	s_cmp_ge_u32 s13, s26
	s_cselect_b32 s28, s1, s0
.LBB47_14:                              ;   in Loop: Header=BB47_11 Depth=1
	s_mul_i32 s0, s28, s27
	s_mul_hi_u32 s1, s28, s26
	s_add_i32 s13, s1, s0
	s_load_dwordx2 s[0:1], s[22:23], 0xc8
	s_mul_i32 s21, s29, s26
	s_add_i32 s13, s13, s21
	s_mul_i32 s21, s28, s26
	s_sub_u32 s21, s24, s21
	s_subb_u32 s13, s25, s13
	s_waitcnt lgkmcnt(0)
	s_mul_i32 s13, s0, s13
	s_mul_hi_u32 s24, s0, s21
	s_add_i32 s13, s24, s13
	s_mul_i32 s1, s1, s21
	s_add_i32 s13, s13, s1
	s_mul_i32 s0, s0, s21
	s_add_u32 s40, s0, s40
	s_addc_u32 s41, s13, s41
	s_add_i32 s7, s7, -1
	s_add_u32 s22, s22, -8
	s_addc_u32 s23, s23, -1
	s_cmp_gt_u32 s7, 2
	s_cbranch_scc0 .LBB47_17
; %bb.15:                               ;   in Loop: Header=BB47_11 Depth=1
	s_mov_b64 s[24:25], s[28:29]
	s_branch .LBB47_11
.LBB47_16:                              ;   in Loop: Header=BB47_11 Depth=1
                                        ; implicit-def: $sgpr28_sgpr29
	s_branch .LBB47_13
.LBB47_17:
                                        ; implicit-def: $vgpr70 : SGPR spill to VGPR lane
	s_load_dword s13, s[4:5], 0x4f8
	s_load_dwordx2 s[0:1], s[18:19], 0xd0
	v_writelane_b32 v70, s40, 0
	v_writelane_b32 v70, s41, 1
	;; [unrolled: 1-line block ×4, first 2 shown]
	s_waitcnt lgkmcnt(0)
	v_writelane_b32 v70, s0, 4
	v_writelane_b32 v70, s1, 5
	s_add_u32 s0, s4, 0x360
	s_addc_u32 s1, s5, 0
	s_cmp_lt_i32 s13, 2
                                        ; kill: killed $sgpr18 killed $sgpr19
	s_cbranch_scc1 .LBB47_25
; %bb.18:
	s_mov_b32 s18, 0
	s_add_i32 s20, s13, -1
	s_mov_b32 s21, s18
	s_add_i32 s7, s13, 1
	s_lshl_b64 s[20:21], s[20:21], 3
	s_add_u32 s0, s20, s0
	s_addc_u32 s1, s21, s1
	s_add_u32 s20, s0, 8
	s_addc_u32 s21, s1, 0
	s_mov_b64 s[0:1], 0
	v_writelane_b32 v70, s0, 6
	v_writelane_b32 v70, s1, 7
.LBB47_19:                              ; =>This Inner Loop Header: Depth=1
	s_load_dwordx2 s[22:23], s[20:21], 0x0
	s_waitcnt lgkmcnt(0)
	s_or_b64 s[0:1], s[8:9], s[22:23]
	s_mov_b32 s19, s1
	s_cmp_lg_u64 s[18:19], 0
	s_cbranch_scc0 .LBB47_24
; %bb.20:                               ;   in Loop: Header=BB47_19 Depth=1
	s_ashr_i32 s24, s23, 31
	s_add_u32 s0, s22, s24
	s_mov_b32 s25, s24
	s_addc_u32 s1, s23, s24
	s_xor_b64 s[26:27], s[0:1], s[24:25]
	v_cvt_f32_u32_e32 v1, s26
	v_cvt_f32_u32_e32 v2, s27
	s_sub_u32 s0, 0, s26
	s_subb_u32 s1, 0, s27
	v_mac_f32_e32 v1, 0x4f800000, v2
	v_rcp_f32_e32 v1, v1
	v_mul_f32_e32 v1, 0x5f7ffffc, v1
	v_mul_f32_e32 v2, 0x2f800000, v1
	v_trunc_f32_e32 v2, v2
	v_mac_f32_e32 v1, 0xcf800000, v2
	v_cvt_u32_f32_e32 v2, v2
	v_cvt_u32_f32_e32 v1, v1
	v_readfirstlane_b32 s13, v2
	v_readfirstlane_b32 s19, v1
	s_mul_i32 s28, s0, s13
	s_mul_hi_u32 s30, s0, s19
	s_mul_i32 s29, s1, s19
	s_add_i32 s28, s30, s28
	s_add_i32 s28, s28, s29
	s_mul_i32 s31, s0, s19
	s_mul_hi_u32 s29, s19, s28
	s_mul_i32 s30, s19, s28
	s_mul_hi_u32 s19, s19, s31
	s_add_u32 s19, s19, s30
	s_addc_u32 s29, 0, s29
	s_mul_hi_u32 s33, s13, s31
	s_mul_i32 s31, s13, s31
	s_add_u32 s19, s19, s31
	s_mul_hi_u32 s30, s13, s28
	s_addc_u32 s19, s29, s33
	s_addc_u32 s29, s30, 0
	s_mul_i32 s28, s13, s28
	s_add_u32 s19, s19, s28
	s_addc_u32 s28, 0, s29
	v_add_co_u32_e32 v1, vcc, s19, v1
	s_cmp_lg_u64 vcc, 0
	s_addc_u32 s13, s13, s28
	v_readfirstlane_b32 s28, v1
	s_mul_i32 s19, s0, s13
	s_mul_hi_u32 s29, s0, s28
	s_add_i32 s19, s29, s19
	s_mul_i32 s1, s1, s28
	s_add_i32 s19, s19, s1
	s_mul_i32 s0, s0, s28
	s_mul_hi_u32 s29, s13, s0
	s_mul_i32 s30, s13, s0
	s_mul_i32 s33, s28, s19
	s_mul_hi_u32 s0, s28, s0
	s_mul_hi_u32 s31, s28, s19
	s_add_u32 s0, s0, s33
	s_addc_u32 s28, 0, s31
	s_add_u32 s0, s0, s30
	s_mul_hi_u32 s1, s13, s19
	s_addc_u32 s0, s28, s29
	s_addc_u32 s1, s1, 0
	s_mul_i32 s19, s13, s19
	s_add_u32 s0, s0, s19
	s_addc_u32 s1, 0, s1
	v_add_co_u32_e32 v1, vcc, s0, v1
	s_cmp_lg_u64 vcc, 0
	s_addc_u32 s13, s13, s1
	s_ashr_i32 s28, s9, 31
	s_add_u32 s0, s8, s28
	s_mov_b32 s29, s28
	s_addc_u32 s1, s9, s28
	s_xor_b64 s[30:31], s[0:1], s[28:29]
	v_readfirstlane_b32 s19, v1
	s_mul_i32 s1, s30, s13
	s_mul_hi_u32 s33, s30, s19
	s_mul_hi_u32 s0, s30, s13
	s_add_u32 s1, s33, s1
	s_addc_u32 s0, 0, s0
	s_mul_hi_u32 s34, s31, s19
	s_mul_i32 s19, s31, s19
	s_add_u32 s1, s1, s19
	s_mul_hi_u32 s33, s31, s13
	s_addc_u32 s0, s0, s34
	s_addc_u32 s1, s33, 0
	s_mul_i32 s13, s31, s13
	s_add_u32 s13, s0, s13
	s_addc_u32 s19, 0, s1
	s_mul_i32 s0, s26, s19
	s_mul_hi_u32 s1, s26, s13
	s_add_i32 s0, s1, s0
	s_mul_i32 s1, s27, s13
	s_add_i32 s33, s0, s1
	s_mul_i32 s1, s26, s13
	v_mov_b32_e32 v1, s1
	s_sub_i32 s0, s31, s33
	v_sub_co_u32_e32 v1, vcc, s30, v1
	s_cmp_lg_u64 vcc, 0
	s_subb_u32 s30, s0, s27
	v_subrev_co_u32_e64 v2, s[0:1], s26, v1
	s_cmp_lg_u64 s[0:1], 0
	s_subb_u32 s0, s30, 0
	s_cmp_ge_u32 s0, s27
	v_readfirstlane_b32 s30, v2
	s_cselect_b32 s1, -1, 0
	s_cmp_ge_u32 s30, s26
	s_cselect_b32 s30, -1, 0
	s_cmp_eq_u32 s0, s27
	s_cselect_b32 s0, s30, s1
	s_add_u32 s1, s13, 1
	s_addc_u32 s30, s19, 0
	s_add_u32 s34, s13, 2
	s_addc_u32 s35, s19, 0
	s_cmp_lg_u32 s0, 0
	s_cselect_b32 s0, s34, s1
	s_cselect_b32 s1, s35, s30
	s_cmp_lg_u64 vcc, 0
	s_subb_u32 s30, s31, s33
	s_cmp_ge_u32 s30, s27
	v_readfirstlane_b32 s33, v1
	s_cselect_b32 s31, -1, 0
	s_cmp_ge_u32 s33, s26
	s_cselect_b32 s26, -1, 0
	s_cmp_eq_u32 s30, s27
	s_cselect_b32 s26, s26, s31
	s_cmp_lg_u32 s26, 0
	s_cselect_b32 s1, s1, s19
	s_cselect_b32 s0, s0, s13
	s_xor_b64 s[24:25], s[28:29], s[24:25]
	s_xor_b64 s[0:1], s[0:1], s[24:25]
	s_sub_u32 s92, s0, s24
	s_subb_u32 s93, s1, s25
	s_cbranch_execnz .LBB47_22
.LBB47_21:                              ;   in Loop: Header=BB47_19 Depth=1
	v_cvt_f32_u32_e32 v1, s22
	s_sub_i32 s0, 0, s22
	s_mov_b32 s93, s18
	v_rcp_iflag_f32_e32 v1, v1
	v_mul_f32_e32 v1, 0x4f7ffffe, v1
	v_cvt_u32_f32_e32 v1, v1
	v_readfirstlane_b32 s1, v1
	s_mul_i32 s0, s0, s1
	s_mul_hi_u32 s0, s1, s0
	s_add_i32 s1, s1, s0
	s_mul_hi_u32 s0, s8, s1
	s_mul_i32 s13, s0, s22
	s_sub_i32 s13, s8, s13
	s_add_i32 s1, s0, 1
	s_sub_i32 s19, s13, s22
	s_cmp_ge_u32 s13, s22
	s_cselect_b32 s0, s1, s0
	s_cselect_b32 s13, s19, s13
	s_add_i32 s1, s0, 1
	s_cmp_ge_u32 s13, s22
	s_cselect_b32 s92, s1, s0
.LBB47_22:                              ;   in Loop: Header=BB47_19 Depth=1
	s_mul_i32 s0, s92, s23
	s_mul_hi_u32 s1, s92, s22
	s_add_i32 s13, s1, s0
	s_load_dwordx2 s[0:1], s[20:21], 0xc8
	s_mul_i32 s19, s93, s22
	s_add_i32 s13, s13, s19
	s_mul_i32 s19, s92, s22
	s_sub_u32 s8, s8, s19
	s_subb_u32 s9, s9, s13
	s_waitcnt lgkmcnt(0)
	s_mul_i32 s9, s0, s9
	s_mul_hi_u32 s13, s0, s8
	s_add_i32 s9, s13, s9
	s_mul_i32 s1, s1, s8
	s_add_i32 s9, s9, s1
	s_mul_i32 s0, s0, s8
	v_readlane_b32 s22, v70, 6
	v_readlane_b32 s23, v70, 7
	s_add_u32 s22, s0, s22
	s_addc_u32 s23, s9, s23
	s_add_i32 s7, s7, -1
	s_add_u32 s20, s20, -8
	s_addc_u32 s21, s21, -1
	v_writelane_b32 v70, s22, 6
	s_cmp_gt_u32 s7, 2
	v_writelane_b32 v70, s23, 7
	s_cbranch_scc0 .LBB47_26
; %bb.23:                               ;   in Loop: Header=BB47_19 Depth=1
	s_mov_b64 s[8:9], s[92:93]
	s_branch .LBB47_19
.LBB47_24:                              ;   in Loop: Header=BB47_19 Depth=1
                                        ; implicit-def: $sgpr92_sgpr93
	s_branch .LBB47_21
.LBB47_25:
	s_mov_b64 s[0:1], 0
	v_writelane_b32 v70, s0, 6
	s_mov_b64 s[92:93], s[8:9]
	v_writelane_b32 v70, s1, 7
.LBB47_26:
	s_load_dwordx2 s[0:1], s[4:5], 0x0
	s_load_dwordx2 s[8:9], s[4:5], 0x1c0
	s_mov_b32 s77, 0
                                        ; kill: killed $sgpr4 killed $sgpr5
	s_waitcnt lgkmcnt(0)
	v_writelane_b32 v70, s8, 8
	v_writelane_b32 v70, s9, 9
	s_load_dwordx2 s[8:9], s[4:5], 0x430
	s_waitcnt lgkmcnt(0)
	v_writelane_b32 v70, s8, 10
	v_writelane_b32 v70, s9, 11
	s_load_dwordx2 s[8:9], s[4:5], 0x360
	s_waitcnt lgkmcnt(0)
	v_writelane_b32 v70, s8, 12
	v_writelane_b32 v70, s9, 13
	v_cmp_eq_u32_e64 s[8:9], 0, v0
	s_mov_b64 s[4:5], exec
	v_writelane_b32 v70, s8, 14
	v_writelane_b32 v70, s9, 15
	s_and_b64 s[8:9], s[4:5], s[8:9]
	s_mov_b64 exec, s[8:9]
	s_cbranch_execz .LBB47_28
; %bb.27:
	v_mov_b32_e32 v2, 0
	v_mov_b32_e32 v4, s56
	;; [unrolled: 1-line block ×4, first 2 shown]
	ds_write_b32 v2, v2 offset:5136
	ds_write_b128 v2, v[2:5] offset:5120
.LBB47_28:
	s_or_b64 exec, exec, s[4:5]
	s_mul_i32 s4, s16, s15
	s_mul_hi_u32 s5, s16, s14
	s_add_i32 s4, s5, s4
	s_mul_i32 s5, s17, s14
	s_add_i32 s5, s4, s5
	s_mul_i32 s4, s16, s14
	s_lshl_b64 s[8:9], s[4:5], 3
	s_lshl_b64 s[80:81], s[2:3], 3
	s_add_u32 s14, s0, s8
	v_mbcnt_lo_u32_b32 v1, -1, 0
	s_addc_u32 s15, s1, s9
	v_mbcnt_hi_u32_b32 v50, -1, v1
	s_add_u32 s4, s14, s80
	v_cmp_gt_u32_e32 vcc, 64, v0
	v_cmp_gt_i32_e64 s[2:3], 4, v50
	s_addc_u32 s5, s15, s81
	s_and_b64 s[82:83], vcc, s[2:3]
	v_cmp_gt_u32_e64 s[2:3], 2, v0
	v_mov_b32_e32 v2, 0x180
	v_writelane_b32 v70, s2, 16
	v_mov_b32_e32 v3, 0
	v_mov_b32_e32 v19, 0
	v_writelane_b32 v70, s3, 17
	v_cmp_gt_i64_e64 s[2:3], s[56:57], v[2:3]
	v_mov_b32_e32 v1, v19
	v_writelane_b32 v70, s2, 18
	v_writelane_b32 v70, s3, 19
	v_cmp_gt_u64_e64 s[2:3], s[56:57], v[0:1]
	v_writelane_b32 v70, s2, 20
	v_writelane_b32 v70, s3, 21
	v_mad_u64_u32 v[2:3], s[2:3], v0, s62, 0
	v_mov_b32_e32 v4, v3
	v_mad_u64_u32 v[4:5], s[2:3], v0, s63, v[4:5]
	v_writelane_b32 v70, s5, 22
	v_writelane_b32 v70, s4, 23
	v_cmp_gt_i64_e64 s[2:3], s[56:57], v[0:1]
	v_writelane_b32 v70, s2, 24
	s_waitcnt lgkmcnt(0)
	s_barrier
	v_writelane_b32 v70, s3, 25
	s_load_dword s2, s[10:11], 0xc
	v_mov_b32_e32 v3, v4
	v_lshlrev_b64 v[4:5], 3, v[2:3]
	v_mov_b32_e32 v6, s5
	v_add_co_u32_e32 v20, vcc, s4, v4
	s_waitcnt lgkmcnt(0)
	s_and_b32 s33, s2, 0xffff
	s_bfe_u32 s3, s2, 0xa0006
	v_cmp_gt_u16_e64 s[4:5], s2, 63
	v_writelane_b32 v70, s4, 26
	s_add_u32 s2, s33, -1
	v_writelane_b32 v70, s5, 27
	s_addc_u32 s4, 0, -1
	v_writelane_b32 v70, s2, 28
	s_add_u32 s2, s2, s56
	s_addc_u32 s87, s4, s57
	s_cmp_lt_u32 s6, s12
	v_writelane_b32 v70, s2, 29
	s_cselect_b32 s2, 12, 18
	s_add_u32 s88, s10, s2
	v_writelane_b32 v70, s4, 30
	s_addc_u32 s89, s11, 0
	s_add_i32 s2, s3, -1
	s_bfe_u32 s4, s33, 0x30006
	s_cmp_gt_u32 s2, 6
	s_cselect_b64 s[6:7], -1, 0
	v_writelane_b32 v70, s6, 31
	s_and_b32 s61, s3, 0x3f8
	v_writelane_b32 v70, s7, 32
	s_cmp_lg_u32 s4, 0
	v_writelane_b32 v70, s4, 33
	s_cselect_b64 s[2:3], -1, 0
	v_writelane_b32 v70, s2, 34
	v_writelane_b32 v70, s3, 35
	s_add_u32 s2, s8, s80
	s_addc_u32 s3, s9, s81
	s_add_u32 s2, s0, s2
	v_addc_co_u32_e32 v21, vcc, v6, v5, vcc
	v_lshrrev_b32_e32 v6, 4, v0
	s_addc_u32 s3, s1, s3
	v_and_b32_e32 v53, 60, v6
	v_lshlrev_b32_e32 v6, 2, v50
	v_writelane_b32 v70, s2, 36
	v_and_b32_e32 v54, 0x100, v6
	v_lshlrev_b64 v[6:7], v50, -1
	v_writelane_b32 v70, s3, 37
	s_lshl_b64 s[2:3], s[62:63], 3
	v_lshlrev_b32_e32 v55, 5, v0
	v_not_b32_e32 v25, v7
	v_not_b32_e32 v24, v6
	v_writelane_b32 v70, s2, 38
	v_or_b32_e32 v9, 24, v55
	v_pk_mov_b32 v[6:7], s[14:15], s[14:15] op_sel:[0,1]
	v_writelane_b32 v70, s3, 39
	v_mad_u64_u32 v[26:27], s[2:3], s62, v9, v[6:7]
	v_mov_b32_e32 v8, v27
	v_mad_u64_u32 v[8:9], s[2:3], s63, v9, v[8:9]
	s_lshl_b64 s[2:3], s[62:63], 5
	v_writelane_b32 v70, s2, 40
	v_or_b32_e32 v9, 16, v55
	v_writelane_b32 v70, s3, 41
	v_mad_u64_u32 v[28:29], s[2:3], s62, v9, v[6:7]
	v_mov_b32_e32 v27, v8
	v_mov_b32_e32 v8, v29
	v_mad_u64_u32 v[8:9], s[2:3], s63, v9, v[8:9]
	v_mov_b32_e32 v29, v8
	v_or_b32_e32 v8, 8, v55
	v_mad_u64_u32 v[30:31], s[2:3], s62, v8, v[6:7]
	v_mov_b32_e32 v6, v31
	v_mad_u64_u32 v[6:7], s[2:3], s63, v8, v[6:7]
	v_lshlrev_b64 v[2:3], 5, v[2:3]
	v_mov_b32_e32 v31, v6
	v_mov_b32_e32 v6, s15
	v_add_co_u32_e32 v32, vcc, s14, v2
	s_add_u32 s0, s0, s80
	v_addc_co_u32_e32 v33, vcc, v6, v3, vcc
	s_addc_u32 s1, s1, s81
	v_mov_b32_e32 v2, s57
	v_add_co_u32_e32 v56, vcc, s56, v0
	s_add_u32 s0, s0, s8
	v_addc_co_u32_e32 v57, vcc, 0, v2, vcc
	v_mov_b32_e32 v2, 0xc00
	s_addc_u32 s1, s1, s9
	v_lshl_or_b32 v58, v50, 3, v2
	v_mov_b32_e32 v2, s1
	v_add_co_u32_e32 v16, vcc, s0, v4
	s_mul_i32 s0, s63, s33
	s_mul_hi_u32 s1, s62, s33
	s_add_i32 s1, s1, s0
	s_mul_i32 s0, s62, s33
	s_lshl_b64 s[78:79], s[0:1], 3
	s_mov_b32 s0, 0
	v_cmp_eq_u32_e64 s[52:53], 0, v50
	v_writelane_b32 v70, s0, 42
	v_writelane_b32 v70, s52, 43
	;; [unrolled: 1-line block ×4, first 2 shown]
	v_lshlrev_b32_e32 v51, 3, v0
	v_writelane_b32 v70, s83, 46
	v_add_u32_e32 v52, 0xc00, v51
	v_lshlrev_b32_e32 v22, 2, v0
	v_mov_b32_e32 v23, v19
	s_mov_b32 s60, s77
	v_addc_co_u32_e32 v17, vcc, v2, v5, vcc
	s_lshl_b32 s4, s33, 3
	s_mov_b32 s47, 62
	s_mov_b64 s[66:67], 0
	v_pk_mov_b32 v[6:7], 0, 0
	v_mov_b32_e32 v3, 0x3ff00000
	v_cvt_f32_ubyte0_e32 v59, 0
	s_mov_b64 s[2:3], 0
	s_mov_b64 s[84:85], 0
	v_writelane_b32 v70, s88, 47
                                        ; implicit-def: $sgpr44_sgpr45
                                        ; implicit-def: $sgpr54_sgpr55
                                        ; implicit-def: $sgpr90_sgpr91
                                        ; implicit-def: $sgpr48_sgpr49
                                        ; implicit-def: $sgpr42_sgpr43
                                        ; implicit-def: $sgpr64_sgpr65
	v_writelane_b32 v70, s89, 48
	s_branch .LBB47_33
.LBB47_29:                              ;   in Loop: Header=BB47_33 Depth=1
	v_readlane_b32 s0, v70, 42
	s_xor_b32 s0, s0, 1
	s_add_i32 s5, s47, -2
	s_cmp_eq_u32 s47, 0
	s_mov_b64 s[12:13], 0
	s_cselect_b64 s[14:15], -1, 0
	s_mov_b32 s47, s5
	v_writelane_b32 v70, s0, 42
.LBB47_30:                              ;   in Loop: Header=BB47_33 Depth=1
	s_andn2_b64 s[18:19], s[26:27], exec
	s_and_b64 s[12:13], s[12:13], exec
	s_or_b64 s[26:27], s[18:19], s[12:13]
	s_andn2_b64 s[30:31], s[30:31], exec
	s_andn2_b64 s[24:25], s[24:25], exec
	s_orn2_b64 s[18:19], s[14:15], exec
.LBB47_31:                              ;   in Loop: Header=BB47_33 Depth=1
	s_or_b64 exec, exec, s[6:7]
	s_andn2_b64 s[6:7], s[54:55], exec
	s_and_b64 s[8:9], s[26:27], exec
	s_or_b64 s[54:55], s[6:7], s[8:9]
	s_andn2_b64 s[0:1], s[42:43], exec
	s_and_b64 s[6:7], s[30:31], exec
	s_or_b64 s[42:43], s[0:1], s[6:7]
	;; [unrolled: 3-line block ×3, first 2 shown]
	s_orn2_b64 s[24:25], s[18:19], exec
.LBB47_32:                              ;   in Loop: Header=BB47_33 Depth=1
	s_or_b64 exec, exec, s[16:17]
	s_and_b64 s[6:7], exec, s[24:25]
	s_or_b64 s[66:67], s[6:7], s[66:67]
	s_andn2_b64 s[6:7], s[90:91], exec
	s_and_b64 s[10:11], s[54:55], exec
	s_or_b64 s[90:91], s[6:7], s[10:11]
	s_andn2_b64 s[6:7], s[74:75], exec
	s_and_b64 s[12:13], s[42:43], exec
	s_mov_b64 s[64:65], s[54:55]
	s_or_b64 s[54:55], s[6:7], s[12:13]
	s_andn2_b64 s[6:7], s[44:45], exec
	s_and_b64 s[12:13], s[48:49], exec
	s_waitcnt vmcnt(0)
	v_pk_mov_b32 v[4:5], s[2:3], s[2:3] op_sel:[0,1]
	s_or_b64 s[44:45], s[6:7], s[12:13]
	s_andn2_b64 exec, exec, s[66:67]
	s_cbranch_execz .LBB47_303
.LBB47_33:                              ; =>This Loop Header: Depth=1
                                        ;     Child Loop BB47_41 Depth 2
                                        ;     Child Loop BB47_60 Depth 2
	;; [unrolled: 1-line block ×16, first 2 shown]
	ds_read_b128 v[8:11], v19 offset:5120
	s_waitcnt lgkmcnt(0)
	v_readfirstlane_b32 s95, v9
	v_readfirstlane_b32 s94, v8
	v_cmp_gt_i64_e64 s[6:7], s[94:95], 0
	s_and_b64 vcc, exec, s[6:7]
	s_cbranch_vccnz .LBB47_67
; %bb.34:                               ;   in Loop: Header=BB47_33 Depth=1
	v_readlane_b32 s6, v70, 18
	v_readlane_b32 s7, v70, 19
	s_and_b64 vcc, exec, s[6:7]
	s_cbranch_vccz .LBB47_49
; %bb.35:                               ;   in Loop: Header=BB47_33 Depth=1
	s_mov_b64 s[0:1], 0x181
	v_cmp_gt_i64_e32 vcc, s[0:1], v[10:11]
	s_mov_b64 s[14:15], 0
	s_mov_b64 s[6:7], 0
	s_cbranch_vccz .LBB47_54
; %bb.36:                               ;   in Loop: Header=BB47_33 Depth=1
	v_pk_mov_b32 v[4:5], 0, 0
	s_mov_b64 s[6:7], exec
	v_readlane_b32 s12, v70, 20
	v_readlane_b32 s13, v70, 21
	s_and_b64 s[12:13], s[6:7], s[12:13]
	s_mov_b64 exec, s[12:13]
	s_cbranch_execz .LBB47_38
; %bb.37:                               ;   in Loop: Header=BB47_33 Depth=1
	global_load_dwordx2 v[4:5], v[20:21], off
.LBB47_38:                              ;   in Loop: Header=BB47_33 Depth=1
	s_or_b64 exec, exec, s[6:7]
	s_mov_b64 s[16:17], exec
	v_readlane_b32 s6, v70, 20
	v_readlane_b32 s7, v70, 21
	s_and_b64 s[6:7], s[16:17], s[6:7]
	s_mov_b64 exec, s[6:7]
	s_cbranch_execz .LBB47_50
; %bb.39:                               ;   in Loop: Header=BB47_33 Depth=1
	global_load_ushort v2, v19, s[88:89]
	v_readlane_b32 s0, v70, 36
	v_readlane_b32 s1, v70, 37
	v_pk_mov_b32 v[8:9], s[0:1], s[0:1] op_sel:[0,1]
	v_readlane_b32 s0, v70, 38
	v_readlane_b32 s1, v70, 39
	s_mov_b64 s[18:19], 0
	s_waitcnt vmcnt(0)
	v_readfirstlane_b32 s5, v2
	s_and_b32 s5, 0xffff, s5
	v_add_u32_e32 v11, s5, v0
	v_mad_u64_u32 v[8:9], s[6:7], s0, v11, v[8:9]
	v_mov_b32_e32 v10, v9
	s_mul_i32 s12, s1, s5
	s_mul_hi_u32 s13, s0, s5
	v_mad_u64_u32 v[10:11], s[6:7], s1, v11, v[10:11]
	s_mul_i32 s5, s0, s5
	s_add_i32 s26, s13, s12
	v_mov_b32_e32 v9, v10
	v_pk_mov_b32 v[10:11], v[0:1], v[0:1] op_sel:[0,1]
	s_branch .LBB47_41
.LBB47_40:                              ;   in Loop: Header=BB47_41 Depth=2
	s_or_b64 exec, exec, s[6:7]
	v_mov_b32_e32 v4, s26
	v_add_co_u32_e32 v8, vcc, s5, v8
	v_addc_co_u32_e32 v9, vcc, v9, v4, vcc
	s_waitcnt vmcnt(0)
	v_pk_mov_b32 v[4:5], v[12:13], v[12:13] op_sel:[0,1]
	s_andn2_b64 exec, exec, s[18:19]
	s_cbranch_execz .LBB47_50
.LBB47_41:                              ;   Parent Loop BB47_33 Depth=1
                                        ; =>  This Inner Loop Header: Depth=2
	v_add_co_u32_sdwa v10, vcc, v10, v2 dst_sel:DWORD dst_unused:UNUSED_PAD src0_sel:DWORD src1_sel:WORD_0
	v_addc_co_u32_e32 v11, vcc, 0, v11, vcc
	v_cmp_gt_i64_e64 s[6:7], s[56:57], v[10:11]
	v_cmp_le_i64_e32 vcc, s[56:57], v[10:11]
	v_pk_mov_b32 v[12:13], 0, 0
	s_and_saveexec_b64 s[12:13], s[6:7]
	s_cbranch_execz .LBB47_43
; %bb.42:                               ;   in Loop: Header=BB47_41 Depth=2
	global_load_dwordx2 v[12:13], v[8:9], off
.LBB47_43:                              ;   in Loop: Header=BB47_41 Depth=2
	s_or_b64 exec, exec, s[12:13]
	s_waitcnt lgkmcnt(0)
	v_ashrrev_i32_e32 v14, 31, v5
	v_or_b32_e32 v15, 0x80000000, v14
	v_xor_b32_e32 v15, v15, v5
	v_xor_b32_e32 v14, v14, v4
	v_cmp_o_f64_e64 s[6:7], v[4:5], v[4:5]
	v_cndmask_b32_e64 v15, -1, v15, s[6:7]
	v_cndmask_b32_e64 v14, -1, v14, s[6:7]
	v_and_b32_e32 v15, s85, v15
	v_and_b32_e32 v14, s84, v14
	v_cmp_eq_u64_e64 s[12:13], s[2:3], v[14:15]
	s_cmp_lg_u64 s[12:13], 0
	s_cselect_b64 s[6:7], -1, 0
	s_and_b64 s[6:7], s[52:53], s[6:7]
	v_mov_b32_e32 v14, 0
	s_and_saveexec_b64 s[20:21], s[6:7]
	s_cbranch_execz .LBB47_47
; %bb.44:                               ;   in Loop: Header=BB47_41 Depth=2
	s_mov_b64 s[24:25], exec
	v_mbcnt_lo_u32_b32 v14, s24, 0
	v_mbcnt_hi_u32_b32 v14, s25, v14
	s_bcnt1_i32_b64 s27, s[12:13]
	v_cmp_eq_u32_e64 s[6:7], 0, v14
                                        ; implicit-def: $vgpr15
	s_and_saveexec_b64 s[22:23], s[6:7]
	s_cbranch_execz .LBB47_46
; %bb.45:                               ;   in Loop: Header=BB47_41 Depth=2
	s_bcnt1_i32_b64 s6, s[24:25]
	s_mul_i32 s6, s27, s6
	v_mov_b32_e32 v15, s6
	ds_add_rtn_u32 v15, v19, v15 offset:5136
.LBB47_46:                              ;   in Loop: Header=BB47_41 Depth=2
	s_or_b64 exec, exec, s[22:23]
	s_waitcnt lgkmcnt(0)
	v_readfirstlane_b32 s6, v15
	v_mov_b32_e32 v15, s6
	v_mad_u32_u24 v14, s27, v14, v15
.LBB47_47:                              ;   in Loop: Header=BB47_41 Depth=2
	s_or_b64 exec, exec, s[20:21]
	ds_bpermute_b32 v14, v54, v14
	s_and_b64 s[6:7], exec, vcc
	s_or_b64 s[18:19], s[6:7], s[18:19]
	s_and_saveexec_b64 s[6:7], s[12:13]
	s_cbranch_execz .LBB47_40
; %bb.48:                               ;   in Loop: Header=BB47_41 Depth=2
	v_and_b32_e32 v18, s12, v24
	v_and_b32_e32 v15, s13, v25
	v_bcnt_u32_b32 v18, v18, 0
	v_bcnt_u32_b32 v15, v15, v18
	v_lshlrev_b32_e32 v15, 3, v15
	s_waitcnt lgkmcnt(0)
	v_lshl_add_u32 v14, v14, 3, v15
	ds_write_b64 v14, v[4:5]
	s_branch .LBB47_40
.LBB47_49:                              ;   in Loop: Header=BB47_33 Depth=1
	s_mov_b64 s[14:15], -1
	s_mov_b64 s[6:7], 0
	s_branch .LBB47_53
.LBB47_50:                              ;   in Loop: Header=BB47_33 Depth=1
	s_or_b64 exec, exec, s[16:17]
	s_waitcnt lgkmcnt(0)
	s_barrier
	s_mov_b64 s[6:7], exec
	v_readlane_b32 s12, v70, 14
	v_readlane_b32 s13, v70, 15
	s_and_b64 s[12:13], s[6:7], s[12:13]
	s_mov_b64 exec, s[12:13]
	s_cbranch_execz .LBB47_52
; %bb.51:                               ;   in Loop: Header=BB47_33 Depth=1
	s_waitcnt vmcnt(0)
	ds_read_b32 v4, v19 offset:5136
	s_waitcnt lgkmcnt(0)
	v_ashrrev_i32_e32 v5, 31, v4
	ds_write_b64 v19, v[4:5] offset:5120
.LBB47_52:                              ;   in Loop: Header=BB47_33 Depth=1
	s_or_b64 exec, exec, s[6:7]
	s_waitcnt lgkmcnt(0)
	s_barrier
	s_mov_b64 s[6:7], -1
.LBB47_53:                              ;   in Loop: Header=BB47_33 Depth=1
                                        ; implicit-def: $sgpr94_sgpr95
.LBB47_54:                              ;   in Loop: Header=BB47_33 Depth=1
	s_and_b64 vcc, exec, s[14:15]
	s_cbranch_vccz .LBB47_65
; %bb.55:                               ;   in Loop: Header=BB47_33 Depth=1
	s_waitcnt vmcnt(0)
	v_pk_mov_b32 v[4:5], 0, 0
	s_mov_b64 s[6:7], exec
	v_readlane_b32 s12, v70, 24
	v_readlane_b32 s13, v70, 25
	s_and_b64 s[12:13], s[6:7], s[12:13]
	s_mov_b64 exec, s[12:13]
	s_cbranch_execz .LBB47_57
; %bb.56:                               ;   in Loop: Header=BB47_33 Depth=1
	global_load_dwordx2 v[4:5], v[20:21], off
.LBB47_57:                              ;   in Loop: Header=BB47_33 Depth=1
	s_or_b64 exec, exec, s[6:7]
	s_mov_b64 s[12:13], exec
	v_readlane_b32 s6, v70, 24
	v_readlane_b32 s7, v70, 25
	s_and_b64 s[6:7], s[12:13], s[6:7]
	s_mov_b64 exec, s[6:7]
	s_cbranch_execz .LBB47_62
; %bb.58:                               ;   in Loop: Header=BB47_33 Depth=1
	global_load_ushort v2, v19, s[88:89]
	v_readlane_b32 s0, v70, 36
	v_readlane_b32 s1, v70, 37
	v_pk_mov_b32 v[8:9], s[0:1], s[0:1] op_sel:[0,1]
	v_readlane_b32 s0, v70, 38
	v_readlane_b32 s1, v70, 39
	s_mov_b64 s[14:15], 0
	v_mov_b32_e32 v14, v51
	s_waitcnt vmcnt(0)
	v_readfirstlane_b32 s5, v2
	s_and_b32 s6, 0xffff, s5
	v_add_u32_e32 v11, s6, v0
	s_lshl_b32 s5, s6, 3
	s_mul_i32 s16, s1, s6
	s_mul_hi_u32 s17, s0, s6
	s_mul_i32 s18, s0, s6
	v_mad_u64_u32 v[8:9], s[6:7], s0, v11, v[8:9]
	v_mov_b32_e32 v10, v9
	v_mad_u64_u32 v[10:11], s[6:7], s1, v11, v[10:11]
	s_add_i32 s19, s17, s16
	v_mov_b32_e32 v9, v10
	v_pk_mov_b32 v[10:11], v[0:1], v[0:1] op_sel:[0,1]
	s_branch .LBB47_60
.LBB47_59:                              ;   in Loop: Header=BB47_60 Depth=2
	s_or_b64 exec, exec, s[16:17]
	s_and_b64 s[6:7], exec, vcc
	ds_write_b64 v14, v[4:5]
	v_mov_b32_e32 v4, s19
	v_add_co_u32_e32 v8, vcc, s18, v8
	s_or_b64 s[14:15], s[6:7], s[14:15]
	v_add_u32_e32 v14, s5, v14
	v_addc_co_u32_e32 v9, vcc, v9, v4, vcc
	s_waitcnt vmcnt(0)
	v_pk_mov_b32 v[4:5], v[12:13], v[12:13] op_sel:[0,1]
	s_andn2_b64 exec, exec, s[14:15]
	s_cbranch_execz .LBB47_62
.LBB47_60:                              ;   Parent Loop BB47_33 Depth=1
                                        ; =>  This Inner Loop Header: Depth=2
	v_add_co_u32_sdwa v10, vcc, v10, v2 dst_sel:DWORD dst_unused:UNUSED_PAD src0_sel:DWORD src1_sel:WORD_0
	v_addc_co_u32_e32 v11, vcc, 0, v11, vcc
	v_cmp_gt_i64_e64 s[6:7], s[56:57], v[10:11]
	v_cmp_le_i64_e32 vcc, s[56:57], v[10:11]
	v_pk_mov_b32 v[12:13], 0, 0
	s_and_saveexec_b64 s[16:17], s[6:7]
	s_cbranch_execz .LBB47_59
; %bb.61:                               ;   in Loop: Header=BB47_60 Depth=2
	global_load_dwordx2 v[12:13], v[8:9], off
	s_branch .LBB47_59
.LBB47_62:                              ;   in Loop: Header=BB47_33 Depth=1
	s_or_b64 exec, exec, s[12:13]
	s_waitcnt lgkmcnt(0)
	s_barrier
	s_mov_b64 s[6:7], exec
	v_readlane_b32 s12, v70, 14
	v_readlane_b32 s13, v70, 15
	s_and_b64 s[12:13], s[6:7], s[12:13]
	s_mov_b64 exec, s[12:13]
	s_cbranch_execz .LBB47_64
; %bb.63:                               ;   in Loop: Header=BB47_33 Depth=1
	s_waitcnt vmcnt(0)
	v_pk_mov_b32 v[4:5], s[56:57], s[56:57] op_sel:[0,1]
	ds_write_b64 v19, v[4:5] offset:5120
.LBB47_64:                              ;   in Loop: Header=BB47_33 Depth=1
	s_or_b64 exec, exec, s[6:7]
	s_mov_b64 s[6:7], -1
	s_waitcnt lgkmcnt(0)
	s_barrier
                                        ; implicit-def: $sgpr94_sgpr95
.LBB47_65:                              ;   in Loop: Header=BB47_33 Depth=1
	s_and_b64 vcc, exec, s[6:7]
	s_cbranch_vccz .LBB47_67
; %bb.66:                               ;   in Loop: Header=BB47_33 Depth=1
	s_waitcnt vmcnt(0)
	ds_read_b64 v[4:5], v19 offset:5120
	s_waitcnt lgkmcnt(0)
	v_readfirstlane_b32 s94, v4
.LBB47_67:                              ;   in Loop: Header=BB47_33 Depth=1
	s_cmp_lt_i32 s94, 1
	s_cbranch_scc0 .LBB47_82
; %bb.68:                               ;   in Loop: Header=BB47_33 Depth=1
	global_load_ushort v2, v19, s[88:89]
	s_mov_b32 s6, s77
	s_mov_b32 s7, s57
	s_waitcnt vmcnt(0)
	v_readfirstlane_b32 s5, v2
	s_and_b32 s76, s5, 0xffff
	s_lshl_b32 s95, s76, 2
	s_cmp_lg_u64 s[6:7], 0
	s_cbranch_scc0 .LBB47_102
; %bb.69:                               ;   in Loop: Header=BB47_33 Depth=1
	v_cvt_f32_u32_e32 v2, s95
	s_sub_u32 s5, 0, s95
	s_subb_u32 s6, 0, 0
	v_mac_f32_e32 v2, 0x4f800000, v59
	v_rcp_f32_e32 v2, v2
	v_mul_f32_e32 v2, 0x5f7ffffc, v2
	v_mul_f32_e32 v4, 0x2f800000, v2
	v_trunc_f32_e32 v4, v4
	v_mac_f32_e32 v2, 0xcf800000, v4
	v_cvt_u32_f32_e32 v4, v4
	v_cvt_u32_f32_e32 v2, v2
	v_readfirstlane_b32 s7, v4
	v_readfirstlane_b32 s12, v2
	s_mul_i32 s13, s5, s7
	s_mul_hi_u32 s15, s5, s12
	s_mul_i32 s14, s6, s12
	s_add_i32 s13, s15, s13
	s_mul_i32 s16, s5, s12
	s_add_i32 s13, s13, s14
	s_mul_hi_u32 s15, s12, s16
	s_mul_hi_u32 s14, s12, s13
	s_mul_i32 s12, s12, s13
	s_add_u32 s12, s15, s12
	s_addc_u32 s14, 0, s14
	s_mul_hi_u32 s17, s7, s16
	s_mul_i32 s16, s7, s16
	s_add_u32 s12, s12, s16
	s_mul_hi_u32 s15, s7, s13
	s_addc_u32 s12, s14, s17
	s_addc_u32 s14, s15, 0
	s_mul_i32 s13, s7, s13
	s_add_u32 s12, s12, s13
	s_addc_u32 s13, 0, s14
	v_add_co_u32_e32 v2, vcc, s12, v2
	s_cmp_lg_u64 vcc, 0
	s_addc_u32 s7, s7, s13
	v_readfirstlane_b32 s13, v2
	s_mul_i32 s12, s5, s7
	s_mul_hi_u32 s14, s5, s13
	s_add_i32 s12, s14, s12
	s_mul_i32 s6, s6, s13
	s_add_i32 s12, s12, s6
	s_mul_i32 s5, s5, s13
	s_mul_hi_u32 s14, s7, s5
	s_mul_i32 s15, s7, s5
	s_mul_i32 s17, s13, s12
	s_mul_hi_u32 s5, s13, s5
	s_mul_hi_u32 s16, s13, s12
	s_add_u32 s5, s5, s17
	s_addc_u32 s13, 0, s16
	s_add_u32 s5, s5, s15
	s_mul_hi_u32 s6, s7, s12
	s_addc_u32 s5, s13, s14
	s_addc_u32 s6, s6, 0
	s_mul_i32 s12, s7, s12
	s_add_u32 s5, s5, s12
	s_addc_u32 s6, 0, s6
	v_add_co_u32_e32 v2, vcc, s5, v2
	s_cmp_lg_u64 vcc, 0
	s_addc_u32 s5, s7, s6
	s_ashr_i32 s6, s57, 31
	s_add_u32 s12, s56, s6
	s_mov_b32 s7, s6
	s_addc_u32 s13, s57, s6
	s_xor_b64 s[12:13], s[12:13], s[6:7]
	v_readfirstlane_b32 s15, v2
	s_mul_i32 s14, s12, s5
	s_mul_hi_u32 s16, s12, s15
	s_mul_hi_u32 s7, s12, s5
	s_add_u32 s14, s16, s14
	s_addc_u32 s7, 0, s7
	s_mul_hi_u32 s17, s13, s15
	s_mul_i32 s15, s13, s15
	s_add_u32 s14, s14, s15
	s_mul_hi_u32 s16, s13, s5
	s_addc_u32 s7, s7, s17
	s_addc_u32 s14, s16, 0
	s_mul_i32 s5, s13, s5
	s_add_u32 s5, s7, s5
	s_addc_u32 s7, 0, s14
	s_mul_hi_u32 s14, s95, s5
	s_mul_i32 s5, s95, s5
	s_mul_i32 s7, s95, s7
	v_mov_b32_e32 v2, s5
	s_add_i32 s14, s14, s7
	v_sub_co_u32_e32 v2, vcc, s12, v2
	s_cmp_lg_u64 vcc, 0
	s_subb_u32 s5, s13, s14
	v_subrev_co_u32_e32 v4, vcc, s95, v2
	s_cmp_lg_u64 vcc, 0
	s_subb_u32 s7, s5, 0
	v_subrev_co_u32_e32 v5, vcc, s95, v4
	s_cmp_lg_u64 vcc, 0
	s_subb_u32 s12, s7, 0
	v_cmp_le_u32_e32 vcc, s95, v4
	s_cmp_eq_u32 s7, 0
	v_cndmask_b32_e64 v8, 0, -1, vcc
	s_cselect_b64 vcc, -1, 0
	v_cndmask_b32_e32 v8, -1, v8, vcc
	v_mov_b32_e32 v9, s7
	v_mov_b32_e32 v10, s12
	v_cmp_ne_u32_e32 vcc, 0, v8
	v_cndmask_b32_e32 v8, v9, v10, vcc
	v_cndmask_b32_e32 v4, v4, v5, vcc
	v_cmp_le_u32_e32 vcc, s95, v2
	s_cmp_eq_u32 s5, 0
	v_cndmask_b32_e64 v5, 0, -1, vcc
	s_cselect_b64 vcc, -1, 0
	v_cndmask_b32_e32 v5, -1, v5, vcc
	v_cmp_ne_u32_e32 vcc, 0, v5
	v_mov_b32_e32 v9, s5
	v_cndmask_b32_e32 v2, v2, v4, vcc
	v_cndmask_b32_e32 v5, v9, v8, vcc
	v_xor_b32_e32 v2, s6, v2
	v_xor_b32_e32 v5, s6, v5
	v_mov_b32_e32 v8, s6
	v_subrev_co_u32_e32 v4, vcc, s6, v2
	v_subb_co_u32_e32 v5, vcc, v5, v8, vcc
	s_cbranch_execnz .LBB47_71
.LBB47_70:                              ;   in Loop: Header=BB47_33 Depth=1
	v_cvt_f32_u32_e32 v2, s95
	s_sub_i32 s5, 0, s95
	v_rcp_iflag_f32_e32 v2, v2
	v_mul_f32_e32 v2, 0x4f7ffffe, v2
	v_cvt_u32_f32_e32 v2, v2
	v_mul_lo_u32 v4, s5, v2
	v_mul_hi_u32 v4, v2, v4
	v_add_u32_e32 v2, v2, v4
	v_mul_hi_u32 v2, s56, v2
	v_mul_lo_u32 v2, v2, s95
	v_sub_u32_e32 v2, s56, v2
	v_subrev_u32_e32 v4, s95, v2
	v_cmp_le_u32_e32 vcc, s95, v2
	v_cndmask_b32_e32 v2, v2, v4, vcc
	v_subrev_u32_e32 v4, s95, v2
	v_cmp_le_u32_e32 vcc, s95, v2
	v_cndmask_b32_e32 v18, v2, v4, vcc
	v_pk_mov_b32 v[4:5], v[18:19], v[18:19] op_sel:[0,1]
.LBB47_71:                              ;   in Loop: Header=BB47_33 Depth=1
	v_mov_b32_e32 v2, s57
	v_sub_co_u32_e32 v34, vcc, s56, v4
	v_subb_co_u32_e32 v35, vcc, v2, v5, vcc
	v_pk_mov_b32 v[8:9], 0, 0
	v_cmp_gt_i64_e32 vcc, v[34:35], v[22:23]
	s_mov_b64 s[72:73], 0
	v_pk_mov_b32 v[10:11], v[8:9], v[8:9] op_sel:[0,1]
	v_pk_mov_b32 v[12:13], v[8:9], v[8:9] op_sel:[0,1]
	;; [unrolled: 1-line block ×3, first 2 shown]
	s_and_saveexec_b64 s[28:29], vcc
	s_cbranch_execz .LBB47_75
; %bb.72:                               ;   in Loop: Header=BB47_33 Depth=1
	v_readlane_b32 s12, v70, 40
	v_readlane_b32 s13, v70, 41
	s_mul_i32 s6, s13, s76
	s_mul_hi_u32 s7, s12, s76
	s_mov_b64 s[10:11], s[44:45]
	s_mov_b64 s[74:75], s[42:43]
	;; [unrolled: 1-line block ×3, first 2 shown]
	s_mov_b32 s1, s87
	s_mov_b32 s0, s47
	s_and_b32 s5, s47, 0xfe
	s_add_i32 s68, s7, s6
	s_mul_i32 s69, s12, s76
	v_pk_mov_b32 v[36:37], v[32:33], v[32:33] op_sel:[0,1]
	v_pk_mov_b32 v[38:39], v[30:31], v[30:31] op_sel:[0,1]
	;; [unrolled: 1-line block ×4, first 2 shown]
	s_mov_b64 s[82:83], 0
	s_mov_b64 s[88:89], 0
	;; [unrolled: 1-line block ×4, first 2 shown]
	v_pk_mov_b32 v[44:45], v[22:23], v[22:23] op_sel:[0,1]
.LBB47_73:                              ;   Parent Loop BB47_33 Depth=1
                                        ; =>  This Inner Loop Header: Depth=2
	v_mov_b32_e32 v2, s81
	v_add_co_u32_e32 v14, vcc, s80, v38
	v_add_co_u32_e64 v46, s[12:13], s80, v40
	v_add_co_u32_e64 v48, s[14:15], s80, v42
	;; [unrolled: 1-line block ×3, first 2 shown]
	v_addc_co_u32_e64 v61, s[20:21], v37, v2, s[20:21]
	v_addc_co_u32_e32 v15, vcc, v39, v2, vcc
	v_addc_co_u32_e64 v47, vcc, v41, v2, s[12:13]
	v_addc_co_u32_e64 v49, vcc, v43, v2, s[14:15]
	global_load_dwordx2 v[60:61], v[60:61], off
	s_nop 0
	global_load_dwordx2 v[14:15], v[14:15], off
	s_nop 0
	;; [unrolled: 2-line block ×3, first 2 shown]
	global_load_dwordx2 v[48:49], v[48:49], off
	v_mov_b32_e32 v8, s68
	v_add_co_u32_e64 v42, s[6:7], s69, v42
	v_add_co_u32_e64 v40, s[16:17], s69, v40
	;; [unrolled: 1-line block ×4, first 2 shown]
	v_addc_co_u32_e64 v43, vcc, v43, v8, s[6:7]
	v_addc_co_u32_e64 v41, vcc, v41, v8, s[16:17]
	;; [unrolled: 1-line block ×4, first 2 shown]
	v_mov_b32_e32 v9, v19
	v_mov_b32_e32 v11, v19
	v_add_co_u32_e64 v44, s[24:25], s95, v44
	v_mov_b32_e32 v13, v19
	v_addc_co_u32_e64 v45, s[24:25], 0, v45, s[24:25]
	v_cmp_ge_i64_e32 vcc, v[44:45], v[34:35]
	s_waitcnt vmcnt(3)
	v_ashrrev_i32_e32 v2, 31, v61
	s_waitcnt vmcnt(2)
	v_ashrrev_i32_e32 v8, 31, v15
	v_xor_b32_e32 v18, v8, v14
	v_cmp_o_f64_e64 s[6:7], v[14:15], v[14:15]
	v_or_b32_e32 v14, 0x80000000, v2
	s_waitcnt vmcnt(1)
	v_ashrrev_i32_e32 v10, 31, v47
	s_waitcnt vmcnt(0)
	v_ashrrev_i32_e32 v12, 31, v49
	v_xor_b32_e32 v2, v2, v60
	v_or_b32_e32 v8, 0x80000000, v8
	v_cmp_o_f64_e64 s[16:17], v[60:61], v[60:61]
	v_xor_b32_e32 v61, v14, v61
	v_xor_b32_e32 v62, v10, v46
	v_cmp_o_f64_e64 s[12:13], v[46:47], v[46:47]
	v_xor_b32_e32 v63, v12, v48
	v_cmp_o_f64_e64 s[14:15], v[48:49], v[48:49]
	v_or_b32_e32 v10, 0x80000000, v10
	v_xor_b32_e32 v8, v8, v15
	v_cndmask_b32_e64 v14, -1, v2, s[16:17]
	v_cndmask_b32_e64 v15, -1, v61, s[16:17]
	v_or_b32_e32 v12, 0x80000000, v12
	v_xor_b32_e32 v10, v10, v47
	v_cndmask_b32_e64 v46, -1, v18, s[6:7]
	v_cndmask_b32_e64 v48, -1, v62, s[12:13]
	v_cndmask_b32_e64 v60, -1, v63, s[14:15]
	v_cndmask_b32_e64 v47, -1, v8, s[6:7]
	v_and_b32_e32 v62, s84, v14
	v_and_b32_e32 v63, s85, v15
	v_lshrrev_b64 v[14:15], s5, v[14:15]
	v_xor_b32_e32 v12, v12, v49
	v_cndmask_b32_e64 v49, -1, v10, s[12:13]
	v_and_b32_e32 v64, s84, v46
	v_and_b32_e32 v65, s85, v47
	v_lshrrev_b64 v[46:47], s5, v[46:47]
	v_and_b32_e32 v18, 3, v14
	v_cndmask_b32_e64 v61, -1, v12, s[14:15]
	v_and_b32_e32 v66, s84, v48
	v_and_b32_e32 v67, s85, v49
	v_lshrrev_b64 v[48:49], s5, v[48:49]
	v_cmp_eq_u64_e64 s[18:19], s[2:3], v[62:63]
	v_and_b32_e32 v8, 3, v46
	v_cmp_eq_u64_e64 s[6:7], 0, v[18:19]
	v_and_b32_e32 v68, s84, v60
	v_and_b32_e32 v69, s85, v61
	v_lshrrev_b64 v[60:61], s5, v[60:61]
	v_cmp_eq_u64_e64 s[16:17], s[2:3], v[64:65]
	v_and_b32_e32 v10, 3, v48
	v_cmp_eq_u64_e64 s[30:31], 0, v[8:9]
	s_and_b64 s[6:7], s[18:19], s[6:7]
	v_cmp_eq_u64_e64 s[14:15], s[2:3], v[66:67]
	v_and_b32_e32 v12, 3, v60
	v_cmp_eq_u64_e64 s[34:35], 0, v[10:11]
	v_cndmask_b32_e64 v2, 0, 1, s[6:7]
	s_and_b64 s[6:7], s[16:17], s[30:31]
	v_cmp_eq_u64_e64 s[12:13], s[2:3], v[68:69]
	v_cmp_eq_u64_e64 s[36:37], 0, v[12:13]
	;; [unrolled: 1-line block ×5, first 2 shown]
	v_cndmask_b32_e64 v8, 0, 1, s[6:7]
	s_and_b64 s[6:7], s[14:15], s[34:35]
	v_cndmask_b32_e64 v9, 0, 1, s[6:7]
	s_and_b64 s[6:7], s[12:13], s[36:37]
	v_cmp_eq_u64_e64 s[42:43], 1, v[10:11]
	v_cmp_eq_u64_e64 s[50:51], 2, v[10:11]
	;; [unrolled: 1-line block ×3, first 2 shown]
	v_cndmask_b32_e64 v10, 0, 1, s[6:7]
	v_cmp_ne_u32_e64 s[6:7], 0, v2
	v_cmp_ne_u32_e64 s[30:31], 0, v8
	;; [unrolled: 1-line block ×4, first 2 shown]
	s_bcnt1_i32_b64 s6, s[6:7]
	s_bcnt1_i32_b64 s7, s[30:31]
	;; [unrolled: 1-line block ×4, first 2 shown]
	s_add_u32 s6, s6, s70
	s_addc_u32 s34, 0, s71
	s_add_u32 s6, s6, s7
	s_addc_u32 s7, s34, 0
	;; [unrolled: 2-line block ×3, first 2 shown]
	v_cmp_eq_u64_e64 s[38:39], 1, v[18:19]
	s_add_u32 s70, s6, s31
	s_addc_u32 s71, s7, 0
	s_and_b64 s[6:7], s[18:19], s[38:39]
	v_cndmask_b32_e64 v2, 0, 1, s[6:7]
	s_and_b64 s[6:7], s[16:17], s[40:41]
	v_cmp_eq_u64_e64 s[44:45], 1, v[12:13]
	v_cndmask_b32_e64 v10, 0, 1, s[6:7]
	s_and_b64 s[6:7], s[14:15], s[42:43]
	v_cndmask_b32_e64 v11, 0, 1, s[6:7]
	s_and_b64 s[6:7], s[12:13], s[44:45]
	v_cmp_eq_u64_e64 s[52:53], 2, v[12:13]
	v_cmp_eq_u64_e64 s[20:21], 3, v[12:13]
	v_cndmask_b32_e64 v12, 0, 1, s[6:7]
	v_cmp_ne_u32_e64 s[6:7], 0, v2
	v_cmp_ne_u32_e64 s[30:31], 0, v10
	v_cmp_ne_u32_e64 s[34:35], 0, v11
	v_cmp_ne_u32_e64 s[36:37], 0, v12
	s_bcnt1_i32_b64 s6, s[6:7]
	s_bcnt1_i32_b64 s7, s[30:31]
	;; [unrolled: 1-line block ×4, first 2 shown]
	s_add_u32 s6, s6, s86
	s_addc_u32 s34, 0, s87
	s_add_u32 s6, s6, s7
	s_addc_u32 s7, s34, 0
	s_add_u32 s6, s6, s30
	s_addc_u32 s7, s7, 0
	v_cmp_eq_u64_e64 s[46:47], 2, v[18:19]
	s_add_u32 s86, s6, s31
	s_addc_u32 s87, s7, 0
	s_and_b64 s[6:7], s[18:19], s[46:47]
	v_cndmask_b32_e64 v2, 0, 1, s[6:7]
	s_and_b64 s[6:7], s[16:17], s[48:49]
	v_cndmask_b32_e64 v12, 0, 1, s[6:7]
	;; [unrolled: 2-line block ×4, first 2 shown]
	v_cmp_ne_u32_e64 s[6:7], 0, v2
	v_cmp_ne_u32_e64 s[30:31], 0, v12
	;; [unrolled: 1-line block ×4, first 2 shown]
	s_bcnt1_i32_b64 s6, s[6:7]
	s_bcnt1_i32_b64 s7, s[30:31]
	;; [unrolled: 1-line block ×4, first 2 shown]
	s_add_u32 s6, s6, s88
	s_addc_u32 s34, 0, s89
	s_add_u32 s6, s6, s7
	s_addc_u32 s7, s34, 0
	;; [unrolled: 2-line block ×3, first 2 shown]
	v_cmp_eq_u64_e64 s[26:27], 3, v[18:19]
	s_add_u32 s88, s6, s31
	s_addc_u32 s89, s7, 0
	s_and_b64 s[6:7], s[18:19], s[26:27]
	v_cndmask_b32_e64 v2, 0, 1, s[6:7]
	s_and_b64 s[6:7], s[16:17], s[24:25]
	v_cndmask_b32_e64 v14, 0, 1, s[6:7]
	;; [unrolled: 2-line block ×4, first 2 shown]
	v_cmp_ne_u32_e64 s[6:7], 0, v2
	v_cmp_ne_u32_e64 s[12:13], 0, v14
	;; [unrolled: 1-line block ×4, first 2 shown]
	s_bcnt1_i32_b64 s6, s[6:7]
	s_bcnt1_i32_b64 s7, s[12:13]
	s_bcnt1_i32_b64 s12, s[14:15]
	s_bcnt1_i32_b64 s13, s[16:17]
	s_add_u32 s6, s6, s82
	s_addc_u32 s14, 0, s83
	s_add_u32 s6, s6, s7
	s_addc_u32 s7, s14, 0
	;; [unrolled: 2-line block ×4, first 2 shown]
	v_pk_mov_b32 v[8:9], s[70:71], s[70:71] op_sel:[0,1]
	v_pk_mov_b32 v[10:11], s[86:87], s[86:87] op_sel:[0,1]
	;; [unrolled: 1-line block ×3, first 2 shown]
	s_or_b64 s[72:73], vcc, s[72:73]
	v_pk_mov_b32 v[14:15], s[82:83], s[82:83] op_sel:[0,1]
	s_andn2_b64 exec, exec, s[72:73]
	s_cbranch_execnz .LBB47_73
; %bb.74:                               ;   in Loop: Header=BB47_33 Depth=1
	s_or_b64 exec, exec, s[72:73]
	v_readlane_b32 s52, v70, 43
	v_readlane_b32 s82, v70, 45
	;; [unrolled: 1-line block ×5, first 2 shown]
	s_mov_b32 s87, s1
	v_readlane_b32 s89, v70, 48
	s_mov_b32 s47, s0
	s_mov_b64 s[48:49], s[8:9]
	s_mov_b64 s[42:43], s[74:75]
	;; [unrolled: 1-line block ×3, first 2 shown]
.LBB47_75:                              ;   in Loop: Header=BB47_33 Depth=1
	s_or_b64 exec, exec, s[28:29]
	v_add_co_u32_e32 v34, vcc, v34, v0
	v_addc_co_u32_e32 v35, vcc, 0, v35, vcc
	v_cmp_gt_i64_e32 vcc, s[56:57], v[34:35]
	v_pk_mov_b32 v[36:37], 0, 0
	s_and_saveexec_b64 s[12:13], vcc
	s_cbranch_execz .LBB47_77
; %bb.76:                               ;   in Loop: Header=BB47_33 Depth=1
	v_mul_lo_u32 v2, v35, s62
	v_mul_lo_u32 v18, v34, s63
	v_mad_u64_u32 v[36:37], s[6:7], v34, s62, 0
	v_add3_u32 v37, v37, v18, v2
	v_readlane_b32 s5, v70, 22
	v_lshlrev_b64 v[36:37], 3, v[36:37]
	v_mov_b32_e32 v2, s5
	v_readlane_b32 s5, v70, 23
	v_add_co_u32_e64 v36, s[6:7], s5, v36
	v_addc_co_u32_e64 v37, s[6:7], v2, v37, s[6:7]
	global_load_dwordx2 v[36:37], v[36:37], off
.LBB47_77:                              ;   in Loop: Header=BB47_33 Depth=1
	s_or_b64 exec, exec, s[12:13]
	s_and_saveexec_b64 s[12:13], vcc
	s_cbranch_execz .LBB47_84
; %bb.78:                               ;   in Loop: Header=BB47_33 Depth=1
	v_mov_b32_e32 v2, s77
	v_add_co_u32_e32 v18, vcc, s76, v56
	v_addc_co_u32_e32 v2, vcc, v57, v2, vcc
	v_readlane_b32 s0, v70, 36
	v_sub_co_u32_e32 v18, vcc, v18, v4
	v_readlane_b32 s1, v70, 37
	v_subb_co_u32_e32 v2, vcc, v2, v5, vcc
	v_readlane_b32 s14, v70, 38
	v_pk_mov_b32 v[4:5], s[0:1], s[0:1] op_sel:[0,1]
	v_readlane_b32 s15, v70, 39
	v_mad_u64_u32 v[4:5], s[6:7], s14, v18, v[4:5]
	v_mul_lo_u32 v2, s14, v2
	v_mul_lo_u32 v38, s15, v18
	s_mul_i32 s6, s15, s76
	s_mul_hi_u32 s7, s14, s76
	s_and_b32 s5, s47, 0xfe
	v_add3_u32 v5, v38, v5, v2
	s_add_i32 s18, s7, s6
	s_mul_i32 s19, s14, s76
	s_mov_b64 s[14:15], 0
	s_branch .LBB47_80
.LBB47_79:                              ;   in Loop: Header=BB47_80 Depth=2
	s_or_b64 exec, exec, s[16:17]
	s_waitcnt vmcnt(0)
	v_ashrrev_i32_e32 v2, 31, v37
	v_or_b32_e32 v18, 0x80000000, v2
	s_and_b64 s[6:7], exec, vcc
	v_xor_b32_e32 v18, v18, v37
	v_xor_b32_e32 v2, v2, v36
	v_cmp_o_f64_e32 vcc, v[36:37], v[36:37]
	v_cndmask_b32_e32 v37, -1, v18, vcc
	v_cndmask_b32_e32 v36, -1, v2, vcc
	v_and_b32_e32 v41, s85, v37
	v_and_b32_e32 v40, s84, v36
	v_lshrrev_b64 v[36:37], s5, v[36:37]
	v_and_b32_e32 v18, 3, v36
	s_or_b64 s[14:15], s[6:7], s[14:15]
	v_cmp_eq_u64_e32 vcc, s[2:3], v[40:41]
	v_cmp_eq_u64_e64 s[6:7], 0, v[18:19]
	s_and_b64 s[6:7], vcc, s[6:7]
	v_cndmask_b32_e64 v2, 0, 1, s[6:7]
	v_cmp_ne_u32_e64 s[6:7], 0, v2
	s_bcnt1_i32_b64 s6, s[6:7]
	v_add_co_u32_e64 v8, s[6:7], s6, v8
	v_addc_co_u32_e64 v9, s[6:7], 0, v9, s[6:7]
	v_cmp_eq_u64_e64 s[6:7], 1, v[18:19]
	s_and_b64 s[6:7], vcc, s[6:7]
	v_cndmask_b32_e64 v2, 0, 1, s[6:7]
	v_cmp_ne_u32_e64 s[6:7], 0, v2
	s_bcnt1_i32_b64 s6, s[6:7]
	v_add_co_u32_e64 v10, s[6:7], s6, v10
	v_addc_co_u32_e64 v11, s[6:7], 0, v11, s[6:7]
	;; [unrolled: 7-line block ×3, first 2 shown]
	v_cmp_eq_u64_e64 s[6:7], 3, v[18:19]
	s_and_b64 s[6:7], vcc, s[6:7]
	v_cndmask_b32_e64 v2, 0, 1, s[6:7]
	v_cmp_ne_u32_e32 vcc, 0, v2
	s_bcnt1_i32_b64 s6, vcc
	v_add_co_u32_e32 v14, vcc, s6, v14
	v_addc_co_u32_e32 v15, vcc, 0, v15, vcc
	v_mov_b32_e32 v2, s18
	v_add_co_u32_e32 v4, vcc, s19, v4
	v_addc_co_u32_e32 v5, vcc, v5, v2, vcc
	v_pk_mov_b32 v[36:37], v[38:39], v[38:39] op_sel:[0,1]
	s_andn2_b64 exec, exec, s[14:15]
	s_cbranch_execz .LBB47_83
.LBB47_80:                              ;   Parent Loop BB47_33 Depth=1
                                        ; =>  This Inner Loop Header: Depth=2
	v_mov_b32_e32 v2, s77
	v_add_co_u32_e32 v34, vcc, s76, v34
	v_addc_co_u32_e32 v35, vcc, v35, v2, vcc
	v_cmp_gt_i64_e64 s[6:7], s[56:57], v[34:35]
	v_cmp_le_i64_e32 vcc, s[56:57], v[34:35]
	v_pk_mov_b32 v[38:39], 0, 0
	s_and_saveexec_b64 s[16:17], s[6:7]
	s_cbranch_execz .LBB47_79
; %bb.81:                               ;   in Loop: Header=BB47_80 Depth=2
	global_load_dwordx2 v[38:39], v[4:5], off
	s_branch .LBB47_79
.LBB47_82:                              ;   in Loop: Header=BB47_33 Depth=1
                                        ; implicit-def: $vgpr14_vgpr15
                                        ; implicit-def: $vgpr10_vgpr11
	s_cbranch_execnz .LBB47_85
	s_branch .LBB47_94
.LBB47_83:                              ;   in Loop: Header=BB47_33 Depth=1
	s_or_b64 exec, exec, s[14:15]
.LBB47_84:                              ;   in Loop: Header=BB47_33 Depth=1
	s_or_b64 exec, exec, s[12:13]
	s_branch .LBB47_94
.LBB47_85:                              ;   in Loop: Header=BB47_33 Depth=1
	global_load_ushort v2, v19, s[88:89]
	v_pk_mov_b32 v[8:9], 0, 0
	s_mov_b64 s[28:29], 0
	v_pk_mov_b32 v[10:11], v[8:9], v[8:9] op_sel:[0,1]
	v_pk_mov_b32 v[12:13], v[8:9], v[8:9] op_sel:[0,1]
	;; [unrolled: 1-line block ×3, first 2 shown]
	s_waitcnt vmcnt(0)
	v_readfirstlane_b32 s5, v2
	s_and_b32 s5, 0xffff, s5
	s_lshl_b32 s95, s5, 2
	v_cvt_f32_u32_e32 v4, s95
	s_sub_i32 s5, 0, s95
	v_and_b32_e32 v2, 0xffff, v2
	v_rcp_iflag_f32_e32 v4, v4
	v_mul_f32_e32 v4, 0x4f7ffffe, v4
	v_cvt_u32_f32_e32 v4, v4
	v_readfirstlane_b32 s6, v4
	s_mul_i32 s5, s5, s6
	s_mul_hi_u32 s5, s6, s5
	s_add_i32 s6, s6, s5
	s_mul_hi_u32 s5, s94, s6
	s_mul_i32 s5, s5, s95
	s_sub_i32 s5, s94, s5
	s_sub_i32 s6, s5, s95
	s_cmp_ge_u32 s5, s95
	s_cselect_b32 s5, s6, s5
	s_sub_i32 s6, s5, s95
	s_cmp_ge_u32 s5, s95
	s_cselect_b32 s5, s6, s5
	s_sub_i32 s76, s94, s5
	v_cmp_gt_u32_e32 vcc, s76, v22
	s_and_saveexec_b64 s[70:71], vcc
	s_cbranch_execz .LBB47_89
; %bb.86:                               ;   in Loop: Header=BB47_33 Depth=1
	s_mov_b64 s[10:11], s[44:45]
	s_mov_b64 s[74:75], s[42:43]
	;; [unrolled: 1-line block ×3, first 2 shown]
	s_mov_b32 s1, s87
	s_mov_b32 s0, s47
	s_and_b32 s5, s47, 0xfe
	v_lshlrev_b32_e32 v40, 5, v2
	v_mov_b32_e32 v41, v55
	s_mov_b64 s[72:73], 0
	s_mov_b64 s[82:83], 0
	;; [unrolled: 1-line block ×4, first 2 shown]
	v_pk_mov_b32 v[4:5], v[22:23], v[22:23] op_sel:[0,1]
.LBB47_87:                              ;   Parent Loop BB47_33 Depth=1
                                        ; =>  This Inner Loop Header: Depth=2
	ds_read_b128 v[12:15], v41
	ds_read_b128 v[8:11], v41 offset:16
	v_mov_b32_e32 v35, v19
	v_mov_b32_e32 v37, v19
	;; [unrolled: 1-line block ×3, first 2 shown]
	s_waitcnt lgkmcnt(1)
	v_ashrrev_i32_e32 v18, 31, v13
	v_ashrrev_i32_e32 v34, 31, v15
	s_waitcnt lgkmcnt(0)
	v_ashrrev_i32_e32 v36, 31, v9
	v_ashrrev_i32_e32 v38, 31, v11
	v_xor_b32_e32 v42, v34, v14
	v_cmp_o_f64_e64 s[6:7], v[14:15], v[14:15]
	v_xor_b32_e32 v14, v36, v8
	v_cmp_o_f64_e64 s[12:13], v[8:9], v[8:9]
	v_or_b32_e32 v8, 0x80000000, v18
	v_xor_b32_e32 v43, v38, v10
	v_cmp_o_f64_e64 s[14:15], v[10:11], v[10:11]
	v_xor_b32_e32 v10, v18, v12
	v_or_b32_e32 v18, 0x80000000, v34
	v_or_b32_e32 v34, 0x80000000, v36
	v_cmp_o_f64_e64 s[16:17], v[12:13], v[12:13]
	v_xor_b32_e32 v13, v8, v13
	v_or_b32_e32 v36, 0x80000000, v38
	v_xor_b32_e32 v15, v18, v15
	v_xor_b32_e32 v18, v34, v9
	v_cndmask_b32_e64 v8, -1, v10, s[16:17]
	v_cndmask_b32_e64 v9, -1, v13, s[16:17]
	v_xor_b32_e32 v34, v36, v11
	v_cndmask_b32_e64 v10, -1, v42, s[6:7]
	v_cndmask_b32_e64 v12, -1, v14, s[12:13]
	;; [unrolled: 1-line block ×4, first 2 shown]
	v_and_b32_e32 v42, s84, v8
	v_and_b32_e32 v43, s85, v9
	v_lshrrev_b64 v[8:9], s5, v[8:9]
	v_cndmask_b32_e64 v13, -1, v18, s[12:13]
	v_and_b32_e32 v44, s84, v10
	v_and_b32_e32 v45, s85, v11
	v_lshrrev_b64 v[10:11], s5, v[10:11]
	v_and_b32_e32 v18, 3, v8
	v_cndmask_b32_e64 v15, -1, v34, s[14:15]
	v_and_b32_e32 v46, s84, v12
	v_and_b32_e32 v47, s85, v13
	v_lshrrev_b64 v[12:13], s5, v[12:13]
	v_cmp_eq_u64_e64 s[18:19], s[2:3], v[42:43]
	v_and_b32_e32 v34, 3, v10
	v_cmp_eq_u64_e64 s[6:7], 0, v[18:19]
	v_and_b32_e32 v48, s84, v14
	v_and_b32_e32 v49, s85, v15
	v_lshrrev_b64 v[14:15], s5, v[14:15]
	v_cmp_eq_u64_e64 s[16:17], s[2:3], v[44:45]
	v_and_b32_e32 v36, 3, v12
	v_cmp_eq_u64_e64 s[30:31], 0, v[34:35]
	s_and_b64 s[6:7], s[18:19], s[6:7]
	v_cmp_eq_u64_e64 s[14:15], s[2:3], v[46:47]
	v_and_b32_e32 v38, 3, v14
	v_cmp_eq_u64_e64 s[34:35], 0, v[36:37]
	v_cndmask_b32_e64 v8, 0, 1, s[6:7]
	s_and_b64 s[6:7], s[16:17], s[30:31]
	v_cmp_eq_u64_e64 s[12:13], s[2:3], v[48:49]
	v_cmp_eq_u64_e64 s[36:37], 0, v[38:39]
	v_cndmask_b32_e64 v9, 0, 1, s[6:7]
	s_and_b64 s[6:7], s[14:15], s[34:35]
	v_cndmask_b32_e64 v10, 0, 1, s[6:7]
	s_and_b64 s[6:7], s[12:13], s[36:37]
	v_cndmask_b32_e64 v11, 0, 1, s[6:7]
	v_cmp_ne_u32_e64 s[6:7], 0, v8
	v_cmp_ne_u32_e64 s[30:31], 0, v9
	v_cmp_ne_u32_e64 s[34:35], 0, v10
	v_cmp_ne_u32_e64 s[36:37], 0, v11
	s_bcnt1_i32_b64 s6, s[6:7]
	s_bcnt1_i32_b64 s7, s[30:31]
	s_bcnt1_i32_b64 s30, s[34:35]
	s_bcnt1_i32_b64 s31, s[36:37]
	s_add_u32 s6, s6, s88
	s_addc_u32 s34, 0, s89
	s_add_u32 s6, s6, s7
	s_addc_u32 s7, s34, 0
	s_add_u32 s6, s6, s30
	s_addc_u32 s7, s7, 0
	v_cmp_eq_u64_e64 s[38:39], 1, v[18:19]
	s_add_u32 s88, s6, s31
	v_cmp_eq_u64_e64 s[40:41], 1, v[34:35]
	s_addc_u32 s89, s7, 0
	s_and_b64 s[6:7], s[18:19], s[38:39]
	v_cmp_eq_u64_e64 s[42:43], 1, v[36:37]
	v_cndmask_b32_e64 v10, 0, 1, s[6:7]
	s_and_b64 s[6:7], s[16:17], s[40:41]
	v_cmp_eq_u64_e64 s[44:45], 1, v[38:39]
	v_cndmask_b32_e64 v11, 0, 1, s[6:7]
	s_and_b64 s[6:7], s[14:15], s[42:43]
	v_cndmask_b32_e64 v12, 0, 1, s[6:7]
	s_and_b64 s[6:7], s[12:13], s[44:45]
	v_cndmask_b32_e64 v13, 0, 1, s[6:7]
	v_cmp_ne_u32_e64 s[6:7], 0, v10
	v_cmp_ne_u32_e64 s[30:31], 0, v11
	v_cmp_ne_u32_e64 s[34:35], 0, v12
	v_cmp_ne_u32_e64 s[36:37], 0, v13
	s_bcnt1_i32_b64 s6, s[6:7]
	s_bcnt1_i32_b64 s7, s[30:31]
	s_bcnt1_i32_b64 s30, s[34:35]
	s_bcnt1_i32_b64 s31, s[36:37]
	s_add_u32 s6, s6, s86
	s_addc_u32 s34, 0, s87
	s_add_u32 s6, s6, s7
	s_addc_u32 s7, s34, 0
	s_add_u32 s6, s6, s30
	s_addc_u32 s7, s7, 0
	v_cmp_eq_u64_e64 s[46:47], 2, v[18:19]
	s_add_u32 s86, s6, s31
	v_cmp_eq_u64_e64 s[48:49], 2, v[34:35]
	s_addc_u32 s87, s7, 0
	s_and_b64 s[6:7], s[18:19], s[46:47]
	v_cmp_eq_u64_e64 s[50:51], 2, v[36:37]
	v_cndmask_b32_e64 v12, 0, 1, s[6:7]
	s_and_b64 s[6:7], s[16:17], s[48:49]
	;; [unrolled: 28-line block ×3, first 2 shown]
	v_cmp_eq_u64_e64 s[20:21], 3, v[38:39]
	v_cndmask_b32_e64 v15, 0, 1, s[6:7]
	s_and_b64 s[6:7], s[14:15], s[22:23]
	v_cndmask_b32_e64 v18, 0, 1, s[6:7]
	s_and_b64 s[6:7], s[12:13], s[20:21]
	v_cndmask_b32_e64 v34, 0, 1, s[6:7]
	v_cmp_ne_u32_e64 s[6:7], 0, v14
	v_cmp_ne_u32_e64 s[12:13], 0, v15
	;; [unrolled: 1-line block ×4, first 2 shown]
	s_bcnt1_i32_b64 s6, s[6:7]
	s_bcnt1_i32_b64 s7, s[12:13]
	;; [unrolled: 1-line block ×4, first 2 shown]
	s_add_u32 s6, s6, s72
	s_addc_u32 s14, 0, s73
	s_add_u32 s6, s6, s7
	s_addc_u32 s7, s14, 0
	s_add_u32 s6, s6, s12
	v_add_co_u32_e32 v4, vcc, s95, v4
	s_addc_u32 s7, s7, 0
	v_addc_co_u32_e32 v5, vcc, 0, v5, vcc
	s_add_u32 s72, s6, s13
	v_cmp_le_u64_e32 vcc, s[76:77], v[4:5]
	s_addc_u32 s73, s7, 0
	v_add_u32_e32 v41, v41, v40
	v_pk_mov_b32 v[8:9], s[88:89], s[88:89] op_sel:[0,1]
	v_pk_mov_b32 v[10:11], s[86:87], s[86:87] op_sel:[0,1]
	;; [unrolled: 1-line block ×3, first 2 shown]
	s_or_b64 s[28:29], vcc, s[28:29]
	v_pk_mov_b32 v[14:15], s[72:73], s[72:73] op_sel:[0,1]
	s_andn2_b64 exec, exec, s[28:29]
	s_cbranch_execnz .LBB47_87
; %bb.88:                               ;   in Loop: Header=BB47_33 Depth=1
	s_or_b64 exec, exec, s[28:29]
	v_readlane_b32 s52, v70, 43
	v_readlane_b32 s82, v70, 45
	;; [unrolled: 1-line block ×5, first 2 shown]
	s_mov_b32 s87, s1
	v_readlane_b32 s89, v70, 48
	s_mov_b32 s47, s0
	s_mov_b64 s[48:49], s[8:9]
	s_mov_b64 s[42:43], s[74:75]
	;; [unrolled: 1-line block ×3, first 2 shown]
.LBB47_89:                              ;   in Loop: Header=BB47_33 Depth=1
	s_or_b64 exec, exec, s[70:71]
	v_add_u32_e32 v18, s76, v0
	v_cmp_gt_u32_e32 vcc, s94, v18
	s_and_saveexec_b64 s[20:21], vcc
	s_cbranch_execz .LBB47_93
; %bb.90:                               ;   in Loop: Header=BB47_33 Depth=1
	s_and_b32 s76, s94, 0x7fffffff
	s_and_b32 s5, s47, 0xfe
	v_lshlrev_b32_e32 v34, 3, v18
	v_lshlrev_b32_e32 v35, 3, v2
	s_mov_b64 s[22:23], 0
	v_pk_mov_b32 v[4:5], v[18:19], v[18:19] op_sel:[0,1]
.LBB47_91:                              ;   Parent Loop BB47_33 Depth=1
                                        ; =>  This Inner Loop Header: Depth=2
	ds_read_b64 v[36:37], v34
	v_add_co_u32_e32 v4, vcc, v4, v2
	v_addc_co_u32_e32 v5, vcc, 0, v5, vcc
	s_waitcnt lgkmcnt(0)
	v_ashrrev_i32_e32 v18, 31, v37
	v_or_b32_e32 v38, 0x80000000, v18
	v_xor_b32_e32 v18, v18, v36
	v_cmp_o_f64_e64 s[6:7], v[36:37], v[36:37]
	v_xor_b32_e32 v37, v38, v37
	v_cndmask_b32_e64 v36, -1, v18, s[6:7]
	v_cndmask_b32_e64 v37, -1, v37, s[6:7]
	v_and_b32_e32 v38, s84, v36
	v_and_b32_e32 v39, s85, v37
	v_lshrrev_b64 v[36:37], s5, v[36:37]
	v_and_b32_e32 v18, 3, v36
	v_cmp_eq_u64_e64 s[6:7], s[2:3], v[38:39]
	v_cmp_eq_u64_e64 s[12:13], 0, v[18:19]
	v_cmp_eq_u64_e64 s[14:15], 1, v[18:19]
	s_and_b64 s[12:13], s[6:7], s[12:13]
	v_cmp_eq_u64_e64 s[16:17], 2, v[18:19]
	v_cmp_eq_u64_e64 s[18:19], 3, v[18:19]
	v_cndmask_b32_e64 v18, 0, 1, s[12:13]
	s_and_b64 s[12:13], s[6:7], s[14:15]
	v_cndmask_b32_e64 v36, 0, 1, s[12:13]
	s_and_b64 s[12:13], s[6:7], s[16:17]
	s_and_b64 s[6:7], s[6:7], s[18:19]
	v_cndmask_b32_e64 v37, 0, 1, s[12:13]
	v_cndmask_b32_e64 v38, 0, 1, s[6:7]
	v_cmp_ne_u32_e64 s[6:7], 0, v18
	v_cmp_ne_u32_e64 s[12:13], 0, v36
	;; [unrolled: 1-line block ×4, first 2 shown]
	v_cmp_le_u64_e32 vcc, s[76:77], v[4:5]
	s_bcnt1_i32_b64 s6, s[6:7]
	s_bcnt1_i32_b64 s7, s[12:13]
	;; [unrolled: 1-line block ×4, first 2 shown]
	s_or_b64 s[22:23], vcc, s[22:23]
	v_add_co_u32_e32 v8, vcc, s6, v8
	v_addc_co_u32_e32 v9, vcc, 0, v9, vcc
	v_add_co_u32_e32 v10, vcc, s7, v10
	v_addc_co_u32_e32 v11, vcc, 0, v11, vcc
	;; [unrolled: 2-line block ×3, first 2 shown]
	v_add_co_u32_e32 v14, vcc, s13, v14
	v_add_u32_e32 v34, v34, v35
	v_addc_co_u32_e32 v15, vcc, 0, v15, vcc
	s_andn2_b64 exec, exec, s[22:23]
	s_cbranch_execnz .LBB47_91
; %bb.92:                               ;   in Loop: Header=BB47_33 Depth=1
	s_or_b64 exec, exec, s[22:23]
.LBB47_93:                              ;   in Loop: Header=BB47_33 Depth=1
	s_or_b64 exec, exec, s[20:21]
.LBB47_94:                              ;   in Loop: Header=BB47_33 Depth=1
	v_readlane_b32 s0, v70, 42
	s_lshl_b32 s5, s0, 6
	s_and_saveexec_b64 s[6:7], s[52:53]
	s_mov_b64 s[74:75], s[54:55]
	s_cbranch_execz .LBB47_96
; %bb.95:                               ;   in Loop: Header=BB47_33 Depth=1
	v_or_b32_e32 v2, s5, v53
	v_lshlrev_b32_e32 v2, 3, v2
	ds_write_b128 v2, v[8:11] offset:3072
	ds_write_b128 v2, v[12:15] offset:3088
.LBB47_96:                              ;   in Loop: Header=BB47_33 Depth=1
	s_or_b64 exec, exec, s[6:7]
	s_waitcnt lgkmcnt(0)
	s_barrier
	s_and_saveexec_b64 s[6:7], s[82:83]
	s_cbranch_execz .LBB47_108
; %bb.97:                               ;   in Loop: Header=BB47_33 Depth=1
	v_readlane_b32 s12, v70, 26
	v_readlane_b32 s13, v70, 27
	s_andn2_b64 vcc, exec, s[12:13]
	s_waitcnt vmcnt(0)
	v_pk_mov_b32 v[4:5], 0, 0
	s_cbranch_vccnz .LBB47_107
; %bb.98:                               ;   in Loop: Header=BB47_33 Depth=1
	v_readlane_b32 s0, v70, 31
	v_readlane_b32 s1, v70, 32
	s_andn2_b64 vcc, exec, s[0:1]
	s_cbranch_vccnz .LBB47_103
; %bb.99:                               ;   in Loop: Header=BB47_33 Depth=1
	v_readlane_b32 s0, v70, 42
	v_lshl_add_u32 v2, s0, 9, v58
	s_mov_b32 s12, 0
	v_pk_mov_b32 v[4:5], 0, 0
.LBB47_100:                             ;   Parent Loop BB47_33 Depth=1
                                        ; =>  This Inner Loop Header: Depth=2
	ds_read2_b64 v[8:11], v2 offset1:4
	ds_read2_b64 v[12:15], v2 offset0:8 offset1:12
	ds_read2_b64 v[34:37], v2 offset0:16 offset1:20
	;; [unrolled: 1-line block ×3, first 2 shown]
	s_add_i32 s12, s12, 8
	s_waitcnt lgkmcnt(3)
	v_add_co_u32_e32 v4, vcc, v8, v4
	v_addc_co_u32_e32 v5, vcc, v9, v5, vcc
	v_add_co_u32_e32 v4, vcc, v10, v4
	v_addc_co_u32_e32 v5, vcc, v11, v5, vcc
	s_waitcnt lgkmcnt(2)
	v_add_co_u32_e32 v4, vcc, v12, v4
	v_addc_co_u32_e32 v5, vcc, v13, v5, vcc
	v_add_co_u32_e32 v4, vcc, v14, v4
	v_addc_co_u32_e32 v5, vcc, v15, v5, vcc
	s_waitcnt lgkmcnt(1)
	v_add_co_u32_e32 v4, vcc, v34, v4
	v_addc_co_u32_e32 v5, vcc, v35, v5, vcc
	v_add_co_u32_e32 v4, vcc, v36, v4
	v_addc_co_u32_e32 v5, vcc, v37, v5, vcc
	s_waitcnt lgkmcnt(0)
	v_add_co_u32_e32 v4, vcc, v38, v4
	v_addc_co_u32_e32 v5, vcc, v39, v5, vcc
	v_add_co_u32_e32 v4, vcc, v40, v4
	v_add_u32_e32 v2, 0x100, v2
	s_cmp_eq_u32 s61, s12
	v_addc_co_u32_e32 v5, vcc, v41, v5, vcc
	s_cbranch_scc0 .LBB47_100
; %bb.101:                              ;   in Loop: Header=BB47_33 Depth=1
	s_mov_b32 s12, s61
	s_branch .LBB47_104
.LBB47_102:                             ;   in Loop: Header=BB47_33 Depth=1
                                        ; implicit-def: $vgpr4_vgpr5
	s_branch .LBB47_70
.LBB47_103:                             ;   in Loop: Header=BB47_33 Depth=1
	s_mov_b32 s12, 0
	v_pk_mov_b32 v[4:5], 0, 0
.LBB47_104:                             ;   in Loop: Header=BB47_33 Depth=1
	v_readlane_b32 s0, v70, 34
	v_readlane_b32 s1, v70, 35
	s_andn2_b64 vcc, exec, s[0:1]
	s_cbranch_vccnz .LBB47_107
; %bb.105:                              ;   in Loop: Header=BB47_33 Depth=1
	v_readlane_b32 s0, v70, 42
	s_lshl_b32 s13, s0, 9
	s_lshl_b32 s12, s12, 5
	s_add_i32 s13, s13, s12
	v_add_u32_e32 v2, s13, v58
	v_readlane_b32 s12, v70, 33
.LBB47_106:                             ;   Parent Loop BB47_33 Depth=1
                                        ; =>  This Inner Loop Header: Depth=2
	ds_read_b64 v[8:9], v2
	s_add_i32 s12, s12, -1
	v_add_u32_e32 v2, 32, v2
	s_cmp_lg_u32 s12, 0
	s_waitcnt lgkmcnt(0)
	v_add_co_u32_e32 v4, vcc, v8, v4
	v_addc_co_u32_e32 v5, vcc, v9, v5, vcc
	s_cbranch_scc1 .LBB47_106
.LBB47_107:                             ;   in Loop: Header=BB47_33 Depth=1
	v_add_lshl_u32 v2, s5, v50, 3
	ds_write_b64 v2, v[4:5] offset:3072
.LBB47_108:                             ;   in Loop: Header=BB47_33 Depth=1
	s_or_b64 exec, exec, s[6:7]
	s_lshl_b32 s5, s5, 3
	v_mov_b32_e32 v2, s5
	s_waitcnt lgkmcnt(0)
	s_barrier
	ds_read_b128 v[8:11], v2 offset:3072
	ds_read_b128 v[12:15], v2 offset:3088
	s_and_b32 s46, s47, 0xfe
	s_lshl_b64 s[14:15], 3, s46
	s_not_b64 s[22:23], s[14:15]
	s_waitcnt lgkmcnt(1)
	v_readfirstlane_b32 s19, v9
	v_readfirstlane_b32 s18, v8
	s_cmp_eq_u64 s[18:19], 1
	s_cselect_b64 s[6:7], -1, 0
	s_cmp_eq_u64 s[58:59], 1
	s_cselect_b64 s[16:17], -1, 0
	s_and_b64 s[26:27], s[6:7], s[16:17]
	v_readfirstlane_b32 s36, v10
	v_readfirstlane_b32 s37, v11
	s_waitcnt lgkmcnt(0)
	v_readfirstlane_b32 s20, v12
	v_readfirstlane_b32 s21, v13
	;; [unrolled: 1-line block ×4, first 2 shown]
	s_mov_b64 s[24:25], -1
	s_and_b64 vcc, exec, s[26:27]
	s_cbranch_vccz .LBB47_123
; %bb.109:                              ;   in Loop: Header=BB47_33 Depth=1
	s_waitcnt vmcnt(0)
	ds_read_b64 v[4:5], v19 offset:5120
	s_waitcnt lgkmcnt(0)
	s_barrier
	v_readfirstlane_b32 s16, v4
	v_readfirstlane_b32 s17, v5
	s_mov_b64 s[6:7], exec
	v_readlane_b32 s28, v70, 16
	v_readlane_b32 s29, v70, 17
	s_and_b64 s[28:29], s[6:7], s[28:29]
	s_mov_b64 exec, s[28:29]
	s_cbranch_execz .LBB47_111
; %bb.110:                              ;   in Loop: Header=BB47_33 Depth=1
	v_mov_b32_e32 v18, v19
	ds_write_b64 v52, v[18:19]
.LBB47_111:                             ;   in Loop: Header=BB47_33 Depth=1
	s_or_b64 exec, exec, s[6:7]
	v_cmp_lt_i64_e64 s[6:7], s[16:17], 1
	s_and_b64 s[2:3], s[2:3], s[22:23]
	s_or_b64 s[84:85], s[84:85], s[14:15]
	s_and_b64 vcc, exec, s[6:7]
	s_waitcnt lgkmcnt(0)
	s_barrier
	s_cbranch_vccz .LBB47_124
; %bb.112:                              ;   in Loop: Header=BB47_33 Depth=1
	s_mov_b32 s86, s77
	s_cmp_lg_u64 s[86:87], 0
	s_cbranch_scc0 .LBB47_169
; %bb.113:                              ;   in Loop: Header=BB47_33 Depth=1
	v_cvt_f32_u32_e32 v2, s33
	s_sub_u32 s5, 0, s33
	s_subb_u32 s6, 0, 0
	v_mac_f32_e32 v2, 0x4f800000, v59
	v_rcp_f32_e32 v2, v2
	v_mul_f32_e32 v2, 0x5f7ffffc, v2
	v_mul_f32_e32 v4, 0x2f800000, v2
	v_trunc_f32_e32 v4, v4
	v_mac_f32_e32 v2, 0xcf800000, v4
	v_cvt_u32_f32_e32 v4, v4
	v_cvt_u32_f32_e32 v2, v2
	v_readfirstlane_b32 s7, v4
	v_readfirstlane_b32 s28, v2
	s_mul_i32 s29, s5, s7
	s_mul_hi_u32 s31, s5, s28
	s_mul_i32 s30, s6, s28
	s_add_i32 s29, s31, s29
	s_mul_i32 s34, s5, s28
	s_add_i32 s29, s29, s30
	s_mul_hi_u32 s31, s28, s34
	s_mul_hi_u32 s30, s28, s29
	s_mul_i32 s28, s28, s29
	s_add_u32 s28, s31, s28
	s_addc_u32 s30, 0, s30
	s_mul_hi_u32 s35, s7, s34
	s_mul_i32 s34, s7, s34
	s_add_u32 s28, s28, s34
	s_mul_hi_u32 s31, s7, s29
	s_addc_u32 s28, s30, s35
	s_addc_u32 s30, s31, 0
	s_mul_i32 s29, s7, s29
	s_add_u32 s28, s28, s29
	s_addc_u32 s29, 0, s30
	v_add_co_u32_e32 v2, vcc, s28, v2
	s_cmp_lg_u64 vcc, 0
	s_addc_u32 s7, s7, s29
	v_readfirstlane_b32 s29, v2
	s_mul_i32 s28, s5, s7
	s_mul_hi_u32 s30, s5, s29
	s_add_i32 s28, s30, s28
	s_mul_i32 s6, s6, s29
	s_add_i32 s28, s28, s6
	s_mul_i32 s5, s5, s29
	s_mul_hi_u32 s30, s7, s5
	s_mul_i32 s31, s7, s5
	s_mul_i32 s35, s29, s28
	s_mul_hi_u32 s5, s29, s5
	s_mul_hi_u32 s34, s29, s28
	s_add_u32 s5, s5, s35
	s_addc_u32 s29, 0, s34
	s_add_u32 s5, s5, s31
	s_mul_hi_u32 s6, s7, s28
	s_addc_u32 s5, s29, s30
	s_addc_u32 s6, s6, 0
	s_mul_i32 s28, s7, s28
	s_add_u32 s5, s5, s28
	s_addc_u32 s6, 0, s6
	v_add_co_u32_e32 v2, vcc, s5, v2
	s_cmp_lg_u64 vcc, 0
	s_addc_u32 s5, s7, s6
	s_ashr_i32 s6, s87, 31
	v_readlane_b32 s28, v70, 29
	s_add_u32 s28, s28, s6
	s_mov_b32 s7, s6
	s_addc_u32 s29, s87, s6
	s_xor_b64 s[28:29], s[28:29], s[6:7]
	v_readfirstlane_b32 s31, v2
	s_mul_i32 s30, s28, s5
	s_mul_hi_u32 s34, s28, s31
	s_mul_hi_u32 s7, s28, s5
	s_add_u32 s30, s34, s30
	s_addc_u32 s7, 0, s7
	s_mul_hi_u32 s35, s29, s31
	s_mul_i32 s31, s29, s31
	s_add_u32 s30, s30, s31
	s_mul_hi_u32 s34, s29, s5
	s_addc_u32 s7, s7, s35
	s_addc_u32 s30, s34, 0
	s_mul_i32 s5, s29, s5
	s_add_u32 s5, s7, s5
	s_addc_u32 s7, 0, s30
	s_mul_hi_u32 s30, s33, s5
	s_mul_i32 s5, s33, s5
	s_mul_i32 s7, s33, s7
	v_mov_b32_e32 v2, s5
	s_add_i32 s30, s30, s7
	v_sub_co_u32_e32 v2, vcc, s28, v2
	s_cmp_lg_u64 vcc, 0
	s_subb_u32 s5, s29, s30
	v_subrev_co_u32_e32 v4, vcc, s33, v2
	s_cmp_lg_u64 vcc, 0
	s_subb_u32 s7, s5, 0
	v_subrev_co_u32_e32 v5, vcc, s33, v4
	s_cmp_lg_u64 vcc, 0
	s_subb_u32 s28, s7, 0
	v_cmp_le_u32_e32 vcc, s33, v4
	s_cmp_eq_u32 s7, 0
	v_cndmask_b32_e64 v6, 0, -1, vcc
	s_cselect_b64 vcc, -1, 0
	v_cndmask_b32_e32 v6, -1, v6, vcc
	v_mov_b32_e32 v7, s7
	v_mov_b32_e32 v8, s28
	v_cmp_ne_u32_e32 vcc, 0, v6
	v_cndmask_b32_e32 v6, v7, v8, vcc
	v_cndmask_b32_e32 v4, v4, v5, vcc
	v_cmp_le_u32_e32 vcc, s33, v2
	s_cmp_eq_u32 s5, 0
	v_cndmask_b32_e64 v5, 0, -1, vcc
	s_cselect_b64 vcc, -1, 0
	v_cndmask_b32_e32 v5, -1, v5, vcc
	v_cmp_ne_u32_e32 vcc, 0, v5
	v_mov_b32_e32 v7, s5
	v_cndmask_b32_e32 v2, v2, v4, vcc
	v_cndmask_b32_e32 v5, v7, v6, vcc
	v_xor_b32_e32 v2, s6, v2
	v_xor_b32_e32 v5, s6, v5
	v_mov_b32_e32 v6, s6
	v_subrev_co_u32_e32 v4, vcc, s6, v2
	v_subb_co_u32_e32 v5, vcc, v5, v6, vcc
	s_cbranch_execnz .LBB47_115
.LBB47_114:                             ;   in Loop: Header=BB47_33 Depth=1
	v_cvt_f32_u32_e32 v2, s33
	s_sub_i32 s5, 0, s33
	v_rcp_iflag_f32_e32 v2, v2
	v_mul_f32_e32 v2, 0x4f7ffffe, v2
	v_cvt_u32_f32_e32 v2, v2
	v_mul_lo_u32 v4, s5, v2
	v_mul_hi_u32 v4, v2, v4
	v_add_u32_e32 v2, v2, v4
	v_readlane_b32 s5, v70, 29
	v_mul_hi_u32 v2, s5, v2
	v_mul_lo_u32 v2, v2, s33
	v_sub_u32_e32 v2, s5, v2
	v_subrev_u32_e32 v4, s33, v2
	v_cmp_le_u32_e32 vcc, s33, v2
	v_cndmask_b32_e32 v2, v2, v4, vcc
	v_subrev_u32_e32 v4, s33, v2
	v_cmp_le_u32_e32 vcc, s33, v2
	v_cndmask_b32_e32 v18, v2, v4, vcc
	v_pk_mov_b32 v[4:5], v[18:19], v[18:19] op_sel:[0,1]
.LBB47_115:                             ;   in Loop: Header=BB47_33 Depth=1
	v_readlane_b32 s5, v70, 29
	v_mov_b32_e32 v2, s87
	v_sub_co_u32_e32 v8, vcc, s5, v4
	v_subb_co_u32_e32 v9, vcc, v2, v5, vcc
	v_cmp_gt_i64_e32 vcc, v[8:9], v[0:1]
	s_mov_b64 s[6:7], 0
                                        ; implicit-def: $vgpr6_vgpr7
	s_and_saveexec_b64 s[28:29], vcc
	s_cbranch_execz .LBB47_126
; %bb.116:                              ;   in Loop: Header=BB47_33 Depth=1
	s_mov_b64 s[34:35], 0
	v_pk_mov_b32 v[10:11], v[16:17], v[16:17] op_sel:[0,1]
	v_pk_mov_b32 v[12:13], v[0:1], v[0:1] op_sel:[0,1]
                                        ; implicit-def: $sgpr30_sgpr31
	s_branch .LBB47_118
.LBB47_117:                             ;   in Loop: Header=BB47_118 Depth=2
	s_or_b64 exec, exec, s[6:7]
	s_waitcnt lgkmcnt(0)
	s_barrier
	s_waitcnt vmcnt(0)
	ds_read_b128 v[4:7], v19 offset:3072
	v_mov_b32_e32 v2, s60
	v_add_co_u32_e64 v12, s[6:7], s33, v12
	v_addc_co_u32_e64 v13, s[6:7], v13, v2, s[6:7]
	s_waitcnt lgkmcnt(0)
	v_cmp_neq_f64_e32 vcc, 0, v[4:5]
	v_cmp_ge_i64_e64 s[6:7], v[12:13], v[8:9]
	s_or_b64 s[38:39], vcc, s[6:7]
	v_mov_b32_e32 v2, s79
	v_add_co_u32_e64 v10, s[6:7], s78, v10
	v_addc_co_u32_e64 v11, s[6:7], v11, v2, s[6:7]
	s_and_b64 s[6:7], exec, s[38:39]
	s_or_b64 s[34:35], s[6:7], s[34:35]
	s_andn2_b64 s[6:7], s[30:31], exec
	s_and_b64 s[30:31], vcc, exec
	s_or_b64 s[30:31], s[6:7], s[30:31]
	s_barrier
	s_andn2_b64 exec, exec, s[34:35]
	s_cbranch_execz .LBB47_125
.LBB47_118:                             ;   Parent Loop BB47_33 Depth=1
                                        ; =>  This Inner Loop Header: Depth=2
	v_cmp_gt_i64_e32 vcc, s[56:57], v[12:13]
	v_pk_mov_b32 v[4:5], 0, 0
	s_and_saveexec_b64 s[6:7], vcc
	s_cbranch_execz .LBB47_120
; %bb.119:                              ;   in Loop: Header=BB47_118 Depth=2
	global_load_dwordx2 v[4:5], v[10:11], off
.LBB47_120:                             ;   in Loop: Header=BB47_118 Depth=2
	s_or_b64 exec, exec, s[6:7]
	s_and_saveexec_b64 s[6:7], vcc
	s_cbranch_execz .LBB47_117
; %bb.121:                              ;   in Loop: Header=BB47_118 Depth=2
	s_waitcnt vmcnt(0)
	v_ashrrev_i32_e32 v2, 31, v5
	v_or_b32_e32 v6, 0x80000000, v2
	v_xor_b32_e32 v6, v6, v5
	v_xor_b32_e32 v2, v2, v4
	v_cmp_o_f64_e32 vcc, v[4:5], v[4:5]
	v_cndmask_b32_e32 v6, -1, v6, vcc
	v_cndmask_b32_e32 v2, -1, v2, vcc
	v_and_b32_e32 v7, s85, v6
	v_and_b32_e32 v6, s84, v2
	v_cmp_eq_u64_e32 vcc, s[2:3], v[6:7]
	s_and_b64 exec, exec, vcc
	s_cbranch_execz .LBB47_117
; %bb.122:                              ;   in Loop: Header=BB47_118 Depth=2
	v_mov_b32_e32 v2, v19
	ds_write_b128 v19, v[2:5] offset:3072
	s_branch .LBB47_117
.LBB47_123:                             ;   in Loop: Header=BB47_33 Depth=1
	s_mov_b64 s[6:7], -1
                                        ; implicit-def: $sgpr28_sgpr29
                                        ; implicit-def: $sgpr34_sgpr35
                                        ; implicit-def: $sgpr30_sgpr31
	s_branch .LBB47_140
.LBB47_124:                             ;   in Loop: Header=BB47_33 Depth=1
	s_mov_b64 s[28:29], -1
	s_mov_b64 s[6:7], 0
                                        ; implicit-def: $sgpr30_sgpr31
                                        ; implicit-def: $vgpr6_vgpr7
	s_mov_b64 s[34:35], s[28:29]
	s_cbranch_execnz .LBB47_127
	s_branch .LBB47_140
.LBB47_125:                             ;   in Loop: Header=BB47_33 Depth=1
	s_or_b64 exec, exec, s[34:35]
	s_and_b64 s[6:7], s[30:31], exec
.LBB47_126:                             ;   in Loop: Header=BB47_33 Depth=1
	s_or_b64 exec, exec, s[28:29]
	s_mov_b64 s[30:31], -1
	s_mov_b64 s[28:29], 0
	s_mov_b64 s[34:35], s[28:29]
	s_branch .LBB47_140
.LBB47_127:                             ;   in Loop: Header=BB47_33 Depth=1
	v_readlane_b32 s5, v70, 28
	s_add_u32 s5, s5, s16
	v_readlane_b32 s6, v70, 30
	s_addc_u32 s7, s6, s17
	s_mov_b32 s6, s77
	s_cmp_lg_u64 s[6:7], 0
	s_cbranch_scc0 .LBB47_170
; %bb.128:                              ;   in Loop: Header=BB47_33 Depth=1
	v_cvt_f32_u32_e32 v2, s33
	s_sub_u32 s6, 0, s33
	s_subb_u32 s28, 0, 0
	v_mac_f32_e32 v2, 0x4f800000, v59
	v_rcp_f32_e32 v2, v2
	v_mul_f32_e32 v2, 0x5f7ffffc, v2
	v_mul_f32_e32 v4, 0x2f800000, v2
	v_trunc_f32_e32 v4, v4
	v_mac_f32_e32 v2, 0xcf800000, v4
	v_cvt_u32_f32_e32 v4, v4
	v_cvt_u32_f32_e32 v2, v2
	v_readfirstlane_b32 s29, v4
	v_readfirstlane_b32 s30, v2
	s_mul_i32 s31, s6, s29
	s_mul_hi_u32 s35, s6, s30
	s_mul_i32 s34, s28, s30
	s_add_i32 s31, s35, s31
	s_mul_i32 s38, s6, s30
	s_add_i32 s31, s31, s34
	s_mul_hi_u32 s35, s30, s38
	s_mul_hi_u32 s34, s30, s31
	s_mul_i32 s30, s30, s31
	s_add_u32 s30, s35, s30
	s_addc_u32 s34, 0, s34
	s_mul_hi_u32 s39, s29, s38
	s_mul_i32 s38, s29, s38
	s_add_u32 s30, s30, s38
	s_mul_hi_u32 s35, s29, s31
	s_addc_u32 s30, s34, s39
	s_addc_u32 s34, s35, 0
	s_mul_i32 s31, s29, s31
	s_add_u32 s30, s30, s31
	s_addc_u32 s31, 0, s34
	v_add_co_u32_e32 v2, vcc, s30, v2
	s_cmp_lg_u64 vcc, 0
	s_addc_u32 s29, s29, s31
	v_readfirstlane_b32 s31, v2
	s_mul_i32 s30, s6, s29
	s_mul_hi_u32 s34, s6, s31
	s_add_i32 s30, s34, s30
	s_mul_i32 s28, s28, s31
	s_add_i32 s30, s30, s28
	s_mul_i32 s6, s6, s31
	s_mul_hi_u32 s34, s29, s6
	s_mul_i32 s35, s29, s6
	s_mul_i32 s39, s31, s30
	s_mul_hi_u32 s6, s31, s6
	s_mul_hi_u32 s38, s31, s30
	s_add_u32 s6, s6, s39
	s_addc_u32 s31, 0, s38
	s_add_u32 s6, s6, s35
	s_mul_hi_u32 s28, s29, s30
	s_addc_u32 s6, s31, s34
	s_addc_u32 s28, s28, 0
	s_mul_i32 s30, s29, s30
	s_add_u32 s6, s6, s30
	s_addc_u32 s28, 0, s28
	v_add_co_u32_e32 v2, vcc, s6, v2
	s_cmp_lg_u64 vcc, 0
	s_addc_u32 s6, s29, s28
	s_ashr_i32 s28, s7, 31
	s_add_u32 s30, s5, s28
	s_mov_b32 s29, s28
	s_addc_u32 s31, s7, s28
	s_xor_b64 s[30:31], s[30:31], s[28:29]
	v_readfirstlane_b32 s35, v2
	s_mul_i32 s34, s30, s6
	s_mul_hi_u32 s38, s30, s35
	s_mul_hi_u32 s29, s30, s6
	s_add_u32 s34, s38, s34
	s_addc_u32 s29, 0, s29
	s_mul_hi_u32 s39, s31, s35
	s_mul_i32 s35, s31, s35
	s_add_u32 s34, s34, s35
	s_mul_hi_u32 s38, s31, s6
	s_addc_u32 s29, s29, s39
	s_addc_u32 s34, s38, 0
	s_mul_i32 s6, s31, s6
	s_add_u32 s6, s29, s6
	s_addc_u32 s29, 0, s34
	s_mul_hi_u32 s34, s33, s6
	s_mul_i32 s6, s33, s6
	s_mul_i32 s29, s33, s29
	v_mov_b32_e32 v2, s6
	s_add_i32 s34, s34, s29
	v_sub_co_u32_e32 v2, vcc, s30, v2
	s_cmp_lg_u64 vcc, 0
	s_subb_u32 s6, s31, s34
	v_subrev_co_u32_e32 v4, vcc, s33, v2
	s_cmp_lg_u64 vcc, 0
	s_subb_u32 s29, s6, 0
	v_subrev_co_u32_e32 v5, vcc, s33, v4
	s_cmp_lg_u64 vcc, 0
	s_subb_u32 s30, s29, 0
	v_cmp_le_u32_e32 vcc, s33, v4
	s_cmp_eq_u32 s29, 0
	v_cndmask_b32_e64 v6, 0, -1, vcc
	s_cselect_b64 vcc, -1, 0
	v_cndmask_b32_e32 v6, -1, v6, vcc
	v_mov_b32_e32 v7, s29
	v_mov_b32_e32 v8, s30
	v_cmp_ne_u32_e32 vcc, 0, v6
	v_cndmask_b32_e32 v6, v7, v8, vcc
	v_cndmask_b32_e32 v4, v4, v5, vcc
	v_cmp_le_u32_e32 vcc, s33, v2
	s_cmp_eq_u32 s6, 0
	v_cndmask_b32_e64 v5, 0, -1, vcc
	s_cselect_b64 vcc, -1, 0
	v_cndmask_b32_e32 v5, -1, v5, vcc
	v_cmp_ne_u32_e32 vcc, 0, v5
	v_mov_b32_e32 v7, s6
	v_cndmask_b32_e32 v2, v2, v4, vcc
	v_cndmask_b32_e32 v5, v7, v6, vcc
	v_xor_b32_e32 v2, s28, v2
	v_xor_b32_e32 v5, s28, v5
	v_mov_b32_e32 v6, s28
	v_subrev_co_u32_e32 v4, vcc, s28, v2
	v_subb_co_u32_e32 v5, vcc, v5, v6, vcc
	s_cbranch_execnz .LBB47_130
.LBB47_129:                             ;   in Loop: Header=BB47_33 Depth=1
	v_cvt_f32_u32_e32 v2, s33
	s_sub_i32 s6, 0, s33
	v_rcp_iflag_f32_e32 v2, v2
	v_mul_f32_e32 v2, 0x4f7ffffe, v2
	v_cvt_u32_f32_e32 v2, v2
	v_mul_lo_u32 v4, s6, v2
	v_mul_hi_u32 v4, v2, v4
	v_add_u32_e32 v2, v2, v4
	v_mul_hi_u32 v2, s5, v2
	v_mul_lo_u32 v2, v2, s33
	v_sub_u32_e32 v2, s5, v2
	v_subrev_u32_e32 v4, s33, v2
	v_cmp_le_u32_e32 vcc, s33, v2
	v_cndmask_b32_e32 v2, v2, v4, vcc
	v_subrev_u32_e32 v4, s33, v2
	v_cmp_le_u32_e32 vcc, s33, v2
	v_cndmask_b32_e32 v18, v2, v4, vcc
	v_pk_mov_b32 v[4:5], v[18:19], v[18:19] op_sel:[0,1]
.LBB47_130:                             ;   in Loop: Header=BB47_33 Depth=1
	v_mov_b32_e32 v2, s7
	v_sub_co_u32_e32 v8, vcc, s5, v4
	v_subb_co_u32_e32 v9, vcc, v2, v5, vcc
	v_cmp_gt_i64_e32 vcc, v[8:9], v[0:1]
	s_mov_b64 s[6:7], 0
                                        ; implicit-def: $vgpr6_vgpr7
	s_and_saveexec_b64 s[28:29], vcc
	s_cbranch_execz .LBB47_139
; %bb.131:                              ;   in Loop: Header=BB47_33 Depth=1
	s_mov_b64 s[34:35], 0
	v_mov_b32_e32 v12, v51
	v_pk_mov_b32 v[10:11], v[0:1], v[0:1] op_sel:[0,1]
                                        ; implicit-def: $sgpr30_sgpr31
	s_branch .LBB47_133
.LBB47_132:                             ;   in Loop: Header=BB47_133 Depth=2
	s_or_b64 exec, exec, s[6:7]
	s_waitcnt lgkmcnt(0)
	s_barrier
	ds_read_b128 v[4:7], v19 offset:3072
	v_mov_b32_e32 v2, s60
	v_add_co_u32_e64 v10, s[6:7], s33, v10
	v_addc_co_u32_e64 v11, s[6:7], v11, v2, s[6:7]
	s_waitcnt lgkmcnt(0)
	v_cmp_neq_f64_e32 vcc, 0, v[4:5]
	v_cmp_ge_i64_e64 s[6:7], v[10:11], v[8:9]
	s_or_b64 s[6:7], vcc, s[6:7]
	s_and_b64 s[6:7], exec, s[6:7]
	s_or_b64 s[34:35], s[6:7], s[34:35]
	s_andn2_b64 s[6:7], s[30:31], exec
	s_and_b64 s[30:31], vcc, exec
	v_add_u32_e32 v12, s4, v12
	s_or_b64 s[30:31], s[6:7], s[30:31]
	s_barrier
	s_andn2_b64 exec, exec, s[34:35]
	s_cbranch_execz .LBB47_138
.LBB47_133:                             ;   Parent Loop BB47_33 Depth=1
                                        ; =>  This Inner Loop Header: Depth=2
	v_cmp_gt_i64_e32 vcc, s[16:17], v[10:11]
	v_pk_mov_b32 v[4:5], 0, 0
	s_and_saveexec_b64 s[6:7], vcc
	s_cbranch_execz .LBB47_135
; %bb.134:                              ;   in Loop: Header=BB47_133 Depth=2
	ds_read_b64 v[4:5], v12
.LBB47_135:                             ;   in Loop: Header=BB47_133 Depth=2
	s_or_b64 exec, exec, s[6:7]
	s_and_saveexec_b64 s[6:7], vcc
	s_cbranch_execz .LBB47_132
; %bb.136:                              ;   in Loop: Header=BB47_133 Depth=2
	s_waitcnt lgkmcnt(0)
	v_ashrrev_i32_e32 v2, 31, v5
	v_or_b32_e32 v6, 0x80000000, v2
	v_xor_b32_e32 v6, v6, v5
	v_xor_b32_e32 v2, v2, v4
	v_cmp_o_f64_e32 vcc, v[4:5], v[4:5]
	v_cndmask_b32_e32 v6, -1, v6, vcc
	v_cndmask_b32_e32 v2, -1, v2, vcc
	v_and_b32_e32 v7, s85, v6
	v_and_b32_e32 v6, s84, v2
	v_cmp_eq_u64_e32 vcc, s[2:3], v[6:7]
	s_and_b64 exec, exec, vcc
	s_cbranch_execz .LBB47_132
; %bb.137:                              ;   in Loop: Header=BB47_133 Depth=2
	v_mov_b32_e32 v2, v19
	ds_write_b128 v19, v[2:5] offset:3072
	s_branch .LBB47_132
.LBB47_138:                             ;   in Loop: Header=BB47_33 Depth=1
	s_or_b64 exec, exec, s[34:35]
	s_and_b64 s[6:7], s[30:31], exec
.LBB47_139:                             ;   in Loop: Header=BB47_33 Depth=1
	s_or_b64 exec, exec, s[28:29]
	s_mov_b64 s[34:35], -1
	s_mov_b64 s[28:29], 0
	s_mov_b64 s[30:31], 0
.LBB47_140:                             ;   in Loop: Header=BB47_33 Depth=1
	s_andn2_b64 s[8:9], s[64:65], exec
	s_and_b64 s[16:17], s[28:29], exec
	s_or_b64 s[54:55], s[8:9], s[16:17]
	s_andn2_b64 s[0:1], s[42:43], exec
	s_and_b64 s[16:17], s[34:35], exec
	s_or_b64 s[42:43], s[0:1], s[16:17]
	s_andn2_b64 s[16:17], s[48:49], exec
	s_and_b64 s[28:29], s[30:31], exec
	s_or_b64 s[48:49], s[16:17], s[28:29]
	s_and_saveexec_b64 s[16:17], s[6:7]
	s_cbranch_execz .LBB47_32
; %bb.141:                              ;   in Loop: Header=BB47_33 Depth=1
	s_xor_b64 s[6:7], s[26:27], -1
	s_andn2_b64 vcc, exec, s[6:7]
	s_mov_b32 s5, 1
	s_cbranch_vccnz .LBB47_152
; %bb.142:                              ;   in Loop: Header=BB47_33 Depth=1
	s_waitcnt vmcnt(0)
	v_pk_mov_b32 v[4:5], s[18:19], s[18:19] op_sel:[0,1]
	v_cmp_gt_i64_e32 vcc, s[58:59], v[4:5]
	s_mov_b64 s[6:7], -1
                                        ; implicit-def: $sgpr5
                                        ; implicit-def: $sgpr24_sgpr25
                                        ; implicit-def: $sgpr26_sgpr27
	s_cbranch_vccnz .LBB47_148
; %bb.143:                              ;   in Loop: Header=BB47_33 Depth=1
	ds_read_b64 v[4:5], v19 offset:5120
	s_waitcnt lgkmcnt(0)
	v_cmp_ne_u64_e32 vcc, 0, v[4:5]
	s_cbranch_vccnz .LBB47_147
; %bb.144:                              ;   in Loop: Header=BB47_33 Depth=1
	s_mov_b64 s[6:7], exec
	v_readlane_b32 s24, v70, 14
	v_readlane_b32 s25, v70, 15
	s_and_b64 s[24:25], s[6:7], s[24:25]
	s_mov_b64 exec, s[24:25]
	s_cbranch_execz .LBB47_146
; %bb.145:                              ;   in Loop: Header=BB47_33 Depth=1
	v_pk_mov_b32 v[4:5], s[18:19], s[18:19] op_sel:[0,1]
	ds_write_b64 v19, v[4:5] offset:5128
.LBB47_146:                             ;   in Loop: Header=BB47_33 Depth=1
	s_or_b64 exec, exec, s[6:7]
	s_waitcnt lgkmcnt(0)
	s_barrier
.LBB47_147:                             ;   in Loop: Header=BB47_33 Depth=1
	s_and_b64 s[24:25], s[2:3], s[22:23]
	s_or_b64 s[26:27], s[84:85], s[14:15]
	s_mov_b64 s[6:7], 0
	s_mov_b32 s5, 8
.LBB47_148:                             ;   in Loop: Header=BB47_33 Depth=1
	s_andn2_b64 vcc, exec, s[6:7]
	s_cbranch_vccnz .LBB47_150
; %bb.149:                              ;   in Loop: Header=BB47_33 Depth=1
	s_sub_u32 s58, s58, s18
	s_subb_u32 s59, s59, s19
	s_mov_b64 s[6:7], -1
	s_mov_b32 s5, 0
	s_mov_b64 s[24:25], s[2:3]
	s_mov_b64 s[26:27], s[84:85]
.LBB47_150:                             ;   in Loop: Header=BB47_33 Depth=1
	s_mov_b64 s[84:85], s[26:27]
	s_mov_b64 s[2:3], s[24:25]
	s_mov_b64 s[18:19], -1
	s_and_b64 vcc, exec, s[6:7]
	s_cbranch_vccnz .LBB47_153
.LBB47_151:                             ;   in Loop: Header=BB47_33 Depth=1
	s_mov_b64 s[28:29], -1
                                        ; implicit-def: $sgpr24_sgpr25
                                        ; implicit-def: $sgpr30_sgpr31
                                        ; implicit-def: $sgpr26_sgpr27
	s_and_saveexec_b64 s[6:7], s[28:29]
	s_xor_b64 s[6:7], exec, s[6:7]
	s_cbranch_execz .LBB47_31
	s_branch .LBB47_299
.LBB47_152:                             ;   in Loop: Header=BB47_33 Depth=1
	s_mov_b64 s[58:59], 1
	s_mov_b64 s[18:19], -1
	s_branch .LBB47_151
.LBB47_153:                             ;   in Loop: Header=BB47_33 Depth=1
	s_cmp_eq_u64 s[36:37], 1
	s_cselect_b64 s[6:7], -1, 0
	s_cmp_eq_u64 s[58:59], 1
	s_cselect_b64 s[24:25], -1, 0
	s_and_b64 s[38:39], s[6:7], s[24:25]
	s_mov_b64 s[6:7], -1
	s_and_b64 vcc, exec, s[38:39]
	s_cbranch_vccz .LBB47_168
; %bb.154:                              ;   in Loop: Header=BB47_33 Depth=1
	s_waitcnt vmcnt(0)
	ds_read_b64 v[4:5], v19 offset:5120
	s_waitcnt lgkmcnt(0)
	s_barrier
	v_readfirstlane_b32 s34, v4
	v_readfirstlane_b32 s35, v5
	s_mov_b64 s[6:7], exec
	v_readlane_b32 s24, v70, 16
	v_readlane_b32 s25, v70, 17
	s_and_b64 s[24:25], s[6:7], s[24:25]
	s_mov_b64 exec, s[24:25]
	s_cbranch_execz .LBB47_156
; %bb.155:                              ;   in Loop: Header=BB47_33 Depth=1
	v_mov_b32_e32 v18, v19
	ds_write_b64 v52, v[18:19]
.LBB47_156:                             ;   in Loop: Header=BB47_33 Depth=1
	s_or_b64 exec, exec, s[6:7]
	s_lshl_b64 s[6:7], 1, s46
	s_and_b64 s[2:3], s[2:3], s[22:23]
	s_or_b64 s[2:3], s[2:3], s[6:7]
	v_cmp_gt_i64_e64 s[6:7], s[34:35], 0
	s_or_b64 s[84:85], s[84:85], s[14:15]
	s_and_b64 vcc, exec, s[6:7]
	s_waitcnt lgkmcnt(0)
	s_barrier
	s_cbranch_vccnz .LBB47_171
; %bb.157:                              ;   in Loop: Header=BB47_33 Depth=1
	s_mov_b32 s86, s77
	s_cmp_lg_u64 s[86:87], 0
	s_cbranch_scc0 .LBB47_216
; %bb.158:                              ;   in Loop: Header=BB47_33 Depth=1
	v_cvt_f32_u32_e32 v2, s33
	s_sub_u32 s5, 0, s33
	s_subb_u32 s6, 0, 0
	v_mac_f32_e32 v2, 0x4f800000, v59
	v_rcp_f32_e32 v2, v2
	v_mul_f32_e32 v2, 0x5f7ffffc, v2
	v_mul_f32_e32 v4, 0x2f800000, v2
	v_trunc_f32_e32 v4, v4
	v_mac_f32_e32 v2, 0xcf800000, v4
	v_cvt_u32_f32_e32 v4, v4
	v_cvt_u32_f32_e32 v2, v2
	v_readfirstlane_b32 s7, v4
	v_readfirstlane_b32 s24, v2
	s_mul_i32 s25, s5, s7
	s_mul_hi_u32 s27, s5, s24
	s_mul_i32 s26, s6, s24
	s_add_i32 s25, s27, s25
	s_mul_i32 s28, s5, s24
	s_add_i32 s25, s25, s26
	s_mul_hi_u32 s27, s24, s28
	s_mul_hi_u32 s26, s24, s25
	s_mul_i32 s24, s24, s25
	s_add_u32 s24, s27, s24
	s_addc_u32 s26, 0, s26
	s_mul_hi_u32 s29, s7, s28
	s_mul_i32 s28, s7, s28
	s_add_u32 s24, s24, s28
	s_mul_hi_u32 s27, s7, s25
	s_addc_u32 s24, s26, s29
	s_addc_u32 s26, s27, 0
	s_mul_i32 s25, s7, s25
	s_add_u32 s24, s24, s25
	s_addc_u32 s25, 0, s26
	v_add_co_u32_e32 v2, vcc, s24, v2
	s_cmp_lg_u64 vcc, 0
	s_addc_u32 s7, s7, s25
	v_readfirstlane_b32 s25, v2
	s_mul_i32 s24, s5, s7
	s_mul_hi_u32 s26, s5, s25
	s_add_i32 s24, s26, s24
	s_mul_i32 s6, s6, s25
	s_add_i32 s24, s24, s6
	s_mul_i32 s5, s5, s25
	s_mul_hi_u32 s26, s7, s5
	s_mul_i32 s27, s7, s5
	s_mul_i32 s29, s25, s24
	s_mul_hi_u32 s5, s25, s5
	s_mul_hi_u32 s28, s25, s24
	s_add_u32 s5, s5, s29
	s_addc_u32 s25, 0, s28
	s_add_u32 s5, s5, s27
	s_mul_hi_u32 s6, s7, s24
	s_addc_u32 s5, s25, s26
	s_addc_u32 s6, s6, 0
	s_mul_i32 s24, s7, s24
	s_add_u32 s5, s5, s24
	s_addc_u32 s6, 0, s6
	v_add_co_u32_e32 v2, vcc, s5, v2
	s_cmp_lg_u64 vcc, 0
	s_addc_u32 s5, s7, s6
	s_ashr_i32 s6, s87, 31
	v_readlane_b32 s24, v70, 29
	s_add_u32 s24, s24, s6
	s_mov_b32 s7, s6
	s_addc_u32 s25, s87, s6
	s_xor_b64 s[24:25], s[24:25], s[6:7]
	v_readfirstlane_b32 s27, v2
	s_mul_i32 s26, s24, s5
	s_mul_hi_u32 s28, s24, s27
	s_mul_hi_u32 s7, s24, s5
	s_add_u32 s26, s28, s26
	s_addc_u32 s7, 0, s7
	s_mul_hi_u32 s29, s25, s27
	s_mul_i32 s27, s25, s27
	s_add_u32 s26, s26, s27
	s_mul_hi_u32 s28, s25, s5
	s_addc_u32 s7, s7, s29
	s_addc_u32 s26, s28, 0
	s_mul_i32 s5, s25, s5
	s_add_u32 s5, s7, s5
	s_addc_u32 s7, 0, s26
	s_mul_hi_u32 s26, s33, s5
	s_mul_i32 s5, s33, s5
	s_mul_i32 s7, s33, s7
	v_mov_b32_e32 v2, s5
	s_add_i32 s26, s26, s7
	v_sub_co_u32_e32 v2, vcc, s24, v2
	s_cmp_lg_u64 vcc, 0
	s_subb_u32 s5, s25, s26
	v_subrev_co_u32_e32 v4, vcc, s33, v2
	s_cmp_lg_u64 vcc, 0
	s_subb_u32 s7, s5, 0
	v_subrev_co_u32_e32 v5, vcc, s33, v4
	s_cmp_lg_u64 vcc, 0
	s_subb_u32 s24, s7, 0
	v_cmp_le_u32_e32 vcc, s33, v4
	s_cmp_eq_u32 s7, 0
	v_cndmask_b32_e64 v6, 0, -1, vcc
	s_cselect_b64 vcc, -1, 0
	v_cndmask_b32_e32 v6, -1, v6, vcc
	v_mov_b32_e32 v7, s7
	v_mov_b32_e32 v8, s24
	v_cmp_ne_u32_e32 vcc, 0, v6
	v_cndmask_b32_e32 v6, v7, v8, vcc
	v_cndmask_b32_e32 v4, v4, v5, vcc
	v_cmp_le_u32_e32 vcc, s33, v2
	s_cmp_eq_u32 s5, 0
	v_cndmask_b32_e64 v5, 0, -1, vcc
	s_cselect_b64 vcc, -1, 0
	v_cndmask_b32_e32 v5, -1, v5, vcc
	v_cmp_ne_u32_e32 vcc, 0, v5
	v_mov_b32_e32 v7, s5
	v_cndmask_b32_e32 v2, v2, v4, vcc
	v_cndmask_b32_e32 v5, v7, v6, vcc
	v_xor_b32_e32 v2, s6, v2
	v_xor_b32_e32 v5, s6, v5
	v_mov_b32_e32 v6, s6
	v_subrev_co_u32_e32 v4, vcc, s6, v2
	v_subb_co_u32_e32 v5, vcc, v5, v6, vcc
	s_cbranch_execnz .LBB47_160
.LBB47_159:                             ;   in Loop: Header=BB47_33 Depth=1
	v_cvt_f32_u32_e32 v2, s33
	s_sub_i32 s5, 0, s33
	v_rcp_iflag_f32_e32 v2, v2
	v_mul_f32_e32 v2, 0x4f7ffffe, v2
	v_cvt_u32_f32_e32 v2, v2
	v_mul_lo_u32 v4, s5, v2
	v_mul_hi_u32 v4, v2, v4
	v_add_u32_e32 v2, v2, v4
	v_readlane_b32 s5, v70, 29
	v_mul_hi_u32 v2, s5, v2
	v_mul_lo_u32 v2, v2, s33
	v_sub_u32_e32 v2, s5, v2
	v_subrev_u32_e32 v4, s33, v2
	v_cmp_le_u32_e32 vcc, s33, v2
	v_cndmask_b32_e32 v2, v2, v4, vcc
	v_subrev_u32_e32 v4, s33, v2
	v_cmp_le_u32_e32 vcc, s33, v2
	v_cndmask_b32_e32 v18, v2, v4, vcc
	v_pk_mov_b32 v[4:5], v[18:19], v[18:19] op_sel:[0,1]
.LBB47_160:                             ;   in Loop: Header=BB47_33 Depth=1
	v_readlane_b32 s5, v70, 29
	v_mov_b32_e32 v2, s87
	v_sub_co_u32_e32 v8, vcc, s5, v4
	v_subb_co_u32_e32 v9, vcc, v2, v5, vcc
	v_cmp_gt_i64_e32 vcc, v[8:9], v[0:1]
	s_mov_b64 s[6:7], 0
                                        ; implicit-def: $vgpr6_vgpr7
	s_and_saveexec_b64 s[24:25], vcc
	s_cbranch_execz .LBB47_173
; %bb.161:                              ;   in Loop: Header=BB47_33 Depth=1
	s_mov_b64 s[28:29], 0
	v_pk_mov_b32 v[10:11], v[16:17], v[16:17] op_sel:[0,1]
	v_pk_mov_b32 v[12:13], v[0:1], v[0:1] op_sel:[0,1]
                                        ; implicit-def: $sgpr26_sgpr27
	s_branch .LBB47_163
.LBB47_162:                             ;   in Loop: Header=BB47_163 Depth=2
	s_or_b64 exec, exec, s[6:7]
	s_waitcnt lgkmcnt(0)
	s_barrier
	s_waitcnt vmcnt(0)
	ds_read_b128 v[4:7], v19 offset:3072
	v_mov_b32_e32 v2, s60
	v_add_co_u32_e64 v12, s[6:7], s33, v12
	v_addc_co_u32_e64 v13, s[6:7], v13, v2, s[6:7]
	s_waitcnt lgkmcnt(0)
	v_cmp_neq_f64_e32 vcc, 0, v[4:5]
	v_cmp_ge_i64_e64 s[6:7], v[12:13], v[8:9]
	s_or_b64 s[30:31], vcc, s[6:7]
	v_mov_b32_e32 v2, s79
	v_add_co_u32_e64 v10, s[6:7], s78, v10
	v_addc_co_u32_e64 v11, s[6:7], v11, v2, s[6:7]
	s_and_b64 s[6:7], exec, s[30:31]
	s_or_b64 s[28:29], s[6:7], s[28:29]
	s_andn2_b64 s[6:7], s[26:27], exec
	s_and_b64 s[26:27], vcc, exec
	s_or_b64 s[26:27], s[6:7], s[26:27]
	s_barrier
	s_andn2_b64 exec, exec, s[28:29]
	s_cbranch_execz .LBB47_172
.LBB47_163:                             ;   Parent Loop BB47_33 Depth=1
                                        ; =>  This Inner Loop Header: Depth=2
	v_cmp_gt_i64_e32 vcc, s[56:57], v[12:13]
	v_pk_mov_b32 v[4:5], 0, 0
	s_and_saveexec_b64 s[6:7], vcc
	s_cbranch_execz .LBB47_165
; %bb.164:                              ;   in Loop: Header=BB47_163 Depth=2
	global_load_dwordx2 v[4:5], v[10:11], off
.LBB47_165:                             ;   in Loop: Header=BB47_163 Depth=2
	s_or_b64 exec, exec, s[6:7]
	s_and_saveexec_b64 s[6:7], vcc
	s_cbranch_execz .LBB47_162
; %bb.166:                              ;   in Loop: Header=BB47_163 Depth=2
	s_waitcnt vmcnt(0)
	v_ashrrev_i32_e32 v2, 31, v5
	v_or_b32_e32 v6, 0x80000000, v2
	v_xor_b32_e32 v6, v6, v5
	v_xor_b32_e32 v2, v2, v4
	v_cmp_o_f64_e32 vcc, v[4:5], v[4:5]
	v_cndmask_b32_e32 v6, -1, v6, vcc
	v_cndmask_b32_e32 v2, -1, v2, vcc
	v_and_b32_e32 v7, s85, v6
	v_and_b32_e32 v6, s84, v2
	v_cmp_eq_u64_e32 vcc, s[2:3], v[6:7]
	s_and_b64 exec, exec, vcc
	s_cbranch_execz .LBB47_162
; %bb.167:                              ;   in Loop: Header=BB47_163 Depth=2
	v_mov_b32_e32 v2, v19
	ds_write_b128 v19, v[2:5] offset:3072
	s_branch .LBB47_162
.LBB47_168:                             ;   in Loop: Header=BB47_33 Depth=1
                                        ; implicit-def: $sgpr26_sgpr27
                                        ; implicit-def: $sgpr30_sgpr31
                                        ; implicit-def: $sgpr24_sgpr25
	s_branch .LBB47_187
.LBB47_169:                             ;   in Loop: Header=BB47_33 Depth=1
                                        ; implicit-def: $vgpr4_vgpr5
	s_branch .LBB47_114
.LBB47_170:                             ;   in Loop: Header=BB47_33 Depth=1
                                        ; implicit-def: $vgpr4_vgpr5
	s_branch .LBB47_129
.LBB47_171:                             ;   in Loop: Header=BB47_33 Depth=1
	s_mov_b64 s[26:27], -1
	s_mov_b64 s[6:7], 0
                                        ; implicit-def: $sgpr24_sgpr25
                                        ; implicit-def: $vgpr6_vgpr7
	s_mov_b64 s[30:31], s[26:27]
	s_cbranch_execnz .LBB47_174
	s_branch .LBB47_187
.LBB47_172:                             ;   in Loop: Header=BB47_33 Depth=1
	s_or_b64 exec, exec, s[28:29]
	s_and_b64 s[6:7], s[26:27], exec
.LBB47_173:                             ;   in Loop: Header=BB47_33 Depth=1
	s_or_b64 exec, exec, s[24:25]
	s_mov_b64 s[24:25], -1
	s_mov_b64 s[26:27], 0
	s_mov_b64 s[30:31], s[26:27]
	s_branch .LBB47_187
.LBB47_174:                             ;   in Loop: Header=BB47_33 Depth=1
	v_readlane_b32 s5, v70, 28
	s_add_u32 s5, s5, s34
	v_readlane_b32 s6, v70, 30
	s_addc_u32 s7, s6, s35
	s_mov_b32 s6, s77
	s_cmp_lg_u64 s[6:7], 0
	s_cbranch_scc0 .LBB47_217
; %bb.175:                              ;   in Loop: Header=BB47_33 Depth=1
	v_cvt_f32_u32_e32 v2, s33
	s_sub_u32 s6, 0, s33
	s_subb_u32 s24, 0, 0
	v_mac_f32_e32 v2, 0x4f800000, v59
	v_rcp_f32_e32 v2, v2
	v_mul_f32_e32 v2, 0x5f7ffffc, v2
	v_mul_f32_e32 v4, 0x2f800000, v2
	v_trunc_f32_e32 v4, v4
	v_mac_f32_e32 v2, 0xcf800000, v4
	v_cvt_u32_f32_e32 v4, v4
	v_cvt_u32_f32_e32 v2, v2
	v_readfirstlane_b32 s25, v4
	v_readfirstlane_b32 s26, v2
	s_mul_i32 s27, s6, s25
	s_mul_hi_u32 s29, s6, s26
	s_mul_i32 s28, s24, s26
	s_add_i32 s27, s29, s27
	s_mul_i32 s30, s6, s26
	s_add_i32 s27, s27, s28
	s_mul_hi_u32 s29, s26, s30
	s_mul_hi_u32 s28, s26, s27
	s_mul_i32 s26, s26, s27
	s_add_u32 s26, s29, s26
	s_addc_u32 s28, 0, s28
	s_mul_hi_u32 s31, s25, s30
	s_mul_i32 s30, s25, s30
	s_add_u32 s26, s26, s30
	s_mul_hi_u32 s29, s25, s27
	s_addc_u32 s26, s28, s31
	s_addc_u32 s28, s29, 0
	s_mul_i32 s27, s25, s27
	s_add_u32 s26, s26, s27
	s_addc_u32 s27, 0, s28
	v_add_co_u32_e32 v2, vcc, s26, v2
	s_cmp_lg_u64 vcc, 0
	s_addc_u32 s25, s25, s27
	v_readfirstlane_b32 s27, v2
	s_mul_i32 s26, s6, s25
	s_mul_hi_u32 s28, s6, s27
	s_add_i32 s26, s28, s26
	s_mul_i32 s24, s24, s27
	s_add_i32 s26, s26, s24
	s_mul_i32 s6, s6, s27
	s_mul_hi_u32 s28, s25, s6
	s_mul_i32 s29, s25, s6
	s_mul_i32 s31, s27, s26
	s_mul_hi_u32 s6, s27, s6
	s_mul_hi_u32 s30, s27, s26
	s_add_u32 s6, s6, s31
	s_addc_u32 s27, 0, s30
	s_add_u32 s6, s6, s29
	s_mul_hi_u32 s24, s25, s26
	s_addc_u32 s6, s27, s28
	s_addc_u32 s24, s24, 0
	s_mul_i32 s26, s25, s26
	s_add_u32 s6, s6, s26
	s_addc_u32 s24, 0, s24
	v_add_co_u32_e32 v2, vcc, s6, v2
	s_cmp_lg_u64 vcc, 0
	s_addc_u32 s6, s25, s24
	s_ashr_i32 s24, s7, 31
	s_add_u32 s26, s5, s24
	s_mov_b32 s25, s24
	s_addc_u32 s27, s7, s24
	s_xor_b64 s[26:27], s[26:27], s[24:25]
	v_readfirstlane_b32 s29, v2
	s_mul_i32 s28, s26, s6
	s_mul_hi_u32 s30, s26, s29
	s_mul_hi_u32 s25, s26, s6
	s_add_u32 s28, s30, s28
	s_addc_u32 s25, 0, s25
	s_mul_hi_u32 s31, s27, s29
	s_mul_i32 s29, s27, s29
	s_add_u32 s28, s28, s29
	s_mul_hi_u32 s30, s27, s6
	s_addc_u32 s25, s25, s31
	s_addc_u32 s28, s30, 0
	s_mul_i32 s6, s27, s6
	s_add_u32 s6, s25, s6
	s_addc_u32 s25, 0, s28
	s_mul_hi_u32 s28, s33, s6
	s_mul_i32 s6, s33, s6
	s_mul_i32 s25, s33, s25
	v_mov_b32_e32 v2, s6
	s_add_i32 s28, s28, s25
	v_sub_co_u32_e32 v2, vcc, s26, v2
	s_cmp_lg_u64 vcc, 0
	s_subb_u32 s6, s27, s28
	v_subrev_co_u32_e32 v4, vcc, s33, v2
	s_cmp_lg_u64 vcc, 0
	s_subb_u32 s25, s6, 0
	v_subrev_co_u32_e32 v5, vcc, s33, v4
	s_cmp_lg_u64 vcc, 0
	s_subb_u32 s26, s25, 0
	v_cmp_le_u32_e32 vcc, s33, v4
	s_cmp_eq_u32 s25, 0
	v_cndmask_b32_e64 v6, 0, -1, vcc
	s_cselect_b64 vcc, -1, 0
	v_cndmask_b32_e32 v6, -1, v6, vcc
	v_mov_b32_e32 v7, s25
	v_mov_b32_e32 v8, s26
	v_cmp_ne_u32_e32 vcc, 0, v6
	v_cndmask_b32_e32 v6, v7, v8, vcc
	v_cndmask_b32_e32 v4, v4, v5, vcc
	v_cmp_le_u32_e32 vcc, s33, v2
	s_cmp_eq_u32 s6, 0
	v_cndmask_b32_e64 v5, 0, -1, vcc
	s_cselect_b64 vcc, -1, 0
	v_cndmask_b32_e32 v5, -1, v5, vcc
	v_cmp_ne_u32_e32 vcc, 0, v5
	v_mov_b32_e32 v7, s6
	v_cndmask_b32_e32 v2, v2, v4, vcc
	v_cndmask_b32_e32 v5, v7, v6, vcc
	v_xor_b32_e32 v2, s24, v2
	v_xor_b32_e32 v5, s24, v5
	v_mov_b32_e32 v6, s24
	v_subrev_co_u32_e32 v4, vcc, s24, v2
	v_subb_co_u32_e32 v5, vcc, v5, v6, vcc
	s_cbranch_execnz .LBB47_177
.LBB47_176:                             ;   in Loop: Header=BB47_33 Depth=1
	v_cvt_f32_u32_e32 v2, s33
	s_sub_i32 s6, 0, s33
	v_rcp_iflag_f32_e32 v2, v2
	v_mul_f32_e32 v2, 0x4f7ffffe, v2
	v_cvt_u32_f32_e32 v2, v2
	v_mul_lo_u32 v4, s6, v2
	v_mul_hi_u32 v4, v2, v4
	v_add_u32_e32 v2, v2, v4
	v_mul_hi_u32 v2, s5, v2
	v_mul_lo_u32 v2, v2, s33
	v_sub_u32_e32 v2, s5, v2
	v_subrev_u32_e32 v4, s33, v2
	v_cmp_le_u32_e32 vcc, s33, v2
	v_cndmask_b32_e32 v2, v2, v4, vcc
	v_subrev_u32_e32 v4, s33, v2
	v_cmp_le_u32_e32 vcc, s33, v2
	v_cndmask_b32_e32 v18, v2, v4, vcc
	v_pk_mov_b32 v[4:5], v[18:19], v[18:19] op_sel:[0,1]
.LBB47_177:                             ;   in Loop: Header=BB47_33 Depth=1
	v_mov_b32_e32 v2, s7
	v_sub_co_u32_e32 v8, vcc, s5, v4
	v_subb_co_u32_e32 v9, vcc, v2, v5, vcc
	v_cmp_gt_i64_e32 vcc, v[8:9], v[0:1]
	s_mov_b64 s[6:7], 0
                                        ; implicit-def: $vgpr6_vgpr7
	s_and_saveexec_b64 s[24:25], vcc
	s_cbranch_execz .LBB47_186
; %bb.178:                              ;   in Loop: Header=BB47_33 Depth=1
	s_mov_b64 s[28:29], 0
	v_mov_b32_e32 v12, v51
	v_pk_mov_b32 v[10:11], v[0:1], v[0:1] op_sel:[0,1]
                                        ; implicit-def: $sgpr26_sgpr27
	s_branch .LBB47_180
.LBB47_179:                             ;   in Loop: Header=BB47_180 Depth=2
	s_or_b64 exec, exec, s[6:7]
	s_waitcnt lgkmcnt(0)
	s_barrier
	ds_read_b128 v[4:7], v19 offset:3072
	v_mov_b32_e32 v2, s60
	v_add_co_u32_e64 v10, s[6:7], s33, v10
	v_addc_co_u32_e64 v11, s[6:7], v11, v2, s[6:7]
	s_waitcnt lgkmcnt(0)
	v_cmp_neq_f64_e32 vcc, 0, v[4:5]
	v_cmp_ge_i64_e64 s[6:7], v[10:11], v[8:9]
	s_or_b64 s[6:7], vcc, s[6:7]
	s_and_b64 s[6:7], exec, s[6:7]
	s_or_b64 s[28:29], s[6:7], s[28:29]
	s_andn2_b64 s[6:7], s[26:27], exec
	s_and_b64 s[26:27], vcc, exec
	v_add_u32_e32 v12, s4, v12
	s_or_b64 s[26:27], s[6:7], s[26:27]
	s_barrier
	s_andn2_b64 exec, exec, s[28:29]
	s_cbranch_execz .LBB47_185
.LBB47_180:                             ;   Parent Loop BB47_33 Depth=1
                                        ; =>  This Inner Loop Header: Depth=2
	v_cmp_gt_i64_e32 vcc, s[34:35], v[10:11]
	v_pk_mov_b32 v[4:5], 0, 0
	s_and_saveexec_b64 s[6:7], vcc
	s_cbranch_execz .LBB47_182
; %bb.181:                              ;   in Loop: Header=BB47_180 Depth=2
	ds_read_b64 v[4:5], v12
.LBB47_182:                             ;   in Loop: Header=BB47_180 Depth=2
	s_or_b64 exec, exec, s[6:7]
	s_and_saveexec_b64 s[6:7], vcc
	s_cbranch_execz .LBB47_179
; %bb.183:                              ;   in Loop: Header=BB47_180 Depth=2
	s_waitcnt lgkmcnt(0)
	v_ashrrev_i32_e32 v2, 31, v5
	v_or_b32_e32 v6, 0x80000000, v2
	v_xor_b32_e32 v6, v6, v5
	v_xor_b32_e32 v2, v2, v4
	v_cmp_o_f64_e32 vcc, v[4:5], v[4:5]
	v_cndmask_b32_e32 v6, -1, v6, vcc
	v_cndmask_b32_e32 v2, -1, v2, vcc
	v_and_b32_e32 v7, s85, v6
	v_and_b32_e32 v6, s84, v2
	v_cmp_eq_u64_e32 vcc, s[2:3], v[6:7]
	s_and_b64 exec, exec, vcc
	s_cbranch_execz .LBB47_179
; %bb.184:                              ;   in Loop: Header=BB47_180 Depth=2
	v_mov_b32_e32 v2, v19
	ds_write_b128 v19, v[2:5] offset:3072
	s_branch .LBB47_179
.LBB47_185:                             ;   in Loop: Header=BB47_33 Depth=1
	s_or_b64 exec, exec, s[28:29]
	s_and_b64 s[6:7], s[26:27], exec
.LBB47_186:                             ;   in Loop: Header=BB47_33 Depth=1
	s_or_b64 exec, exec, s[24:25]
	s_mov_b64 s[30:31], -1
	s_mov_b64 s[26:27], 0
	s_mov_b64 s[24:25], 0
.LBB47_187:                             ;   in Loop: Header=BB47_33 Depth=1
	s_mov_b64 s[28:29], 0
                                        ; implicit-def: $sgpr5
	s_and_saveexec_b64 s[34:35], s[6:7]
	s_cbranch_execz .LBB47_298
; %bb.188:                              ;   in Loop: Header=BB47_33 Depth=1
	s_xor_b64 s[6:7], s[38:39], -1
	s_andn2_b64 vcc, exec, s[6:7]
	s_mov_b32 s5, 1
	s_cbranch_vccnz .LBB47_199
; %bb.189:                              ;   in Loop: Header=BB47_33 Depth=1
	s_waitcnt vmcnt(0)
	v_pk_mov_b32 v[4:5], s[36:37], s[36:37] op_sel:[0,1]
	v_cmp_gt_i64_e32 vcc, s[58:59], v[4:5]
	s_mov_b64 s[6:7], -1
                                        ; implicit-def: $sgpr5
                                        ; implicit-def: $sgpr28_sgpr29
                                        ; implicit-def: $sgpr38_sgpr39
	s_cbranch_vccnz .LBB47_195
; %bb.190:                              ;   in Loop: Header=BB47_33 Depth=1
	ds_read_b64 v[4:5], v19 offset:5120
	s_waitcnt lgkmcnt(0)
	v_cmp_ne_u64_e32 vcc, 0, v[4:5]
	s_cbranch_vccnz .LBB47_194
; %bb.191:                              ;   in Loop: Header=BB47_33 Depth=1
	s_mov_b64 s[6:7], exec
	v_readlane_b32 s28, v70, 14
	v_readlane_b32 s29, v70, 15
	s_and_b64 s[28:29], s[6:7], s[28:29]
	s_mov_b64 exec, s[28:29]
	s_cbranch_execz .LBB47_193
; %bb.192:                              ;   in Loop: Header=BB47_33 Depth=1
	v_pk_mov_b32 v[4:5], s[36:37], s[36:37] op_sel:[0,1]
	ds_write_b64 v19, v[4:5] offset:5128
.LBB47_193:                             ;   in Loop: Header=BB47_33 Depth=1
	s_or_b64 exec, exec, s[6:7]
	s_waitcnt lgkmcnt(0)
	s_barrier
.LBB47_194:                             ;   in Loop: Header=BB47_33 Depth=1
	s_lshl_b64 s[6:7], 1, s46
	s_and_b64 s[28:29], s[2:3], s[22:23]
	s_or_b64 s[28:29], s[28:29], s[6:7]
	s_or_b64 s[38:39], s[84:85], s[14:15]
	s_mov_b64 s[6:7], 0
	s_mov_b32 s5, 8
.LBB47_195:                             ;   in Loop: Header=BB47_33 Depth=1
	s_andn2_b64 vcc, exec, s[6:7]
	s_cbranch_vccnz .LBB47_197
; %bb.196:                              ;   in Loop: Header=BB47_33 Depth=1
	s_sub_u32 s58, s58, s36
	s_subb_u32 s59, s59, s37
	s_mov_b64 s[6:7], -1
	s_mov_b32 s5, 0
	s_mov_b64 s[28:29], s[2:3]
	s_mov_b64 s[38:39], s[84:85]
.LBB47_197:                             ;   in Loop: Header=BB47_33 Depth=1
	s_mov_b64 s[84:85], s[38:39]
	s_mov_b64 s[2:3], s[28:29]
	s_andn2_b64 vcc, exec, s[6:7]
	s_mov_b64 s[28:29], -1
	s_cbranch_vccz .LBB47_200
.LBB47_198:                             ;   in Loop: Header=BB47_33 Depth=1
                                        ; implicit-def: $sgpr38_sgpr39
                                        ; implicit-def: $sgpr40_sgpr41
                                        ; implicit-def: $sgpr36_sgpr37
	s_branch .LBB47_297
.LBB47_199:                             ;   in Loop: Header=BB47_33 Depth=1
	s_mov_b64 s[58:59], 1
	s_mov_b64 s[28:29], -1
	s_cbranch_execnz .LBB47_198
.LBB47_200:                             ;   in Loop: Header=BB47_33 Depth=1
	s_cmp_eq_u64 s[20:21], 1
	s_cselect_b64 s[6:7], -1, 0
	s_cmp_eq_u64 s[58:59], 1
	s_cselect_b64 s[28:29], -1, 0
	s_mov_b64 s[72:73], s[44:45]
	s_and_b64 s[44:45], s[6:7], s[28:29]
	s_mov_b64 s[8:9], s[42:43]
	s_mov_b64 s[6:7], -1
	s_and_b64 vcc, exec, s[44:45]
	s_cbranch_vccz .LBB47_215
; %bb.201:                              ;   in Loop: Header=BB47_33 Depth=1
	s_waitcnt vmcnt(0)
	ds_read_b64 v[4:5], v19 offset:5120
	s_waitcnt lgkmcnt(0)
	s_barrier
	v_readfirstlane_b32 s42, v4
	v_readfirstlane_b32 s43, v5
	s_mov_b64 s[6:7], exec
	v_readlane_b32 s28, v70, 16
	v_readlane_b32 s29, v70, 17
	s_and_b64 s[28:29], s[6:7], s[28:29]
	s_mov_b64 exec, s[28:29]
	s_cbranch_execz .LBB47_203
; %bb.202:                              ;   in Loop: Header=BB47_33 Depth=1
	v_mov_b32_e32 v18, v19
	ds_write_b64 v52, v[18:19]
.LBB47_203:                             ;   in Loop: Header=BB47_33 Depth=1
	s_or_b64 exec, exec, s[6:7]
	s_lshl_b64 s[6:7], 2, s46
	s_and_b64 s[2:3], s[2:3], s[22:23]
	s_or_b64 s[2:3], s[2:3], s[6:7]
	v_cmp_gt_i64_e64 s[6:7], s[42:43], 0
	s_or_b64 s[84:85], s[84:85], s[14:15]
	s_and_b64 vcc, exec, s[6:7]
	s_waitcnt lgkmcnt(0)
	s_barrier
	s_cbranch_vccnz .LBB47_218
; %bb.204:                              ;   in Loop: Header=BB47_33 Depth=1
	s_mov_b32 s86, s77
	s_cmp_lg_u64 s[86:87], 0
	s_cbranch_scc0 .LBB47_263
; %bb.205:                              ;   in Loop: Header=BB47_33 Depth=1
	v_cvt_f32_u32_e32 v2, s33
	s_sub_u32 s5, 0, s33
	s_subb_u32 s6, 0, 0
	v_mac_f32_e32 v2, 0x4f800000, v59
	v_rcp_f32_e32 v2, v2
	v_mul_f32_e32 v2, 0x5f7ffffc, v2
	v_mul_f32_e32 v4, 0x2f800000, v2
	v_trunc_f32_e32 v4, v4
	v_mac_f32_e32 v2, 0xcf800000, v4
	v_cvt_u32_f32_e32 v4, v4
	v_cvt_u32_f32_e32 v2, v2
	v_readfirstlane_b32 s7, v4
	v_readfirstlane_b32 s28, v2
	s_mul_i32 s29, s5, s7
	s_mul_hi_u32 s37, s5, s28
	s_mul_i32 s36, s6, s28
	s_add_i32 s29, s37, s29
	s_mul_i32 s38, s5, s28
	s_add_i32 s29, s29, s36
	s_mul_hi_u32 s37, s28, s38
	s_mul_hi_u32 s36, s28, s29
	s_mul_i32 s28, s28, s29
	s_add_u32 s28, s37, s28
	s_addc_u32 s36, 0, s36
	s_mul_hi_u32 s39, s7, s38
	s_mul_i32 s38, s7, s38
	s_add_u32 s28, s28, s38
	s_mul_hi_u32 s37, s7, s29
	s_addc_u32 s28, s36, s39
	s_addc_u32 s36, s37, 0
	s_mul_i32 s29, s7, s29
	s_add_u32 s28, s28, s29
	s_addc_u32 s29, 0, s36
	v_add_co_u32_e32 v2, vcc, s28, v2
	s_cmp_lg_u64 vcc, 0
	s_addc_u32 s7, s7, s29
	v_readfirstlane_b32 s29, v2
	s_mul_i32 s28, s5, s7
	s_mul_hi_u32 s36, s5, s29
	s_add_i32 s28, s36, s28
	s_mul_i32 s6, s6, s29
	s_add_i32 s28, s28, s6
	s_mul_i32 s5, s5, s29
	s_mul_hi_u32 s36, s7, s5
	s_mul_i32 s37, s7, s5
	s_mul_i32 s39, s29, s28
	s_mul_hi_u32 s5, s29, s5
	s_mul_hi_u32 s38, s29, s28
	s_add_u32 s5, s5, s39
	s_addc_u32 s29, 0, s38
	s_add_u32 s5, s5, s37
	s_mul_hi_u32 s6, s7, s28
	s_addc_u32 s5, s29, s36
	s_addc_u32 s6, s6, 0
	s_mul_i32 s28, s7, s28
	s_add_u32 s5, s5, s28
	s_addc_u32 s6, 0, s6
	v_add_co_u32_e32 v2, vcc, s5, v2
	s_cmp_lg_u64 vcc, 0
	s_addc_u32 s5, s7, s6
	s_ashr_i32 s6, s87, 31
	v_readlane_b32 s28, v70, 29
	s_add_u32 s28, s28, s6
	s_mov_b32 s7, s6
	s_addc_u32 s29, s87, s6
	s_xor_b64 s[28:29], s[28:29], s[6:7]
	v_readfirstlane_b32 s37, v2
	s_mul_i32 s36, s28, s5
	s_mul_hi_u32 s38, s28, s37
	s_mul_hi_u32 s7, s28, s5
	s_add_u32 s36, s38, s36
	s_addc_u32 s7, 0, s7
	s_mul_hi_u32 s39, s29, s37
	s_mul_i32 s37, s29, s37
	s_add_u32 s36, s36, s37
	s_mul_hi_u32 s38, s29, s5
	s_addc_u32 s7, s7, s39
	s_addc_u32 s36, s38, 0
	s_mul_i32 s5, s29, s5
	s_add_u32 s5, s7, s5
	s_addc_u32 s7, 0, s36
	s_mul_hi_u32 s36, s33, s5
	s_mul_i32 s5, s33, s5
	s_mul_i32 s7, s33, s7
	v_mov_b32_e32 v2, s5
	s_add_i32 s36, s36, s7
	v_sub_co_u32_e32 v2, vcc, s28, v2
	s_cmp_lg_u64 vcc, 0
	s_subb_u32 s5, s29, s36
	v_subrev_co_u32_e32 v4, vcc, s33, v2
	s_cmp_lg_u64 vcc, 0
	s_subb_u32 s7, s5, 0
	v_subrev_co_u32_e32 v5, vcc, s33, v4
	s_cmp_lg_u64 vcc, 0
	s_subb_u32 s28, s7, 0
	v_cmp_le_u32_e32 vcc, s33, v4
	s_cmp_eq_u32 s7, 0
	v_cndmask_b32_e64 v6, 0, -1, vcc
	s_cselect_b64 vcc, -1, 0
	v_cndmask_b32_e32 v6, -1, v6, vcc
	v_mov_b32_e32 v7, s7
	v_mov_b32_e32 v8, s28
	v_cmp_ne_u32_e32 vcc, 0, v6
	v_cndmask_b32_e32 v6, v7, v8, vcc
	v_cndmask_b32_e32 v4, v4, v5, vcc
	v_cmp_le_u32_e32 vcc, s33, v2
	s_cmp_eq_u32 s5, 0
	v_cndmask_b32_e64 v5, 0, -1, vcc
	s_cselect_b64 vcc, -1, 0
	v_cndmask_b32_e32 v5, -1, v5, vcc
	v_cmp_ne_u32_e32 vcc, 0, v5
	v_mov_b32_e32 v7, s5
	v_cndmask_b32_e32 v2, v2, v4, vcc
	v_cndmask_b32_e32 v5, v7, v6, vcc
	v_xor_b32_e32 v2, s6, v2
	v_xor_b32_e32 v5, s6, v5
	v_mov_b32_e32 v6, s6
	v_subrev_co_u32_e32 v4, vcc, s6, v2
	v_subb_co_u32_e32 v5, vcc, v5, v6, vcc
	s_cbranch_execnz .LBB47_207
.LBB47_206:                             ;   in Loop: Header=BB47_33 Depth=1
	v_cvt_f32_u32_e32 v2, s33
	s_sub_i32 s5, 0, s33
	v_rcp_iflag_f32_e32 v2, v2
	v_mul_f32_e32 v2, 0x4f7ffffe, v2
	v_cvt_u32_f32_e32 v2, v2
	v_mul_lo_u32 v4, s5, v2
	v_mul_hi_u32 v4, v2, v4
	v_add_u32_e32 v2, v2, v4
	v_readlane_b32 s5, v70, 29
	v_mul_hi_u32 v2, s5, v2
	v_mul_lo_u32 v2, v2, s33
	v_sub_u32_e32 v2, s5, v2
	v_subrev_u32_e32 v4, s33, v2
	v_cmp_le_u32_e32 vcc, s33, v2
	v_cndmask_b32_e32 v2, v2, v4, vcc
	v_subrev_u32_e32 v4, s33, v2
	v_cmp_le_u32_e32 vcc, s33, v2
	v_cndmask_b32_e32 v18, v2, v4, vcc
	v_pk_mov_b32 v[4:5], v[18:19], v[18:19] op_sel:[0,1]
.LBB47_207:                             ;   in Loop: Header=BB47_33 Depth=1
	v_readlane_b32 s5, v70, 29
	v_mov_b32_e32 v2, s87
	v_sub_co_u32_e32 v8, vcc, s5, v4
	v_subb_co_u32_e32 v9, vcc, v2, v5, vcc
	v_cmp_gt_i64_e32 vcc, v[8:9], v[0:1]
	s_mov_b64 s[6:7], 0
                                        ; implicit-def: $vgpr6_vgpr7
	s_and_saveexec_b64 s[28:29], vcc
	s_cbranch_execz .LBB47_220
; %bb.208:                              ;   in Loop: Header=BB47_33 Depth=1
	s_mov_b64 s[38:39], 0
	v_pk_mov_b32 v[10:11], v[16:17], v[16:17] op_sel:[0,1]
	v_pk_mov_b32 v[12:13], v[0:1], v[0:1] op_sel:[0,1]
                                        ; implicit-def: $sgpr36_sgpr37
	s_branch .LBB47_210
.LBB47_209:                             ;   in Loop: Header=BB47_210 Depth=2
	s_or_b64 exec, exec, s[6:7]
	s_waitcnt lgkmcnt(0)
	s_barrier
	s_waitcnt vmcnt(0)
	ds_read_b128 v[4:7], v19 offset:3072
	v_mov_b32_e32 v2, s60
	v_add_co_u32_e64 v12, s[6:7], s33, v12
	v_addc_co_u32_e64 v13, s[6:7], v13, v2, s[6:7]
	s_waitcnt lgkmcnt(0)
	v_cmp_neq_f64_e32 vcc, 0, v[4:5]
	v_cmp_ge_i64_e64 s[6:7], v[12:13], v[8:9]
	s_or_b64 s[40:41], vcc, s[6:7]
	v_mov_b32_e32 v2, s79
	v_add_co_u32_e64 v10, s[6:7], s78, v10
	v_addc_co_u32_e64 v11, s[6:7], v11, v2, s[6:7]
	s_and_b64 s[6:7], exec, s[40:41]
	s_or_b64 s[38:39], s[6:7], s[38:39]
	s_andn2_b64 s[6:7], s[36:37], exec
	s_and_b64 s[36:37], vcc, exec
	s_or_b64 s[36:37], s[6:7], s[36:37]
	s_barrier
	s_andn2_b64 exec, exec, s[38:39]
	s_cbranch_execz .LBB47_219
.LBB47_210:                             ;   Parent Loop BB47_33 Depth=1
                                        ; =>  This Inner Loop Header: Depth=2
	v_cmp_gt_i64_e32 vcc, s[56:57], v[12:13]
	v_pk_mov_b32 v[4:5], 0, 0
	s_and_saveexec_b64 s[6:7], vcc
	s_cbranch_execz .LBB47_212
; %bb.211:                              ;   in Loop: Header=BB47_210 Depth=2
	global_load_dwordx2 v[4:5], v[10:11], off
.LBB47_212:                             ;   in Loop: Header=BB47_210 Depth=2
	s_or_b64 exec, exec, s[6:7]
	s_and_saveexec_b64 s[6:7], vcc
	s_cbranch_execz .LBB47_209
; %bb.213:                              ;   in Loop: Header=BB47_210 Depth=2
	s_waitcnt vmcnt(0)
	v_ashrrev_i32_e32 v2, 31, v5
	v_or_b32_e32 v6, 0x80000000, v2
	v_xor_b32_e32 v6, v6, v5
	v_xor_b32_e32 v2, v2, v4
	v_cmp_o_f64_e32 vcc, v[4:5], v[4:5]
	v_cndmask_b32_e32 v6, -1, v6, vcc
	v_cndmask_b32_e32 v2, -1, v2, vcc
	v_and_b32_e32 v7, s85, v6
	v_and_b32_e32 v6, s84, v2
	v_cmp_eq_u64_e32 vcc, s[2:3], v[6:7]
	s_and_b64 exec, exec, vcc
	s_cbranch_execz .LBB47_209
; %bb.214:                              ;   in Loop: Header=BB47_210 Depth=2
	v_mov_b32_e32 v2, v19
	ds_write_b128 v19, v[2:5] offset:3072
	s_branch .LBB47_209
.LBB47_215:                             ;   in Loop: Header=BB47_33 Depth=1
                                        ; implicit-def: $sgpr36_sgpr37
                                        ; implicit-def: $sgpr40_sgpr41
                                        ; implicit-def: $sgpr38_sgpr39
	s_branch .LBB47_234
.LBB47_216:                             ;   in Loop: Header=BB47_33 Depth=1
                                        ; implicit-def: $vgpr4_vgpr5
	s_branch .LBB47_159
.LBB47_217:                             ;   in Loop: Header=BB47_33 Depth=1
                                        ; implicit-def: $vgpr4_vgpr5
	s_branch .LBB47_176
.LBB47_218:                             ;   in Loop: Header=BB47_33 Depth=1
	s_mov_b64 s[36:37], -1
	s_mov_b64 s[6:7], 0
                                        ; implicit-def: $sgpr38_sgpr39
                                        ; implicit-def: $vgpr6_vgpr7
	s_mov_b64 s[40:41], s[36:37]
	s_cbranch_execnz .LBB47_221
	s_branch .LBB47_234
.LBB47_219:                             ;   in Loop: Header=BB47_33 Depth=1
	s_or_b64 exec, exec, s[38:39]
	s_and_b64 s[6:7], s[36:37], exec
.LBB47_220:                             ;   in Loop: Header=BB47_33 Depth=1
	s_or_b64 exec, exec, s[28:29]
	s_mov_b64 s[38:39], -1
	s_mov_b64 s[36:37], 0
	s_mov_b64 s[40:41], s[36:37]
	s_branch .LBB47_234
.LBB47_221:                             ;   in Loop: Header=BB47_33 Depth=1
	v_readlane_b32 s5, v70, 28
	s_add_u32 s5, s5, s42
	v_readlane_b32 s6, v70, 30
	s_addc_u32 s7, s6, s43
	s_mov_b32 s6, s77
	s_cmp_lg_u64 s[6:7], 0
	s_cbranch_scc0 .LBB47_264
; %bb.222:                              ;   in Loop: Header=BB47_33 Depth=1
	v_cvt_f32_u32_e32 v2, s33
	s_sub_u32 s6, 0, s33
	s_subb_u32 s28, 0, 0
	v_mac_f32_e32 v2, 0x4f800000, v59
	v_rcp_f32_e32 v2, v2
	v_mul_f32_e32 v2, 0x5f7ffffc, v2
	v_mul_f32_e32 v4, 0x2f800000, v2
	v_trunc_f32_e32 v4, v4
	v_mac_f32_e32 v2, 0xcf800000, v4
	v_cvt_u32_f32_e32 v4, v4
	v_cvt_u32_f32_e32 v2, v2
	v_readfirstlane_b32 s29, v4
	v_readfirstlane_b32 s36, v2
	s_mul_i32 s37, s6, s29
	s_mul_hi_u32 s39, s6, s36
	s_mul_i32 s38, s28, s36
	s_add_i32 s37, s39, s37
	s_mul_i32 s40, s6, s36
	s_add_i32 s37, s37, s38
	s_mul_hi_u32 s39, s36, s40
	s_mul_hi_u32 s38, s36, s37
	s_mul_i32 s36, s36, s37
	s_add_u32 s36, s39, s36
	s_addc_u32 s38, 0, s38
	s_mul_hi_u32 s41, s29, s40
	s_mul_i32 s40, s29, s40
	s_add_u32 s36, s36, s40
	s_mul_hi_u32 s39, s29, s37
	s_addc_u32 s36, s38, s41
	s_addc_u32 s38, s39, 0
	s_mul_i32 s37, s29, s37
	s_add_u32 s36, s36, s37
	s_addc_u32 s37, 0, s38
	v_add_co_u32_e32 v2, vcc, s36, v2
	s_cmp_lg_u64 vcc, 0
	s_addc_u32 s29, s29, s37
	v_readfirstlane_b32 s37, v2
	s_mul_i32 s36, s6, s29
	s_mul_hi_u32 s38, s6, s37
	s_add_i32 s36, s38, s36
	s_mul_i32 s28, s28, s37
	s_add_i32 s36, s36, s28
	s_mul_i32 s6, s6, s37
	s_mul_hi_u32 s38, s29, s6
	s_mul_i32 s39, s29, s6
	s_mul_i32 s41, s37, s36
	s_mul_hi_u32 s6, s37, s6
	s_mul_hi_u32 s40, s37, s36
	s_add_u32 s6, s6, s41
	s_addc_u32 s37, 0, s40
	s_add_u32 s6, s6, s39
	s_mul_hi_u32 s28, s29, s36
	s_addc_u32 s6, s37, s38
	s_addc_u32 s28, s28, 0
	s_mul_i32 s36, s29, s36
	s_add_u32 s6, s6, s36
	s_addc_u32 s28, 0, s28
	v_add_co_u32_e32 v2, vcc, s6, v2
	s_cmp_lg_u64 vcc, 0
	s_addc_u32 s6, s29, s28
	s_ashr_i32 s28, s7, 31
	s_add_u32 s36, s5, s28
	s_mov_b32 s29, s28
	s_addc_u32 s37, s7, s28
	s_xor_b64 s[36:37], s[36:37], s[28:29]
	v_readfirstlane_b32 s39, v2
	s_mul_i32 s38, s36, s6
	s_mul_hi_u32 s40, s36, s39
	s_mul_hi_u32 s29, s36, s6
	s_add_u32 s38, s40, s38
	s_addc_u32 s29, 0, s29
	s_mul_hi_u32 s41, s37, s39
	s_mul_i32 s39, s37, s39
	s_add_u32 s38, s38, s39
	s_mul_hi_u32 s40, s37, s6
	s_addc_u32 s29, s29, s41
	s_addc_u32 s38, s40, 0
	s_mul_i32 s6, s37, s6
	s_add_u32 s6, s29, s6
	s_addc_u32 s29, 0, s38
	s_mul_hi_u32 s38, s33, s6
	s_mul_i32 s6, s33, s6
	s_mul_i32 s29, s33, s29
	v_mov_b32_e32 v2, s6
	s_add_i32 s38, s38, s29
	v_sub_co_u32_e32 v2, vcc, s36, v2
	s_cmp_lg_u64 vcc, 0
	s_subb_u32 s6, s37, s38
	v_subrev_co_u32_e32 v4, vcc, s33, v2
	s_cmp_lg_u64 vcc, 0
	s_subb_u32 s29, s6, 0
	v_subrev_co_u32_e32 v5, vcc, s33, v4
	s_cmp_lg_u64 vcc, 0
	s_subb_u32 s36, s29, 0
	v_cmp_le_u32_e32 vcc, s33, v4
	s_cmp_eq_u32 s29, 0
	v_cndmask_b32_e64 v6, 0, -1, vcc
	s_cselect_b64 vcc, -1, 0
	v_cndmask_b32_e32 v6, -1, v6, vcc
	v_mov_b32_e32 v7, s29
	v_mov_b32_e32 v8, s36
	v_cmp_ne_u32_e32 vcc, 0, v6
	v_cndmask_b32_e32 v6, v7, v8, vcc
	v_cndmask_b32_e32 v4, v4, v5, vcc
	v_cmp_le_u32_e32 vcc, s33, v2
	s_cmp_eq_u32 s6, 0
	v_cndmask_b32_e64 v5, 0, -1, vcc
	s_cselect_b64 vcc, -1, 0
	v_cndmask_b32_e32 v5, -1, v5, vcc
	v_cmp_ne_u32_e32 vcc, 0, v5
	v_mov_b32_e32 v7, s6
	v_cndmask_b32_e32 v2, v2, v4, vcc
	v_cndmask_b32_e32 v5, v7, v6, vcc
	v_xor_b32_e32 v2, s28, v2
	v_xor_b32_e32 v5, s28, v5
	v_mov_b32_e32 v6, s28
	v_subrev_co_u32_e32 v4, vcc, s28, v2
	v_subb_co_u32_e32 v5, vcc, v5, v6, vcc
	s_cbranch_execnz .LBB47_224
.LBB47_223:                             ;   in Loop: Header=BB47_33 Depth=1
	v_cvt_f32_u32_e32 v2, s33
	s_sub_i32 s6, 0, s33
	v_rcp_iflag_f32_e32 v2, v2
	v_mul_f32_e32 v2, 0x4f7ffffe, v2
	v_cvt_u32_f32_e32 v2, v2
	v_mul_lo_u32 v4, s6, v2
	v_mul_hi_u32 v4, v2, v4
	v_add_u32_e32 v2, v2, v4
	v_mul_hi_u32 v2, s5, v2
	v_mul_lo_u32 v2, v2, s33
	v_sub_u32_e32 v2, s5, v2
	v_subrev_u32_e32 v4, s33, v2
	v_cmp_le_u32_e32 vcc, s33, v2
	v_cndmask_b32_e32 v2, v2, v4, vcc
	v_subrev_u32_e32 v4, s33, v2
	v_cmp_le_u32_e32 vcc, s33, v2
	v_cndmask_b32_e32 v18, v2, v4, vcc
	v_pk_mov_b32 v[4:5], v[18:19], v[18:19] op_sel:[0,1]
.LBB47_224:                             ;   in Loop: Header=BB47_33 Depth=1
	v_mov_b32_e32 v2, s7
	v_sub_co_u32_e32 v8, vcc, s5, v4
	v_subb_co_u32_e32 v9, vcc, v2, v5, vcc
	v_cmp_gt_i64_e32 vcc, v[8:9], v[0:1]
	s_mov_b64 s[6:7], 0
                                        ; implicit-def: $vgpr6_vgpr7
	s_and_saveexec_b64 s[28:29], vcc
	s_cbranch_execz .LBB47_233
; %bb.225:                              ;   in Loop: Header=BB47_33 Depth=1
	s_mov_b64 s[38:39], 0
	v_mov_b32_e32 v12, v51
	v_pk_mov_b32 v[10:11], v[0:1], v[0:1] op_sel:[0,1]
                                        ; implicit-def: $sgpr36_sgpr37
	s_branch .LBB47_227
.LBB47_226:                             ;   in Loop: Header=BB47_227 Depth=2
	s_or_b64 exec, exec, s[6:7]
	s_waitcnt lgkmcnt(0)
	s_barrier
	ds_read_b128 v[4:7], v19 offset:3072
	v_mov_b32_e32 v2, s60
	v_add_co_u32_e64 v10, s[6:7], s33, v10
	v_addc_co_u32_e64 v11, s[6:7], v11, v2, s[6:7]
	s_waitcnt lgkmcnt(0)
	v_cmp_neq_f64_e32 vcc, 0, v[4:5]
	v_cmp_ge_i64_e64 s[6:7], v[10:11], v[8:9]
	s_or_b64 s[6:7], vcc, s[6:7]
	s_and_b64 s[6:7], exec, s[6:7]
	s_or_b64 s[38:39], s[6:7], s[38:39]
	s_andn2_b64 s[6:7], s[36:37], exec
	s_and_b64 s[36:37], vcc, exec
	v_add_u32_e32 v12, s4, v12
	s_or_b64 s[36:37], s[6:7], s[36:37]
	s_barrier
	s_andn2_b64 exec, exec, s[38:39]
	s_cbranch_execz .LBB47_232
.LBB47_227:                             ;   Parent Loop BB47_33 Depth=1
                                        ; =>  This Inner Loop Header: Depth=2
	v_cmp_gt_i64_e32 vcc, s[42:43], v[10:11]
	v_pk_mov_b32 v[4:5], 0, 0
	s_and_saveexec_b64 s[6:7], vcc
	s_cbranch_execz .LBB47_229
; %bb.228:                              ;   in Loop: Header=BB47_227 Depth=2
	ds_read_b64 v[4:5], v12
.LBB47_229:                             ;   in Loop: Header=BB47_227 Depth=2
	s_or_b64 exec, exec, s[6:7]
	s_and_saveexec_b64 s[6:7], vcc
	s_cbranch_execz .LBB47_226
; %bb.230:                              ;   in Loop: Header=BB47_227 Depth=2
	s_waitcnt lgkmcnt(0)
	v_ashrrev_i32_e32 v2, 31, v5
	v_or_b32_e32 v6, 0x80000000, v2
	v_xor_b32_e32 v6, v6, v5
	v_xor_b32_e32 v2, v2, v4
	v_cmp_o_f64_e32 vcc, v[4:5], v[4:5]
	v_cndmask_b32_e32 v6, -1, v6, vcc
	v_cndmask_b32_e32 v2, -1, v2, vcc
	v_and_b32_e32 v7, s85, v6
	v_and_b32_e32 v6, s84, v2
	v_cmp_eq_u64_e32 vcc, s[2:3], v[6:7]
	s_and_b64 exec, exec, vcc
	s_cbranch_execz .LBB47_226
; %bb.231:                              ;   in Loop: Header=BB47_227 Depth=2
	v_mov_b32_e32 v2, v19
	ds_write_b128 v19, v[2:5] offset:3072
	s_branch .LBB47_226
.LBB47_232:                             ;   in Loop: Header=BB47_33 Depth=1
	s_or_b64 exec, exec, s[38:39]
	s_and_b64 s[6:7], s[36:37], exec
.LBB47_233:                             ;   in Loop: Header=BB47_33 Depth=1
	s_or_b64 exec, exec, s[28:29]
	s_mov_b64 s[40:41], -1
	s_mov_b64 s[36:37], 0
	s_mov_b64 s[38:39], 0
.LBB47_234:                             ;   in Loop: Header=BB47_33 Depth=1
	s_mov_b64 s[28:29], 0
                                        ; implicit-def: $sgpr5
	s_and_saveexec_b64 s[42:43], s[6:7]
	s_cbranch_execz .LBB47_296
; %bb.235:                              ;   in Loop: Header=BB47_33 Depth=1
	s_xor_b64 s[6:7], s[44:45], -1
	s_andn2_b64 vcc, exec, s[6:7]
	s_mov_b32 s5, 1
	s_cbranch_vccnz .LBB47_246
; %bb.236:                              ;   in Loop: Header=BB47_33 Depth=1
	s_waitcnt vmcnt(0)
	v_pk_mov_b32 v[4:5], s[20:21], s[20:21] op_sel:[0,1]
	v_cmp_gt_i64_e32 vcc, s[58:59], v[4:5]
	s_mov_b64 s[6:7], -1
                                        ; implicit-def: $sgpr5
                                        ; implicit-def: $sgpr28_sgpr29
                                        ; implicit-def: $sgpr44_sgpr45
	s_cbranch_vccnz .LBB47_242
; %bb.237:                              ;   in Loop: Header=BB47_33 Depth=1
	ds_read_b64 v[4:5], v19 offset:5120
	s_waitcnt lgkmcnt(0)
	v_cmp_ne_u64_e32 vcc, 0, v[4:5]
	s_cbranch_vccnz .LBB47_241
; %bb.238:                              ;   in Loop: Header=BB47_33 Depth=1
	s_mov_b64 s[6:7], exec
	v_readlane_b32 s28, v70, 14
	v_readlane_b32 s29, v70, 15
	s_and_b64 s[28:29], s[6:7], s[28:29]
	s_mov_b64 exec, s[28:29]
	s_cbranch_execz .LBB47_240
; %bb.239:                              ;   in Loop: Header=BB47_33 Depth=1
	v_pk_mov_b32 v[4:5], s[20:21], s[20:21] op_sel:[0,1]
	ds_write_b64 v19, v[4:5] offset:5128
.LBB47_240:                             ;   in Loop: Header=BB47_33 Depth=1
	s_or_b64 exec, exec, s[6:7]
	s_waitcnt lgkmcnt(0)
	s_barrier
.LBB47_241:                             ;   in Loop: Header=BB47_33 Depth=1
	s_lshl_b64 s[6:7], 2, s46
	s_and_b64 s[22:23], s[2:3], s[22:23]
	s_or_b64 s[28:29], s[22:23], s[6:7]
	s_or_b64 s[44:45], s[84:85], s[14:15]
	s_mov_b64 s[6:7], 0
	s_mov_b32 s5, 8
.LBB47_242:                             ;   in Loop: Header=BB47_33 Depth=1
	s_mov_b64 s[70:71], s[48:49]
	s_andn2_b64 vcc, exec, s[6:7]
	s_cbranch_vccnz .LBB47_244
; %bb.243:                              ;   in Loop: Header=BB47_33 Depth=1
	s_sub_u32 s58, s58, s20
	s_subb_u32 s59, s59, s21
	s_mov_b64 s[6:7], -1
	s_mov_b32 s5, 0
	s_mov_b64 s[28:29], s[2:3]
	s_mov_b64 s[44:45], s[84:85]
.LBB47_244:                             ;   in Loop: Header=BB47_33 Depth=1
	s_mov_b64 s[84:85], s[44:45]
	s_mov_b64 s[2:3], s[28:29]
	s_andn2_b64 vcc, exec, s[6:7]
	s_mov_b64 s[48:49], -1
	s_cbranch_vccz .LBB47_247
.LBB47_245:                             ;   in Loop: Header=BB47_33 Depth=1
                                        ; implicit-def: $sgpr6_sgpr7
                                        ; implicit-def: $sgpr44_sgpr45
                                        ; implicit-def: $sgpr28_sgpr29
	s_branch .LBB47_295
.LBB47_246:                             ;   in Loop: Header=BB47_33 Depth=1
	s_mov_b64 s[70:71], s[48:49]
	s_mov_b64 s[58:59], 1
	s_mov_b64 s[48:49], -1
	s_cbranch_execnz .LBB47_245
.LBB47_247:                             ;   in Loop: Header=BB47_33 Depth=1
	s_cmp_eq_u64 s[12:13], 1
	s_cselect_b64 s[6:7], -1, 0
	s_cmp_eq_u64 s[58:59], 1
	s_cselect_b64 s[20:21], -1, 0
	s_and_b64 s[20:21], s[6:7], s[20:21]
	s_mov_b32 s0, s47
	s_mov_b64 s[46:47], -1
	s_and_b64 vcc, exec, s[20:21]
	s_cbranch_vccz .LBB47_262
; %bb.248:                              ;   in Loop: Header=BB47_33 Depth=1
	s_waitcnt vmcnt(0)
	ds_read_b64 v[4:5], v19 offset:5120
	s_waitcnt lgkmcnt(0)
	s_barrier
	v_readfirstlane_b32 s22, v4
	v_readfirstlane_b32 s23, v5
	s_mov_b64 s[6:7], exec
	v_readlane_b32 s28, v70, 16
	v_readlane_b32 s29, v70, 17
	s_and_b64 s[28:29], s[6:7], s[28:29]
	s_mov_b64 exec, s[28:29]
	s_cbranch_execz .LBB47_250
; %bb.249:                              ;   in Loop: Header=BB47_33 Depth=1
	v_mov_b32_e32 v18, v19
	ds_write_b64 v52, v[18:19]
.LBB47_250:                             ;   in Loop: Header=BB47_33 Depth=1
	s_or_b64 exec, exec, s[6:7]
	v_cmp_gt_i64_e64 s[6:7], s[22:23], 0
	s_or_b64 s[2:3], s[2:3], s[14:15]
	s_or_b64 s[84:85], s[84:85], s[14:15]
	s_and_b64 vcc, exec, s[6:7]
	s_waitcnt lgkmcnt(0)
	s_barrier
	s_cbranch_vccnz .LBB47_265
; %bb.251:                              ;   in Loop: Header=BB47_33 Depth=1
	s_mov_b32 s86, s77
	s_cmp_lg_u64 s[86:87], 0
	s_cbranch_scc0 .LBB47_301
; %bb.252:                              ;   in Loop: Header=BB47_33 Depth=1
	v_cvt_f32_u32_e32 v2, s33
	s_sub_u32 s5, 0, s33
	s_subb_u32 s6, 0, 0
	v_mac_f32_e32 v2, 0x4f800000, v59
	v_rcp_f32_e32 v2, v2
	v_mul_f32_e32 v2, 0x5f7ffffc, v2
	v_mul_f32_e32 v4, 0x2f800000, v2
	v_trunc_f32_e32 v4, v4
	v_mac_f32_e32 v2, 0xcf800000, v4
	v_cvt_u32_f32_e32 v4, v4
	v_cvt_u32_f32_e32 v2, v2
	v_readfirstlane_b32 s7, v4
	v_readfirstlane_b32 s28, v2
	s_mul_i32 s29, s5, s7
	s_mul_hi_u32 s45, s5, s28
	s_mul_i32 s44, s6, s28
	s_add_i32 s29, s45, s29
	s_mul_i32 s46, s5, s28
	s_add_i32 s29, s29, s44
	s_mul_hi_u32 s45, s28, s46
	s_mul_hi_u32 s44, s28, s29
	s_mul_i32 s28, s28, s29
	s_add_u32 s28, s45, s28
	s_addc_u32 s44, 0, s44
	s_mul_hi_u32 s47, s7, s46
	s_mul_i32 s46, s7, s46
	s_add_u32 s28, s28, s46
	s_mul_hi_u32 s45, s7, s29
	s_addc_u32 s28, s44, s47
	s_addc_u32 s44, s45, 0
	s_mul_i32 s29, s7, s29
	s_add_u32 s28, s28, s29
	s_addc_u32 s29, 0, s44
	v_add_co_u32_e32 v2, vcc, s28, v2
	s_cmp_lg_u64 vcc, 0
	s_addc_u32 s7, s7, s29
	v_readfirstlane_b32 s29, v2
	s_mul_i32 s28, s5, s7
	s_mul_hi_u32 s44, s5, s29
	s_add_i32 s28, s44, s28
	s_mul_i32 s6, s6, s29
	s_add_i32 s28, s28, s6
	s_mul_i32 s5, s5, s29
	s_mul_hi_u32 s44, s7, s5
	s_mul_i32 s45, s7, s5
	s_mul_i32 s47, s29, s28
	s_mul_hi_u32 s5, s29, s5
	s_mul_hi_u32 s46, s29, s28
	s_add_u32 s5, s5, s47
	s_addc_u32 s29, 0, s46
	s_add_u32 s5, s5, s45
	s_mul_hi_u32 s6, s7, s28
	s_addc_u32 s5, s29, s44
	s_addc_u32 s6, s6, 0
	s_mul_i32 s28, s7, s28
	s_add_u32 s5, s5, s28
	s_addc_u32 s6, 0, s6
	v_add_co_u32_e32 v2, vcc, s5, v2
	s_cmp_lg_u64 vcc, 0
	s_addc_u32 s5, s7, s6
	s_ashr_i32 s6, s87, 31
	v_readlane_b32 s28, v70, 29
	s_add_u32 s28, s28, s6
	s_mov_b32 s7, s6
	s_addc_u32 s29, s87, s6
	s_xor_b64 s[28:29], s[28:29], s[6:7]
	v_readfirstlane_b32 s45, v2
	s_mul_i32 s44, s28, s5
	s_mul_hi_u32 s46, s28, s45
	s_mul_hi_u32 s7, s28, s5
	s_add_u32 s44, s46, s44
	s_addc_u32 s7, 0, s7
	s_mul_hi_u32 s47, s29, s45
	s_mul_i32 s45, s29, s45
	s_add_u32 s44, s44, s45
	s_mul_hi_u32 s46, s29, s5
	s_addc_u32 s7, s7, s47
	s_addc_u32 s44, s46, 0
	s_mul_i32 s5, s29, s5
	s_add_u32 s5, s7, s5
	s_addc_u32 s7, 0, s44
	s_mul_hi_u32 s44, s33, s5
	s_mul_i32 s5, s33, s5
	s_mul_i32 s7, s33, s7
	v_mov_b32_e32 v2, s5
	s_add_i32 s44, s44, s7
	v_sub_co_u32_e32 v2, vcc, s28, v2
	s_cmp_lg_u64 vcc, 0
	s_subb_u32 s5, s29, s44
	v_subrev_co_u32_e32 v4, vcc, s33, v2
	s_cmp_lg_u64 vcc, 0
	s_subb_u32 s7, s5, 0
	v_subrev_co_u32_e32 v5, vcc, s33, v4
	s_cmp_lg_u64 vcc, 0
	s_subb_u32 s28, s7, 0
	v_cmp_le_u32_e32 vcc, s33, v4
	s_cmp_eq_u32 s7, 0
	v_cndmask_b32_e64 v6, 0, -1, vcc
	s_cselect_b64 vcc, -1, 0
	v_cndmask_b32_e32 v6, -1, v6, vcc
	v_mov_b32_e32 v7, s7
	v_mov_b32_e32 v8, s28
	v_cmp_ne_u32_e32 vcc, 0, v6
	v_cndmask_b32_e32 v6, v7, v8, vcc
	v_cndmask_b32_e32 v4, v4, v5, vcc
	v_cmp_le_u32_e32 vcc, s33, v2
	s_cmp_eq_u32 s5, 0
	v_cndmask_b32_e64 v5, 0, -1, vcc
	s_cselect_b64 vcc, -1, 0
	v_cndmask_b32_e32 v5, -1, v5, vcc
	v_cmp_ne_u32_e32 vcc, 0, v5
	v_mov_b32_e32 v7, s5
	v_cndmask_b32_e32 v2, v2, v4, vcc
	v_cndmask_b32_e32 v5, v7, v6, vcc
	v_xor_b32_e32 v2, s6, v2
	v_xor_b32_e32 v5, s6, v5
	v_mov_b32_e32 v6, s6
	v_subrev_co_u32_e32 v4, vcc, s6, v2
	v_subb_co_u32_e32 v5, vcc, v5, v6, vcc
	s_cbranch_execnz .LBB47_254
.LBB47_253:                             ;   in Loop: Header=BB47_33 Depth=1
	v_cvt_f32_u32_e32 v2, s33
	s_sub_i32 s5, 0, s33
	v_rcp_iflag_f32_e32 v2, v2
	v_mul_f32_e32 v2, 0x4f7ffffe, v2
	v_cvt_u32_f32_e32 v2, v2
	v_mul_lo_u32 v4, s5, v2
	v_mul_hi_u32 v4, v2, v4
	v_add_u32_e32 v2, v2, v4
	v_readlane_b32 s5, v70, 29
	v_mul_hi_u32 v2, s5, v2
	v_mul_lo_u32 v2, v2, s33
	v_sub_u32_e32 v2, s5, v2
	v_subrev_u32_e32 v4, s33, v2
	v_cmp_le_u32_e32 vcc, s33, v2
	v_cndmask_b32_e32 v2, v2, v4, vcc
	v_subrev_u32_e32 v4, s33, v2
	v_cmp_le_u32_e32 vcc, s33, v2
	v_cndmask_b32_e32 v18, v2, v4, vcc
	v_pk_mov_b32 v[4:5], v[18:19], v[18:19] op_sel:[0,1]
.LBB47_254:                             ;   in Loop: Header=BB47_33 Depth=1
	v_readlane_b32 s5, v70, 29
	v_mov_b32_e32 v2, s87
	v_sub_co_u32_e32 v8, vcc, s5, v4
	v_subb_co_u32_e32 v9, vcc, v2, v5, vcc
	v_cmp_gt_i64_e32 vcc, v[8:9], v[0:1]
	s_mov_b64 s[46:47], 0
                                        ; implicit-def: $vgpr6_vgpr7
	s_and_saveexec_b64 s[28:29], vcc
	s_cbranch_execz .LBB47_267
; %bb.255:                              ;   in Loop: Header=BB47_33 Depth=1
	v_pk_mov_b32 v[10:11], v[16:17], v[16:17] op_sel:[0,1]
	v_pk_mov_b32 v[12:13], v[0:1], v[0:1] op_sel:[0,1]
                                        ; implicit-def: $sgpr44_sgpr45
	s_branch .LBB47_257
.LBB47_256:                             ;   in Loop: Header=BB47_257 Depth=2
	s_or_b64 exec, exec, s[6:7]
	s_waitcnt lgkmcnt(0)
	s_barrier
	s_waitcnt vmcnt(0)
	ds_read_b128 v[4:7], v19 offset:3072
	v_mov_b32_e32 v2, s60
	v_add_co_u32_e64 v12, s[6:7], s33, v12
	v_addc_co_u32_e64 v13, s[6:7], v13, v2, s[6:7]
	s_waitcnt lgkmcnt(0)
	v_cmp_neq_f64_e32 vcc, 0, v[4:5]
	v_cmp_ge_i64_e64 s[6:7], v[12:13], v[8:9]
	s_or_b64 s[48:49], vcc, s[6:7]
	v_mov_b32_e32 v2, s79
	v_add_co_u32_e64 v10, s[6:7], s78, v10
	v_addc_co_u32_e64 v11, s[6:7], v11, v2, s[6:7]
	s_and_b64 s[6:7], exec, s[48:49]
	s_or_b64 s[46:47], s[6:7], s[46:47]
	s_andn2_b64 s[6:7], s[44:45], exec
	s_and_b64 s[44:45], vcc, exec
	s_or_b64 s[44:45], s[6:7], s[44:45]
	s_barrier
	s_andn2_b64 exec, exec, s[46:47]
	s_cbranch_execz .LBB47_266
.LBB47_257:                             ;   Parent Loop BB47_33 Depth=1
                                        ; =>  This Inner Loop Header: Depth=2
	v_cmp_gt_i64_e32 vcc, s[56:57], v[12:13]
	v_pk_mov_b32 v[4:5], 0, 0
	s_and_saveexec_b64 s[6:7], vcc
	s_cbranch_execz .LBB47_259
; %bb.258:                              ;   in Loop: Header=BB47_257 Depth=2
	global_load_dwordx2 v[4:5], v[10:11], off
.LBB47_259:                             ;   in Loop: Header=BB47_257 Depth=2
	s_or_b64 exec, exec, s[6:7]
	s_and_saveexec_b64 s[6:7], vcc
	s_cbranch_execz .LBB47_256
; %bb.260:                              ;   in Loop: Header=BB47_257 Depth=2
	s_waitcnt vmcnt(0)
	v_ashrrev_i32_e32 v2, 31, v5
	v_or_b32_e32 v6, 0x80000000, v2
	v_xor_b32_e32 v6, v6, v5
	v_xor_b32_e32 v2, v2, v4
	v_cmp_o_f64_e32 vcc, v[4:5], v[4:5]
	v_cndmask_b32_e32 v6, -1, v6, vcc
	v_cndmask_b32_e32 v2, -1, v2, vcc
	v_and_b32_e32 v7, s85, v6
	v_and_b32_e32 v6, s84, v2
	v_cmp_eq_u64_e32 vcc, s[2:3], v[6:7]
	s_and_b64 exec, exec, vcc
	s_cbranch_execz .LBB47_256
; %bb.261:                              ;   in Loop: Header=BB47_257 Depth=2
	v_mov_b32_e32 v2, v19
	ds_write_b128 v19, v[2:5] offset:3072
	s_branch .LBB47_256
.LBB47_262:                             ;   in Loop: Header=BB47_33 Depth=1
                                        ; implicit-def: $sgpr6_sgpr7
                                        ; implicit-def: $sgpr44_sgpr45
                                        ; implicit-def: $sgpr28_sgpr29
	s_branch .LBB47_281
.LBB47_263:                             ;   in Loop: Header=BB47_33 Depth=1
                                        ; implicit-def: $vgpr4_vgpr5
	s_branch .LBB47_206
.LBB47_264:                             ;   in Loop: Header=BB47_33 Depth=1
                                        ; implicit-def: $vgpr4_vgpr5
	s_branch .LBB47_223
.LBB47_265:                             ;   in Loop: Header=BB47_33 Depth=1
	s_mov_b64 s[6:7], -1
	s_mov_b64 s[46:47], 0
                                        ; implicit-def: $sgpr28_sgpr29
                                        ; implicit-def: $vgpr6_vgpr7
	s_mov_b64 s[44:45], s[6:7]
	s_cbranch_execnz .LBB47_268
	s_branch .LBB47_281
.LBB47_266:                             ;   in Loop: Header=BB47_33 Depth=1
	s_or_b64 exec, exec, s[46:47]
	s_and_b64 s[46:47], s[44:45], exec
.LBB47_267:                             ;   in Loop: Header=BB47_33 Depth=1
	s_or_b64 exec, exec, s[28:29]
	s_mov_b64 s[28:29], -1
	s_mov_b64 s[6:7], 0
	s_mov_b64 s[44:45], s[6:7]
	s_branch .LBB47_281
.LBB47_268:                             ;   in Loop: Header=BB47_33 Depth=1
	v_readlane_b32 s5, v70, 28
	s_add_u32 s5, s5, s22
	v_readlane_b32 s6, v70, 30
	s_addc_u32 s7, s6, s23
	s_mov_b32 s6, s77
	s_cmp_lg_u64 s[6:7], 0
	s_cbranch_scc0 .LBB47_302
; %bb.269:                              ;   in Loop: Header=BB47_33 Depth=1
	v_cvt_f32_u32_e32 v2, s33
	s_sub_u32 s6, 0, s33
	s_subb_u32 s28, 0, 0
	v_mac_f32_e32 v2, 0x4f800000, v59
	v_rcp_f32_e32 v2, v2
	v_mul_f32_e32 v2, 0x5f7ffffc, v2
	v_mul_f32_e32 v4, 0x2f800000, v2
	v_trunc_f32_e32 v4, v4
	v_mac_f32_e32 v2, 0xcf800000, v4
	v_cvt_u32_f32_e32 v4, v4
	v_cvt_u32_f32_e32 v2, v2
	v_readfirstlane_b32 s29, v4
	v_readfirstlane_b32 s44, v2
	s_mul_i32 s45, s6, s29
	s_mul_hi_u32 s47, s6, s44
	s_mul_i32 s46, s28, s44
	s_add_i32 s45, s47, s45
	s_mul_i32 s48, s6, s44
	s_add_i32 s45, s45, s46
	s_mul_hi_u32 s47, s44, s48
	s_mul_hi_u32 s46, s44, s45
	s_mul_i32 s44, s44, s45
	s_add_u32 s44, s47, s44
	s_addc_u32 s46, 0, s46
	s_mul_hi_u32 s49, s29, s48
	s_mul_i32 s48, s29, s48
	s_add_u32 s44, s44, s48
	s_mul_hi_u32 s47, s29, s45
	s_addc_u32 s44, s46, s49
	s_addc_u32 s46, s47, 0
	s_mul_i32 s45, s29, s45
	s_add_u32 s44, s44, s45
	s_addc_u32 s45, 0, s46
	v_add_co_u32_e32 v2, vcc, s44, v2
	s_cmp_lg_u64 vcc, 0
	s_addc_u32 s29, s29, s45
	v_readfirstlane_b32 s45, v2
	s_mul_i32 s44, s6, s29
	s_mul_hi_u32 s46, s6, s45
	s_add_i32 s44, s46, s44
	s_mul_i32 s28, s28, s45
	s_add_i32 s44, s44, s28
	s_mul_i32 s6, s6, s45
	s_mul_hi_u32 s46, s29, s6
	s_mul_i32 s47, s29, s6
	s_mul_i32 s49, s45, s44
	s_mul_hi_u32 s6, s45, s6
	s_mul_hi_u32 s48, s45, s44
	s_add_u32 s6, s6, s49
	s_addc_u32 s45, 0, s48
	s_add_u32 s6, s6, s47
	s_mul_hi_u32 s28, s29, s44
	s_addc_u32 s6, s45, s46
	s_addc_u32 s28, s28, 0
	s_mul_i32 s44, s29, s44
	s_add_u32 s6, s6, s44
	s_addc_u32 s28, 0, s28
	v_add_co_u32_e32 v2, vcc, s6, v2
	s_cmp_lg_u64 vcc, 0
	s_addc_u32 s6, s29, s28
	s_ashr_i32 s28, s7, 31
	s_add_u32 s44, s5, s28
	s_mov_b32 s29, s28
	s_addc_u32 s45, s7, s28
	s_xor_b64 s[44:45], s[44:45], s[28:29]
	v_readfirstlane_b32 s47, v2
	s_mul_i32 s46, s44, s6
	s_mul_hi_u32 s48, s44, s47
	s_mul_hi_u32 s29, s44, s6
	s_add_u32 s46, s48, s46
	s_addc_u32 s29, 0, s29
	s_mul_hi_u32 s49, s45, s47
	s_mul_i32 s47, s45, s47
	s_add_u32 s46, s46, s47
	s_mul_hi_u32 s48, s45, s6
	s_addc_u32 s29, s29, s49
	s_addc_u32 s46, s48, 0
	s_mul_i32 s6, s45, s6
	s_add_u32 s6, s29, s6
	s_addc_u32 s29, 0, s46
	s_mul_hi_u32 s46, s33, s6
	s_mul_i32 s6, s33, s6
	s_mul_i32 s29, s33, s29
	v_mov_b32_e32 v2, s6
	s_add_i32 s46, s46, s29
	v_sub_co_u32_e32 v2, vcc, s44, v2
	s_cmp_lg_u64 vcc, 0
	s_subb_u32 s6, s45, s46
	v_subrev_co_u32_e32 v4, vcc, s33, v2
	s_cmp_lg_u64 vcc, 0
	s_subb_u32 s29, s6, 0
	v_subrev_co_u32_e32 v5, vcc, s33, v4
	s_cmp_lg_u64 vcc, 0
	s_subb_u32 s44, s29, 0
	v_cmp_le_u32_e32 vcc, s33, v4
	s_cmp_eq_u32 s29, 0
	v_cndmask_b32_e64 v6, 0, -1, vcc
	s_cselect_b64 vcc, -1, 0
	v_cndmask_b32_e32 v6, -1, v6, vcc
	v_mov_b32_e32 v7, s29
	v_mov_b32_e32 v8, s44
	v_cmp_ne_u32_e32 vcc, 0, v6
	v_cndmask_b32_e32 v6, v7, v8, vcc
	v_cndmask_b32_e32 v4, v4, v5, vcc
	v_cmp_le_u32_e32 vcc, s33, v2
	s_cmp_eq_u32 s6, 0
	v_cndmask_b32_e64 v5, 0, -1, vcc
	s_cselect_b64 vcc, -1, 0
	v_cndmask_b32_e32 v5, -1, v5, vcc
	v_cmp_ne_u32_e32 vcc, 0, v5
	v_mov_b32_e32 v7, s6
	v_cndmask_b32_e32 v2, v2, v4, vcc
	v_cndmask_b32_e32 v5, v7, v6, vcc
	v_xor_b32_e32 v2, s28, v2
	v_xor_b32_e32 v5, s28, v5
	v_mov_b32_e32 v6, s28
	v_subrev_co_u32_e32 v4, vcc, s28, v2
	v_subb_co_u32_e32 v5, vcc, v5, v6, vcc
	s_cbranch_execnz .LBB47_271
.LBB47_270:                             ;   in Loop: Header=BB47_33 Depth=1
	v_cvt_f32_u32_e32 v2, s33
	s_sub_i32 s6, 0, s33
	v_rcp_iflag_f32_e32 v2, v2
	v_mul_f32_e32 v2, 0x4f7ffffe, v2
	v_cvt_u32_f32_e32 v2, v2
	v_mul_lo_u32 v4, s6, v2
	v_mul_hi_u32 v4, v2, v4
	v_add_u32_e32 v2, v2, v4
	v_mul_hi_u32 v2, s5, v2
	v_mul_lo_u32 v2, v2, s33
	v_sub_u32_e32 v2, s5, v2
	v_subrev_u32_e32 v4, s33, v2
	v_cmp_le_u32_e32 vcc, s33, v2
	v_cndmask_b32_e32 v2, v2, v4, vcc
	v_subrev_u32_e32 v4, s33, v2
	v_cmp_le_u32_e32 vcc, s33, v2
	v_cndmask_b32_e32 v18, v2, v4, vcc
	v_pk_mov_b32 v[4:5], v[18:19], v[18:19] op_sel:[0,1]
.LBB47_271:                             ;   in Loop: Header=BB47_33 Depth=1
	v_mov_b32_e32 v2, s7
	v_sub_co_u32_e32 v8, vcc, s5, v4
	v_subb_co_u32_e32 v9, vcc, v2, v5, vcc
	v_cmp_gt_i64_e32 vcc, v[8:9], v[0:1]
	s_mov_b64 s[46:47], 0
                                        ; implicit-def: $vgpr6_vgpr7
	s_and_saveexec_b64 s[28:29], vcc
	s_cbranch_execz .LBB47_280
; %bb.272:                              ;   in Loop: Header=BB47_33 Depth=1
	v_mov_b32_e32 v12, v51
	v_pk_mov_b32 v[10:11], v[0:1], v[0:1] op_sel:[0,1]
                                        ; implicit-def: $sgpr44_sgpr45
	s_branch .LBB47_274
.LBB47_273:                             ;   in Loop: Header=BB47_274 Depth=2
	s_or_b64 exec, exec, s[6:7]
	s_waitcnt lgkmcnt(0)
	s_barrier
	ds_read_b128 v[4:7], v19 offset:3072
	v_mov_b32_e32 v2, s60
	v_add_co_u32_e64 v10, s[6:7], s33, v10
	v_addc_co_u32_e64 v11, s[6:7], v11, v2, s[6:7]
	s_waitcnt lgkmcnt(0)
	v_cmp_neq_f64_e32 vcc, 0, v[4:5]
	v_cmp_ge_i64_e64 s[6:7], v[10:11], v[8:9]
	s_or_b64 s[6:7], vcc, s[6:7]
	s_and_b64 s[6:7], exec, s[6:7]
	s_or_b64 s[46:47], s[6:7], s[46:47]
	s_andn2_b64 s[6:7], s[44:45], exec
	s_and_b64 s[44:45], vcc, exec
	v_add_u32_e32 v12, s4, v12
	s_or_b64 s[44:45], s[6:7], s[44:45]
	s_barrier
	s_andn2_b64 exec, exec, s[46:47]
	s_cbranch_execz .LBB47_279
.LBB47_274:                             ;   Parent Loop BB47_33 Depth=1
                                        ; =>  This Inner Loop Header: Depth=2
	v_cmp_gt_i64_e32 vcc, s[22:23], v[10:11]
	v_pk_mov_b32 v[4:5], 0, 0
	s_and_saveexec_b64 s[6:7], vcc
	s_cbranch_execz .LBB47_276
; %bb.275:                              ;   in Loop: Header=BB47_274 Depth=2
	ds_read_b64 v[4:5], v12
.LBB47_276:                             ;   in Loop: Header=BB47_274 Depth=2
	s_or_b64 exec, exec, s[6:7]
	s_and_saveexec_b64 s[6:7], vcc
	s_cbranch_execz .LBB47_273
; %bb.277:                              ;   in Loop: Header=BB47_274 Depth=2
	s_waitcnt lgkmcnt(0)
	v_ashrrev_i32_e32 v2, 31, v5
	v_or_b32_e32 v6, 0x80000000, v2
	v_xor_b32_e32 v6, v6, v5
	v_xor_b32_e32 v2, v2, v4
	v_cmp_o_f64_e32 vcc, v[4:5], v[4:5]
	v_cndmask_b32_e32 v6, -1, v6, vcc
	v_cndmask_b32_e32 v2, -1, v2, vcc
	v_and_b32_e32 v7, s85, v6
	v_and_b32_e32 v6, s84, v2
	v_cmp_eq_u64_e32 vcc, s[2:3], v[6:7]
	s_and_b64 exec, exec, vcc
	s_cbranch_execz .LBB47_273
; %bb.278:                              ;   in Loop: Header=BB47_274 Depth=2
	v_mov_b32_e32 v2, v19
	ds_write_b128 v19, v[2:5] offset:3072
	s_branch .LBB47_273
.LBB47_279:                             ;   in Loop: Header=BB47_33 Depth=1
	s_or_b64 exec, exec, s[46:47]
	s_and_b64 s[46:47], s[44:45], exec
.LBB47_280:                             ;   in Loop: Header=BB47_33 Depth=1
	s_or_b64 exec, exec, s[28:29]
	s_mov_b64 s[44:45], -1
	s_mov_b64 s[6:7], 0
	s_mov_b64 s[28:29], 0
.LBB47_281:                             ;   in Loop: Header=BB47_33 Depth=1
	s_mov_b64 s[48:49], 0
                                        ; implicit-def: $sgpr5
                                        ; implicit-def: $sgpr50_sgpr51
	s_and_saveexec_b64 s[22:23], s[46:47]
	s_cbranch_execz .LBB47_294
; %bb.282:                              ;   in Loop: Header=BB47_33 Depth=1
	s_xor_b64 s[20:21], s[20:21], -1
	s_mov_b64 s[50:51], 1
	s_andn2_b64 vcc, exec, s[20:21]
	s_mov_b32 s5, 1
	s_cbranch_vccnz .LBB47_293
; %bb.283:                              ;   in Loop: Header=BB47_33 Depth=1
	s_waitcnt vmcnt(0)
	v_pk_mov_b32 v[4:5], s[12:13], s[12:13] op_sel:[0,1]
	v_cmp_gt_i64_e32 vcc, s[58:59], v[4:5]
	s_cbranch_vccnz .LBB47_289
; %bb.284:                              ;   in Loop: Header=BB47_33 Depth=1
	ds_read_b64 v[4:5], v19 offset:5120
	s_waitcnt lgkmcnt(0)
	v_cmp_ne_u64_e32 vcc, 0, v[4:5]
	s_cbranch_vccnz .LBB47_288
; %bb.285:                              ;   in Loop: Header=BB47_33 Depth=1
	s_mov_b64 s[20:21], exec
	v_readlane_b32 s46, v70, 14
	v_readlane_b32 s47, v70, 15
	s_and_b64 s[46:47], s[20:21], s[46:47]
	s_mov_b64 exec, s[46:47]
	s_cbranch_execz .LBB47_287
; %bb.286:                              ;   in Loop: Header=BB47_33 Depth=1
	v_pk_mov_b32 v[4:5], s[12:13], s[12:13] op_sel:[0,1]
	ds_write_b64 v19, v[4:5] offset:5128
.LBB47_287:                             ;   in Loop: Header=BB47_33 Depth=1
	s_or_b64 exec, exec, s[20:21]
	s_waitcnt lgkmcnt(0)
	s_barrier
.LBB47_288:                             ;   in Loop: Header=BB47_33 Depth=1
	s_or_b64 s[20:21], s[2:3], s[14:15]
	s_or_b64 s[14:15], s[84:85], s[14:15]
	s_mov_b64 s[46:47], 0
	s_mov_b32 s5, 8
	s_branch .LBB47_290
.LBB47_289:                             ;   in Loop: Header=BB47_33 Depth=1
	s_mov_b64 s[46:47], -1
                                        ; implicit-def: $sgpr5
                                        ; implicit-def: $sgpr20_sgpr21
                                        ; implicit-def: $sgpr14_sgpr15
.LBB47_290:                             ;   in Loop: Header=BB47_33 Depth=1
	s_andn2_b64 vcc, exec, s[46:47]
	s_cbranch_vccnz .LBB47_292
; %bb.291:                              ;   in Loop: Header=BB47_33 Depth=1
	s_sub_u32 s58, s58, s12
	s_subb_u32 s59, s59, s13
	s_mov_b32 s5, 8
	s_mov_b64 s[20:21], s[2:3]
	s_mov_b64 s[14:15], s[84:85]
.LBB47_292:                             ;   in Loop: Header=BB47_33 Depth=1
	s_mov_b64 s[50:51], s[58:59]
	s_mov_b64 s[2:3], s[20:21]
	;; [unrolled: 1-line block ×3, first 2 shown]
.LBB47_293:                             ;   in Loop: Header=BB47_33 Depth=1
	s_mov_b64 s[48:49], exec
.LBB47_294:                             ;   in Loop: Header=BB47_33 Depth=1
	s_or_b64 exec, exec, s[22:23]
	s_mov_b64 s[58:59], s[50:51]
	s_mov_b32 s47, s0
.LBB47_295:                             ;   in Loop: Header=BB47_33 Depth=1
	s_andn2_b64 s[12:13], s[36:37], exec
	s_and_b64 s[6:7], s[6:7], exec
	s_or_b64 s[36:37], s[12:13], s[6:7]
	s_andn2_b64 s[6:7], s[40:41], exec
	s_and_b64 s[12:13], s[44:45], exec
	s_or_b64 s[40:41], s[6:7], s[12:13]
	;; [unrolled: 3-line block ×3, first 2 shown]
	s_and_b64 s[28:29], s[48:49], exec
	s_mov_b64 s[48:49], s[70:71]
.LBB47_296:                             ;   in Loop: Header=BB47_33 Depth=1
	s_or_b64 exec, exec, s[42:43]
	s_mov_b64 s[42:43], s[8:9]
	s_mov_b64 s[44:45], s[72:73]
.LBB47_297:                             ;   in Loop: Header=BB47_33 Depth=1
	s_andn2_b64 s[6:7], s[26:27], exec
	s_and_b64 s[12:13], s[36:37], exec
	s_or_b64 s[26:27], s[6:7], s[12:13]
	s_andn2_b64 s[6:7], s[30:31], exec
	s_and_b64 s[12:13], s[40:41], exec
	s_or_b64 s[30:31], s[6:7], s[12:13]
	;; [unrolled: 3-line block ×3, first 2 shown]
	s_and_b64 s[28:29], s[28:29], exec
.LBB47_298:                             ;   in Loop: Header=BB47_33 Depth=1
	s_or_b64 exec, exec, s[34:35]
	s_and_saveexec_b64 s[6:7], s[28:29]
	s_xor_b64 s[6:7], exec, s[6:7]
	s_cbranch_execz .LBB47_31
.LBB47_299:                             ;   in Loop: Header=BB47_33 Depth=1
	s_and_b32 s5, s5, -9
	s_cmp_eq_u32 s5, 0
	s_cbranch_scc1 .LBB47_29
; %bb.300:                              ;   in Loop: Header=BB47_33 Depth=1
	s_mov_b64 s[12:13], -1
                                        ; implicit-def: $sgpr84_sgpr85
                                        ; implicit-def: $sgpr47
                                        ; implicit-def: $sgpr0
                                        ; kill: killed $sgpr0
	s_mov_b64 s[14:15], -1
	s_branch .LBB47_30
.LBB47_301:                             ;   in Loop: Header=BB47_33 Depth=1
                                        ; implicit-def: $vgpr4_vgpr5
	s_branch .LBB47_253
.LBB47_302:                             ;   in Loop: Header=BB47_33 Depth=1
                                        ; implicit-def: $vgpr4_vgpr5
	s_branch .LBB47_270
.LBB47_303:
	s_or_b64 exec, exec, s[66:67]
	s_xor_b64 s[4:5], s[54:55], -1
	s_xor_b64 s[0:1], s[44:45], -1
	;; [unrolled: 1-line block ×3, first 2 shown]
	s_mov_b64 s[2:3], 0
	s_and_saveexec_b64 s[8:9], s[0:1]
	s_xor_b64 s[0:1], exec, s[8:9]
	s_cbranch_execnz .LBB47_308
; %bb.304:
	s_andn2_saveexec_b64 s[0:1], s[0:1]
	s_cbranch_execnz .LBB47_330
.LBB47_305:
	s_or_b64 exec, exec, s[0:1]
	s_and_saveexec_b64 s[0:1], s[2:3]
.LBB47_306:
	; divergent unreachable
.LBB47_307:
	s_endpgm
.LBB47_308:
	s_and_saveexec_b64 s[2:3], s[4:5]
	s_xor_b64 s[4:5], exec, s[2:3]
	s_cbranch_execz .LBB47_328
; %bb.309:
	s_and_saveexec_b64 s[2:3], s[6:7]
	s_xor_b64 s[2:3], exec, s[2:3]
; %bb.310:
	v_lshrrev_b32_e32 v2, 31, v5
	v_add_co_u32_e32 v2, vcc, -1, v2
	v_addc_co_u32_e64 v3, s[6:7], 0, -1, vcc
	v_or_b32_e32 v3, 0x80000000, v3
	v_xor_b32_e32 v7, v3, v5
	v_xor_b32_e32 v6, v2, v4
; %bb.311:
	s_or_b64 exec, exec, s[2:3]
	s_mov_b64 s[2:3], exec
	v_readlane_b32 s6, v70, 14
	v_readlane_b32 s7, v70, 15
	s_and_b64 s[6:7], s[2:3], s[6:7]
	s_mov_b64 exec, s[6:7]
	s_cbranch_execz .LBB47_313
; %bb.312:
	v_mov_b32_e32 v2, 0
	v_mov_b32_e32 v3, s56
	ds_write_b32 v2, v3 offset:5140
.LBB47_313:
	s_or_b64 exec, exec, s[2:3]
	s_waitcnt lgkmcnt(0)
	s_barrier
	s_mov_b64 s[6:7], exec
	v_readlane_b32 s2, v70, 24
	v_readlane_b32 s3, v70, 25
	s_and_b64 s[2:3], s[6:7], s[2:3]
	s_mov_b64 exec, s[2:3]
	s_cbranch_execz .LBB47_325
; %bb.314:
	v_mov_b32_e32 v2, 0
	ds_read_b32 v4, v2 offset:5140
	v_cmp_u_f64_e32 vcc, v[6:7], v[6:7]
	s_mov_b64 s[8:9], 0
	s_xor_b64 s[10:11], vcc, -1
                                        ; implicit-def: $sgpr12_sgpr13
                                        ; implicit-def: $sgpr14_sgpr15
                                        ; implicit-def: $sgpr16_sgpr17
	s_waitcnt lgkmcnt(0)
	v_ashrrev_i32_e32 v5, 31, v4
	s_branch .LBB47_317
.LBB47_315:                             ;   in Loop: Header=BB47_317 Depth=1
	s_or_b64 exec, exec, s[22:23]
	s_andn2_b64 s[16:17], s[16:17], exec
	s_and_b64 s[2:3], s[2:3], exec
	s_or_b64 s[16:17], s[16:17], s[2:3]
	s_andn2_b64 s[2:3], s[14:15], exec
	s_and_b64 s[14:15], s[20:21], exec
	s_or_b64 s[14:15], s[2:3], s[14:15]
.LBB47_316:                             ;   in Loop: Header=BB47_317 Depth=1
	s_or_b64 exec, exec, s[18:19]
	s_and_b64 s[2:3], exec, s[14:15]
	s_or_b64 s[8:9], s[2:3], s[8:9]
	s_andn2_b64 s[2:3], s[12:13], exec
	s_and_b64 s[12:13], s[16:17], exec
	s_or_b64 s[12:13], s[2:3], s[12:13]
	s_andn2_b64 exec, exec, s[8:9]
	s_cbranch_execz .LBB47_320
.LBB47_317:                             ; =>This Inner Loop Header: Depth=1
	v_pk_mov_b32 v[2:3], v[0:1], v[0:1] op_sel:[0,1]
	v_cmp_lt_i64_e32 vcc, v[2:3], v[4:5]
	s_or_b64 s[16:17], s[16:17], exec
	s_or_b64 s[14:15], s[14:15], exec
                                        ; implicit-def: $vgpr0_vgpr1
	s_and_saveexec_b64 s[18:19], vcc
	s_cbranch_execz .LBB47_316
; %bb.318:                              ;   in Loop: Header=BB47_317 Depth=1
	global_load_dwordx2 v[0:1], v[16:17], off
	s_mov_b64 s[20:21], -1
	s_waitcnt vmcnt(0)
	v_cmp_o_f64_e64 s[2:3], v[0:1], v[0:1]
	v_cmp_neq_f64_e32 vcc, v[0:1], v[6:7]
	s_or_b64 s[2:3], s[2:3], s[10:11]
	s_and_b64 s[24:25], vcc, s[2:3]
	s_mov_b64 s[2:3], 0
                                        ; implicit-def: $vgpr0_vgpr1
	s_and_saveexec_b64 s[22:23], s[24:25]
	s_cbranch_execz .LBB47_315
; %bb.319:                              ;   in Loop: Header=BB47_317 Depth=1
	v_mov_b32_e32 v1, s60
	v_add_co_u32_e32 v0, vcc, s33, v2
	v_addc_co_u32_e32 v1, vcc, v3, v1, vcc
	v_mov_b32_e32 v3, s79
	v_add_co_u32_e32 v16, vcc, s78, v16
	v_addc_co_u32_e32 v17, vcc, v17, v3, vcc
	v_cmp_le_i64_e32 vcc, s[56:57], v[0:1]
	s_mov_b64 s[2:3], exec
	s_orn2_b64 s[20:21], vcc, exec
	s_branch .LBB47_315
.LBB47_320:
	s_or_b64 exec, exec, s[8:9]
	s_xor_b64 s[2:3], s[12:13], -1
	s_and_saveexec_b64 s[8:9], s[2:3]
	s_xor_b64 s[8:9], exec, s[8:9]
	s_cbranch_execz .LBB47_325
; %bb.321:
	s_mov_b64 s[2:3], exec
	s_brev_b32 s8, -2
.LBB47_322:                             ; =>This Inner Loop Header: Depth=1
	s_ff1_i32_b64 s9, s[2:3]
	v_readlane_b32 s12, v2, s9
	s_lshl_b64 s[10:11], 1, s9
	s_min_i32 s8, s8, s12
	s_andn2_b64 s[2:3], s[2:3], s[10:11]
	s_cmp_lg_u64 s[2:3], 0
	s_cbranch_scc1 .LBB47_322
; %bb.323:
	v_mbcnt_lo_u32_b32 v0, exec_lo, 0
	v_mbcnt_hi_u32_b32 v0, exec_hi, v0
	v_cmp_eq_u32_e32 vcc, 0, v0
	s_and_saveexec_b64 s[2:3], vcc
	s_xor_b64 s[2:3], exec, s[2:3]
	s_cbranch_execz .LBB47_325
; %bb.324:
	v_mov_b32_e32 v0, 0
	v_mov_b32_e32 v1, s8
	ds_min_i32 v0, v1 offset:5140
.LBB47_325:
	s_or_b64 exec, exec, s[6:7]
	s_waitcnt lgkmcnt(0)
	s_barrier
	s_mov_b64 s[2:3], exec
	v_readlane_b32 s6, v70, 14
	v_readlane_b32 s7, v70, 15
	s_and_b64 s[6:7], s[2:3], s[6:7]
	s_mov_b64 exec, s[6:7]
	s_cbranch_execz .LBB47_327
; %bb.326:
	v_readlane_b32 s8, v70, 2
	v_readlane_b32 s9, v70, 3
	;; [unrolled: 1-line block ×4, first 2 shown]
	s_mul_i32 s6, s10, s9
	s_mul_hi_u32 s7, s10, s8
	s_add_i32 s6, s7, s6
	s_mul_i32 s7, s11, s8
	s_add_i32 s7, s6, s7
	s_mul_i32 s6, s10, s8
	v_readlane_b32 s10, v70, 10
	v_readlane_b32 s11, v70, 11
	s_mul_i32 s8, s10, s93
	s_mul_hi_u32 s9, s10, s92
	s_add_i32 s8, s9, s8
	s_mul_i32 s9, s11, s92
	s_add_i32 s9, s8, s9
	s_mul_i32 s8, s10, s92
	s_lshl_b64 s[6:7], s[6:7], 3
	v_readlane_b32 s10, v70, 8
	v_readlane_b32 s11, v70, 9
	s_add_u32 s10, s10, s6
	s_addc_u32 s11, s11, s7
	v_readlane_b32 s6, v70, 0
	v_readlane_b32 s7, v70, 1
	s_lshl_b64 s[6:7], s[6:7], 3
	s_add_u32 s6, s10, s6
	s_addc_u32 s7, s11, s7
	s_lshl_b64 s[8:9], s[8:9], 3
	v_readlane_b32 s10, v70, 12
	v_mov_b32_e32 v2, 0
	v_readlane_b32 s11, v70, 13
	s_add_u32 s10, s10, s8
	ds_read_b32 v0, v2 offset:5140
	s_addc_u32 s11, s11, s9
	v_readlane_b32 s8, v70, 6
	v_readlane_b32 s9, v70, 7
	s_lshl_b64 s[8:9], s[8:9], 3
	s_add_u32 s8, s10, s8
	s_addc_u32 s9, s11, s9
	s_waitcnt lgkmcnt(0)
	v_ashrrev_i32_e32 v1, 31, v0
	global_store_dwordx2 v2, v[0:1], s[8:9]
	global_store_dwordx2 v2, v[6:7], s[6:7]
.LBB47_327:
	s_or_b64 exec, exec, s[2:3]
.LBB47_328:
	s_or_saveexec_b64 s[2:3], s[4:5]
	s_mov_b64 s[4:5], 0
	s_xor_b64 exec, exec, s[2:3]
	s_cbranch_execnz .LBB47_331
.LBB47_329:
	s_or_b64 exec, exec, s[2:3]
	s_and_b64 s[2:3], s[4:5], exec
	s_andn2_saveexec_b64 s[0:1], s[0:1]
	s_cbranch_execz .LBB47_305
.LBB47_330:
	s_or_b64 s[2:3], s[2:3], exec
	s_trap 2
	s_or_b64 exec, exec, s[0:1]
	s_and_saveexec_b64 s[0:1], s[2:3]
	s_cbranch_execnz .LBB47_306
	s_branch .LBB47_307
.LBB47_331:
	s_mov_b64 s[4:5], exec
	s_trap 2
	s_branch .LBB47_329
	.section	.rodata,"a",@progbits
	.p2align	6, 0x0
	.amdhsa_kernel _ZN2at6native12_GLOBAL__N_114gatherKthValueIdlLin1EEEvNS_4cuda6detail10TensorInfoIKT_T0_EES8_S8_S8_S8_NS5_IS6_S8_EENS5_IlS8_EE
		.amdhsa_group_segment_fixed_size 5144
		.amdhsa_private_segment_fixed_size 0
		.amdhsa_kernarg_size 1536
		.amdhsa_user_sgpr_count 6
		.amdhsa_user_sgpr_private_segment_buffer 1
		.amdhsa_user_sgpr_dispatch_ptr 0
		.amdhsa_user_sgpr_queue_ptr 0
		.amdhsa_user_sgpr_kernarg_segment_ptr 1
		.amdhsa_user_sgpr_dispatch_id 0
		.amdhsa_user_sgpr_flat_scratch_init 0
		.amdhsa_user_sgpr_kernarg_preload_length 0
		.amdhsa_user_sgpr_kernarg_preload_offset 0
		.amdhsa_user_sgpr_private_segment_size 0
		.amdhsa_uses_dynamic_stack 0
		.amdhsa_system_sgpr_private_segment_wavefront_offset 0
		.amdhsa_system_sgpr_workgroup_id_x 1
		.amdhsa_system_sgpr_workgroup_id_y 1
		.amdhsa_system_sgpr_workgroup_id_z 1
		.amdhsa_system_sgpr_workgroup_info 0
		.amdhsa_system_vgpr_workitem_id 0
		.amdhsa_next_free_vgpr 71
		.amdhsa_next_free_sgpr 96
		.amdhsa_accum_offset 72
		.amdhsa_reserve_vcc 1
		.amdhsa_reserve_flat_scratch 0
		.amdhsa_float_round_mode_32 0
		.amdhsa_float_round_mode_16_64 0
		.amdhsa_float_denorm_mode_32 3
		.amdhsa_float_denorm_mode_16_64 3
		.amdhsa_dx10_clamp 1
		.amdhsa_ieee_mode 1
		.amdhsa_fp16_overflow 0
		.amdhsa_tg_split 0
		.amdhsa_exception_fp_ieee_invalid_op 0
		.amdhsa_exception_fp_denorm_src 0
		.amdhsa_exception_fp_ieee_div_zero 0
		.amdhsa_exception_fp_ieee_overflow 0
		.amdhsa_exception_fp_ieee_underflow 0
		.amdhsa_exception_fp_ieee_inexact 0
		.amdhsa_exception_int_div_zero 0
	.end_amdhsa_kernel
	.section	.text._ZN2at6native12_GLOBAL__N_114gatherKthValueIdlLin1EEEvNS_4cuda6detail10TensorInfoIKT_T0_EES8_S8_S8_S8_NS5_IS6_S8_EENS5_IlS8_EE,"axG",@progbits,_ZN2at6native12_GLOBAL__N_114gatherKthValueIdlLin1EEEvNS_4cuda6detail10TensorInfoIKT_T0_EES8_S8_S8_S8_NS5_IS6_S8_EENS5_IlS8_EE,comdat
.Lfunc_end47:
	.size	_ZN2at6native12_GLOBAL__N_114gatherKthValueIdlLin1EEEvNS_4cuda6detail10TensorInfoIKT_T0_EES8_S8_S8_S8_NS5_IS6_S8_EENS5_IlS8_EE, .Lfunc_end47-_ZN2at6native12_GLOBAL__N_114gatherKthValueIdlLin1EEEvNS_4cuda6detail10TensorInfoIKT_T0_EES8_S8_S8_S8_NS5_IS6_S8_EENS5_IlS8_EE
                                        ; -- End function
	.section	.AMDGPU.csdata,"",@progbits
; Kernel info:
; codeLenInByte = 20068
; NumSgprs: 100
; NumVgprs: 71
; NumAgprs: 0
; TotalNumVgprs: 71
; ScratchSize: 0
; MemoryBound: 0
; FloatMode: 240
; IeeeMode: 1
; LDSByteSize: 5144 bytes/workgroup (compile time only)
; SGPRBlocks: 12
; VGPRBlocks: 8
; NumSGPRsForWavesPerEU: 100
; NumVGPRsForWavesPerEU: 71
; AccumOffset: 72
; Occupancy: 7
; WaveLimiterHint : 1
; COMPUTE_PGM_RSRC2:SCRATCH_EN: 0
; COMPUTE_PGM_RSRC2:USER_SGPR: 6
; COMPUTE_PGM_RSRC2:TRAP_HANDLER: 0
; COMPUTE_PGM_RSRC2:TGID_X_EN: 1
; COMPUTE_PGM_RSRC2:TGID_Y_EN: 1
; COMPUTE_PGM_RSRC2:TGID_Z_EN: 1
; COMPUTE_PGM_RSRC2:TIDIG_COMP_CNT: 0
; COMPUTE_PGM_RSRC3_GFX90A:ACCUM_OFFSET: 17
; COMPUTE_PGM_RSRC3_GFX90A:TG_SPLIT: 0
	.section	.text._ZN2at6native12_GLOBAL__N_114gatherKthValueIfiLi1EEEvNS_4cuda6detail10TensorInfoIKT_T0_EES8_S8_S8_S8_NS5_IS6_S8_EENS5_IlS8_EE,"axG",@progbits,_ZN2at6native12_GLOBAL__N_114gatherKthValueIfiLi1EEEvNS_4cuda6detail10TensorInfoIKT_T0_EES8_S8_S8_S8_NS5_IS6_S8_EENS5_IlS8_EE,comdat
	.globl	_ZN2at6native12_GLOBAL__N_114gatherKthValueIfiLi1EEEvNS_4cuda6detail10TensorInfoIKT_T0_EES8_S8_S8_S8_NS5_IS6_S8_EENS5_IlS8_EE ; -- Begin function _ZN2at6native12_GLOBAL__N_114gatherKthValueIfiLi1EEEvNS_4cuda6detail10TensorInfoIKT_T0_EES8_S8_S8_S8_NS5_IS6_S8_EENS5_IlS8_EE
	.p2align	8
	.type	_ZN2at6native12_GLOBAL__N_114gatherKthValueIfiLi1EEEvNS_4cuda6detail10TensorInfoIKT_T0_EES8_S8_S8_S8_NS5_IS6_S8_EENS5_IlS8_EE,@function
_ZN2at6native12_GLOBAL__N_114gatherKthValueIfiLi1EEEvNS_4cuda6detail10TensorInfoIKT_T0_EES8_S8_S8_S8_NS5_IS6_S8_EENS5_IlS8_EE: ; @_ZN2at6native12_GLOBAL__N_114gatherKthValueIfiLi1EEEvNS_4cuda6detail10TensorInfoIKT_T0_EES8_S8_S8_S8_NS5_IS6_S8_EENS5_IlS8_EE
; %bb.0:
	s_load_dwordx2 s[12:13], s[4:5], 0x298
	s_load_dwordx4 s[60:63], s[4:5], 0xd8
	s_add_u32 s10, s4, 0x298
	s_addc_u32 s11, s5, 0
	s_waitcnt lgkmcnt(0)
	s_mul_i32 s0, s13, s8
	s_add_i32 s0, s0, s7
	s_mul_i32 s0, s0, s12
	s_add_i32 s7, s0, s6
	s_cmp_ge_i32 s7, s62
	s_cbranch_scc1 .LBB48_250
; %bb.1:
	s_load_dwordx2 s[0:1], s[4:5], 0x1c0
                                        ; implicit-def: $vgpr50 : SGPR spill to VGPR lane
	s_mov_b32 s68, 0
	v_cmp_eq_u32_e64 s[14:15], 0, v0
	s_waitcnt lgkmcnt(0)
	v_writelane_b32 v50, s0, 0
	v_writelane_b32 v50, s1, 1
	s_load_dwordx2 s[0:1], s[4:5], 0xe8
	s_waitcnt lgkmcnt(0)
	v_writelane_b32 v50, s0, 2
	v_writelane_b32 v50, s1, 3
	s_load_dword s0, s[4:5], 0x6c
	s_load_dwordx2 s[2:3], s[4:5], 0x0
	s_mov_b64 s[8:9], exec
	v_writelane_b32 v50, s14, 4
	v_writelane_b32 v50, s15, 5
	s_and_b64 s[14:15], s[8:9], s[14:15]
	s_mov_b64 exec, s[14:15]
	s_cbranch_execz .LBB48_3
; %bb.2:
	v_mov_b32_e32 v2, 0
	v_mov_b32_e32 v3, s60
	;; [unrolled: 1-line block ×3, first 2 shown]
	ds_write_b96 v2, v[2:4] offset:4096
.LBB48_3:
	s_or_b64 exec, exec, s[8:9]
	s_load_dword s1, s[4:5], 0x22c
                                        ; kill: killed $sgpr4 killed $sgpr5
	s_waitcnt lgkmcnt(0)
	s_barrier
	s_mul_i32 s0, s0, s7
	v_writelane_b32 v50, s1, 6
	s_load_dword s1, s[4:5], 0x154
	v_mbcnt_lo_u32_b32 v1, -1, 0
	s_load_dword s4, s[10:11], 0xc
	v_mbcnt_hi_u32_b32 v13, -1, v1
	v_cmp_gt_u32_e32 vcc, 64, v0
	s_waitcnt lgkmcnt(0)
	v_writelane_b32 v50, s1, 7
	s_ashr_i32 s1, s0, 31
	s_lshl_b64 s[0:1], s[0:1], 2
	s_add_u32 s62, s2, s0
	s_addc_u32 s76, s3, s1
	s_and_b32 s33, s4, 0xffff
	v_cmp_gt_i32_e64 s[2:3], 4, v13
	s_add_i32 s0, s33, -1
	v_writelane_b32 v50, s7, 8
	s_lshl_b32 s78, s33, 2
	s_bfe_u32 s7, s4, 0xa0006
	s_and_b64 s[70:71], vcc, s[2:3]
	s_add_i32 s17, s0, s60
	s_cmpk_gt_i32 s60, 0x300
	v_writelane_b32 v50, s0, 9
	s_cselect_b64 s[0:1], -1, 0
	v_writelane_b32 v50, s0, 10
	s_cmp_gt_u32 s33, 63
	v_writelane_b32 v50, s1, 11
	s_cselect_b64 s[0:1], -1, 0
	v_writelane_b32 v50, s0, 12
	s_cmp_lt_u32 s6, s12
	v_writelane_b32 v50, s1, 13
	s_cselect_b32 s0, 12, 18
	s_add_u32 s0, s10, s0
	s_addc_u32 s1, s11, 0
	v_writelane_b32 v50, s0, 14
	v_writelane_b32 v50, s1, 15
	s_add_i32 s0, s7, -2
	s_lshr_b32 s1, s0, 1
	s_add_i32 s1, s1, 1
	s_cmpk_gt_u32 s33, 0x7f
	v_mov_b32_e32 v9, 0
	s_cselect_b64 s[2:3], -1, 0
	v_writelane_b32 v50, s2, 16
	v_mul_lo_u32 v6, v0, s63
	v_mov_b32_e32 v7, v9
	v_writelane_b32 v50, s3, 17
	v_cmp_gt_u32_e64 s[8:9], s60, v0
	v_lshlrev_b64 v[2:3], 2, v[6:7]
	v_writelane_b32 v50, s8, 18
	v_mov_b32_e32 v7, s76
	v_add_co_u32_e32 v10, vcc, s62, v2
	v_writelane_b32 v50, s9, 19
	v_addc_co_u32_e32 v11, vcc, v7, v3, vcc
	v_cmp_gt_i32_e64 s[8:9], s60, v0
	v_lshlrev_b64 v[2:3], v13, -1
	v_writelane_b32 v50, s8, 20
	v_not_b32_e32 v12, v2
	v_cvt_f32_u32_e32 v2, s78
	v_writelane_b32 v50, s9, 21
	s_and_b32 s6, s7, 0x3fe
	s_and_b32 s8, s1, 7
	s_cmp_gt_u32 s0, 13
	s_cselect_b64 s[10:11], -1, 0
	v_writelane_b32 v50, s10, 22
	v_rcp_iflag_f32_e32 v2, v2
	v_writelane_b32 v50, s11, 23
	s_and_b32 s0, s1, -8
	v_writelane_b32 v50, s0, 24
	s_cmp_lg_u32 s8, 0
	v_writelane_b32 v50, s8, 25
	s_cselect_b64 s[0:1], -1, 0
	v_writelane_b32 v50, s0, 26
	v_mul_f32_e32 v2, 0x4f7ffffe, v2
	v_writelane_b32 v50, s1, 27
	v_cvt_u32_f32_e32 v2, v2
	v_writelane_b32 v50, s7, 28
	s_cmp_lg_u32 s6, s7
	v_writelane_b32 v50, s6, 29
	s_cselect_b64 s[0:1], -1, 0
	v_writelane_b32 v50, s0, 30
	v_writelane_b32 v50, s1, 31
	s_sub_i32 s0, 0, s78
	v_readfirstlane_b32 s1, v2
	s_mul_i32 s0, s0, s1
	s_mul_hi_u32 s0, s1, s0
	s_add_i32 s8, s1, s0
	s_mul_hi_u32 s0, s60, s8
	s_mul_i32 s0, s0, s78
	s_sub_i32 s0, s60, s0
	s_sub_i32 s1, s0, s78
	s_cmp_ge_u32 s0, s78
	s_cselect_b32 s0, s1, s0
	s_sub_i32 s1, s0, s78
	v_cvt_f32_u32_e32 v5, s33
	s_cmp_ge_u32 s0, s78
	s_cselect_b32 s0, s1, s0
	s_sub_i32 s9, s60, s0
	v_add_u32_e32 v28, s9, v0
	v_rcp_iflag_f32_e32 v5, v5
	v_lshrrev_b32_e32 v1, 4, v0
	v_mul_lo_u32 v2, v28, s63
	v_and_b32_e32 v26, 60, v1
	v_not_b32_e32 v1, v3
	v_ashrrev_i32_e32 v3, 31, v2
	v_lshlrev_b64 v[2:3], 2, v[2:3]
	v_add_co_u32_e32 v14, vcc, s62, v2
	v_mul_f32_e32 v2, 0x4f7ffffe, v5
	v_cvt_u32_f32_e32 v2, v2
	v_lshlrev_b32_e32 v24, 2, v0
	v_cmp_gt_i32_e64 s[6:7], s9, v24
	v_writelane_b32 v50, s6, 32
	v_writelane_b32 v50, s7, 33
	s_sub_i32 s7, 0, s33
	v_readfirstlane_b32 s10, v2
	s_mul_i32 s7, s7, s10
	s_mul_hi_u32 s7, s10, s7
	s_abs_i32 s6, s17
	s_add_i32 s7, s10, s7
	v_writelane_b32 v50, s7, 34
	s_mul_hi_u32 s7, s6, s7
	s_mul_i32 s7, s7, s33
	s_sub_i32 s6, s6, s7
	s_ashr_i32 s1, s17, 31
	s_sub_i32 s7, s6, s33
	s_cmp_ge_u32 s6, s33
	s_cselect_b32 s6, s7, s6
	s_sub_i32 s7, s6, s33
	s_cmp_ge_u32 s6, s33
	s_cselect_b32 s6, s7, s6
	s_xor_b32 s6, s6, s1
	v_mul_lo_u32 v2, s63, v24
	s_sub_i32 s1, s1, s6
	v_add_u32_e32 v29, s63, v2
	v_or_b32_e32 v2, 2, v24
	s_add_i32 s17, s17, s1
	v_mul_lo_u32 v30, s63, v2
	v_or_b32_e32 v2, 3, v24
	s_add_i32 s1, s33, s60
	v_mul_lo_u32 v31, s63, v2
	v_add_u32_e32 v2, s1, v0
	v_lshlrev_b32_e32 v4, 2, v13
	v_mov_b32_e32 v8, s76
	v_cmp_gt_i32_e64 s[6:7], s17, v0
	s_mul_i32 s77, s63, s33
	v_subrev_u32_e32 v2, s0, v2
	v_cmp_eq_u32_e64 s[2:3], 0, v13
	v_cmp_gt_u32_e64 s[4:5], 2, v0
	v_add_u32_e32 v25, 0xc00, v24
	v_and_b32_e32 v27, 0x100, v4
	v_cmp_gt_u32_e64 s[12:13], s60, v28
	v_addc_co_u32_e32 v15, vcc, v8, v3, vcc
	v_cmp_gt_i32_e64 s[14:15], s60, v28
	v_writelane_b32 v50, s6, 35
	s_lshl_b32 s79, s77, 2
	v_lshlrev_b32_e32 v32, 2, v6
	v_mul_lo_u32 v33, s63, v2
	v_lshlrev_b32_e32 v34, 4, v0
	s_lshl_b32 s16, s33, 4
	v_or_b32_e32 v35, 0xc00, v4
	s_mov_b32 s0, 30
	s_mov_b64 s[86:87], 0
	v_mov_b32_e32 v16, 1.0
	v_bfrev_b32_e32 v36, 1
	v_mov_b32_e32 v37, 0xc00
	v_mov_b32_e32 v19, 0
	s_mov_b32 s1, 0
	s_mov_b32 s73, 0
	;; [unrolled: 1-line block ×3, first 2 shown]
	v_writelane_b32 v50, s7, 36
                                        ; implicit-def: $sgpr88_sgpr89
                                        ; implicit-def: $sgpr92_sgpr93
                                        ; implicit-def: $sgpr90_sgpr91
                                        ; implicit-def: $sgpr94_sgpr95
                                        ; implicit-def: $sgpr64_sgpr65
                                        ; implicit-def: $sgpr66_sgpr67
	s_branch .LBB48_8
.LBB48_4:                               ;   in Loop: Header=BB48_8 Depth=1
	s_xor_b32 s1, s1, 1
	s_add_i32 s6, s0, -2
	s_cmp_eq_u32 s0, 0
	s_mov_b64 s[22:23], 0
	s_cselect_b64 s[30:31], -1, 0
	s_mov_b32 s0, s6
.LBB48_5:                               ;   in Loop: Header=BB48_8 Depth=1
	s_andn2_b64 s[6:7], s[26:27], exec
	s_and_b64 s[10:11], s[22:23], exec
	s_or_b64 s[26:27], s[6:7], s[10:11]
	s_andn2_b64 s[28:29], s[28:29], exec
	s_andn2_b64 s[24:25], s[24:25], exec
	s_orn2_b64 s[22:23], s[30:31], exec
	s_mov_b32 s61, s39
.LBB48_6:                               ;   in Loop: Header=BB48_8 Depth=1
	s_or_b64 exec, exec, s[18:19]
	s_andn2_b64 s[6:7], s[66:67], exec
	s_and_b64 s[10:11], s[26:27], exec
	s_or_b64 s[66:67], s[6:7], s[10:11]
	s_andn2_b64 s[6:7], s[64:65], exec
	s_and_b64 s[10:11], s[28:29], exec
	s_or_b64 s[64:65], s[6:7], s[10:11]
	;; [unrolled: 3-line block ×3, first 2 shown]
	s_orn2_b64 s[22:23], s[22:23], exec
.LBB48_7:                               ;   in Loop: Header=BB48_8 Depth=1
	s_or_b64 exec, exec, s[20:21]
	s_and_b64 s[6:7], exec, s[22:23]
	s_or_b64 s[86:87], s[6:7], s[86:87]
	s_andn2_b64 s[6:7], s[90:91], exec
	s_and_b64 s[10:11], s[66:67], exec
	s_or_b64 s[90:91], s[6:7], s[10:11]
	s_andn2_b64 s[6:7], s[92:93], exec
	s_and_b64 s[10:11], s[64:65], exec
	;; [unrolled: 3-line block ×3, first 2 shown]
	v_mov_b32_e32 v2, s73
	s_or_b64 s[88:89], s[6:7], s[10:11]
	s_andn2_b64 exec, exec, s[86:87]
	s_cbranch_execz .LBB48_246
.LBB48_8:                               ; =>This Loop Header: Depth=1
                                        ;     Child Loop BB48_16 Depth 2
                                        ;     Child Loop BB48_35 Depth 2
	;; [unrolled: 1-line block ×17, first 2 shown]
	ds_read_b64 v[2:3], v9 offset:4096
	s_waitcnt lgkmcnt(0)
	v_readfirstlane_b32 s69, v2
	s_cmp_gt_i32 s69, 0
	s_cbranch_scc1 .LBB48_42
; %bb.9:                                ;   in Loop: Header=BB48_8 Depth=1
	v_readlane_b32 s6, v50, 10
	v_readlane_b32 s7, v50, 11
	s_and_b64 vcc, exec, s[6:7]
	s_cbranch_vccz .LBB48_24
; %bb.10:                               ;   in Loop: Header=BB48_8 Depth=1
	s_movk_i32 s6, 0x301
	v_cmp_gt_i32_e32 vcc, s6, v3
	s_mov_b64 s[20:21], 0
	s_mov_b64 s[18:19], 0
	s_cbranch_vccz .LBB48_29
; %bb.11:                               ;   in Loop: Header=BB48_8 Depth=1
	v_mov_b32_e32 v2, 0
	s_mov_b64 s[18:19], exec
	v_readlane_b32 s6, v50, 18
	v_readlane_b32 s7, v50, 19
	s_and_b64 s[6:7], s[18:19], s[6:7]
	s_mov_b64 exec, s[6:7]
	s_cbranch_execz .LBB48_13
; %bb.12:                               ;   in Loop: Header=BB48_8 Depth=1
	global_load_dword v2, v[10:11], off
.LBB48_13:                              ;   in Loop: Header=BB48_8 Depth=1
	s_or_b64 exec, exec, s[18:19]
	s_mov_b64 s[22:23], exec
	v_readlane_b32 s6, v50, 18
	v_readlane_b32 s7, v50, 19
	s_and_b64 s[6:7], s[22:23], s[6:7]
	s_mov_b64 exec, s[6:7]
	s_cbranch_execz .LBB48_25
; %bb.14:                               ;   in Loop: Header=BB48_8 Depth=1
	v_readlane_b32 s6, v50, 14
	v_readlane_b32 s7, v50, 15
	s_mov_b64 s[24:25], 0
	s_nop 3
	global_load_ushort v3, v9, s[6:7]
	s_waitcnt vmcnt(0)
	v_add_u32_e32 v5, v0, v3
	v_mul_lo_u32 v4, s63, v3
	v_mul_lo_u32 v8, s63, v5
	v_mov_b32_e32 v5, v0
	s_branch .LBB48_16
.LBB48_15:                              ;   in Loop: Header=BB48_16 Depth=2
	s_or_b64 exec, exec, s[18:19]
	v_cmp_le_i32_e32 vcc, s60, v5
	v_add_u32_e32 v8, v8, v4
	s_or_b64 s[24:25], vcc, s[24:25]
	s_waitcnt vmcnt(0)
	v_mov_b32_e32 v2, v17
	s_andn2_b64 exec, exec, s[24:25]
	s_cbranch_execz .LBB48_25
.LBB48_16:                              ;   Parent Loop BB48_8 Depth=1
                                        ; =>  This Inner Loop Header: Depth=2
	v_add_u32_e32 v5, v5, v3
	v_cmp_gt_u32_e32 vcc, s60, v5
	s_waitcnt lgkmcnt(0)
	v_mov_b32_e32 v18, 0
	v_mov_b32_e32 v17, 0
	s_and_saveexec_b64 s[18:19], vcc
	s_cbranch_execz .LBB48_18
; %bb.17:                               ;   in Loop: Header=BB48_16 Depth=2
	v_lshlrev_b64 v[20:21], 2, v[8:9]
	v_add_co_u32_e32 v20, vcc, s62, v20
	v_addc_co_u32_e32 v21, vcc, v7, v21, vcc
	global_load_dword v17, v[20:21], off
.LBB48_18:                              ;   in Loop: Header=BB48_16 Depth=2
	s_or_b64 exec, exec, s[18:19]
	v_cmp_lt_i32_e32 vcc, -1, v2
	v_cndmask_b32_e32 v20, -1, v36, vcc
	v_xor_b32_e32 v20, v20, v2
	v_cmp_o_f32_e32 vcc, v2, v2
	v_cndmask_b32_e32 v20, -1, v20, vcc
	v_and_b32_e32 v20, s72, v20
	v_cmp_eq_u32_e32 vcc, s73, v20
	s_cmp_lg_u64 vcc, 0
	s_cselect_b64 s[6:7], -1, 0
	s_and_b64 s[6:7], s[2:3], s[6:7]
	s_and_saveexec_b64 s[26:27], s[6:7]
	s_cbranch_execz .LBB48_22
; %bb.19:                               ;   in Loop: Header=BB48_16 Depth=2
	s_mov_b64 s[30:31], exec
	v_mbcnt_lo_u32_b32 v18, s30, 0
	v_mbcnt_hi_u32_b32 v18, s31, v18
	s_bcnt1_i32_b64 s6, vcc
	v_cmp_eq_u32_e64 s[18:19], 0, v18
                                        ; implicit-def: $vgpr20
	s_and_saveexec_b64 s[28:29], s[18:19]
	s_cbranch_execz .LBB48_21
; %bb.20:                               ;   in Loop: Header=BB48_16 Depth=2
	s_bcnt1_i32_b64 s7, s[30:31]
	s_mul_i32 s7, s6, s7
	v_mov_b32_e32 v20, s7
	ds_add_rtn_u32 v20, v9, v20 offset:4104
.LBB48_21:                              ;   in Loop: Header=BB48_16 Depth=2
	s_or_b64 exec, exec, s[28:29]
	s_waitcnt lgkmcnt(0)
	v_readfirstlane_b32 s7, v20
	v_mov_b32_e32 v20, s7
	v_mad_u32_u24 v18, s6, v18, v20
.LBB48_22:                              ;   in Loop: Header=BB48_16 Depth=2
	s_or_b64 exec, exec, s[26:27]
	ds_bpermute_b32 v18, v27, v18
	s_and_saveexec_b64 s[18:19], vcc
	s_cbranch_execz .LBB48_15
; %bb.23:                               ;   in Loop: Header=BB48_16 Depth=2
	v_and_b32_e32 v21, vcc_lo, v12
	v_and_b32_e32 v20, vcc_hi, v1
	v_bcnt_u32_b32 v21, v21, 0
	v_bcnt_u32_b32 v20, v20, v21
	v_lshlrev_b32_e32 v20, 2, v20
	s_waitcnt lgkmcnt(0)
	v_lshl_add_u32 v18, v18, 2, v20
	ds_write_b32 v18, v2
	s_branch .LBB48_15
.LBB48_24:                              ;   in Loop: Header=BB48_8 Depth=1
	s_mov_b64 s[20:21], -1
	s_mov_b64 s[18:19], 0
	s_branch .LBB48_28
.LBB48_25:                              ;   in Loop: Header=BB48_8 Depth=1
	s_or_b64 exec, exec, s[22:23]
	s_waitcnt lgkmcnt(0)
	s_barrier
	s_mov_b64 s[18:19], exec
	v_readlane_b32 s6, v50, 4
	v_readlane_b32 s7, v50, 5
	s_and_b64 s[6:7], s[18:19], s[6:7]
	s_mov_b64 exec, s[6:7]
	s_cbranch_execz .LBB48_27
; %bb.26:                               ;   in Loop: Header=BB48_8 Depth=1
	s_waitcnt vmcnt(0)
	ds_read_b32 v2, v9 offset:4104
	s_waitcnt lgkmcnt(0)
	ds_write_b32 v9, v2 offset:4096
.LBB48_27:                              ;   in Loop: Header=BB48_8 Depth=1
	s_or_b64 exec, exec, s[18:19]
	s_waitcnt lgkmcnt(0)
	s_barrier
	s_mov_b64 s[18:19], -1
.LBB48_28:                              ;   in Loop: Header=BB48_8 Depth=1
                                        ; implicit-def: $sgpr69
.LBB48_29:                              ;   in Loop: Header=BB48_8 Depth=1
	s_and_b64 vcc, exec, s[20:21]
	s_cbranch_vccz .LBB48_40
; %bb.30:                               ;   in Loop: Header=BB48_8 Depth=1
	s_waitcnt vmcnt(0)
	v_mov_b32_e32 v2, 0
	s_mov_b64 s[18:19], exec
	v_readlane_b32 s6, v50, 18
	v_readlane_b32 s7, v50, 19
	s_and_b64 s[6:7], s[18:19], s[6:7]
	s_mov_b64 exec, s[6:7]
	s_cbranch_execz .LBB48_32
; %bb.31:                               ;   in Loop: Header=BB48_8 Depth=1
	global_load_dword v2, v[10:11], off
.LBB48_32:                              ;   in Loop: Header=BB48_8 Depth=1
	s_or_b64 exec, exec, s[18:19]
	s_mov_b64 s[18:19], exec
	v_readlane_b32 s6, v50, 20
	v_readlane_b32 s7, v50, 21
	s_and_b64 s[6:7], s[18:19], s[6:7]
	s_mov_b64 exec, s[6:7]
	s_cbranch_execz .LBB48_37
; %bb.33:                               ;   in Loop: Header=BB48_8 Depth=1
	v_readlane_b32 s6, v50, 14
	v_readlane_b32 s7, v50, 15
	s_mov_b64 s[20:21], 0
	v_mov_b32_e32 v4, v24
	v_mov_b32_e32 v18, v0
	s_nop 1
	global_load_ushort v3, v9, s[6:7]
	s_waitcnt vmcnt(0)
	v_add_u32_e32 v8, v0, v3
	v_lshlrev_b32_e32 v5, 2, v3
	v_mul_lo_u32 v17, s63, v3
	v_mul_lo_u32 v8, s63, v8
	s_branch .LBB48_35
.LBB48_34:                              ;   in Loop: Header=BB48_35 Depth=2
	s_or_b64 exec, exec, s[22:23]
	v_cmp_le_i32_e32 vcc, s60, v18
	ds_write_b32 v4, v2
	v_add_u32_e32 v4, v4, v5
	v_add_u32_e32 v8, v8, v17
	s_or_b64 s[20:21], vcc, s[20:21]
	s_waitcnt vmcnt(0)
	v_mov_b32_e32 v2, v20
	s_andn2_b64 exec, exec, s[20:21]
	s_cbranch_execz .LBB48_37
.LBB48_35:                              ;   Parent Loop BB48_8 Depth=1
                                        ; =>  This Inner Loop Header: Depth=2
	v_add_u32_e32 v18, v18, v3
	v_cmp_gt_u32_e32 vcc, s60, v18
	v_mov_b32_e32 v20, 0
	s_and_saveexec_b64 s[22:23], vcc
	s_cbranch_execz .LBB48_34
; %bb.36:                               ;   in Loop: Header=BB48_35 Depth=2
	v_lshlrev_b64 v[20:21], 2, v[8:9]
	v_mov_b32_e32 v22, s76
	v_add_co_u32_e32 v20, vcc, s62, v20
	v_addc_co_u32_e32 v21, vcc, v22, v21, vcc
	global_load_dword v20, v[20:21], off
	s_branch .LBB48_34
.LBB48_37:                              ;   in Loop: Header=BB48_8 Depth=1
	s_or_b64 exec, exec, s[18:19]
	s_waitcnt lgkmcnt(0)
	s_barrier
	s_mov_b64 s[18:19], exec
	v_readlane_b32 s6, v50, 4
	v_readlane_b32 s7, v50, 5
	s_and_b64 s[6:7], s[18:19], s[6:7]
	s_mov_b64 exec, s[6:7]
	s_cbranch_execz .LBB48_39
; %bb.38:                               ;   in Loop: Header=BB48_8 Depth=1
	s_waitcnt vmcnt(0)
	v_mov_b32_e32 v2, s60
	ds_write_b32 v9, v2 offset:4096
.LBB48_39:                              ;   in Loop: Header=BB48_8 Depth=1
	s_or_b64 exec, exec, s[18:19]
	s_mov_b64 s[18:19], -1
	s_waitcnt lgkmcnt(0)
	s_barrier
                                        ; implicit-def: $sgpr69
.LBB48_40:                              ;   in Loop: Header=BB48_8 Depth=1
	s_and_b64 vcc, exec, s[18:19]
	s_cbranch_vccz .LBB48_42
; %bb.41:                               ;   in Loop: Header=BB48_8 Depth=1
	s_waitcnt vmcnt(0)
	ds_read_b32 v2, v9 offset:4096
	s_waitcnt lgkmcnt(0)
	v_readfirstlane_b32 s69, v2
.LBB48_42:                              ;   in Loop: Header=BB48_8 Depth=1
	s_cmp_lt_i32 s69, 1
	s_cbranch_scc0 .LBB48_54
; %bb.43:                               ;   in Loop: Header=BB48_8 Depth=1
	s_waitcnt vmcnt(0)
	v_mov_b32_e32 v2, 0
	s_mov_b32 s84, 0
	v_mov_b32_e32 v3, 0
	v_mov_b32_e32 v4, v2
	v_mov_b32_e32 v5, 0
	s_mov_b64 s[80:81], exec
	v_readlane_b32 s6, v50, 32
	v_readlane_b32 s7, v50, 33
	s_and_b64 s[6:7], s[80:81], s[6:7]
	s_mov_b64 exec, s[6:7]
	s_cbranch_execz .LBB48_47
; %bb.44:                               ;   in Loop: Header=BB48_8 Depth=1
	s_and_b32 s85, s0, 0xfe
	s_mov_b64 s[82:83], 0
	s_mov_b32 s74, 0
	s_mov_b32 s75, 0
	;; [unrolled: 1-line block ×4, first 2 shown]
	v_mov_b32_e32 v8, v24
.LBB48_45:                              ;   Parent Loop BB48_8 Depth=1
                                        ; =>  This Inner Loop Header: Depth=2
	v_add_u32_e32 v2, s84, v32
	v_ashrrev_i32_e32 v3, 31, v2
	v_add_u32_e32 v4, s84, v29
	v_lshlrev_b64 v[2:3], 2, v[2:3]
	v_mov_b32_e32 v17, s76
	v_ashrrev_i32_e32 v5, 31, v4
	v_add_co_u32_e64 v2, s[18:19], s62, v2
	v_add_u32_e32 v20, s84, v30
	v_lshlrev_b64 v[4:5], 2, v[4:5]
	v_addc_co_u32_e64 v3, s[18:19], v17, v3, s[18:19]
	v_ashrrev_i32_e32 v21, 31, v20
	v_add_co_u32_e64 v4, s[18:19], s62, v4
	v_add_u32_e32 v22, s84, v31
	v_lshlrev_b64 v[20:21], 2, v[20:21]
	v_addc_co_u32_e64 v5, s[18:19], v17, v5, s[18:19]
	v_ashrrev_i32_e32 v23, 31, v22
	v_add_co_u32_e64 v20, s[18:19], s62, v20
	v_lshlrev_b64 v[22:23], 2, v[22:23]
	v_addc_co_u32_e64 v21, s[18:19], v17, v21, s[18:19]
	v_add_co_u32_e64 v22, s[18:19], s62, v22
	v_addc_co_u32_e64 v23, s[18:19], v17, v23, s[18:19]
	global_load_dword v2, v[2:3], off
	s_nop 0
	global_load_dword v3, v[4:5], off
	s_nop 0
	global_load_dword v4, v[20:21], off
	global_load_dword v5, v[22:23], off
	v_add_u32_e32 v8, s78, v8
	s_add_i32 s84, s84, s79
	v_cmp_le_i32_e32 vcc, s9, v8
	s_waitcnt vmcnt(3)
	v_cmp_lt_i32_e64 s[18:19], -1, v2
	v_cndmask_b32_e64 v17, -1, v36, s[18:19]
	s_waitcnt vmcnt(2)
	v_cmp_lt_i32_e64 s[18:19], -1, v3
	v_cndmask_b32_e64 v18, -1, v36, s[18:19]
	s_waitcnt vmcnt(1)
	v_cmp_lt_i32_e64 s[18:19], -1, v4
	v_cndmask_b32_e64 v20, -1, v36, s[18:19]
	s_waitcnt vmcnt(0)
	v_cmp_lt_i32_e64 s[18:19], -1, v5
	v_cndmask_b32_e64 v21, -1, v36, s[18:19]
	v_xor_b32_e32 v18, v18, v3
	v_cmp_o_f32_e64 s[18:19], v3, v3
	v_xor_b32_e32 v3, v20, v4
	v_cmp_o_f32_e64 s[20:21], v4, v4
	v_xor_b32_e32 v4, v21, v5
	v_cmp_o_f32_e64 s[22:23], v5, v5
	v_xor_b32_e32 v5, v17, v2
	v_cmp_o_f32_e64 s[24:25], v2, v2
	v_cndmask_b32_e64 v2, -1, v5, s[24:25]
	v_cndmask_b32_e64 v5, -1, v18, s[18:19]
	v_and_b32_e32 v17, s72, v2
	v_bfe_u32 v2, v2, s85, 2
	v_cndmask_b32_e64 v3, -1, v3, s[20:21]
	v_and_b32_e32 v18, s72, v5
	v_bfe_u32 v5, v5, s85, 2
	v_cmp_eq_u32_e64 s[18:19], s73, v17
	v_cmp_eq_u32_e64 s[26:27], 0, v2
	v_cndmask_b32_e64 v4, -1, v4, s[22:23]
	v_and_b32_e32 v20, s72, v3
	v_bfe_u32 v3, v3, s85, 2
	v_cmp_eq_u32_e64 s[20:21], s73, v18
	v_cmp_eq_u32_e64 s[28:29], 0, v5
	s_and_b64 s[10:11], s[18:19], s[26:27]
	v_and_b32_e32 v21, s72, v4
	v_bfe_u32 v4, v4, s85, 2
	v_cmp_eq_u32_e64 s[22:23], s73, v20
	v_cmp_eq_u32_e64 s[30:31], 0, v3
	;; [unrolled: 1-line block ×5, first 2 shown]
	v_cndmask_b32_e64 v2, 0, 1, s[10:11]
	s_and_b64 s[10:11], s[20:21], s[28:29]
	v_cmp_eq_u32_e64 s[24:25], s73, v21
	v_cmp_eq_u32_e64 s[34:35], 0, v4
	;; [unrolled: 1-line block ×5, first 2 shown]
	v_cndmask_b32_e64 v3, 0, 1, s[10:11]
	s_and_b64 s[10:11], s[22:23], s[30:31]
	v_cmp_eq_u32_e64 s[42:43], 1, v4
	v_cmp_eq_u32_e64 s[50:51], 2, v4
	;; [unrolled: 1-line block ×3, first 2 shown]
	v_cndmask_b32_e64 v4, 0, 1, s[10:11]
	s_and_b64 s[10:11], s[24:25], s[34:35]
	v_cmp_eq_u32_e64 s[38:39], 1, v5
	v_cmp_eq_u32_e64 s[46:47], 2, v5
	;; [unrolled: 1-line block ×3, first 2 shown]
	v_cndmask_b32_e64 v5, 0, 1, s[10:11]
	s_and_b64 s[10:11], s[18:19], s[36:37]
	v_cndmask_b32_e64 v17, 0, 1, s[10:11]
	s_and_b64 s[10:11], s[20:21], s[38:39]
	;; [unrolled: 2-line block ×12, first 2 shown]
	v_cmp_ne_u32_e64 s[18:19], 0, v2
	v_cmp_ne_u32_e64 s[20:21], 0, v3
	;; [unrolled: 1-line block ×7, first 2 shown]
	v_cndmask_b32_e64 v43, 0, 1, s[10:11]
	v_cmp_ne_u32_e64 s[38:39], 0, v23
	v_cmp_ne_u32_e64 s[46:47], 0, v41
	s_bcnt1_i32_b64 s10, s[18:19]
	s_bcnt1_i32_b64 s11, s[20:21]
	;; [unrolled: 1-line block ×7, first 2 shown]
	v_cmp_ne_u32_e64 s[22:23], 0, v4
	v_cmp_ne_u32_e64 s[30:31], 0, v20
	;; [unrolled: 1-line block ×4, first 2 shown]
	s_bcnt1_i32_b64 s25, s[38:39]
	s_bcnt1_i32_b64 s29, s[46:47]
	s_add_i32 s7, s7, s10
	s_add_i32 s6, s6, s20
	;; [unrolled: 1-line block ×4, first 2 shown]
	v_cmp_ne_u32_e64 s[34:35], 0, v21
	v_cmp_ne_u32_e64 s[42:43], 0, v39
	;; [unrolled: 1-line block ×3, first 2 shown]
	s_bcnt1_i32_b64 s18, s[22:23]
	s_bcnt1_i32_b64 s22, s[30:31]
	;; [unrolled: 1-line block ×4, first 2 shown]
	s_add_i32 s7, s7, s11
	s_add_i32 s6, s6, s21
	s_add_i32 s10, s10, s25
	s_add_i32 s11, s20, s29
	s_bcnt1_i32_b64 s23, s[34:35]
	s_bcnt1_i32_b64 s27, s[42:43]
	;; [unrolled: 1-line block ×3, first 2 shown]
	s_add_i32 s7, s7, s18
	s_add_i32 s6, s6, s22
	;; [unrolled: 1-line block ×8, first 2 shown]
	s_or_b64 s[82:83], vcc, s[82:83]
	v_mov_b32_e32 v2, s7
	v_mov_b32_e32 v3, s6
	;; [unrolled: 1-line block ×4, first 2 shown]
	s_andn2_b64 exec, exec, s[82:83]
	s_cbranch_execnz .LBB48_45
; %bb.46:                               ;   in Loop: Header=BB48_8 Depth=1
	s_or_b64 exec, exec, s[82:83]
.LBB48_47:                              ;   in Loop: Header=BB48_8 Depth=1
	s_or_b64 exec, exec, s[80:81]
	v_mov_b32_e32 v17, 0
	s_and_saveexec_b64 s[18:19], s[12:13]
	s_cbranch_execz .LBB48_49
; %bb.48:                               ;   in Loop: Header=BB48_8 Depth=1
	global_load_dword v17, v[14:15], off
.LBB48_49:                              ;   in Loop: Header=BB48_8 Depth=1
	s_or_b64 exec, exec, s[18:19]
	s_mov_b64 s[20:21], 0
	s_mov_b64 s[80:81], 0
	s_and_saveexec_b64 s[22:23], s[14:15]
	s_cbranch_execz .LBB48_56
; %bb.50:                               ;   in Loop: Header=BB48_8 Depth=1
	s_and_b32 s6, s0, 0xfe
	s_mov_b64 s[24:25], 0
	v_mov_b32_e32 v20, v33
	v_mov_b32_e32 v8, v28
	s_branch .LBB48_52
.LBB48_51:                              ;   in Loop: Header=BB48_52 Depth=2
	s_or_b64 exec, exec, s[18:19]
	s_waitcnt vmcnt(0)
	v_cmp_lt_i32_e32 vcc, -1, v17
	v_cndmask_b32_e32 v21, -1, v36, vcc
	v_xor_b32_e32 v21, v21, v17
	v_cmp_o_f32_e32 vcc, v17, v17
	v_cndmask_b32_e32 v17, -1, v21, vcc
	v_and_b32_e32 v21, s72, v17
	v_bfe_u32 v17, v17, s6, 2
	v_cmp_eq_u32_e32 vcc, s73, v21
	v_cmp_eq_u32_e64 s[18:19], 0, v17
	s_and_b64 s[10:11], vcc, s[18:19]
	v_cndmask_b32_e64 v21, 0, 1, s[10:11]
	v_cmp_ne_u32_e64 s[18:19], 0, v21
	s_bcnt1_i32_b64 s7, s[18:19]
	v_cmp_eq_u32_e64 s[18:19], 1, v17
	s_and_b64 s[10:11], vcc, s[18:19]
	v_cndmask_b32_e64 v21, 0, 1, s[10:11]
	v_cmp_ne_u32_e64 s[18:19], 0, v21
	v_add_u32_e32 v2, s7, v2
	s_bcnt1_i32_b64 s7, s[18:19]
	v_cmp_eq_u32_e64 s[18:19], 2, v17
	s_and_b64 s[10:11], vcc, s[18:19]
	v_cndmask_b32_e64 v21, 0, 1, s[10:11]
	v_cmp_ne_u32_e64 s[18:19], 0, v21
	v_add_u32_e32 v3, s7, v3
	s_bcnt1_i32_b64 s7, s[18:19]
	v_cmp_eq_u32_e64 s[18:19], 3, v17
	s_and_b64 s[10:11], vcc, s[18:19]
	v_cndmask_b32_e64 v17, 0, 1, s[10:11]
	v_cmp_ne_u32_e32 vcc, 0, v17
	v_add_u32_e32 v4, s7, v4
	s_bcnt1_i32_b64 s7, vcc
	v_cmp_le_i32_e32 vcc, s60, v8
	v_add_u32_e32 v5, s7, v5
	v_add_u32_e32 v20, s77, v20
	s_or_b64 s[24:25], vcc, s[24:25]
	v_mov_b32_e32 v17, v18
	s_andn2_b64 exec, exec, s[24:25]
	s_cbranch_execz .LBB48_55
.LBB48_52:                              ;   Parent Loop BB48_8 Depth=1
                                        ; =>  This Inner Loop Header: Depth=2
	v_add_u32_e32 v8, s33, v8
	v_cmp_gt_u32_e32 vcc, s60, v8
	v_mov_b32_e32 v18, 0
	s_and_saveexec_b64 s[18:19], vcc
	s_cbranch_execz .LBB48_51
; %bb.53:                               ;   in Loop: Header=BB48_52 Depth=2
	v_ashrrev_i32_e32 v21, 31, v20
	v_lshlrev_b64 v[22:23], 2, v[20:21]
	v_mov_b32_e32 v18, s76
	v_add_co_u32_e32 v22, vcc, s62, v22
	v_addc_co_u32_e32 v23, vcc, v18, v23, vcc
	global_load_dword v18, v[22:23], off
	s_branch .LBB48_51
.LBB48_54:                              ;   in Loop: Header=BB48_8 Depth=1
	s_mov_b64 s[80:81], 0
                                        ; implicit-def: $vgpr5
	s_cbranch_execnz .LBB48_57
	s_branch .LBB48_66
.LBB48_55:                              ;   in Loop: Header=BB48_8 Depth=1
	s_or_b64 exec, exec, s[24:25]
	s_mov_b64 s[80:81], exec
.LBB48_56:                              ;   in Loop: Header=BB48_8 Depth=1
	s_or_b64 exec, exec, s[22:23]
	s_and_b64 vcc, exec, s[20:21]
	s_cbranch_vccz .LBB48_66
.LBB48_57:                              ;   in Loop: Header=BB48_8 Depth=1
	s_mul_hi_u32 s6, s69, s8
	s_mul_i32 s6, s6, s78
	s_sub_i32 s6, s69, s6
	s_sub_i32 s7, s6, s78
	s_cmp_ge_u32 s6, s78
	s_cselect_b32 s6, s7, s6
	s_sub_i32 s7, s6, s78
	s_cmp_ge_u32 s6, s78
	s_cselect_b32 s6, s7, s6
	s_sub_i32 s6, s69, s6
	v_cmp_gt_u32_e32 vcc, s6, v24
	s_mov_b32 s74, 0
	s_waitcnt vmcnt(0)
	v_mov_b32_e32 v2, 0
	v_mov_b32_e32 v3, 0
	;; [unrolled: 1-line block ×4, first 2 shown]
	s_and_saveexec_b64 s[82:83], vcc
	s_cbranch_execz .LBB48_61
; %bb.58:                               ;   in Loop: Header=BB48_8 Depth=1
	s_and_b32 s7, s0, 0xfe
	s_mov_b64 s[84:85], 0
	v_mov_b32_e32 v8, v34
	s_mov_b32 s75, 0
	s_mov_b32 s10, 0
	;; [unrolled: 1-line block ×3, first 2 shown]
	v_mov_b32_e32 v17, v24
.LBB48_59:                              ;   Parent Loop BB48_8 Depth=1
                                        ; =>  This Inner Loop Header: Depth=2
	ds_read_b128 v[2:5], v8
	v_add_u32_e32 v17, s78, v17
	v_cmp_le_i32_e32 vcc, s6, v17
	v_add_u32_e32 v8, s16, v8
	s_waitcnt lgkmcnt(0)
	v_cmp_lt_i32_e64 s[18:19], -1, v2
	v_cndmask_b32_e64 v18, -1, v36, s[18:19]
	v_cmp_lt_i32_e64 s[18:19], -1, v3
	v_cndmask_b32_e64 v20, -1, v36, s[18:19]
	;; [unrolled: 2-line block ×4, first 2 shown]
	v_xor_b32_e32 v20, v20, v3
	v_cmp_o_f32_e64 s[18:19], v3, v3
	v_xor_b32_e32 v3, v21, v4
	v_cmp_o_f32_e64 s[20:21], v4, v4
	;; [unrolled: 2-line block ×4, first 2 shown]
	v_cndmask_b32_e64 v2, -1, v5, s[24:25]
	v_cndmask_b32_e64 v5, -1, v20, s[18:19]
	v_and_b32_e32 v18, s72, v2
	v_bfe_u32 v2, v2, s7, 2
	v_cndmask_b32_e64 v3, -1, v3, s[20:21]
	v_and_b32_e32 v20, s72, v5
	v_bfe_u32 v5, v5, s7, 2
	v_cmp_eq_u32_e64 s[18:19], s73, v18
	v_cmp_eq_u32_e64 s[26:27], 0, v2
	v_cndmask_b32_e64 v4, -1, v4, s[22:23]
	v_and_b32_e32 v21, s72, v3
	v_bfe_u32 v3, v3, s7, 2
	v_cmp_eq_u32_e64 s[20:21], s73, v20
	v_cmp_eq_u32_e64 s[28:29], 0, v5
	s_and_b64 s[26:27], s[18:19], s[26:27]
	v_and_b32_e32 v22, s72, v4
	v_bfe_u32 v4, v4, s7, 2
	v_cmp_eq_u32_e64 s[22:23], s73, v21
	v_cmp_eq_u32_e64 s[30:31], 0, v3
	;; [unrolled: 1-line block ×5, first 2 shown]
	v_cndmask_b32_e64 v2, 0, 1, s[26:27]
	s_and_b64 s[26:27], s[20:21], s[28:29]
	v_cmp_eq_u32_e64 s[24:25], s73, v22
	v_cmp_eq_u32_e64 s[34:35], 0, v4
	;; [unrolled: 1-line block ×5, first 2 shown]
	v_cndmask_b32_e64 v3, 0, 1, s[26:27]
	s_and_b64 s[26:27], s[22:23], s[30:31]
	v_cmp_eq_u32_e64 s[42:43], 1, v4
	v_cmp_eq_u32_e64 s[50:51], 2, v4
	;; [unrolled: 1-line block ×3, first 2 shown]
	v_cndmask_b32_e64 v4, 0, 1, s[26:27]
	s_and_b64 s[26:27], s[24:25], s[34:35]
	v_cmp_eq_u32_e64 s[38:39], 1, v5
	v_cmp_eq_u32_e64 s[46:47], 2, v5
	;; [unrolled: 1-line block ×3, first 2 shown]
	v_cndmask_b32_e64 v5, 0, 1, s[26:27]
	s_and_b64 s[26:27], s[18:19], s[36:37]
	v_cndmask_b32_e64 v18, 0, 1, s[26:27]
	s_and_b64 s[26:27], s[20:21], s[38:39]
	;; [unrolled: 2-line block ×5, first 2 shown]
	s_and_b64 s[18:19], s[18:19], s[52:53]
	v_cndmask_b32_e64 v23, 0, 1, s[26:27]
	s_and_b64 s[26:27], s[20:21], s[46:47]
	v_cndmask_b32_e64 v41, 0, 1, s[18:19]
	;; [unrolled: 2-line block ×7, first 2 shown]
	v_cndmask_b32_e64 v44, 0, 1, s[18:19]
	v_cmp_ne_u32_e64 s[18:19], 0, v2
	v_cmp_ne_u32_e64 s[20:21], 0, v3
	;; [unrolled: 1-line block ×11, first 2 shown]
	s_bcnt1_i32_b64 s18, s[18:19]
	s_bcnt1_i32_b64 s19, s[20:21]
	;; [unrolled: 1-line block ×8, first 2 shown]
	v_cmp_ne_u32_e64 s[34:35], 0, v22
	v_cmp_ne_u32_e64 s[40:41], 0, v39
	;; [unrolled: 1-line block ×3, first 2 shown]
	s_bcnt1_i32_b64 s23, s[28:29]
	s_bcnt1_i32_b64 s27, s[38:39]
	;; [unrolled: 1-line block ×3, first 2 shown]
	s_add_i32 s11, s11, s18
	s_add_i32 s10, s10, s22
	;; [unrolled: 1-line block ×4, first 2 shown]
	v_cmp_ne_u32_e64 s[42:43], 0, v40
	v_cmp_ne_u32_e64 s[50:51], 0, v44
	s_bcnt1_i32_b64 s25, s[34:35]
	s_bcnt1_i32_b64 s28, s[40:41]
	;; [unrolled: 1-line block ×3, first 2 shown]
	s_add_i32 s11, s11, s19
	s_add_i32 s10, s10, s23
	;; [unrolled: 1-line block ×4, first 2 shown]
	s_bcnt1_i32_b64 s29, s[42:43]
	s_bcnt1_i32_b64 s35, s[50:51]
	s_add_i32 s11, s11, s20
	s_add_i32 s10, s10, s24
	;; [unrolled: 1-line block ×8, first 2 shown]
	s_or_b64 s[84:85], vcc, s[84:85]
	v_mov_b32_e32 v2, s11
	v_mov_b32_e32 v3, s10
	;; [unrolled: 1-line block ×4, first 2 shown]
	s_andn2_b64 exec, exec, s[84:85]
	s_cbranch_execnz .LBB48_59
; %bb.60:                               ;   in Loop: Header=BB48_8 Depth=1
	s_or_b64 exec, exec, s[84:85]
.LBB48_61:                              ;   in Loop: Header=BB48_8 Depth=1
	s_or_b64 exec, exec, s[82:83]
	v_add_u32_e32 v8, s6, v0
	v_cmp_gt_i32_e32 vcc, s69, v8
	s_and_saveexec_b64 s[28:29], vcc
	s_cbranch_execz .LBB48_65
; %bb.62:                               ;   in Loop: Header=BB48_8 Depth=1
	s_and_b32 s6, s0, 0xfe
	v_lshlrev_b32_e32 v17, 2, v8
	s_mov_b64 s[30:31], 0
.LBB48_63:                              ;   Parent Loop BB48_8 Depth=1
                                        ; =>  This Inner Loop Header: Depth=2
	ds_read_b32 v18, v17
	v_add_u32_e32 v8, s33, v8
	v_cmp_le_i32_e32 vcc, s69, v8
	v_add_u32_e32 v17, s78, v17
	s_waitcnt lgkmcnt(0)
	v_cmp_lt_i32_e64 s[18:19], -1, v18
	v_cndmask_b32_e64 v20, -1, v36, s[18:19]
	v_xor_b32_e32 v20, v20, v18
	v_cmp_o_f32_e64 s[18:19], v18, v18
	v_cndmask_b32_e64 v18, -1, v20, s[18:19]
	v_and_b32_e32 v20, s72, v18
	v_bfe_u32 v18, v18, s6, 2
	v_cmp_eq_u32_e64 s[18:19], s73, v20
	v_cmp_eq_u32_e64 s[20:21], 0, v18
	;; [unrolled: 1-line block ×3, first 2 shown]
	s_and_b64 s[10:11], s[18:19], s[20:21]
	v_cmp_eq_u32_e64 s[24:25], 2, v18
	v_cmp_eq_u32_e64 s[26:27], 3, v18
	v_cndmask_b32_e64 v18, 0, 1, s[10:11]
	s_and_b64 s[10:11], s[18:19], s[22:23]
	v_cndmask_b32_e64 v20, 0, 1, s[10:11]
	s_and_b64 s[10:11], s[18:19], s[24:25]
	;; [unrolled: 2-line block ×3, first 2 shown]
	v_cndmask_b32_e64 v22, 0, 1, s[10:11]
	v_cmp_ne_u32_e64 s[18:19], 0, v18
	v_cmp_ne_u32_e64 s[20:21], 0, v20
	v_cmp_ne_u32_e64 s[22:23], 0, v21
	v_cmp_ne_u32_e64 s[24:25], 0, v22
	s_bcnt1_i32_b64 s7, s[18:19]
	s_bcnt1_i32_b64 s10, s[20:21]
	;; [unrolled: 1-line block ×4, first 2 shown]
	v_add_u32_e32 v2, s7, v2
	v_add_u32_e32 v3, s10, v3
	;; [unrolled: 1-line block ×3, first 2 shown]
	s_or_b64 s[30:31], vcc, s[30:31]
	v_add_u32_e32 v5, s18, v5
	s_andn2_b64 exec, exec, s[30:31]
	s_cbranch_execnz .LBB48_63
; %bb.64:                               ;   in Loop: Header=BB48_8 Depth=1
	s_or_b64 exec, exec, s[30:31]
	s_or_b64 s[80:81], s[80:81], exec
.LBB48_65:                              ;   in Loop: Header=BB48_8 Depth=1
	s_or_b64 exec, exec, s[28:29]
.LBB48_66:                              ;   in Loop: Header=BB48_8 Depth=1
	s_and_saveexec_b64 s[18:19], s[80:81]
	s_or_b64 exec, exec, s[18:19]
	s_lshl_b32 s6, s1, 6
	s_and_saveexec_b64 s[18:19], s[2:3]
	s_cbranch_execz .LBB48_68
; %bb.67:                               ;   in Loop: Header=BB48_8 Depth=1
	v_or_b32_e32 v8, s6, v26
	v_lshlrev_b32_e32 v8, 2, v8
	s_waitcnt vmcnt(0)
	ds_write_b128 v8, v[2:5] offset:3072
.LBB48_68:                              ;   in Loop: Header=BB48_8 Depth=1
	s_or_b64 exec, exec, s[18:19]
	s_waitcnt lgkmcnt(0)
	s_barrier
	s_and_saveexec_b64 s[18:19], s[70:71]
	s_cbranch_execz .LBB48_82
; %bb.69:                               ;   in Loop: Header=BB48_8 Depth=1
	v_readlane_b32 s10, v50, 12
	v_readlane_b32 s11, v50, 13
	v_add_u32_e32 v4, s6, v13
	s_andn2_b64 vcc, exec, s[10:11]
	s_waitcnt vmcnt(0)
	v_mov_b32_e32 v2, 0
	s_cbranch_vccnz .LBB48_81
; %bb.70:                               ;   in Loop: Header=BB48_8 Depth=1
	v_readlane_b32 s10, v50, 16
	v_readlane_b32 s11, v50, 17
	s_mov_b32 s7, 0
	s_and_b64 vcc, exec, s[10:11]
	v_mov_b32_e32 v2, 0
	s_cbranch_vccz .LBB48_74
; %bb.71:                               ;   in Loop: Header=BB48_8 Depth=1
	v_readlane_b32 s10, v50, 22
	v_readlane_b32 s11, v50, 23
	v_lshl_add_u32 v5, v4, 2, v37
	s_andn2_b64 vcc, exec, s[10:11]
	s_cbranch_vccnz .LBB48_75
; %bb.72:                               ;   in Loop: Header=BB48_8 Depth=1
	s_mov_b32 s21, 1
	s_mov_b32 s20, 0
	v_mov_b32_e32 v2, 0
	v_readlane_b32 s7, v50, 24
	v_mov_b32_e32 v3, 0
.LBB48_73:                              ;   Parent Loop BB48_8 Depth=1
                                        ; =>  This Inner Loop Header: Depth=2
	v_lshl_add_u32 v8, s20, 4, v5
	v_lshl_add_u32 v17, s21, 4, v5
	ds_read2_b32 v[20:21], v8 offset1:8
	ds_read2_b32 v[22:23], v17 offset1:8
	ds_read2_b32 v[38:39], v8 offset0:16 offset1:24
	ds_read2_b32 v[40:41], v17 offset0:16 offset1:24
	;; [unrolled: 1-line block ×6, first 2 shown]
	s_waitcnt lgkmcnt(7)
	v_add3_u32 v2, v20, v2, v21
	s_waitcnt lgkmcnt(6)
	v_add3_u32 v3, v22, v3, v23
	;; [unrolled: 2-line block ×3, first 2 shown]
	v_add3_u32 v2, v38, v2, v39
	s_add_i32 s21, s21, 16
	s_add_i32 s20, s20, 16
	s_add_i32 s7, s7, -8
	s_waitcnt lgkmcnt(3)
	v_add3_u32 v2, v42, v2, v43
	s_waitcnt lgkmcnt(2)
	v_add3_u32 v3, v44, v3, v45
	s_cmp_lg_u32 s7, 0
	s_waitcnt lgkmcnt(0)
	v_add3_u32 v3, v48, v3, v49
	v_add3_u32 v2, v46, v2, v47
	s_cbranch_scc1 .LBB48_73
	s_branch .LBB48_76
.LBB48_74:                              ;   in Loop: Header=BB48_8 Depth=1
	s_cbranch_execnz .LBB48_79
	s_branch .LBB48_81
.LBB48_75:                              ;   in Loop: Header=BB48_8 Depth=1
	s_mov_b32 s69, s68
	v_pk_mov_b32 v[2:3], s[68:69], s[68:69] op_sel:[0,1]
	s_mov_b32 s69, 1
	s_mov_b64 s[20:21], s[68:69]
.LBB48_76:                              ;   in Loop: Header=BB48_8 Depth=1
	v_readlane_b32 s10, v50, 26
	v_readlane_b32 s11, v50, 27
	s_andn2_b64 vcc, exec, s[10:11]
	v_readlane_b32 s7, v50, 25
	s_cbranch_vccnz .LBB48_78
.LBB48_77:                              ;   Parent Loop BB48_8 Depth=1
                                        ; =>  This Inner Loop Header: Depth=2
	v_lshl_add_u32 v8, s20, 4, v5
	v_lshl_add_u32 v17, s21, 4, v5
	ds_read_b32 v17, v17
	ds_read_b32 v8, v8
	s_add_i32 s21, s21, 2
	s_add_i32 s20, s20, 2
	s_add_i32 s7, s7, -1
	s_cmp_lg_u32 s7, 0
	s_waitcnt lgkmcnt(1)
	v_add_u32_e32 v3, v17, v3
	s_waitcnt lgkmcnt(0)
	v_add_u32_e32 v2, v8, v2
	s_cbranch_scc1 .LBB48_77
.LBB48_78:                              ;   in Loop: Header=BB48_8 Depth=1
	v_readlane_b32 s20, v50, 30
	v_add_u32_e32 v2, v2, v3
	v_readlane_b32 s7, v50, 29
	v_readlane_b32 s21, v50, 31
	s_and_b64 vcc, exec, s[20:21]
	s_cbranch_vccz .LBB48_81
.LBB48_79:                              ;   in Loop: Header=BB48_8 Depth=1
	s_lshl_b32 s10, s1, 8
	s_lshl_b32 s11, s7, 4
	s_add_i32 s10, s10, s11
	v_add_u32_e32 v3, s10, v35
	v_readlane_b32 s10, v50, 28
	s_sub_i32 s7, s10, s7
.LBB48_80:                              ;   Parent Loop BB48_8 Depth=1
                                        ; =>  This Inner Loop Header: Depth=2
	ds_read_b32 v5, v3
	s_add_i32 s7, s7, -1
	v_add_u32_e32 v3, 16, v3
	s_cmp_eq_u32 s7, 0
	s_waitcnt lgkmcnt(0)
	v_add_u32_e32 v2, v5, v2
	s_cbranch_scc0 .LBB48_80
.LBB48_81:                              ;   in Loop: Header=BB48_8 Depth=1
	v_lshlrev_b32_e32 v3, 2, v4
	ds_write_b32 v3, v2 offset:3072
.LBB48_82:                              ;   in Loop: Header=BB48_8 Depth=1
	s_or_b64 exec, exec, s[18:19]
	s_lshl_b32 s6, s6, 2
	s_waitcnt vmcnt(0)
	v_mov_b32_e32 v2, s6
	s_waitcnt lgkmcnt(0)
	s_barrier
	ds_read_b128 v[2:5], v2 offset:3072
	s_and_b32 s47, s0, 0xfe
	s_lshl_b32 s55, 3, s47
	s_not_b32 s48, s55
	s_mov_b64 s[22:23], -1
	s_waitcnt lgkmcnt(0)
	v_readfirstlane_b32 s34, v2
	s_cmp_eq_u32 s34, 1
	s_cselect_b64 s[6:7], -1, 0
	s_cmp_eq_u32 s61, 1
	s_cselect_b64 s[10:11], -1, 0
	s_and_b64 s[24:25], s[6:7], s[10:11]
	v_readfirstlane_b32 s38, v3
	v_readfirstlane_b32 s46, v4
	;; [unrolled: 1-line block ×3, first 2 shown]
	s_and_b64 vcc, exec, s[24:25]
	s_cbranch_vccz .LBB48_94
; %bb.83:                               ;   in Loop: Header=BB48_8 Depth=1
	ds_read_b32 v2, v9 offset:4096
	s_waitcnt lgkmcnt(0)
	s_barrier
	v_readfirstlane_b32 s6, v2
	s_and_saveexec_b64 s[18:19], s[4:5]
	s_cbranch_execz .LBB48_85
; %bb.84:                               ;   in Loop: Header=BB48_8 Depth=1
	ds_write_b32 v25, v9
.LBB48_85:                              ;   in Loop: Header=BB48_8 Depth=1
	s_or_b64 exec, exec, s[18:19]
	s_and_b32 s73, s73, s48
	s_or_b32 s72, s72, s55
	s_cmp_lt_i32 s6, 1
	s_waitcnt lgkmcnt(0)
	s_barrier
	s_cbranch_scc0 .LBB48_95
; %bb.86:                               ;   in Loop: Header=BB48_8 Depth=1
	s_mov_b64 s[18:19], 0
                                        ; implicit-def: $vgpr19
	s_mov_b64 s[20:21], exec
	v_readlane_b32 s10, v50, 35
	v_readlane_b32 s11, v50, 36
	s_and_b64 s[10:11], s[20:21], s[10:11]
	s_mov_b64 exec, s[10:11]
	s_cbranch_execz .LBB48_97
; %bb.87:                               ;   in Loop: Header=BB48_8 Depth=1
	s_mov_b64 s[26:27], 0
	v_mov_b32_e32 v2, v6
	v_mov_b32_e32 v4, v0
                                        ; implicit-def: $sgpr28_sgpr29
	s_branch .LBB48_89
.LBB48_88:                              ;   in Loop: Header=BB48_89 Depth=2
	s_or_b64 exec, exec, s[18:19]
	s_waitcnt lgkmcnt(0)
	s_barrier
	ds_read_b64 v[18:19], v9 offset:3072
	v_add_u32_e32 v4, s33, v4
	v_cmp_le_i32_e64 s[18:19], s17, v4
	v_add_u32_e32 v2, s77, v2
	s_waitcnt lgkmcnt(0)
	v_cmp_neq_f32_e32 vcc, 0, v18
	s_or_b64 s[10:11], s[18:19], vcc
	s_and_b64 s[10:11], exec, s[10:11]
	s_or_b64 s[26:27], s[10:11], s[26:27]
	s_andn2_b64 s[10:11], s[28:29], exec
	s_and_b64 s[18:19], vcc, exec
	s_or_b64 s[28:29], s[10:11], s[18:19]
	s_barrier
	s_andn2_b64 exec, exec, s[26:27]
	s_cbranch_execz .LBB48_96
.LBB48_89:                              ;   Parent Loop BB48_8 Depth=1
                                        ; =>  This Inner Loop Header: Depth=2
	v_cmp_gt_i32_e32 vcc, s60, v4
	s_waitcnt vmcnt(0)
	v_mov_b32_e32 v17, 0
	s_and_saveexec_b64 s[30:31], vcc
	s_cbranch_execz .LBB48_91
; %bb.90:                               ;   in Loop: Header=BB48_89 Depth=2
	v_ashrrev_i32_e32 v3, 31, v2
	v_lshlrev_b64 v[18:19], 2, v[2:3]
	v_mov_b32_e32 v3, s76
	v_add_co_u32_e64 v18, s[18:19], s62, v18
	v_addc_co_u32_e64 v19, s[18:19], v3, v19, s[18:19]
	global_load_dword v17, v[18:19], off
.LBB48_91:                              ;   in Loop: Header=BB48_89 Depth=2
	s_or_b64 exec, exec, s[30:31]
	s_and_saveexec_b64 s[18:19], vcc
	s_cbranch_execz .LBB48_88
; %bb.92:                               ;   in Loop: Header=BB48_89 Depth=2
	s_waitcnt vmcnt(0)
	v_cmp_lt_i32_e32 vcc, -1, v17
	v_cndmask_b32_e32 v3, -1, v36, vcc
	v_xor_b32_e32 v3, v3, v17
	v_cmp_o_f32_e32 vcc, v17, v17
	v_cndmask_b32_e32 v3, -1, v3, vcc
	v_and_b32_e32 v3, s72, v3
	v_cmp_eq_u32_e32 vcc, s73, v3
	s_and_b64 exec, exec, vcc
	s_cbranch_execz .LBB48_88
; %bb.93:                               ;   in Loop: Header=BB48_89 Depth=2
	ds_write_b64 v9, v[16:17] offset:3072
	s_branch .LBB48_88
.LBB48_94:                              ;   in Loop: Header=BB48_8 Depth=1
	s_mov_b64 s[18:19], -1
                                        ; implicit-def: $sgpr20_sgpr21
                                        ; implicit-def: $sgpr28_sgpr29
                                        ; implicit-def: $sgpr26_sgpr27
	s_branch .LBB48_108
.LBB48_95:                              ;   in Loop: Header=BB48_8 Depth=1
	s_mov_b64 s[20:21], -1
	s_mov_b64 s[18:19], 0
                                        ; implicit-def: $sgpr26_sgpr27
                                        ; implicit-def: $vgpr19
	s_mov_b64 s[28:29], s[20:21]
	s_cbranch_execnz .LBB48_98
	s_branch .LBB48_108
.LBB48_96:                              ;   in Loop: Header=BB48_8 Depth=1
	s_or_b64 exec, exec, s[26:27]
	s_and_b64 s[18:19], s[28:29], exec
.LBB48_97:                              ;   in Loop: Header=BB48_8 Depth=1
	s_or_b64 exec, exec, s[20:21]
	s_mov_b64 s[26:27], -1
	s_mov_b64 s[20:21], 0
	s_mov_b64 s[28:29], s[20:21]
	s_branch .LBB48_108
.LBB48_98:                              ;   in Loop: Header=BB48_8 Depth=1
	v_readlane_b32 s7, v50, 9
	s_add_i32 s7, s6, s7
	s_abs_i32 s11, s7
	v_readlane_b32 s18, v50, 34
	s_mul_hi_u32 s18, s11, s18
	s_mul_i32 s18, s18, s33
	s_sub_i32 s11, s11, s18
	s_ashr_i32 s10, s7, 31
	s_sub_i32 s18, s11, s33
	s_cmp_ge_u32 s11, s33
	s_cselect_b32 s11, s18, s11
	s_sub_i32 s18, s11, s33
	s_cmp_ge_u32 s11, s33
	s_cselect_b32 s11, s18, s11
	s_xor_b32 s11, s11, s10
	s_sub_i32 s10, s10, s11
	s_add_i32 s7, s7, s10
	v_cmp_gt_i32_e32 vcc, s7, v0
	s_mov_b64 s[18:19], 0
                                        ; implicit-def: $vgpr19
	s_and_saveexec_b64 s[20:21], vcc
	s_cbranch_execz .LBB48_107
; %bb.99:                               ;   in Loop: Header=BB48_8 Depth=1
	s_mov_b64 s[26:27], 0
	v_mov_b32_e32 v2, v24
	v_mov_b32_e32 v3, v0
                                        ; implicit-def: $sgpr28_sgpr29
	s_branch .LBB48_101
.LBB48_100:                             ;   in Loop: Header=BB48_101 Depth=2
	s_or_b64 exec, exec, s[18:19]
	s_waitcnt lgkmcnt(0)
	s_barrier
	ds_read_b64 v[18:19], v9 offset:3072
	v_add_u32_e32 v3, s33, v3
	v_cmp_le_i32_e64 s[18:19], s7, v3
	v_add_u32_e32 v2, s78, v2
	s_waitcnt lgkmcnt(0)
	v_cmp_neq_f32_e32 vcc, 0, v18
	s_or_b64 s[10:11], s[18:19], vcc
	s_and_b64 s[10:11], exec, s[10:11]
	s_or_b64 s[26:27], s[10:11], s[26:27]
	s_andn2_b64 s[10:11], s[28:29], exec
	s_and_b64 s[18:19], vcc, exec
	s_or_b64 s[28:29], s[10:11], s[18:19]
	s_barrier
	s_andn2_b64 exec, exec, s[26:27]
	s_cbranch_execz .LBB48_106
.LBB48_101:                             ;   Parent Loop BB48_8 Depth=1
                                        ; =>  This Inner Loop Header: Depth=2
	v_cmp_gt_i32_e32 vcc, s6, v3
	s_waitcnt vmcnt(0)
	v_mov_b32_e32 v17, 0
	s_and_saveexec_b64 s[18:19], vcc
	s_cbranch_execz .LBB48_103
; %bb.102:                              ;   in Loop: Header=BB48_101 Depth=2
	ds_read_b32 v17, v2
.LBB48_103:                             ;   in Loop: Header=BB48_101 Depth=2
	s_or_b64 exec, exec, s[18:19]
	s_and_saveexec_b64 s[18:19], vcc
	s_cbranch_execz .LBB48_100
; %bb.104:                              ;   in Loop: Header=BB48_101 Depth=2
	s_waitcnt lgkmcnt(0)
	v_cmp_lt_i32_e32 vcc, -1, v17
	v_cndmask_b32_e32 v4, -1, v36, vcc
	v_xor_b32_e32 v4, v4, v17
	v_cmp_o_f32_e32 vcc, v17, v17
	v_cndmask_b32_e32 v4, -1, v4, vcc
	v_and_b32_e32 v4, s72, v4
	v_cmp_eq_u32_e32 vcc, s73, v4
	s_and_b64 exec, exec, vcc
	s_cbranch_execz .LBB48_100
; %bb.105:                              ;   in Loop: Header=BB48_101 Depth=2
	ds_write_b64 v9, v[16:17] offset:3072
	s_branch .LBB48_100
.LBB48_106:                             ;   in Loop: Header=BB48_8 Depth=1
	s_or_b64 exec, exec, s[26:27]
	s_and_b64 s[18:19], s[28:29], exec
.LBB48_107:                             ;   in Loop: Header=BB48_8 Depth=1
	s_or_b64 exec, exec, s[20:21]
	s_mov_b64 s[28:29], -1
	s_mov_b64 s[20:21], 0
	s_mov_b64 s[26:27], 0
.LBB48_108:                             ;   in Loop: Header=BB48_8 Depth=1
	s_andn2_b64 s[6:7], s[66:67], exec
	s_and_b64 s[10:11], s[20:21], exec
	s_or_b64 s[66:67], s[6:7], s[10:11]
	s_andn2_b64 s[6:7], s[64:65], exec
	s_and_b64 s[10:11], s[28:29], exec
	s_or_b64 s[64:65], s[6:7], s[10:11]
	;; [unrolled: 3-line block ×3, first 2 shown]
	s_and_saveexec_b64 s[20:21], s[18:19]
	s_cbranch_execz .LBB48_7
; %bb.109:                              ;   in Loop: Header=BB48_8 Depth=1
	s_xor_b64 s[6:7], s[24:25], -1
	s_mov_b64 s[18:19], 0
	s_andn2_b64 vcc, exec, s[6:7]
	s_mov_b32 s39, 1
	s_cbranch_vccnz .LBB48_120
; %bb.110:                              ;   in Loop: Header=BB48_8 Depth=1
	s_cmp_gt_i32 s61, s34
	s_mov_b64 s[18:19], -1
                                        ; implicit-def: $sgpr57
                                        ; implicit-def: $sgpr6
                                        ; implicit-def: $sgpr7
	s_cbranch_scc1 .LBB48_116
; %bb.111:                              ;   in Loop: Header=BB48_8 Depth=1
	ds_read_b32 v2, v9 offset:4096
	s_waitcnt lgkmcnt(0)
	v_cmp_ne_u32_e32 vcc, 0, v2
	s_cbranch_vccnz .LBB48_115
; %bb.112:                              ;   in Loop: Header=BB48_8 Depth=1
	s_mov_b64 s[18:19], exec
	v_readlane_b32 s6, v50, 4
	v_readlane_b32 s7, v50, 5
	s_and_b64 s[6:7], s[18:19], s[6:7]
	s_mov_b64 exec, s[6:7]
	s_cbranch_execz .LBB48_114
; %bb.113:                              ;   in Loop: Header=BB48_8 Depth=1
	v_mov_b32_e32 v2, s34
	ds_write_b32 v9, v2 offset:4100
.LBB48_114:                             ;   in Loop: Header=BB48_8 Depth=1
	s_or_b64 exec, exec, s[18:19]
	s_waitcnt lgkmcnt(0)
	s_barrier
.LBB48_115:                             ;   in Loop: Header=BB48_8 Depth=1
	s_and_b32 s6, s73, s48
	s_or_b32 s7, s72, s55
	s_mov_b64 s[18:19], 0
	s_mov_b32 s57, 8
.LBB48_116:                             ;   in Loop: Header=BB48_8 Depth=1
	s_andn2_b64 vcc, exec, s[18:19]
	s_cbranch_vccnz .LBB48_118
; %bb.117:                              ;   in Loop: Header=BB48_8 Depth=1
	s_sub_i32 s61, s61, s34
	s_mov_b64 s[18:19], -1
	s_mov_b32 s57, 0
	s_mov_b32 s6, s73
	;; [unrolled: 1-line block ×3, first 2 shown]
.LBB48_118:                             ;   in Loop: Header=BB48_8 Depth=1
	s_mov_b32 s72, s7
	s_mov_b32 s73, s6
	;; [unrolled: 1-line block ×3, first 2 shown]
	s_mov_b64 s[22:23], -1
	s_and_b64 vcc, exec, s[18:19]
	s_cbranch_vccnz .LBB48_121
.LBB48_119:                             ;   in Loop: Header=BB48_8 Depth=1
	s_mov_b64 s[36:37], -1
                                        ; implicit-def: $sgpr24_sgpr25
                                        ; implicit-def: $sgpr28_sgpr29
                                        ; implicit-def: $sgpr26_sgpr27
	s_and_saveexec_b64 s[6:7], s[36:37]
	s_xor_b64 s[18:19], exec, s[6:7]
	s_cbranch_execz .LBB48_6
	s_branch .LBB48_244
.LBB48_120:                             ;   in Loop: Header=BB48_8 Depth=1
	s_mov_b32 s57, 1
	s_mov_b64 s[22:23], -1
	s_and_b64 vcc, exec, s[18:19]
	s_cbranch_vccz .LBB48_119
.LBB48_121:                             ;   in Loop: Header=BB48_8 Depth=1
	s_cmp_eq_u32 s38, 1
	s_cselect_b64 s[6:7], -1, 0
	s_cmp_eq_u32 s39, 1
	s_cselect_b64 s[10:11], -1, 0
	s_and_b64 s[34:35], s[6:7], s[10:11]
	s_mov_b64 s[18:19], -1
	s_and_b64 vcc, exec, s[34:35]
	s_cbranch_vccz .LBB48_133
; %bb.122:                              ;   in Loop: Header=BB48_8 Depth=1
	ds_read_b32 v2, v9 offset:4096
	s_waitcnt lgkmcnt(0)
	s_barrier
	v_readfirstlane_b32 s6, v2
	s_and_saveexec_b64 s[18:19], s[4:5]
	s_cbranch_execz .LBB48_124
; %bb.123:                              ;   in Loop: Header=BB48_8 Depth=1
	ds_write_b32 v25, v9
.LBB48_124:                             ;   in Loop: Header=BB48_8 Depth=1
	s_or_b64 exec, exec, s[18:19]
	s_lshl_b32 s7, 1, s47
	s_and_b32 s10, s73, s48
	s_or_b32 s73, s10, s7
	s_or_b32 s72, s72, s55
	s_cmp_gt_i32 s6, 0
	s_waitcnt lgkmcnt(0)
	s_barrier
	s_cbranch_scc1 .LBB48_134
; %bb.125:                              ;   in Loop: Header=BB48_8 Depth=1
	s_mov_b64 s[18:19], 0
                                        ; implicit-def: $vgpr19
	s_mov_b64 s[24:25], exec
	v_readlane_b32 s10, v50, 35
	v_readlane_b32 s11, v50, 36
	s_and_b64 s[10:11], s[24:25], s[10:11]
	s_mov_b64 exec, s[10:11]
	s_cbranch_execz .LBB48_136
; %bb.126:                              ;   in Loop: Header=BB48_8 Depth=1
	s_mov_b64 s[26:27], 0
	v_mov_b32_e32 v2, v6
	v_mov_b32_e32 v4, v0
                                        ; implicit-def: $sgpr28_sgpr29
	s_branch .LBB48_128
.LBB48_127:                             ;   in Loop: Header=BB48_128 Depth=2
	s_or_b64 exec, exec, s[18:19]
	s_waitcnt lgkmcnt(0)
	s_barrier
	ds_read_b64 v[18:19], v9 offset:3072
	v_add_u32_e32 v4, s33, v4
	v_cmp_le_i32_e64 s[18:19], s17, v4
	v_add_u32_e32 v2, s77, v2
	s_waitcnt lgkmcnt(0)
	v_cmp_neq_f32_e32 vcc, 0, v18
	s_or_b64 s[10:11], s[18:19], vcc
	s_and_b64 s[10:11], exec, s[10:11]
	s_or_b64 s[26:27], s[10:11], s[26:27]
	s_andn2_b64 s[10:11], s[28:29], exec
	s_and_b64 s[18:19], vcc, exec
	s_or_b64 s[28:29], s[10:11], s[18:19]
	s_barrier
	s_andn2_b64 exec, exec, s[26:27]
	s_cbranch_execz .LBB48_135
.LBB48_128:                             ;   Parent Loop BB48_8 Depth=1
                                        ; =>  This Inner Loop Header: Depth=2
	v_cmp_gt_i32_e32 vcc, s60, v4
	s_waitcnt vmcnt(0)
	v_mov_b32_e32 v17, 0
	s_and_saveexec_b64 s[30:31], vcc
	s_cbranch_execz .LBB48_130
; %bb.129:                              ;   in Loop: Header=BB48_128 Depth=2
	v_ashrrev_i32_e32 v3, 31, v2
	v_lshlrev_b64 v[18:19], 2, v[2:3]
	v_mov_b32_e32 v3, s76
	v_add_co_u32_e64 v18, s[18:19], s62, v18
	v_addc_co_u32_e64 v19, s[18:19], v3, v19, s[18:19]
	global_load_dword v17, v[18:19], off
.LBB48_130:                             ;   in Loop: Header=BB48_128 Depth=2
	s_or_b64 exec, exec, s[30:31]
	s_and_saveexec_b64 s[18:19], vcc
	s_cbranch_execz .LBB48_127
; %bb.131:                              ;   in Loop: Header=BB48_128 Depth=2
	s_waitcnt vmcnt(0)
	v_cmp_lt_i32_e32 vcc, -1, v17
	v_cndmask_b32_e32 v3, -1, v36, vcc
	v_xor_b32_e32 v3, v3, v17
	v_cmp_o_f32_e32 vcc, v17, v17
	v_cndmask_b32_e32 v3, -1, v3, vcc
	v_and_b32_e32 v3, s72, v3
	v_cmp_eq_u32_e32 vcc, s73, v3
	s_and_b64 exec, exec, vcc
	s_cbranch_execz .LBB48_127
; %bb.132:                              ;   in Loop: Header=BB48_128 Depth=2
	ds_write_b64 v9, v[16:17] offset:3072
	s_branch .LBB48_127
.LBB48_133:                             ;   in Loop: Header=BB48_8 Depth=1
                                        ; implicit-def: $sgpr26_sgpr27
                                        ; implicit-def: $sgpr28_sgpr29
                                        ; implicit-def: $sgpr24_sgpr25
	s_branch .LBB48_147
.LBB48_134:                             ;   in Loop: Header=BB48_8 Depth=1
	s_mov_b64 s[26:27], -1
	s_mov_b64 s[18:19], 0
                                        ; implicit-def: $sgpr24_sgpr25
                                        ; implicit-def: $vgpr19
	s_mov_b64 s[28:29], s[26:27]
	s_cbranch_execnz .LBB48_137
	s_branch .LBB48_147
.LBB48_135:                             ;   in Loop: Header=BB48_8 Depth=1
	s_or_b64 exec, exec, s[26:27]
	s_and_b64 s[18:19], s[28:29], exec
.LBB48_136:                             ;   in Loop: Header=BB48_8 Depth=1
	s_or_b64 exec, exec, s[24:25]
	s_mov_b64 s[24:25], -1
	s_mov_b64 s[26:27], 0
	s_mov_b64 s[28:29], s[26:27]
	s_branch .LBB48_147
.LBB48_137:                             ;   in Loop: Header=BB48_8 Depth=1
	v_readlane_b32 s7, v50, 9
	s_add_i32 s7, s6, s7
	s_abs_i32 s11, s7
	v_readlane_b32 s18, v50, 34
	s_mul_hi_u32 s18, s11, s18
	s_mul_i32 s18, s18, s33
	s_sub_i32 s11, s11, s18
	s_ashr_i32 s10, s7, 31
	s_sub_i32 s18, s11, s33
	s_cmp_ge_u32 s11, s33
	s_cselect_b32 s11, s18, s11
	s_sub_i32 s18, s11, s33
	s_cmp_ge_u32 s11, s33
	s_cselect_b32 s11, s18, s11
	s_xor_b32 s11, s11, s10
	s_sub_i32 s10, s10, s11
	s_add_i32 s7, s7, s10
	v_cmp_gt_i32_e32 vcc, s7, v0
	s_mov_b64 s[18:19], 0
                                        ; implicit-def: $vgpr19
	s_and_saveexec_b64 s[24:25], vcc
	s_cbranch_execz .LBB48_146
; %bb.138:                              ;   in Loop: Header=BB48_8 Depth=1
	s_mov_b64 s[26:27], 0
	v_mov_b32_e32 v2, v24
	v_mov_b32_e32 v3, v0
                                        ; implicit-def: $sgpr28_sgpr29
	s_branch .LBB48_140
.LBB48_139:                             ;   in Loop: Header=BB48_140 Depth=2
	s_or_b64 exec, exec, s[18:19]
	s_waitcnt lgkmcnt(0)
	s_barrier
	ds_read_b64 v[18:19], v9 offset:3072
	v_add_u32_e32 v3, s33, v3
	v_cmp_le_i32_e64 s[18:19], s7, v3
	v_add_u32_e32 v2, s78, v2
	s_waitcnt lgkmcnt(0)
	v_cmp_neq_f32_e32 vcc, 0, v18
	s_or_b64 s[10:11], s[18:19], vcc
	s_and_b64 s[10:11], exec, s[10:11]
	s_or_b64 s[26:27], s[10:11], s[26:27]
	s_andn2_b64 s[10:11], s[28:29], exec
	s_and_b64 s[18:19], vcc, exec
	s_or_b64 s[28:29], s[10:11], s[18:19]
	s_barrier
	s_andn2_b64 exec, exec, s[26:27]
	s_cbranch_execz .LBB48_145
.LBB48_140:                             ;   Parent Loop BB48_8 Depth=1
                                        ; =>  This Inner Loop Header: Depth=2
	v_cmp_gt_i32_e32 vcc, s6, v3
	s_waitcnt vmcnt(0)
	v_mov_b32_e32 v17, 0
	s_and_saveexec_b64 s[18:19], vcc
	s_cbranch_execz .LBB48_142
; %bb.141:                              ;   in Loop: Header=BB48_140 Depth=2
	ds_read_b32 v17, v2
.LBB48_142:                             ;   in Loop: Header=BB48_140 Depth=2
	s_or_b64 exec, exec, s[18:19]
	s_and_saveexec_b64 s[18:19], vcc
	s_cbranch_execz .LBB48_139
; %bb.143:                              ;   in Loop: Header=BB48_140 Depth=2
	s_waitcnt lgkmcnt(0)
	v_cmp_lt_i32_e32 vcc, -1, v17
	v_cndmask_b32_e32 v4, -1, v36, vcc
	v_xor_b32_e32 v4, v4, v17
	v_cmp_o_f32_e32 vcc, v17, v17
	v_cndmask_b32_e32 v4, -1, v4, vcc
	v_and_b32_e32 v4, s72, v4
	v_cmp_eq_u32_e32 vcc, s73, v4
	s_and_b64 exec, exec, vcc
	s_cbranch_execz .LBB48_139
; %bb.144:                              ;   in Loop: Header=BB48_140 Depth=2
	ds_write_b64 v9, v[16:17] offset:3072
	s_branch .LBB48_139
.LBB48_145:                             ;   in Loop: Header=BB48_8 Depth=1
	s_or_b64 exec, exec, s[26:27]
	s_and_b64 s[18:19], s[28:29], exec
.LBB48_146:                             ;   in Loop: Header=BB48_8 Depth=1
	s_or_b64 exec, exec, s[24:25]
	s_mov_b64 s[28:29], -1
	s_mov_b64 s[26:27], 0
	s_mov_b64 s[24:25], 0
.LBB48_147:                             ;   in Loop: Header=BB48_8 Depth=1
	s_mov_b64 s[36:37], 0
                                        ; implicit-def: $sgpr57
	s_and_saveexec_b64 s[30:31], s[18:19]
	s_cbranch_execz .LBB48_243
; %bb.148:                              ;   in Loop: Header=BB48_8 Depth=1
	s_xor_b64 s[6:7], s[34:35], -1
	s_mov_b64 s[18:19], 0
	s_andn2_b64 vcc, exec, s[6:7]
	s_mov_b32 s49, 1
	s_cbranch_vccnz .LBB48_159
; %bb.149:                              ;   in Loop: Header=BB48_8 Depth=1
	s_cmp_gt_i32 s39, s38
	s_mov_b64 s[18:19], -1
                                        ; implicit-def: $sgpr57
                                        ; implicit-def: $sgpr6
                                        ; implicit-def: $sgpr7
	s_cbranch_scc1 .LBB48_155
; %bb.150:                              ;   in Loop: Header=BB48_8 Depth=1
	ds_read_b32 v2, v9 offset:4096
	s_waitcnt lgkmcnt(0)
	v_cmp_ne_u32_e32 vcc, 0, v2
	s_cbranch_vccnz .LBB48_154
; %bb.151:                              ;   in Loop: Header=BB48_8 Depth=1
	s_mov_b64 s[18:19], exec
	v_readlane_b32 s6, v50, 4
	v_readlane_b32 s7, v50, 5
	s_and_b64 s[6:7], s[18:19], s[6:7]
	s_mov_b64 exec, s[6:7]
	s_cbranch_execz .LBB48_153
; %bb.152:                              ;   in Loop: Header=BB48_8 Depth=1
	v_mov_b32_e32 v2, s38
	ds_write_b32 v9, v2 offset:4100
.LBB48_153:                             ;   in Loop: Header=BB48_8 Depth=1
	s_or_b64 exec, exec, s[18:19]
	s_waitcnt lgkmcnt(0)
	s_barrier
.LBB48_154:                             ;   in Loop: Header=BB48_8 Depth=1
	s_lshl_b32 s6, 1, s47
	s_and_b32 s7, s73, s48
	s_or_b32 s6, s7, s6
	s_or_b32 s7, s72, s55
	s_mov_b64 s[18:19], 0
	s_mov_b32 s57, 8
.LBB48_155:                             ;   in Loop: Header=BB48_8 Depth=1
	s_andn2_b64 vcc, exec, s[18:19]
	s_cbranch_vccnz .LBB48_157
; %bb.156:                              ;   in Loop: Header=BB48_8 Depth=1
	s_sub_i32 s39, s39, s38
	s_mov_b64 s[18:19], -1
	s_mov_b32 s57, 0
	s_mov_b32 s6, s73
	s_mov_b32 s7, s72
.LBB48_157:                             ;   in Loop: Header=BB48_8 Depth=1
	s_mov_b32 s72, s7
	s_mov_b32 s73, s6
	;; [unrolled: 1-line block ×3, first 2 shown]
	s_andn2_b64 vcc, exec, s[18:19]
	s_mov_b64 s[44:45], -1
	s_cbranch_vccz .LBB48_160
.LBB48_158:                             ;   in Loop: Header=BB48_8 Depth=1
                                        ; implicit-def: $sgpr36_sgpr37
                                        ; implicit-def: $sgpr38_sgpr39
                                        ; implicit-def: $sgpr34_sgpr35
	s_branch .LBB48_242
.LBB48_159:                             ;   in Loop: Header=BB48_8 Depth=1
	s_mov_b32 s57, 1
	s_andn2_b64 vcc, exec, s[18:19]
	s_mov_b64 s[44:45], -1
	s_cbranch_vccnz .LBB48_158
.LBB48_160:                             ;   in Loop: Header=BB48_8 Depth=1
	s_cmp_eq_u32 s46, 1
	s_cselect_b64 s[6:7], -1, 0
	s_cmp_eq_u32 s49, 1
	s_cselect_b64 s[10:11], -1, 0
	s_and_b64 s[42:43], s[6:7], s[10:11]
	s_mov_b64 s[18:19], -1
	s_and_b64 vcc, exec, s[42:43]
	s_cbranch_vccz .LBB48_172
; %bb.161:                              ;   in Loop: Header=BB48_8 Depth=1
	ds_read_b32 v2, v9 offset:4096
	s_waitcnt lgkmcnt(0)
	s_barrier
	v_readfirstlane_b32 s6, v2
	s_and_saveexec_b64 s[18:19], s[4:5]
	s_cbranch_execz .LBB48_163
; %bb.162:                              ;   in Loop: Header=BB48_8 Depth=1
	ds_write_b32 v25, v9
.LBB48_163:                             ;   in Loop: Header=BB48_8 Depth=1
	s_or_b64 exec, exec, s[18:19]
	s_lshl_b32 s7, 2, s47
	s_and_b32 s10, s73, s48
	s_or_b32 s73, s10, s7
	s_or_b32 s72, s72, s55
	s_cmp_gt_i32 s6, 0
	s_waitcnt lgkmcnt(0)
	s_barrier
	s_cbranch_scc1 .LBB48_173
; %bb.164:                              ;   in Loop: Header=BB48_8 Depth=1
	s_mov_b64 s[18:19], 0
                                        ; implicit-def: $vgpr19
	s_mov_b64 s[34:35], exec
	v_readlane_b32 s10, v50, 35
	v_readlane_b32 s11, v50, 36
	s_and_b64 s[10:11], s[34:35], s[10:11]
	s_mov_b64 exec, s[10:11]
	s_cbranch_execz .LBB48_175
; %bb.165:                              ;   in Loop: Header=BB48_8 Depth=1
	v_mov_b32_e32 v2, v6
	v_mov_b32_e32 v4, v0
                                        ; implicit-def: $sgpr38_sgpr39
	s_branch .LBB48_167
.LBB48_166:                             ;   in Loop: Header=BB48_167 Depth=2
	s_or_b64 exec, exec, s[18:19]
	s_waitcnt lgkmcnt(0)
	s_barrier
	ds_read_b64 v[18:19], v9 offset:3072
	v_add_u32_e32 v4, s33, v4
	v_cmp_le_i32_e64 s[18:19], s17, v4
	v_add_u32_e32 v2, s77, v2
	s_waitcnt lgkmcnt(0)
	v_cmp_neq_f32_e32 vcc, 0, v18
	s_or_b64 s[10:11], s[18:19], vcc
	s_and_b64 s[10:11], exec, s[10:11]
	s_or_b64 s[36:37], s[10:11], s[36:37]
	s_andn2_b64 s[10:11], s[38:39], exec
	s_and_b64 s[18:19], vcc, exec
	s_or_b64 s[38:39], s[10:11], s[18:19]
	s_barrier
	s_andn2_b64 exec, exec, s[36:37]
	s_cbranch_execz .LBB48_174
.LBB48_167:                             ;   Parent Loop BB48_8 Depth=1
                                        ; =>  This Inner Loop Header: Depth=2
	v_cmp_gt_i32_e32 vcc, s60, v4
	s_waitcnt vmcnt(0)
	v_mov_b32_e32 v17, 0
	s_and_saveexec_b64 s[40:41], vcc
	s_cbranch_execz .LBB48_169
; %bb.168:                              ;   in Loop: Header=BB48_167 Depth=2
	v_ashrrev_i32_e32 v3, 31, v2
	v_lshlrev_b64 v[18:19], 2, v[2:3]
	v_mov_b32_e32 v3, s76
	v_add_co_u32_e64 v18, s[18:19], s62, v18
	v_addc_co_u32_e64 v19, s[18:19], v3, v19, s[18:19]
	global_load_dword v17, v[18:19], off
.LBB48_169:                             ;   in Loop: Header=BB48_167 Depth=2
	s_or_b64 exec, exec, s[40:41]
	s_and_saveexec_b64 s[18:19], vcc
	s_cbranch_execz .LBB48_166
; %bb.170:                              ;   in Loop: Header=BB48_167 Depth=2
	s_waitcnt vmcnt(0)
	v_cmp_lt_i32_e32 vcc, -1, v17
	v_cndmask_b32_e32 v3, -1, v36, vcc
	v_xor_b32_e32 v3, v3, v17
	v_cmp_o_f32_e32 vcc, v17, v17
	v_cndmask_b32_e32 v3, -1, v3, vcc
	v_and_b32_e32 v3, s72, v3
	v_cmp_eq_u32_e32 vcc, s73, v3
	s_and_b64 exec, exec, vcc
	s_cbranch_execz .LBB48_166
; %bb.171:                              ;   in Loop: Header=BB48_167 Depth=2
	ds_write_b64 v9, v[16:17] offset:3072
	s_branch .LBB48_166
.LBB48_172:                             ;   in Loop: Header=BB48_8 Depth=1
                                        ; implicit-def: $sgpr34_sgpr35
                                        ; implicit-def: $sgpr38_sgpr39
                                        ; implicit-def: $sgpr36_sgpr37
	s_branch .LBB48_186
.LBB48_173:                             ;   in Loop: Header=BB48_8 Depth=1
	s_mov_b64 s[34:35], -1
	s_mov_b64 s[18:19], 0
                                        ; implicit-def: $sgpr36_sgpr37
                                        ; implicit-def: $vgpr19
	s_mov_b64 s[38:39], s[34:35]
	s_cbranch_execnz .LBB48_176
	s_branch .LBB48_186
.LBB48_174:                             ;   in Loop: Header=BB48_8 Depth=1
	s_or_b64 exec, exec, s[36:37]
	s_and_b64 s[18:19], s[38:39], exec
.LBB48_175:                             ;   in Loop: Header=BB48_8 Depth=1
	s_or_b64 exec, exec, s[34:35]
	s_mov_b64 s[36:37], -1
	s_mov_b64 s[34:35], 0
	s_mov_b64 s[38:39], s[34:35]
	s_branch .LBB48_186
.LBB48_176:                             ;   in Loop: Header=BB48_8 Depth=1
	v_readlane_b32 s7, v50, 9
	s_add_i32 s7, s6, s7
	s_abs_i32 s11, s7
	v_readlane_b32 s18, v50, 34
	s_mul_hi_u32 s18, s11, s18
	s_mul_i32 s18, s18, s33
	s_sub_i32 s11, s11, s18
	s_ashr_i32 s10, s7, 31
	s_sub_i32 s18, s11, s33
	s_cmp_ge_u32 s11, s33
	s_cselect_b32 s11, s18, s11
	s_sub_i32 s18, s11, s33
	s_cmp_ge_u32 s11, s33
	s_cselect_b32 s11, s18, s11
	s_xor_b32 s11, s11, s10
	s_sub_i32 s10, s10, s11
	s_add_i32 s7, s7, s10
	v_cmp_gt_i32_e32 vcc, s7, v0
	s_mov_b64 s[18:19], 0
                                        ; implicit-def: $vgpr19
	s_and_saveexec_b64 s[34:35], vcc
	s_cbranch_execz .LBB48_185
; %bb.177:                              ;   in Loop: Header=BB48_8 Depth=1
	s_mov_b64 s[36:37], 0
	v_mov_b32_e32 v2, v24
	v_mov_b32_e32 v3, v0
                                        ; implicit-def: $sgpr38_sgpr39
	s_branch .LBB48_179
.LBB48_178:                             ;   in Loop: Header=BB48_179 Depth=2
	s_or_b64 exec, exec, s[18:19]
	s_waitcnt lgkmcnt(0)
	s_barrier
	ds_read_b64 v[18:19], v9 offset:3072
	v_add_u32_e32 v3, s33, v3
	v_cmp_le_i32_e64 s[18:19], s7, v3
	v_add_u32_e32 v2, s78, v2
	s_waitcnt lgkmcnt(0)
	v_cmp_neq_f32_e32 vcc, 0, v18
	s_or_b64 s[10:11], s[18:19], vcc
	s_and_b64 s[10:11], exec, s[10:11]
	s_or_b64 s[36:37], s[10:11], s[36:37]
	s_andn2_b64 s[10:11], s[38:39], exec
	s_and_b64 s[18:19], vcc, exec
	s_or_b64 s[38:39], s[10:11], s[18:19]
	s_barrier
	s_andn2_b64 exec, exec, s[36:37]
	s_cbranch_execz .LBB48_184
.LBB48_179:                             ;   Parent Loop BB48_8 Depth=1
                                        ; =>  This Inner Loop Header: Depth=2
	v_cmp_gt_i32_e32 vcc, s6, v3
	s_waitcnt vmcnt(0)
	v_mov_b32_e32 v17, 0
	s_and_saveexec_b64 s[18:19], vcc
	s_cbranch_execz .LBB48_181
; %bb.180:                              ;   in Loop: Header=BB48_179 Depth=2
	ds_read_b32 v17, v2
.LBB48_181:                             ;   in Loop: Header=BB48_179 Depth=2
	s_or_b64 exec, exec, s[18:19]
	s_and_saveexec_b64 s[18:19], vcc
	s_cbranch_execz .LBB48_178
; %bb.182:                              ;   in Loop: Header=BB48_179 Depth=2
	s_waitcnt lgkmcnt(0)
	v_cmp_lt_i32_e32 vcc, -1, v17
	v_cndmask_b32_e32 v4, -1, v36, vcc
	v_xor_b32_e32 v4, v4, v17
	v_cmp_o_f32_e32 vcc, v17, v17
	v_cndmask_b32_e32 v4, -1, v4, vcc
	v_and_b32_e32 v4, s72, v4
	v_cmp_eq_u32_e32 vcc, s73, v4
	s_and_b64 exec, exec, vcc
	s_cbranch_execz .LBB48_178
; %bb.183:                              ;   in Loop: Header=BB48_179 Depth=2
	ds_write_b64 v9, v[16:17] offset:3072
	s_branch .LBB48_178
.LBB48_184:                             ;   in Loop: Header=BB48_8 Depth=1
	s_or_b64 exec, exec, s[36:37]
	s_and_b64 s[18:19], s[38:39], exec
.LBB48_185:                             ;   in Loop: Header=BB48_8 Depth=1
	s_or_b64 exec, exec, s[34:35]
	s_mov_b64 s[38:39], -1
	s_mov_b64 s[34:35], 0
	s_mov_b64 s[36:37], 0
.LBB48_186:                             ;   in Loop: Header=BB48_8 Depth=1
	s_mov_b64 s[44:45], 0
                                        ; implicit-def: $sgpr57
	s_and_saveexec_b64 s[40:41], s[18:19]
	s_cbranch_execz .LBB48_241
; %bb.187:                              ;   in Loop: Header=BB48_8 Depth=1
	s_xor_b64 s[6:7], s[42:43], -1
	s_mov_b64 s[18:19], 0
	s_andn2_b64 vcc, exec, s[6:7]
	s_mov_b32 s56, 1
	s_cbranch_vccnz .LBB48_198
; %bb.188:                              ;   in Loop: Header=BB48_8 Depth=1
	s_cmp_gt_i32 s49, s46
	s_mov_b64 s[18:19], -1
                                        ; implicit-def: $sgpr57
                                        ; implicit-def: $sgpr6
                                        ; implicit-def: $sgpr7
	s_cbranch_scc1 .LBB48_194
; %bb.189:                              ;   in Loop: Header=BB48_8 Depth=1
	ds_read_b32 v2, v9 offset:4096
	s_waitcnt lgkmcnt(0)
	v_cmp_ne_u32_e32 vcc, 0, v2
	s_cbranch_vccnz .LBB48_193
; %bb.190:                              ;   in Loop: Header=BB48_8 Depth=1
	s_mov_b64 s[18:19], exec
	v_readlane_b32 s6, v50, 4
	v_readlane_b32 s7, v50, 5
	s_and_b64 s[6:7], s[18:19], s[6:7]
	s_mov_b64 exec, s[6:7]
	s_cbranch_execz .LBB48_192
; %bb.191:                              ;   in Loop: Header=BB48_8 Depth=1
	v_mov_b32_e32 v2, s46
	ds_write_b32 v9, v2 offset:4100
.LBB48_192:                             ;   in Loop: Header=BB48_8 Depth=1
	s_or_b64 exec, exec, s[18:19]
	s_waitcnt lgkmcnt(0)
	s_barrier
.LBB48_193:                             ;   in Loop: Header=BB48_8 Depth=1
	s_lshl_b32 s6, 2, s47
	s_and_b32 s7, s73, s48
	s_or_b32 s6, s7, s6
	s_or_b32 s7, s72, s55
	s_mov_b64 s[18:19], 0
	s_mov_b32 s57, 8
.LBB48_194:                             ;   in Loop: Header=BB48_8 Depth=1
	s_andn2_b64 vcc, exec, s[18:19]
	s_cbranch_vccnz .LBB48_196
; %bb.195:                              ;   in Loop: Header=BB48_8 Depth=1
	s_sub_i32 s49, s49, s46
	s_mov_b64 s[18:19], -1
	s_mov_b32 s57, 0
	s_mov_b32 s6, s73
	;; [unrolled: 1-line block ×3, first 2 shown]
.LBB48_196:                             ;   in Loop: Header=BB48_8 Depth=1
	s_mov_b32 s72, s7
	s_mov_b32 s73, s6
	;; [unrolled: 1-line block ×3, first 2 shown]
	s_andn2_b64 vcc, exec, s[18:19]
	s_mov_b64 s[52:53], -1
	s_cbranch_vccz .LBB48_199
.LBB48_197:                             ;   in Loop: Header=BB48_8 Depth=1
                                        ; implicit-def: $sgpr18_sgpr19
                                        ; implicit-def: $sgpr46_sgpr47
                                        ; implicit-def: $sgpr44_sgpr45
	s_branch .LBB48_240
.LBB48_198:                             ;   in Loop: Header=BB48_8 Depth=1
	s_mov_b32 s57, 1
	s_andn2_b64 vcc, exec, s[18:19]
	s_mov_b64 s[52:53], -1
	s_cbranch_vccnz .LBB48_197
.LBB48_199:                             ;   in Loop: Header=BB48_8 Depth=1
	s_cmp_eq_u32 s54, 1
	s_cselect_b64 s[6:7], -1, 0
	s_cmp_eq_u32 s56, 1
	s_cselect_b64 s[10:11], -1, 0
	s_and_b64 s[42:43], s[6:7], s[10:11]
	s_mov_b64 s[48:49], -1
	s_and_b64 vcc, exec, s[42:43]
	s_cbranch_vccz .LBB48_211
; %bb.200:                              ;   in Loop: Header=BB48_8 Depth=1
	ds_read_b32 v2, v9 offset:4096
	s_waitcnt lgkmcnt(0)
	s_barrier
	v_readfirstlane_b32 s6, v2
	s_and_saveexec_b64 s[18:19], s[4:5]
	s_cbranch_execz .LBB48_202
; %bb.201:                              ;   in Loop: Header=BB48_8 Depth=1
	ds_write_b32 v25, v9
.LBB48_202:                             ;   in Loop: Header=BB48_8 Depth=1
	s_or_b64 exec, exec, s[18:19]
	s_or_b32 s73, s73, s55
	s_or_b32 s72, s72, s55
	s_cmp_gt_i32 s6, 0
	s_waitcnt lgkmcnt(0)
	s_barrier
	s_cbranch_scc1 .LBB48_212
; %bb.203:                              ;   in Loop: Header=BB48_8 Depth=1
	s_mov_b64 s[48:49], 0
                                        ; implicit-def: $vgpr19
	s_mov_b64 s[44:45], exec
	v_readlane_b32 s10, v50, 35
	v_readlane_b32 s11, v50, 36
	s_and_b64 s[10:11], s[44:45], s[10:11]
	s_mov_b64 exec, s[10:11]
	s_cbranch_execz .LBB48_214
; %bb.204:                              ;   in Loop: Header=BB48_8 Depth=1
	s_mov_b64 s[46:47], 0
	v_mov_b32_e32 v2, v6
	v_mov_b32_e32 v4, v0
                                        ; implicit-def: $sgpr48_sgpr49
	s_branch .LBB48_206
.LBB48_205:                             ;   in Loop: Header=BB48_206 Depth=2
	s_or_b64 exec, exec, s[18:19]
	s_waitcnt lgkmcnt(0)
	s_barrier
	ds_read_b64 v[18:19], v9 offset:3072
	v_add_u32_e32 v4, s33, v4
	v_cmp_le_i32_e64 s[18:19], s17, v4
	v_add_u32_e32 v2, s77, v2
	s_waitcnt lgkmcnt(0)
	v_cmp_neq_f32_e32 vcc, 0, v18
	s_or_b64 s[10:11], s[18:19], vcc
	s_and_b64 s[10:11], exec, s[10:11]
	s_or_b64 s[46:47], s[10:11], s[46:47]
	s_andn2_b64 s[10:11], s[48:49], exec
	s_and_b64 s[18:19], vcc, exec
	s_or_b64 s[48:49], s[10:11], s[18:19]
	s_barrier
	s_andn2_b64 exec, exec, s[46:47]
	s_cbranch_execz .LBB48_213
.LBB48_206:                             ;   Parent Loop BB48_8 Depth=1
                                        ; =>  This Inner Loop Header: Depth=2
	v_cmp_gt_i32_e32 vcc, s60, v4
	s_waitcnt vmcnt(0)
	v_mov_b32_e32 v17, 0
	s_and_saveexec_b64 s[50:51], vcc
	s_cbranch_execz .LBB48_208
; %bb.207:                              ;   in Loop: Header=BB48_206 Depth=2
	v_ashrrev_i32_e32 v3, 31, v2
	v_lshlrev_b64 v[18:19], 2, v[2:3]
	v_mov_b32_e32 v3, s76
	v_add_co_u32_e64 v18, s[18:19], s62, v18
	v_addc_co_u32_e64 v19, s[18:19], v3, v19, s[18:19]
	global_load_dword v17, v[18:19], off
.LBB48_208:                             ;   in Loop: Header=BB48_206 Depth=2
	s_or_b64 exec, exec, s[50:51]
	s_and_saveexec_b64 s[18:19], vcc
	s_cbranch_execz .LBB48_205
; %bb.209:                              ;   in Loop: Header=BB48_206 Depth=2
	s_waitcnt vmcnt(0)
	v_cmp_lt_i32_e32 vcc, -1, v17
	v_cndmask_b32_e32 v3, -1, v36, vcc
	v_xor_b32_e32 v3, v3, v17
	v_cmp_o_f32_e32 vcc, v17, v17
	v_cndmask_b32_e32 v3, -1, v3, vcc
	v_and_b32_e32 v3, s72, v3
	v_cmp_eq_u32_e32 vcc, s73, v3
	s_and_b64 exec, exec, vcc
	s_cbranch_execz .LBB48_205
; %bb.210:                              ;   in Loop: Header=BB48_206 Depth=2
	ds_write_b64 v9, v[16:17] offset:3072
	s_branch .LBB48_205
.LBB48_211:                             ;   in Loop: Header=BB48_8 Depth=1
                                        ; implicit-def: $sgpr18_sgpr19
                                        ; implicit-def: $sgpr46_sgpr47
                                        ; implicit-def: $sgpr44_sgpr45
	s_branch .LBB48_225
.LBB48_212:                             ;   in Loop: Header=BB48_8 Depth=1
	s_mov_b64 s[18:19], -1
	s_mov_b64 s[48:49], 0
                                        ; implicit-def: $sgpr44_sgpr45
                                        ; implicit-def: $vgpr19
	s_mov_b64 s[46:47], s[18:19]
	s_cbranch_execnz .LBB48_215
	s_branch .LBB48_225
.LBB48_213:                             ;   in Loop: Header=BB48_8 Depth=1
	s_or_b64 exec, exec, s[46:47]
	s_and_b64 s[48:49], s[48:49], exec
.LBB48_214:                             ;   in Loop: Header=BB48_8 Depth=1
	s_or_b64 exec, exec, s[44:45]
	s_mov_b64 s[44:45], -1
	s_mov_b64 s[18:19], 0
	s_mov_b64 s[46:47], s[18:19]
	s_branch .LBB48_225
.LBB48_215:                             ;   in Loop: Header=BB48_8 Depth=1
	v_readlane_b32 s7, v50, 9
	s_add_i32 s7, s6, s7
	s_abs_i32 s11, s7
	v_readlane_b32 s18, v50, 34
	s_mul_hi_u32 s18, s11, s18
	s_mul_i32 s18, s18, s33
	s_sub_i32 s11, s11, s18
	s_ashr_i32 s10, s7, 31
	s_sub_i32 s18, s11, s33
	s_cmp_ge_u32 s11, s33
	s_cselect_b32 s11, s18, s11
	s_sub_i32 s18, s11, s33
	s_cmp_ge_u32 s11, s33
	s_cselect_b32 s11, s18, s11
	s_xor_b32 s11, s11, s10
	s_sub_i32 s10, s10, s11
	s_add_i32 s7, s7, s10
	v_cmp_gt_i32_e32 vcc, s7, v0
	s_mov_b64 s[48:49], 0
                                        ; implicit-def: $vgpr19
	s_and_saveexec_b64 s[44:45], vcc
	s_cbranch_execz .LBB48_224
; %bb.216:                              ;   in Loop: Header=BB48_8 Depth=1
	s_mov_b64 s[46:47], 0
	v_mov_b32_e32 v2, v24
	v_mov_b32_e32 v3, v0
                                        ; implicit-def: $sgpr48_sgpr49
	s_branch .LBB48_218
.LBB48_217:                             ;   in Loop: Header=BB48_218 Depth=2
	s_or_b64 exec, exec, s[18:19]
	s_waitcnt lgkmcnt(0)
	s_barrier
	ds_read_b64 v[18:19], v9 offset:3072
	v_add_u32_e32 v3, s33, v3
	v_cmp_le_i32_e64 s[18:19], s7, v3
	v_add_u32_e32 v2, s78, v2
	s_waitcnt lgkmcnt(0)
	v_cmp_neq_f32_e32 vcc, 0, v18
	s_or_b64 s[10:11], s[18:19], vcc
	s_and_b64 s[10:11], exec, s[10:11]
	s_or_b64 s[46:47], s[10:11], s[46:47]
	s_andn2_b64 s[10:11], s[48:49], exec
	s_and_b64 s[18:19], vcc, exec
	s_or_b64 s[48:49], s[10:11], s[18:19]
	s_barrier
	s_andn2_b64 exec, exec, s[46:47]
	s_cbranch_execz .LBB48_223
.LBB48_218:                             ;   Parent Loop BB48_8 Depth=1
                                        ; =>  This Inner Loop Header: Depth=2
	v_cmp_gt_i32_e32 vcc, s6, v3
	s_waitcnt vmcnt(0)
	v_mov_b32_e32 v17, 0
	s_and_saveexec_b64 s[18:19], vcc
	s_cbranch_execz .LBB48_220
; %bb.219:                              ;   in Loop: Header=BB48_218 Depth=2
	ds_read_b32 v17, v2
.LBB48_220:                             ;   in Loop: Header=BB48_218 Depth=2
	s_or_b64 exec, exec, s[18:19]
	s_and_saveexec_b64 s[18:19], vcc
	s_cbranch_execz .LBB48_217
; %bb.221:                              ;   in Loop: Header=BB48_218 Depth=2
	s_waitcnt lgkmcnt(0)
	v_cmp_lt_i32_e32 vcc, -1, v17
	v_cndmask_b32_e32 v4, -1, v36, vcc
	v_xor_b32_e32 v4, v4, v17
	v_cmp_o_f32_e32 vcc, v17, v17
	v_cndmask_b32_e32 v4, -1, v4, vcc
	v_and_b32_e32 v4, s72, v4
	v_cmp_eq_u32_e32 vcc, s73, v4
	s_and_b64 exec, exec, vcc
	s_cbranch_execz .LBB48_217
; %bb.222:                              ;   in Loop: Header=BB48_218 Depth=2
	ds_write_b64 v9, v[16:17] offset:3072
	s_branch .LBB48_217
.LBB48_223:                             ;   in Loop: Header=BB48_8 Depth=1
	s_or_b64 exec, exec, s[46:47]
	s_and_b64 s[48:49], s[48:49], exec
.LBB48_224:                             ;   in Loop: Header=BB48_8 Depth=1
	s_or_b64 exec, exec, s[44:45]
	s_mov_b64 s[46:47], -1
	s_mov_b64 s[18:19], 0
	s_mov_b64 s[44:45], 0
.LBB48_225:                             ;   in Loop: Header=BB48_8 Depth=1
	s_mov_b64 s[52:53], 0
                                        ; implicit-def: $sgpr57
	s_and_saveexec_b64 s[50:51], s[48:49]
	s_cbranch_execz .LBB48_239
; %bb.226:                              ;   in Loop: Header=BB48_8 Depth=1
	s_xor_b64 s[6:7], s[42:43], -1
	s_andn2_b64 vcc, exec, s[6:7]
	s_mov_b32 s57, 1
	s_cbranch_vccnz .LBB48_233
; %bb.227:                              ;   in Loop: Header=BB48_8 Depth=1
	s_cmp_gt_i32 s56, s54
	s_cbranch_scc1 .LBB48_234
; %bb.228:                              ;   in Loop: Header=BB48_8 Depth=1
	ds_read_b32 v2, v9 offset:4096
	s_waitcnt lgkmcnt(0)
	v_cmp_ne_u32_e32 vcc, 0, v2
	s_cbranch_vccnz .LBB48_232
; %bb.229:                              ;   in Loop: Header=BB48_8 Depth=1
	s_mov_b64 s[42:43], exec
	v_readlane_b32 s6, v50, 4
	v_readlane_b32 s7, v50, 5
	s_and_b64 s[6:7], s[42:43], s[6:7]
	s_mov_b64 exec, s[6:7]
	s_cbranch_execz .LBB48_231
; %bb.230:                              ;   in Loop: Header=BB48_8 Depth=1
	v_mov_b32_e32 v2, s54
	ds_write_b32 v9, v2 offset:4100
.LBB48_231:                             ;   in Loop: Header=BB48_8 Depth=1
	s_or_b64 exec, exec, s[42:43]
	s_waitcnt lgkmcnt(0)
	s_barrier
.LBB48_232:                             ;   in Loop: Header=BB48_8 Depth=1
	s_or_b32 s6, s73, s55
	s_or_b32 s7, s72, s55
	s_mov_b64 s[42:43], 0
	s_mov_b32 s57, 8
	s_branch .LBB48_235
.LBB48_233:                             ;   in Loop: Header=BB48_8 Depth=1
	s_mov_b32 s56, 1
	s_branch .LBB48_238
.LBB48_234:                             ;   in Loop: Header=BB48_8 Depth=1
	s_mov_b64 s[42:43], -1
                                        ; implicit-def: $sgpr57
                                        ; implicit-def: $sgpr6
                                        ; implicit-def: $sgpr7
.LBB48_235:                             ;   in Loop: Header=BB48_8 Depth=1
	s_andn2_b64 vcc, exec, s[42:43]
	s_cbranch_vccnz .LBB48_237
; %bb.236:                              ;   in Loop: Header=BB48_8 Depth=1
	s_sub_i32 s56, s56, s54
	s_mov_b32 s57, 8
	s_mov_b32 s6, s73
	;; [unrolled: 1-line block ×3, first 2 shown]
.LBB48_237:                             ;   in Loop: Header=BB48_8 Depth=1
	s_mov_b32 s73, s6
	s_mov_b32 s72, s7
.LBB48_238:                             ;   in Loop: Header=BB48_8 Depth=1
	s_mov_b64 s[52:53], exec
.LBB48_239:                             ;   in Loop: Header=BB48_8 Depth=1
	s_or_b64 exec, exec, s[50:51]
.LBB48_240:                             ;   in Loop: Header=BB48_8 Depth=1
	s_andn2_b64 s[6:7], s[34:35], exec
	s_and_b64 s[10:11], s[18:19], exec
	s_or_b64 s[34:35], s[6:7], s[10:11]
	s_andn2_b64 s[6:7], s[38:39], exec
	s_and_b64 s[10:11], s[46:47], exec
	s_or_b64 s[38:39], s[6:7], s[10:11]
	s_andn2_b64 s[6:7], s[36:37], exec
	s_and_b64 s[10:11], s[44:45], exec
	s_or_b64 s[36:37], s[6:7], s[10:11]
	s_and_b64 s[44:45], s[52:53], exec
	s_mov_b32 s49, s56
.LBB48_241:                             ;   in Loop: Header=BB48_8 Depth=1
	s_or_b64 exec, exec, s[40:41]
.LBB48_242:                             ;   in Loop: Header=BB48_8 Depth=1
	s_andn2_b64 s[6:7], s[26:27], exec
	s_and_b64 s[10:11], s[34:35], exec
	s_or_b64 s[26:27], s[6:7], s[10:11]
	s_andn2_b64 s[6:7], s[28:29], exec
	s_and_b64 s[10:11], s[38:39], exec
	s_or_b64 s[28:29], s[6:7], s[10:11]
	;; [unrolled: 3-line block ×3, first 2 shown]
	s_and_b64 s[36:37], s[44:45], exec
	s_mov_b32 s39, s49
.LBB48_243:                             ;   in Loop: Header=BB48_8 Depth=1
	s_or_b64 exec, exec, s[30:31]
	s_and_saveexec_b64 s[6:7], s[36:37]
	s_xor_b64 s[18:19], exec, s[6:7]
	s_cbranch_execz .LBB48_6
.LBB48_244:                             ;   in Loop: Header=BB48_8 Depth=1
	s_and_b32 s6, s57, -9
	s_cmp_eq_u32 s6, 0
	s_cbranch_scc1 .LBB48_4
; %bb.245:                              ;   in Loop: Header=BB48_8 Depth=1
	s_mov_b64 s[22:23], -1
                                        ; implicit-def: $sgpr72
                                        ; implicit-def: $sgpr39
                                        ; implicit-def: $sgpr0
                                        ; implicit-def: $sgpr1
	s_mov_b64 s[30:31], -1
	s_branch .LBB48_5
.LBB48_246:
	s_or_b64 exec, exec, s[86:87]
	s_xor_b64 s[6:7], s[92:93], -1
	s_xor_b64 s[0:1], s[88:89], -1
	;; [unrolled: 1-line block ×3, first 2 shown]
	s_mov_b64 s[2:3], 0
	s_and_saveexec_b64 s[4:5], s[0:1]
	s_xor_b64 s[4:5], exec, s[4:5]
	s_cbranch_execnz .LBB48_251
; %bb.247:
	s_andn2_saveexec_b64 s[0:1], s[4:5]
	s_cbranch_execnz .LBB48_271
.LBB48_248:
	s_or_b64 exec, exec, s[0:1]
	s_and_saveexec_b64 s[0:1], s[2:3]
.LBB48_249:
	; divergent unreachable
.LBB48_250:
	s_endpgm
.LBB48_251:
	s_and_saveexec_b64 s[0:1], s[6:7]
	s_xor_b64 s[6:7], exec, s[0:1]
	s_cbranch_execz .LBB48_269
; %bb.252:
	s_and_saveexec_b64 s[0:1], s[8:9]
	s_xor_b64 s[2:3], exec, s[0:1]
; %bb.253:
	v_bfrev_b32_e32 v1, 1
	v_cmp_lt_i32_e32 vcc, -1, v2
	v_cndmask_b32_e64 v1, v1, -1, vcc
	v_xor_b32_e32 v19, v1, v2
; %bb.254:
	s_or_b64 exec, exec, s[2:3]
	s_mov_b64 s[2:3], exec
	v_readlane_b32 s0, v50, 4
	v_readlane_b32 s1, v50, 5
	s_and_b64 s[0:1], s[2:3], s[0:1]
	s_mov_b64 exec, s[0:1]
	s_cbranch_execz .LBB48_256
; %bb.255:
	v_mov_b32_e32 v1, 0
	v_mov_b32_e32 v2, s60
	ds_write_b32 v1, v2 offset:4108
.LBB48_256:
	s_or_b64 exec, exec, s[2:3]
	v_mov_b32_e32 v1, 0
	s_waitcnt lgkmcnt(0)
	s_barrier
	ds_read_b32 v1, v1 offset:4108
	s_waitcnt lgkmcnt(0)
	v_min_i32_e32 v1, s60, v1
	v_cmp_lt_i32_e32 vcc, v0, v1
	s_and_saveexec_b64 s[8:9], vcc
	s_cbranch_execz .LBB48_266
; %bb.257:
	v_cmp_u_f32_e32 vcc, v19, v19
	s_mov_b64 s[10:11], 0
	v_mov_b32_e32 v3, s76
	s_xor_b64 s[14:15], vcc, -1
                                        ; implicit-def: $sgpr12_sgpr13
                                        ; implicit-def: $sgpr18_sgpr19
                                        ; implicit-def: $sgpr16_sgpr17
	s_branch .LBB48_259
.LBB48_258:                             ;   in Loop: Header=BB48_259 Depth=1
	s_or_b64 exec, exec, s[2:3]
	s_and_b64 s[0:1], exec, s[18:19]
	s_or_b64 s[10:11], s[0:1], s[10:11]
	s_andn2_b64 s[0:1], s[12:13], exec
	s_and_b64 s[2:3], s[16:17], exec
	s_or_b64 s[12:13], s[0:1], s[2:3]
	s_andn2_b64 exec, exec, s[10:11]
	s_cbranch_execz .LBB48_261
.LBB48_259:                             ; =>This Inner Loop Header: Depth=1
	v_ashrrev_i32_e32 v7, 31, v6
	v_lshlrev_b64 v[4:5], 2, v[6:7]
	v_add_co_u32_e32 v4, vcc, s62, v4
	v_addc_co_u32_e32 v5, vcc, v3, v5, vcc
	global_load_dword v4, v[4:5], off
	v_mov_b32_e32 v2, v0
	s_or_b64 s[16:17], s[16:17], exec
	s_or_b64 s[18:19], s[18:19], exec
                                        ; implicit-def: $vgpr0
	s_waitcnt vmcnt(0)
	v_cmp_o_f32_e64 s[2:3], v4, v4
	v_cmp_neq_f32_e32 vcc, v4, v19
	s_or_b64 s[0:1], s[2:3], s[14:15]
	s_and_b64 s[0:1], vcc, s[0:1]
	s_and_saveexec_b64 s[2:3], s[0:1]
	s_cbranch_execz .LBB48_258
; %bb.260:                              ;   in Loop: Header=BB48_259 Depth=1
	v_add_u32_e32 v0, s33, v2
	v_cmp_ge_i32_e32 vcc, v0, v1
	s_andn2_b64 s[0:1], s[18:19], exec
	s_and_b64 s[18:19], vcc, exec
	v_add_u32_e32 v6, s77, v6
	s_andn2_b64 s[16:17], s[16:17], exec
	s_or_b64 s[18:19], s[0:1], s[18:19]
	s_branch .LBB48_258
.LBB48_261:
	s_or_b64 exec, exec, s[10:11]
	s_and_saveexec_b64 s[0:1], s[12:13]
	s_xor_b64 s[0:1], exec, s[0:1]
	s_cbranch_execz .LBB48_266
; %bb.262:
	s_mov_b64 s[2:3], exec
	s_brev_b32 s0, -2
.LBB48_263:                             ; =>This Inner Loop Header: Depth=1
	s_ff1_i32_b64 s1, s[2:3]
	v_readlane_b32 s12, v2, s1
	s_lshl_b64 s[10:11], 1, s1
	s_min_i32 s0, s0, s12
	s_andn2_b64 s[2:3], s[2:3], s[10:11]
	s_cmp_lg_u64 s[2:3], 0
	s_cbranch_scc1 .LBB48_263
; %bb.264:
	v_mbcnt_lo_u32_b32 v0, exec_lo, 0
	v_mbcnt_hi_u32_b32 v0, exec_hi, v0
	v_cmp_eq_u32_e32 vcc, 0, v0
	s_and_saveexec_b64 s[2:3], vcc
	s_xor_b64 s[2:3], exec, s[2:3]
	s_cbranch_execz .LBB48_266
; %bb.265:
	v_mov_b32_e32 v0, 0
	v_mov_b32_e32 v1, s0
	ds_min_i32 v0, v1 offset:4108
.LBB48_266:
	s_or_b64 exec, exec, s[8:9]
	s_waitcnt lgkmcnt(0)
	s_barrier
	s_mov_b64 s[2:3], exec
	v_readlane_b32 s0, v50, 4
	v_readlane_b32 s1, v50, 5
	s_and_b64 s[0:1], s[2:3], s[0:1]
	s_mov_b64 exec, s[0:1]
	s_cbranch_execz .LBB48_268
; %bb.267:
	v_readlane_b32 s1, v50, 8
	v_readlane_b32 s0, v50, 7
	s_mul_i32 s0, s0, s1
	v_readlane_b32 s8, v50, 6
	s_mul_i32 s8, s8, s1
	s_ashr_i32 s1, s0, 31
	v_mov_b32_e32 v2, 0
	s_lshl_b64 s[0:1], s[0:1], 2
	v_readlane_b32 s10, v50, 2
	ds_read_b32 v0, v2 offset:4108
	v_readlane_b32 s11, v50, 3
	s_add_u32 s0, s10, s0
	s_addc_u32 s1, s11, s1
	s_ashr_i32 s9, s8, 31
	s_lshl_b64 s[8:9], s[8:9], 3
	v_readlane_b32 s10, v50, 0
	v_readlane_b32 s11, v50, 1
	s_add_u32 s8, s10, s8
	s_addc_u32 s9, s11, s9
	s_waitcnt lgkmcnt(0)
	v_ashrrev_i32_e32 v1, 31, v0
	global_store_dwordx2 v2, v[0:1], s[8:9]
	global_store_dword v2, v19, s[0:1]
.LBB48_268:
	s_or_b64 exec, exec, s[2:3]
.LBB48_269:
	s_or_saveexec_b64 s[0:1], s[6:7]
	s_mov_b64 s[2:3], 0
	s_xor_b64 exec, exec, s[0:1]
	s_cbranch_execnz .LBB48_272
.LBB48_270:
	s_or_b64 exec, exec, s[0:1]
	s_and_b64 s[2:3], s[2:3], exec
	s_andn2_saveexec_b64 s[0:1], s[4:5]
	s_cbranch_execz .LBB48_248
.LBB48_271:
	s_or_b64 s[2:3], s[2:3], exec
	s_trap 2
	s_or_b64 exec, exec, s[0:1]
	s_and_saveexec_b64 s[0:1], s[2:3]
	s_cbranch_execnz .LBB48_249
	s_branch .LBB48_250
.LBB48_272:
	s_mov_b64 s[2:3], exec
	s_trap 2
	s_branch .LBB48_270
	.section	.rodata,"a",@progbits
	.p2align	6, 0x0
	.amdhsa_kernel _ZN2at6native12_GLOBAL__N_114gatherKthValueIfiLi1EEEvNS_4cuda6detail10TensorInfoIKT_T0_EES8_S8_S8_S8_NS5_IS6_S8_EENS5_IlS8_EE
		.amdhsa_group_segment_fixed_size 4112
		.amdhsa_private_segment_fixed_size 0
		.amdhsa_kernarg_size 920
		.amdhsa_user_sgpr_count 6
		.amdhsa_user_sgpr_private_segment_buffer 1
		.amdhsa_user_sgpr_dispatch_ptr 0
		.amdhsa_user_sgpr_queue_ptr 0
		.amdhsa_user_sgpr_kernarg_segment_ptr 1
		.amdhsa_user_sgpr_dispatch_id 0
		.amdhsa_user_sgpr_flat_scratch_init 0
		.amdhsa_user_sgpr_kernarg_preload_length 0
		.amdhsa_user_sgpr_kernarg_preload_offset 0
		.amdhsa_user_sgpr_private_segment_size 0
		.amdhsa_uses_dynamic_stack 0
		.amdhsa_system_sgpr_private_segment_wavefront_offset 0
		.amdhsa_system_sgpr_workgroup_id_x 1
		.amdhsa_system_sgpr_workgroup_id_y 1
		.amdhsa_system_sgpr_workgroup_id_z 1
		.amdhsa_system_sgpr_workgroup_info 0
		.amdhsa_system_vgpr_workitem_id 0
		.amdhsa_next_free_vgpr 51
		.amdhsa_next_free_sgpr 96
		.amdhsa_accum_offset 52
		.amdhsa_reserve_vcc 1
		.amdhsa_reserve_flat_scratch 0
		.amdhsa_float_round_mode_32 0
		.amdhsa_float_round_mode_16_64 0
		.amdhsa_float_denorm_mode_32 3
		.amdhsa_float_denorm_mode_16_64 3
		.amdhsa_dx10_clamp 1
		.amdhsa_ieee_mode 1
		.amdhsa_fp16_overflow 0
		.amdhsa_tg_split 0
		.amdhsa_exception_fp_ieee_invalid_op 0
		.amdhsa_exception_fp_denorm_src 0
		.amdhsa_exception_fp_ieee_div_zero 0
		.amdhsa_exception_fp_ieee_overflow 0
		.amdhsa_exception_fp_ieee_underflow 0
		.amdhsa_exception_fp_ieee_inexact 0
		.amdhsa_exception_int_div_zero 0
	.end_amdhsa_kernel
	.section	.text._ZN2at6native12_GLOBAL__N_114gatherKthValueIfiLi1EEEvNS_4cuda6detail10TensorInfoIKT_T0_EES8_S8_S8_S8_NS5_IS6_S8_EENS5_IlS8_EE,"axG",@progbits,_ZN2at6native12_GLOBAL__N_114gatherKthValueIfiLi1EEEvNS_4cuda6detail10TensorInfoIKT_T0_EES8_S8_S8_S8_NS5_IS6_S8_EENS5_IlS8_EE,comdat
.Lfunc_end48:
	.size	_ZN2at6native12_GLOBAL__N_114gatherKthValueIfiLi1EEEvNS_4cuda6detail10TensorInfoIKT_T0_EES8_S8_S8_S8_NS5_IS6_S8_EENS5_IlS8_EE, .Lfunc_end48-_ZN2at6native12_GLOBAL__N_114gatherKthValueIfiLi1EEEvNS_4cuda6detail10TensorInfoIKT_T0_EES8_S8_S8_S8_NS5_IS6_S8_EENS5_IlS8_EE
                                        ; -- End function
	.section	.AMDGPU.csdata,"",@progbits
; Kernel info:
; codeLenInByte = 10228
; NumSgprs: 100
; NumVgprs: 51
; NumAgprs: 0
; TotalNumVgprs: 51
; ScratchSize: 0
; MemoryBound: 0
; FloatMode: 240
; IeeeMode: 1
; LDSByteSize: 4112 bytes/workgroup (compile time only)
; SGPRBlocks: 12
; VGPRBlocks: 6
; NumSGPRsForWavesPerEU: 100
; NumVGPRsForWavesPerEU: 51
; AccumOffset: 52
; Occupancy: 8
; WaveLimiterHint : 1
; COMPUTE_PGM_RSRC2:SCRATCH_EN: 0
; COMPUTE_PGM_RSRC2:USER_SGPR: 6
; COMPUTE_PGM_RSRC2:TRAP_HANDLER: 0
; COMPUTE_PGM_RSRC2:TGID_X_EN: 1
; COMPUTE_PGM_RSRC2:TGID_Y_EN: 1
; COMPUTE_PGM_RSRC2:TGID_Z_EN: 1
; COMPUTE_PGM_RSRC2:TIDIG_COMP_CNT: 0
; COMPUTE_PGM_RSRC3_GFX90A:ACCUM_OFFSET: 12
; COMPUTE_PGM_RSRC3_GFX90A:TG_SPLIT: 0
	.section	.text._ZN2at6native12_GLOBAL__N_114gatherKthValueIfiLi2EEEvNS_4cuda6detail10TensorInfoIKT_T0_EES8_S8_S8_S8_NS5_IS6_S8_EENS5_IlS8_EE,"axG",@progbits,_ZN2at6native12_GLOBAL__N_114gatherKthValueIfiLi2EEEvNS_4cuda6detail10TensorInfoIKT_T0_EES8_S8_S8_S8_NS5_IS6_S8_EENS5_IlS8_EE,comdat
	.globl	_ZN2at6native12_GLOBAL__N_114gatherKthValueIfiLi2EEEvNS_4cuda6detail10TensorInfoIKT_T0_EES8_S8_S8_S8_NS5_IS6_S8_EENS5_IlS8_EE ; -- Begin function _ZN2at6native12_GLOBAL__N_114gatherKthValueIfiLi2EEEvNS_4cuda6detail10TensorInfoIKT_T0_EES8_S8_S8_S8_NS5_IS6_S8_EENS5_IlS8_EE
	.p2align	8
	.type	_ZN2at6native12_GLOBAL__N_114gatherKthValueIfiLi2EEEvNS_4cuda6detail10TensorInfoIKT_T0_EES8_S8_S8_S8_NS5_IS6_S8_EENS5_IlS8_EE,@function
_ZN2at6native12_GLOBAL__N_114gatherKthValueIfiLi2EEEvNS_4cuda6detail10TensorInfoIKT_T0_EES8_S8_S8_S8_NS5_IS6_S8_EENS5_IlS8_EE: ; @_ZN2at6native12_GLOBAL__N_114gatherKthValueIfiLi2EEEvNS_4cuda6detail10TensorInfoIKT_T0_EES8_S8_S8_S8_NS5_IS6_S8_EENS5_IlS8_EE
; %bb.0:
	s_load_dwordx2 s[12:13], s[4:5], 0x298
	s_load_dwordx4 s[60:63], s[4:5], 0xd8
	s_add_u32 s10, s4, 0x298
	s_addc_u32 s11, s5, 0
	s_waitcnt lgkmcnt(0)
	s_mul_i32 s0, s13, s8
	s_add_i32 s0, s0, s7
	s_mul_i32 s0, s0, s12
	s_add_i32 s16, s0, s6
	s_cmp_ge_i32 s16, s62
	s_cbranch_scc1 .LBB49_250
; %bb.1:
	s_load_dword s0, s[4:5], 0xc
	s_load_dwordx2 s[2:3], s[4:5], 0xe8
                                        ; implicit-def: $vgpr50 : SGPR spill to VGPR lane
                                        ; kill: killed $sgpr4 killed $sgpr5
	s_abs_i32 s19, s16
	s_ashr_i32 s18, s16, 31
	s_mov_b32 s72, 0
	s_waitcnt lgkmcnt(0)
	s_abs_i32 s1, s0
	v_writelane_b32 v50, s2, 0
	v_writelane_b32 v50, s3, 1
	s_load_dwordx2 s[8:9], s[4:5], 0x6c
	s_load_dwordx2 s[2:3], s[4:5], 0x0
	;; [unrolled: 1-line block ×3, first 2 shown]
	v_cvt_f32_u32_e32 v1, s1
	s_ashr_i32 s7, s0, 31
	s_load_dword s20, s[4:5], 0xf4
	s_waitcnt lgkmcnt(0)
	v_writelane_b32 v50, s14, 2
	v_writelane_b32 v50, s15, 3
	s_load_dword s17, s[4:5], 0x1cc
	s_load_dwordx2 s[14:15], s[4:5], 0x1c0
	v_rcp_iflag_f32_e32 v1, v1
	s_waitcnt lgkmcnt(0)
	v_writelane_b32 v50, s14, 4
	v_writelane_b32 v50, s15, 5
	s_load_dwordx2 s[14:15], s[4:5], 0x154
	v_mul_f32_e32 v1, 0x4f7ffffe, v1
	v_cvt_u32_f32_e32 v1, v1
	s_sub_i32 s4, 0, s1
	s_waitcnt lgkmcnt(0)
	v_writelane_b32 v50, s14, 6
	v_writelane_b32 v50, s15, 7
	s_abs_i32 s15, s20
	v_cvt_f32_u32_e32 v2, s15
	v_readfirstlane_b32 s5, v1
	s_abs_i32 s14, s17
	s_mul_i32 s4, s4, s5
	v_rcp_iflag_f32_e32 v1, v2
	v_cvt_f32_u32_e32 v2, s14
	s_mul_hi_u32 s4, s5, s4
	s_add_i32 s5, s5, s4
	v_mul_f32_e32 v1, 0x4f7ffffe, v1
	v_cvt_u32_f32_e32 v1, v1
	v_rcp_iflag_f32_e32 v2, v2
	s_mul_hi_u32 s13, s19, s5
	s_sub_i32 s4, 0, s15
	v_readfirstlane_b32 s5, v1
	v_mul_f32_e32 v1, 0x4f7ffffe, v2
	s_mul_i32 s4, s4, s5
	v_cvt_u32_f32_e32 v1, v1
	s_mul_hi_u32 s4, s5, s4
	s_add_i32 s5, s5, s4
	v_writelane_b32 v50, s15, 8
	s_mul_hi_u32 s4, s19, s5
	v_writelane_b32 v50, s4, 9
	s_sub_i32 s4, 0, s14
	v_readfirstlane_b32 s5, v1
	s_mul_i32 s4, s4, s5
	s_mul_hi_u32 s4, s5, s4
	s_add_i32 s5, s5, s4
	v_writelane_b32 v50, s14, 10
	s_mul_hi_u32 s4, s19, s5
	v_writelane_b32 v50, s4, 11
	v_cmp_eq_u32_e64 s[14:15], 0, v0
	s_mov_b64 s[4:5], exec
	v_writelane_b32 v50, s14, 12
	v_writelane_b32 v50, s15, 13
	s_and_b64 s[14:15], s[4:5], s[14:15]
	s_mov_b64 exec, s[14:15]
	s_cbranch_execz .LBB49_3
; %bb.2:
	v_mov_b32_e32 v2, 0
	v_mov_b32_e32 v3, s60
	;; [unrolled: 1-line block ×3, first 2 shown]
	ds_write_b96 v2, v[2:4] offset:4096
.LBB49_3:
	s_or_b64 exec, exec, s[4:5]
	v_writelane_b32 v50, s20, 14
	s_ashr_i32 s4, s20, 31
	v_writelane_b32 v50, s4, 15
	s_mul_i32 s5, s13, s1
	v_writelane_b32 v50, s17, 16
	s_ashr_i32 s4, s17, 31
	s_sub_i32 s5, s19, s5
	v_writelane_b32 v50, s4, 17
	s_xor_b32 s4, s18, s7
	s_add_i32 s7, s13, 1
	s_sub_i32 s14, s5, s1
	s_cmp_ge_u32 s5, s1
	s_cselect_b32 s7, s7, s13
	s_cselect_b32 s5, s14, s5
	s_add_i32 s13, s7, 1
	s_cmp_ge_u32 s5, s1
	s_cselect_b32 s1, s13, s7
	s_xor_b32 s1, s1, s4
	s_sub_i32 s1, s1, s4
	s_mul_i32 s0, s1, s0
	s_sub_i32 s0, s16, s0
	s_mul_i32 s0, s0, s9
	s_mul_i32 s1, s1, s8
	s_waitcnt lgkmcnt(0)
	s_barrier
	s_load_dword s4, s[10:11], 0xc
	s_add_i32 s0, s1, s0
	s_ashr_i32 s1, s0, 31
	s_lshl_b64 s[0:1], s[0:1], 2
	s_add_u32 s62, s2, s0
	v_mbcnt_lo_u32_b32 v1, -1, 0
	s_addc_u32 s80, s3, s1
	s_waitcnt lgkmcnt(0)
	s_and_b32 s33, s4, 0xffff
	v_mbcnt_hi_u32_b32 v13, -1, v1
	v_writelane_b32 v50, s18, 18
	v_cmp_gt_u32_e32 vcc, 64, v0
	v_cmp_gt_i32_e64 s[2:3], 4, v13
	s_add_i32 s0, s33, -1
	v_writelane_b32 v50, s19, 19
	s_lshl_b32 s82, s33, 2
	s_bfe_u32 s7, s4, 0xa0006
	s_and_b64 s[74:75], vcc, s[2:3]
	s_add_i32 s17, s0, s60
	v_writelane_b32 v50, s16, 20
	s_cmpk_gt_i32 s60, 0x300
	v_writelane_b32 v50, s0, 21
	s_cselect_b64 s[0:1], -1, 0
	v_writelane_b32 v50, s0, 22
	s_cmp_gt_u32 s33, 63
	v_writelane_b32 v50, s1, 23
	s_cselect_b64 s[0:1], -1, 0
	v_writelane_b32 v50, s0, 24
	s_cmp_lt_u32 s6, s12
	v_writelane_b32 v50, s1, 25
	s_cselect_b32 s0, 12, 18
	s_add_u32 s0, s10, s0
	s_addc_u32 s1, s11, 0
	v_writelane_b32 v50, s0, 26
	v_writelane_b32 v50, s1, 27
	s_add_i32 s0, s7, -2
	s_lshr_b32 s1, s0, 1
	s_add_i32 s1, s1, 1
	s_cmpk_gt_u32 s33, 0x7f
	v_mov_b32_e32 v9, 0
	s_cselect_b64 s[2:3], -1, 0
	v_writelane_b32 v50, s2, 28
	v_mul_lo_u32 v6, v0, s63
	v_mov_b32_e32 v7, v9
	v_writelane_b32 v50, s3, 29
	v_cmp_gt_u32_e64 s[8:9], s60, v0
	v_lshlrev_b64 v[2:3], 2, v[6:7]
	v_writelane_b32 v50, s8, 30
	v_mov_b32_e32 v7, s80
	v_add_co_u32_e32 v10, vcc, s62, v2
	v_writelane_b32 v50, s9, 31
	v_addc_co_u32_e32 v11, vcc, v7, v3, vcc
	v_cmp_gt_i32_e64 s[8:9], s60, v0
	v_lshlrev_b64 v[2:3], v13, -1
	v_writelane_b32 v50, s8, 32
	v_not_b32_e32 v12, v2
	v_cvt_f32_u32_e32 v2, s82
	v_writelane_b32 v50, s9, 33
	s_and_b32 s6, s7, 0x3fe
	s_and_b32 s8, s1, 7
	s_cmp_gt_u32 s0, 13
	s_cselect_b64 s[10:11], -1, 0
	v_writelane_b32 v50, s10, 34
	v_rcp_iflag_f32_e32 v2, v2
	v_writelane_b32 v50, s11, 35
	s_and_b32 s0, s1, -8
	v_writelane_b32 v50, s0, 36
	s_cmp_lg_u32 s8, 0
	v_writelane_b32 v50, s8, 37
	s_cselect_b64 s[0:1], -1, 0
	v_writelane_b32 v50, s0, 38
	v_mul_f32_e32 v2, 0x4f7ffffe, v2
	v_writelane_b32 v50, s1, 39
	v_cvt_u32_f32_e32 v2, v2
	v_writelane_b32 v50, s7, 40
	s_cmp_lg_u32 s6, s7
	v_writelane_b32 v50, s6, 41
	s_cselect_b64 s[0:1], -1, 0
	v_writelane_b32 v50, s0, 42
	v_writelane_b32 v50, s1, 43
	s_sub_i32 s0, 0, s82
	v_readfirstlane_b32 s1, v2
	s_mul_i32 s0, s0, s1
	s_mul_hi_u32 s0, s1, s0
	s_add_i32 s8, s1, s0
	s_mul_hi_u32 s0, s60, s8
	s_mul_i32 s0, s0, s82
	s_sub_i32 s0, s60, s0
	s_sub_i32 s1, s0, s82
	s_cmp_ge_u32 s0, s82
	s_cselect_b32 s0, s1, s0
	s_sub_i32 s1, s0, s82
	v_cvt_f32_u32_e32 v5, s33
	s_cmp_ge_u32 s0, s82
	s_cselect_b32 s0, s1, s0
	s_sub_i32 s9, s60, s0
	v_add_u32_e32 v28, s9, v0
	v_rcp_iflag_f32_e32 v5, v5
	v_lshrrev_b32_e32 v1, 4, v0
	v_mul_lo_u32 v2, v28, s63
	v_and_b32_e32 v26, 60, v1
	v_not_b32_e32 v1, v3
	v_ashrrev_i32_e32 v3, 31, v2
	v_lshlrev_b64 v[2:3], 2, v[2:3]
	v_add_co_u32_e32 v14, vcc, s62, v2
	v_mul_f32_e32 v2, 0x4f7ffffe, v5
	v_cvt_u32_f32_e32 v2, v2
	v_lshlrev_b32_e32 v24, 2, v0
	v_cmp_gt_i32_e64 s[6:7], s9, v24
	v_writelane_b32 v50, s6, 44
	v_writelane_b32 v50, s7, 45
	s_sub_i32 s7, 0, s33
	v_readfirstlane_b32 s10, v2
	s_mul_i32 s7, s7, s10
	s_mul_hi_u32 s7, s10, s7
	s_abs_i32 s6, s17
	s_add_i32 s7, s10, s7
	v_writelane_b32 v50, s7, 46
	s_mul_hi_u32 s7, s6, s7
	s_mul_i32 s7, s7, s33
	s_sub_i32 s6, s6, s7
	s_ashr_i32 s1, s17, 31
	s_sub_i32 s7, s6, s33
	s_cmp_ge_u32 s6, s33
	s_cselect_b32 s6, s7, s6
	s_sub_i32 s7, s6, s33
	s_cmp_ge_u32 s6, s33
	s_cselect_b32 s6, s7, s6
	s_xor_b32 s6, s6, s1
	v_mul_lo_u32 v2, s63, v24
	s_sub_i32 s1, s1, s6
	v_add_u32_e32 v29, s63, v2
	v_or_b32_e32 v2, 2, v24
	s_add_i32 s17, s17, s1
	v_mul_lo_u32 v30, s63, v2
	v_or_b32_e32 v2, 3, v24
	s_add_i32 s1, s33, s60
	v_mul_lo_u32 v31, s63, v2
	v_add_u32_e32 v2, s1, v0
	v_lshlrev_b32_e32 v4, 2, v13
	v_mov_b32_e32 v8, s80
	v_cmp_gt_i32_e64 s[6:7], s17, v0
	s_mul_i32 s81, s63, s33
	v_subrev_u32_e32 v2, s0, v2
	v_cmp_eq_u32_e64 s[2:3], 0, v13
	v_cmp_gt_u32_e64 s[4:5], 2, v0
	v_add_u32_e32 v25, 0xc00, v24
	v_and_b32_e32 v27, 0x100, v4
	v_cmp_gt_u32_e64 s[12:13], s60, v28
	v_addc_co_u32_e32 v15, vcc, v8, v3, vcc
	v_cmp_gt_i32_e64 s[14:15], s60, v28
	v_writelane_b32 v50, s6, 47
	s_lshl_b32 s83, s81, 2
	v_lshlrev_b32_e32 v32, 2, v6
	v_mul_lo_u32 v33, s63, v2
	v_lshlrev_b32_e32 v34, 4, v0
	s_lshl_b32 s16, s33, 4
	v_or_b32_e32 v35, 0xc00, v4
	s_mov_b32 s0, 30
	s_mov_b64 s[90:91], 0
	v_mov_b32_e32 v16, 1.0
	v_bfrev_b32_e32 v36, 1
	v_mov_b32_e32 v37, 0xc00
	v_mov_b32_e32 v19, 0
	s_mov_b32 s1, 0
	s_mov_b32 s77, 0
	;; [unrolled: 1-line block ×3, first 2 shown]
	v_writelane_b32 v50, s7, 48
                                        ; implicit-def: $sgpr92_sgpr93
                                        ; implicit-def: $sgpr64_sgpr65
                                        ; implicit-def: $sgpr94_sgpr95
                                        ; implicit-def: $sgpr66_sgpr67
                                        ; implicit-def: $sgpr68_sgpr69
                                        ; implicit-def: $sgpr70_sgpr71
	s_branch .LBB49_8
.LBB49_4:                               ;   in Loop: Header=BB49_8 Depth=1
	s_xor_b32 s1, s1, 1
	s_add_i32 s6, s0, -2
	s_cmp_eq_u32 s0, 0
	s_mov_b64 s[22:23], 0
	s_cselect_b64 s[30:31], -1, 0
	s_mov_b32 s0, s6
.LBB49_5:                               ;   in Loop: Header=BB49_8 Depth=1
	s_andn2_b64 s[6:7], s[26:27], exec
	s_and_b64 s[10:11], s[22:23], exec
	s_or_b64 s[26:27], s[6:7], s[10:11]
	s_andn2_b64 s[28:29], s[28:29], exec
	s_andn2_b64 s[24:25], s[24:25], exec
	s_orn2_b64 s[22:23], s[30:31], exec
	s_mov_b32 s61, s39
.LBB49_6:                               ;   in Loop: Header=BB49_8 Depth=1
	s_or_b64 exec, exec, s[18:19]
	s_andn2_b64 s[6:7], s[70:71], exec
	s_and_b64 s[10:11], s[26:27], exec
	s_or_b64 s[70:71], s[6:7], s[10:11]
	s_andn2_b64 s[6:7], s[68:69], exec
	s_and_b64 s[10:11], s[28:29], exec
	s_or_b64 s[68:69], s[6:7], s[10:11]
	;; [unrolled: 3-line block ×3, first 2 shown]
	s_orn2_b64 s[22:23], s[22:23], exec
.LBB49_7:                               ;   in Loop: Header=BB49_8 Depth=1
	s_or_b64 exec, exec, s[20:21]
	s_and_b64 s[6:7], exec, s[22:23]
	s_or_b64 s[90:91], s[6:7], s[90:91]
	s_andn2_b64 s[6:7], s[94:95], exec
	s_and_b64 s[10:11], s[70:71], exec
	s_or_b64 s[94:95], s[6:7], s[10:11]
	s_andn2_b64 s[6:7], s[64:65], exec
	s_and_b64 s[10:11], s[68:69], exec
	;; [unrolled: 3-line block ×3, first 2 shown]
	v_mov_b32_e32 v2, s77
	s_or_b64 s[92:93], s[6:7], s[10:11]
	s_andn2_b64 exec, exec, s[90:91]
	s_cbranch_execz .LBB49_246
.LBB49_8:                               ; =>This Loop Header: Depth=1
                                        ;     Child Loop BB49_16 Depth 2
                                        ;     Child Loop BB49_35 Depth 2
                                        ;     Child Loop BB49_45 Depth 2
                                        ;     Child Loop BB49_52 Depth 2
                                        ;     Child Loop BB49_59 Depth 2
                                        ;     Child Loop BB49_63 Depth 2
                                        ;     Child Loop BB49_73 Depth 2
                                        ;     Child Loop BB49_77 Depth 2
                                        ;     Child Loop BB49_80 Depth 2
                                        ;     Child Loop BB49_101 Depth 2
                                        ;     Child Loop BB49_89 Depth 2
                                        ;     Child Loop BB49_140 Depth 2
                                        ;     Child Loop BB49_128 Depth 2
                                        ;     Child Loop BB49_179 Depth 2
                                        ;     Child Loop BB49_167 Depth 2
                                        ;     Child Loop BB49_218 Depth 2
                                        ;     Child Loop BB49_206 Depth 2
	ds_read_b64 v[2:3], v9 offset:4096
	s_waitcnt lgkmcnt(0)
	v_readfirstlane_b32 s73, v2
	s_cmp_gt_i32 s73, 0
	s_cbranch_scc1 .LBB49_42
; %bb.9:                                ;   in Loop: Header=BB49_8 Depth=1
	v_readlane_b32 s6, v50, 22
	v_readlane_b32 s7, v50, 23
	s_and_b64 vcc, exec, s[6:7]
	s_cbranch_vccz .LBB49_24
; %bb.10:                               ;   in Loop: Header=BB49_8 Depth=1
	s_movk_i32 s6, 0x301
	v_cmp_gt_i32_e32 vcc, s6, v3
	s_mov_b64 s[20:21], 0
	s_mov_b64 s[18:19], 0
	s_cbranch_vccz .LBB49_29
; %bb.11:                               ;   in Loop: Header=BB49_8 Depth=1
	v_mov_b32_e32 v2, 0
	s_mov_b64 s[18:19], exec
	v_readlane_b32 s6, v50, 30
	v_readlane_b32 s7, v50, 31
	s_and_b64 s[6:7], s[18:19], s[6:7]
	s_mov_b64 exec, s[6:7]
	s_cbranch_execz .LBB49_13
; %bb.12:                               ;   in Loop: Header=BB49_8 Depth=1
	global_load_dword v2, v[10:11], off
.LBB49_13:                              ;   in Loop: Header=BB49_8 Depth=1
	s_or_b64 exec, exec, s[18:19]
	s_mov_b64 s[22:23], exec
	v_readlane_b32 s6, v50, 30
	v_readlane_b32 s7, v50, 31
	s_and_b64 s[6:7], s[22:23], s[6:7]
	s_mov_b64 exec, s[6:7]
	s_cbranch_execz .LBB49_25
; %bb.14:                               ;   in Loop: Header=BB49_8 Depth=1
	v_readlane_b32 s6, v50, 26
	v_readlane_b32 s7, v50, 27
	s_mov_b64 s[24:25], 0
	s_nop 3
	global_load_ushort v3, v9, s[6:7]
	s_waitcnt vmcnt(0)
	v_add_u32_e32 v5, v0, v3
	v_mul_lo_u32 v4, s63, v3
	v_mul_lo_u32 v8, s63, v5
	v_mov_b32_e32 v5, v0
	s_branch .LBB49_16
.LBB49_15:                              ;   in Loop: Header=BB49_16 Depth=2
	s_or_b64 exec, exec, s[18:19]
	v_cmp_le_i32_e32 vcc, s60, v5
	v_add_u32_e32 v8, v8, v4
	s_or_b64 s[24:25], vcc, s[24:25]
	s_waitcnt vmcnt(0)
	v_mov_b32_e32 v2, v17
	s_andn2_b64 exec, exec, s[24:25]
	s_cbranch_execz .LBB49_25
.LBB49_16:                              ;   Parent Loop BB49_8 Depth=1
                                        ; =>  This Inner Loop Header: Depth=2
	v_add_u32_e32 v5, v5, v3
	v_cmp_gt_u32_e32 vcc, s60, v5
	s_waitcnt lgkmcnt(0)
	v_mov_b32_e32 v18, 0
	v_mov_b32_e32 v17, 0
	s_and_saveexec_b64 s[18:19], vcc
	s_cbranch_execz .LBB49_18
; %bb.17:                               ;   in Loop: Header=BB49_16 Depth=2
	v_lshlrev_b64 v[20:21], 2, v[8:9]
	v_add_co_u32_e32 v20, vcc, s62, v20
	v_addc_co_u32_e32 v21, vcc, v7, v21, vcc
	global_load_dword v17, v[20:21], off
.LBB49_18:                              ;   in Loop: Header=BB49_16 Depth=2
	s_or_b64 exec, exec, s[18:19]
	v_cmp_lt_i32_e32 vcc, -1, v2
	v_cndmask_b32_e32 v20, -1, v36, vcc
	v_xor_b32_e32 v20, v20, v2
	v_cmp_o_f32_e32 vcc, v2, v2
	v_cndmask_b32_e32 v20, -1, v20, vcc
	v_and_b32_e32 v20, s76, v20
	v_cmp_eq_u32_e32 vcc, s77, v20
	s_cmp_lg_u64 vcc, 0
	s_cselect_b64 s[6:7], -1, 0
	s_and_b64 s[6:7], s[2:3], s[6:7]
	s_and_saveexec_b64 s[26:27], s[6:7]
	s_cbranch_execz .LBB49_22
; %bb.19:                               ;   in Loop: Header=BB49_16 Depth=2
	s_mov_b64 s[30:31], exec
	v_mbcnt_lo_u32_b32 v18, s30, 0
	v_mbcnt_hi_u32_b32 v18, s31, v18
	s_bcnt1_i32_b64 s6, vcc
	v_cmp_eq_u32_e64 s[18:19], 0, v18
                                        ; implicit-def: $vgpr20
	s_and_saveexec_b64 s[28:29], s[18:19]
	s_cbranch_execz .LBB49_21
; %bb.20:                               ;   in Loop: Header=BB49_16 Depth=2
	s_bcnt1_i32_b64 s7, s[30:31]
	s_mul_i32 s7, s6, s7
	v_mov_b32_e32 v20, s7
	ds_add_rtn_u32 v20, v9, v20 offset:4104
.LBB49_21:                              ;   in Loop: Header=BB49_16 Depth=2
	s_or_b64 exec, exec, s[28:29]
	s_waitcnt lgkmcnt(0)
	v_readfirstlane_b32 s7, v20
	v_mov_b32_e32 v20, s7
	v_mad_u32_u24 v18, s6, v18, v20
.LBB49_22:                              ;   in Loop: Header=BB49_16 Depth=2
	s_or_b64 exec, exec, s[26:27]
	ds_bpermute_b32 v18, v27, v18
	s_and_saveexec_b64 s[18:19], vcc
	s_cbranch_execz .LBB49_15
; %bb.23:                               ;   in Loop: Header=BB49_16 Depth=2
	v_and_b32_e32 v21, vcc_lo, v12
	v_and_b32_e32 v20, vcc_hi, v1
	v_bcnt_u32_b32 v21, v21, 0
	v_bcnt_u32_b32 v20, v20, v21
	v_lshlrev_b32_e32 v20, 2, v20
	s_waitcnt lgkmcnt(0)
	v_lshl_add_u32 v18, v18, 2, v20
	ds_write_b32 v18, v2
	s_branch .LBB49_15
.LBB49_24:                              ;   in Loop: Header=BB49_8 Depth=1
	s_mov_b64 s[20:21], -1
	s_mov_b64 s[18:19], 0
	s_branch .LBB49_28
.LBB49_25:                              ;   in Loop: Header=BB49_8 Depth=1
	s_or_b64 exec, exec, s[22:23]
	s_waitcnt lgkmcnt(0)
	s_barrier
	s_mov_b64 s[18:19], exec
	v_readlane_b32 s6, v50, 12
	v_readlane_b32 s7, v50, 13
	s_and_b64 s[6:7], s[18:19], s[6:7]
	s_mov_b64 exec, s[6:7]
	s_cbranch_execz .LBB49_27
; %bb.26:                               ;   in Loop: Header=BB49_8 Depth=1
	s_waitcnt vmcnt(0)
	ds_read_b32 v2, v9 offset:4104
	s_waitcnt lgkmcnt(0)
	ds_write_b32 v9, v2 offset:4096
.LBB49_27:                              ;   in Loop: Header=BB49_8 Depth=1
	s_or_b64 exec, exec, s[18:19]
	s_waitcnt lgkmcnt(0)
	s_barrier
	s_mov_b64 s[18:19], -1
.LBB49_28:                              ;   in Loop: Header=BB49_8 Depth=1
                                        ; implicit-def: $sgpr73
.LBB49_29:                              ;   in Loop: Header=BB49_8 Depth=1
	s_and_b64 vcc, exec, s[20:21]
	s_cbranch_vccz .LBB49_40
; %bb.30:                               ;   in Loop: Header=BB49_8 Depth=1
	s_waitcnt vmcnt(0)
	v_mov_b32_e32 v2, 0
	s_mov_b64 s[18:19], exec
	v_readlane_b32 s6, v50, 30
	v_readlane_b32 s7, v50, 31
	s_and_b64 s[6:7], s[18:19], s[6:7]
	s_mov_b64 exec, s[6:7]
	s_cbranch_execz .LBB49_32
; %bb.31:                               ;   in Loop: Header=BB49_8 Depth=1
	global_load_dword v2, v[10:11], off
.LBB49_32:                              ;   in Loop: Header=BB49_8 Depth=1
	s_or_b64 exec, exec, s[18:19]
	s_mov_b64 s[18:19], exec
	v_readlane_b32 s6, v50, 32
	v_readlane_b32 s7, v50, 33
	s_and_b64 s[6:7], s[18:19], s[6:7]
	s_mov_b64 exec, s[6:7]
	s_cbranch_execz .LBB49_37
; %bb.33:                               ;   in Loop: Header=BB49_8 Depth=1
	v_readlane_b32 s6, v50, 26
	v_readlane_b32 s7, v50, 27
	s_mov_b64 s[20:21], 0
	v_mov_b32_e32 v4, v24
	v_mov_b32_e32 v18, v0
	s_nop 1
	global_load_ushort v3, v9, s[6:7]
	s_waitcnt vmcnt(0)
	v_add_u32_e32 v8, v0, v3
	v_lshlrev_b32_e32 v5, 2, v3
	v_mul_lo_u32 v17, s63, v3
	v_mul_lo_u32 v8, s63, v8
	s_branch .LBB49_35
.LBB49_34:                              ;   in Loop: Header=BB49_35 Depth=2
	s_or_b64 exec, exec, s[22:23]
	v_cmp_le_i32_e32 vcc, s60, v18
	ds_write_b32 v4, v2
	v_add_u32_e32 v4, v4, v5
	v_add_u32_e32 v8, v8, v17
	s_or_b64 s[20:21], vcc, s[20:21]
	s_waitcnt vmcnt(0)
	v_mov_b32_e32 v2, v20
	s_andn2_b64 exec, exec, s[20:21]
	s_cbranch_execz .LBB49_37
.LBB49_35:                              ;   Parent Loop BB49_8 Depth=1
                                        ; =>  This Inner Loop Header: Depth=2
	v_add_u32_e32 v18, v18, v3
	v_cmp_gt_u32_e32 vcc, s60, v18
	v_mov_b32_e32 v20, 0
	s_and_saveexec_b64 s[22:23], vcc
	s_cbranch_execz .LBB49_34
; %bb.36:                               ;   in Loop: Header=BB49_35 Depth=2
	v_lshlrev_b64 v[20:21], 2, v[8:9]
	v_mov_b32_e32 v22, s80
	v_add_co_u32_e32 v20, vcc, s62, v20
	v_addc_co_u32_e32 v21, vcc, v22, v21, vcc
	global_load_dword v20, v[20:21], off
	s_branch .LBB49_34
.LBB49_37:                              ;   in Loop: Header=BB49_8 Depth=1
	s_or_b64 exec, exec, s[18:19]
	s_waitcnt lgkmcnt(0)
	s_barrier
	s_mov_b64 s[18:19], exec
	v_readlane_b32 s6, v50, 12
	v_readlane_b32 s7, v50, 13
	s_and_b64 s[6:7], s[18:19], s[6:7]
	s_mov_b64 exec, s[6:7]
	s_cbranch_execz .LBB49_39
; %bb.38:                               ;   in Loop: Header=BB49_8 Depth=1
	s_waitcnt vmcnt(0)
	v_mov_b32_e32 v2, s60
	ds_write_b32 v9, v2 offset:4096
.LBB49_39:                              ;   in Loop: Header=BB49_8 Depth=1
	s_or_b64 exec, exec, s[18:19]
	s_mov_b64 s[18:19], -1
	s_waitcnt lgkmcnt(0)
	s_barrier
                                        ; implicit-def: $sgpr73
.LBB49_40:                              ;   in Loop: Header=BB49_8 Depth=1
	s_and_b64 vcc, exec, s[18:19]
	s_cbranch_vccz .LBB49_42
; %bb.41:                               ;   in Loop: Header=BB49_8 Depth=1
	s_waitcnt vmcnt(0)
	ds_read_b32 v2, v9 offset:4096
	s_waitcnt lgkmcnt(0)
	v_readfirstlane_b32 s73, v2
.LBB49_42:                              ;   in Loop: Header=BB49_8 Depth=1
	s_cmp_lt_i32 s73, 1
	s_cbranch_scc0 .LBB49_54
; %bb.43:                               ;   in Loop: Header=BB49_8 Depth=1
	s_waitcnt vmcnt(0)
	v_mov_b32_e32 v2, 0
	s_mov_b32 s88, 0
	v_mov_b32_e32 v3, 0
	v_mov_b32_e32 v4, v2
	;; [unrolled: 1-line block ×3, first 2 shown]
	s_mov_b64 s[84:85], exec
	v_readlane_b32 s6, v50, 44
	v_readlane_b32 s7, v50, 45
	s_and_b64 s[6:7], s[84:85], s[6:7]
	s_mov_b64 exec, s[6:7]
	s_cbranch_execz .LBB49_47
; %bb.44:                               ;   in Loop: Header=BB49_8 Depth=1
	s_and_b32 s89, s0, 0xfe
	s_mov_b64 s[86:87], 0
	s_mov_b32 s78, 0
	s_mov_b32 s79, 0
	;; [unrolled: 1-line block ×4, first 2 shown]
	v_mov_b32_e32 v8, v24
.LBB49_45:                              ;   Parent Loop BB49_8 Depth=1
                                        ; =>  This Inner Loop Header: Depth=2
	v_add_u32_e32 v2, s88, v32
	v_ashrrev_i32_e32 v3, 31, v2
	v_add_u32_e32 v4, s88, v29
	v_lshlrev_b64 v[2:3], 2, v[2:3]
	v_mov_b32_e32 v17, s80
	v_ashrrev_i32_e32 v5, 31, v4
	v_add_co_u32_e64 v2, s[18:19], s62, v2
	v_add_u32_e32 v20, s88, v30
	v_lshlrev_b64 v[4:5], 2, v[4:5]
	v_addc_co_u32_e64 v3, s[18:19], v17, v3, s[18:19]
	v_ashrrev_i32_e32 v21, 31, v20
	v_add_co_u32_e64 v4, s[18:19], s62, v4
	v_add_u32_e32 v22, s88, v31
	v_lshlrev_b64 v[20:21], 2, v[20:21]
	v_addc_co_u32_e64 v5, s[18:19], v17, v5, s[18:19]
	v_ashrrev_i32_e32 v23, 31, v22
	v_add_co_u32_e64 v20, s[18:19], s62, v20
	v_lshlrev_b64 v[22:23], 2, v[22:23]
	v_addc_co_u32_e64 v21, s[18:19], v17, v21, s[18:19]
	v_add_co_u32_e64 v22, s[18:19], s62, v22
	v_addc_co_u32_e64 v23, s[18:19], v17, v23, s[18:19]
	global_load_dword v2, v[2:3], off
	s_nop 0
	global_load_dword v3, v[4:5], off
	s_nop 0
	global_load_dword v4, v[20:21], off
	global_load_dword v5, v[22:23], off
	v_add_u32_e32 v8, s82, v8
	s_add_i32 s88, s88, s83
	v_cmp_le_i32_e32 vcc, s9, v8
	s_waitcnt vmcnt(3)
	v_cmp_lt_i32_e64 s[18:19], -1, v2
	v_cndmask_b32_e64 v17, -1, v36, s[18:19]
	s_waitcnt vmcnt(2)
	v_cmp_lt_i32_e64 s[18:19], -1, v3
	v_cndmask_b32_e64 v18, -1, v36, s[18:19]
	;; [unrolled: 3-line block ×4, first 2 shown]
	v_xor_b32_e32 v18, v18, v3
	v_cmp_o_f32_e64 s[18:19], v3, v3
	v_xor_b32_e32 v3, v20, v4
	v_cmp_o_f32_e64 s[20:21], v4, v4
	;; [unrolled: 2-line block ×4, first 2 shown]
	v_cndmask_b32_e64 v2, -1, v5, s[24:25]
	v_cndmask_b32_e64 v5, -1, v18, s[18:19]
	v_and_b32_e32 v17, s76, v2
	v_bfe_u32 v2, v2, s89, 2
	v_cndmask_b32_e64 v3, -1, v3, s[20:21]
	v_and_b32_e32 v18, s76, v5
	v_bfe_u32 v5, v5, s89, 2
	v_cmp_eq_u32_e64 s[18:19], s77, v17
	v_cmp_eq_u32_e64 s[26:27], 0, v2
	v_cndmask_b32_e64 v4, -1, v4, s[22:23]
	v_and_b32_e32 v20, s76, v3
	v_bfe_u32 v3, v3, s89, 2
	v_cmp_eq_u32_e64 s[20:21], s77, v18
	v_cmp_eq_u32_e64 s[28:29], 0, v5
	s_and_b64 s[10:11], s[18:19], s[26:27]
	v_and_b32_e32 v21, s76, v4
	v_bfe_u32 v4, v4, s89, 2
	v_cmp_eq_u32_e64 s[22:23], s77, v20
	v_cmp_eq_u32_e64 s[30:31], 0, v3
	;; [unrolled: 1-line block ×5, first 2 shown]
	v_cndmask_b32_e64 v2, 0, 1, s[10:11]
	s_and_b64 s[10:11], s[20:21], s[28:29]
	v_cmp_eq_u32_e64 s[24:25], s77, v21
	v_cmp_eq_u32_e64 s[34:35], 0, v4
	;; [unrolled: 1-line block ×5, first 2 shown]
	v_cndmask_b32_e64 v3, 0, 1, s[10:11]
	s_and_b64 s[10:11], s[22:23], s[30:31]
	v_cmp_eq_u32_e64 s[42:43], 1, v4
	v_cmp_eq_u32_e64 s[50:51], 2, v4
	;; [unrolled: 1-line block ×3, first 2 shown]
	v_cndmask_b32_e64 v4, 0, 1, s[10:11]
	s_and_b64 s[10:11], s[24:25], s[34:35]
	v_cmp_eq_u32_e64 s[38:39], 1, v5
	v_cmp_eq_u32_e64 s[46:47], 2, v5
	;; [unrolled: 1-line block ×3, first 2 shown]
	v_cndmask_b32_e64 v5, 0, 1, s[10:11]
	s_and_b64 s[10:11], s[18:19], s[36:37]
	v_cndmask_b32_e64 v17, 0, 1, s[10:11]
	s_and_b64 s[10:11], s[20:21], s[38:39]
	;; [unrolled: 2-line block ×12, first 2 shown]
	v_cmp_ne_u32_e64 s[18:19], 0, v2
	v_cmp_ne_u32_e64 s[20:21], 0, v3
	;; [unrolled: 1-line block ×7, first 2 shown]
	v_cndmask_b32_e64 v43, 0, 1, s[10:11]
	v_cmp_ne_u32_e64 s[38:39], 0, v23
	v_cmp_ne_u32_e64 s[46:47], 0, v41
	s_bcnt1_i32_b64 s10, s[18:19]
	s_bcnt1_i32_b64 s11, s[20:21]
	;; [unrolled: 1-line block ×7, first 2 shown]
	v_cmp_ne_u32_e64 s[22:23], 0, v4
	v_cmp_ne_u32_e64 s[30:31], 0, v20
	;; [unrolled: 1-line block ×4, first 2 shown]
	s_bcnt1_i32_b64 s25, s[38:39]
	s_bcnt1_i32_b64 s29, s[46:47]
	s_add_i32 s7, s7, s10
	s_add_i32 s6, s6, s20
	;; [unrolled: 1-line block ×4, first 2 shown]
	v_cmp_ne_u32_e64 s[34:35], 0, v21
	v_cmp_ne_u32_e64 s[42:43], 0, v39
	;; [unrolled: 1-line block ×3, first 2 shown]
	s_bcnt1_i32_b64 s18, s[22:23]
	s_bcnt1_i32_b64 s22, s[30:31]
	;; [unrolled: 1-line block ×4, first 2 shown]
	s_add_i32 s7, s7, s11
	s_add_i32 s6, s6, s21
	;; [unrolled: 1-line block ×4, first 2 shown]
	s_bcnt1_i32_b64 s23, s[34:35]
	s_bcnt1_i32_b64 s27, s[42:43]
	;; [unrolled: 1-line block ×3, first 2 shown]
	s_add_i32 s7, s7, s18
	s_add_i32 s6, s6, s22
	;; [unrolled: 1-line block ×8, first 2 shown]
	s_or_b64 s[86:87], vcc, s[86:87]
	v_mov_b32_e32 v2, s7
	v_mov_b32_e32 v3, s6
	;; [unrolled: 1-line block ×4, first 2 shown]
	s_andn2_b64 exec, exec, s[86:87]
	s_cbranch_execnz .LBB49_45
; %bb.46:                               ;   in Loop: Header=BB49_8 Depth=1
	s_or_b64 exec, exec, s[86:87]
.LBB49_47:                              ;   in Loop: Header=BB49_8 Depth=1
	s_or_b64 exec, exec, s[84:85]
	v_mov_b32_e32 v17, 0
	s_and_saveexec_b64 s[18:19], s[12:13]
	s_cbranch_execz .LBB49_49
; %bb.48:                               ;   in Loop: Header=BB49_8 Depth=1
	global_load_dword v17, v[14:15], off
.LBB49_49:                              ;   in Loop: Header=BB49_8 Depth=1
	s_or_b64 exec, exec, s[18:19]
	s_mov_b64 s[20:21], 0
	s_mov_b64 s[84:85], 0
	s_and_saveexec_b64 s[22:23], s[14:15]
	s_cbranch_execz .LBB49_56
; %bb.50:                               ;   in Loop: Header=BB49_8 Depth=1
	s_and_b32 s6, s0, 0xfe
	s_mov_b64 s[24:25], 0
	v_mov_b32_e32 v20, v33
	v_mov_b32_e32 v8, v28
	s_branch .LBB49_52
.LBB49_51:                              ;   in Loop: Header=BB49_52 Depth=2
	s_or_b64 exec, exec, s[18:19]
	s_waitcnt vmcnt(0)
	v_cmp_lt_i32_e32 vcc, -1, v17
	v_cndmask_b32_e32 v21, -1, v36, vcc
	v_xor_b32_e32 v21, v21, v17
	v_cmp_o_f32_e32 vcc, v17, v17
	v_cndmask_b32_e32 v17, -1, v21, vcc
	v_and_b32_e32 v21, s76, v17
	v_bfe_u32 v17, v17, s6, 2
	v_cmp_eq_u32_e32 vcc, s77, v21
	v_cmp_eq_u32_e64 s[18:19], 0, v17
	s_and_b64 s[10:11], vcc, s[18:19]
	v_cndmask_b32_e64 v21, 0, 1, s[10:11]
	v_cmp_ne_u32_e64 s[18:19], 0, v21
	s_bcnt1_i32_b64 s7, s[18:19]
	v_cmp_eq_u32_e64 s[18:19], 1, v17
	s_and_b64 s[10:11], vcc, s[18:19]
	v_cndmask_b32_e64 v21, 0, 1, s[10:11]
	v_cmp_ne_u32_e64 s[18:19], 0, v21
	v_add_u32_e32 v2, s7, v2
	s_bcnt1_i32_b64 s7, s[18:19]
	v_cmp_eq_u32_e64 s[18:19], 2, v17
	s_and_b64 s[10:11], vcc, s[18:19]
	v_cndmask_b32_e64 v21, 0, 1, s[10:11]
	v_cmp_ne_u32_e64 s[18:19], 0, v21
	v_add_u32_e32 v3, s7, v3
	s_bcnt1_i32_b64 s7, s[18:19]
	v_cmp_eq_u32_e64 s[18:19], 3, v17
	s_and_b64 s[10:11], vcc, s[18:19]
	v_cndmask_b32_e64 v17, 0, 1, s[10:11]
	v_cmp_ne_u32_e32 vcc, 0, v17
	v_add_u32_e32 v4, s7, v4
	s_bcnt1_i32_b64 s7, vcc
	v_cmp_le_i32_e32 vcc, s60, v8
	v_add_u32_e32 v5, s7, v5
	v_add_u32_e32 v20, s81, v20
	s_or_b64 s[24:25], vcc, s[24:25]
	v_mov_b32_e32 v17, v18
	s_andn2_b64 exec, exec, s[24:25]
	s_cbranch_execz .LBB49_55
.LBB49_52:                              ;   Parent Loop BB49_8 Depth=1
                                        ; =>  This Inner Loop Header: Depth=2
	v_add_u32_e32 v8, s33, v8
	v_cmp_gt_u32_e32 vcc, s60, v8
	v_mov_b32_e32 v18, 0
	s_and_saveexec_b64 s[18:19], vcc
	s_cbranch_execz .LBB49_51
; %bb.53:                               ;   in Loop: Header=BB49_52 Depth=2
	v_ashrrev_i32_e32 v21, 31, v20
	v_lshlrev_b64 v[22:23], 2, v[20:21]
	v_mov_b32_e32 v18, s80
	v_add_co_u32_e32 v22, vcc, s62, v22
	v_addc_co_u32_e32 v23, vcc, v18, v23, vcc
	global_load_dword v18, v[22:23], off
	s_branch .LBB49_51
.LBB49_54:                              ;   in Loop: Header=BB49_8 Depth=1
	s_mov_b64 s[84:85], 0
                                        ; implicit-def: $vgpr5
	s_cbranch_execnz .LBB49_57
	s_branch .LBB49_66
.LBB49_55:                              ;   in Loop: Header=BB49_8 Depth=1
	s_or_b64 exec, exec, s[24:25]
	s_mov_b64 s[84:85], exec
.LBB49_56:                              ;   in Loop: Header=BB49_8 Depth=1
	s_or_b64 exec, exec, s[22:23]
	s_and_b64 vcc, exec, s[20:21]
	s_cbranch_vccz .LBB49_66
.LBB49_57:                              ;   in Loop: Header=BB49_8 Depth=1
	s_mul_hi_u32 s6, s73, s8
	s_mul_i32 s6, s6, s82
	s_sub_i32 s6, s73, s6
	s_sub_i32 s7, s6, s82
	s_cmp_ge_u32 s6, s82
	s_cselect_b32 s6, s7, s6
	s_sub_i32 s7, s6, s82
	s_cmp_ge_u32 s6, s82
	s_cselect_b32 s6, s7, s6
	s_sub_i32 s6, s73, s6
	v_cmp_gt_u32_e32 vcc, s6, v24
	s_mov_b32 s78, 0
	s_waitcnt vmcnt(0)
	v_mov_b32_e32 v2, 0
	v_mov_b32_e32 v3, 0
	v_mov_b32_e32 v4, 0
	v_mov_b32_e32 v5, 0
	s_and_saveexec_b64 s[86:87], vcc
	s_cbranch_execz .LBB49_61
; %bb.58:                               ;   in Loop: Header=BB49_8 Depth=1
	s_and_b32 s7, s0, 0xfe
	s_mov_b64 s[88:89], 0
	v_mov_b32_e32 v8, v34
	s_mov_b32 s79, 0
	s_mov_b32 s10, 0
	;; [unrolled: 1-line block ×3, first 2 shown]
	v_mov_b32_e32 v17, v24
.LBB49_59:                              ;   Parent Loop BB49_8 Depth=1
                                        ; =>  This Inner Loop Header: Depth=2
	ds_read_b128 v[2:5], v8
	v_add_u32_e32 v17, s82, v17
	v_cmp_le_i32_e32 vcc, s6, v17
	v_add_u32_e32 v8, s16, v8
	s_waitcnt lgkmcnt(0)
	v_cmp_lt_i32_e64 s[18:19], -1, v2
	v_cndmask_b32_e64 v18, -1, v36, s[18:19]
	v_cmp_lt_i32_e64 s[18:19], -1, v3
	v_cndmask_b32_e64 v20, -1, v36, s[18:19]
	;; [unrolled: 2-line block ×4, first 2 shown]
	v_xor_b32_e32 v20, v20, v3
	v_cmp_o_f32_e64 s[18:19], v3, v3
	v_xor_b32_e32 v3, v21, v4
	v_cmp_o_f32_e64 s[20:21], v4, v4
	;; [unrolled: 2-line block ×4, first 2 shown]
	v_cndmask_b32_e64 v2, -1, v5, s[24:25]
	v_cndmask_b32_e64 v5, -1, v20, s[18:19]
	v_and_b32_e32 v18, s76, v2
	v_bfe_u32 v2, v2, s7, 2
	v_cndmask_b32_e64 v3, -1, v3, s[20:21]
	v_and_b32_e32 v20, s76, v5
	v_bfe_u32 v5, v5, s7, 2
	v_cmp_eq_u32_e64 s[18:19], s77, v18
	v_cmp_eq_u32_e64 s[26:27], 0, v2
	v_cndmask_b32_e64 v4, -1, v4, s[22:23]
	v_and_b32_e32 v21, s76, v3
	v_bfe_u32 v3, v3, s7, 2
	v_cmp_eq_u32_e64 s[20:21], s77, v20
	v_cmp_eq_u32_e64 s[28:29], 0, v5
	s_and_b64 s[26:27], s[18:19], s[26:27]
	v_and_b32_e32 v22, s76, v4
	v_bfe_u32 v4, v4, s7, 2
	v_cmp_eq_u32_e64 s[22:23], s77, v21
	v_cmp_eq_u32_e64 s[30:31], 0, v3
	;; [unrolled: 1-line block ×5, first 2 shown]
	v_cndmask_b32_e64 v2, 0, 1, s[26:27]
	s_and_b64 s[26:27], s[20:21], s[28:29]
	v_cmp_eq_u32_e64 s[24:25], s77, v22
	v_cmp_eq_u32_e64 s[34:35], 0, v4
	;; [unrolled: 1-line block ×5, first 2 shown]
	v_cndmask_b32_e64 v3, 0, 1, s[26:27]
	s_and_b64 s[26:27], s[22:23], s[30:31]
	v_cmp_eq_u32_e64 s[42:43], 1, v4
	v_cmp_eq_u32_e64 s[50:51], 2, v4
	;; [unrolled: 1-line block ×3, first 2 shown]
	v_cndmask_b32_e64 v4, 0, 1, s[26:27]
	s_and_b64 s[26:27], s[24:25], s[34:35]
	v_cmp_eq_u32_e64 s[38:39], 1, v5
	v_cmp_eq_u32_e64 s[46:47], 2, v5
	;; [unrolled: 1-line block ×3, first 2 shown]
	v_cndmask_b32_e64 v5, 0, 1, s[26:27]
	s_and_b64 s[26:27], s[18:19], s[36:37]
	v_cndmask_b32_e64 v18, 0, 1, s[26:27]
	s_and_b64 s[26:27], s[20:21], s[38:39]
	v_cndmask_b32_e64 v20, 0, 1, s[26:27]
	s_and_b64 s[26:27], s[22:23], s[40:41]
	v_cndmask_b32_e64 v21, 0, 1, s[26:27]
	s_and_b64 s[26:27], s[24:25], s[42:43]
	v_cndmask_b32_e64 v22, 0, 1, s[26:27]
	s_and_b64 s[26:27], s[18:19], s[44:45]
	s_and_b64 s[18:19], s[18:19], s[52:53]
	v_cndmask_b32_e64 v23, 0, 1, s[26:27]
	s_and_b64 s[26:27], s[20:21], s[46:47]
	v_cndmask_b32_e64 v41, 0, 1, s[18:19]
	s_and_b64 s[18:19], s[20:21], s[54:55]
	v_cndmask_b32_e64 v38, 0, 1, s[26:27]
	s_and_b64 s[26:27], s[22:23], s[48:49]
	v_cndmask_b32_e64 v42, 0, 1, s[18:19]
	s_and_b64 s[18:19], s[22:23], s[56:57]
	v_cndmask_b32_e64 v39, 0, 1, s[26:27]
	s_and_b64 s[26:27], s[24:25], s[50:51]
	v_cndmask_b32_e64 v43, 0, 1, s[18:19]
	s_and_b64 s[18:19], s[24:25], s[58:59]
	v_cndmask_b32_e64 v40, 0, 1, s[26:27]
	v_cndmask_b32_e64 v44, 0, 1, s[18:19]
	v_cmp_ne_u32_e64 s[18:19], 0, v2
	v_cmp_ne_u32_e64 s[20:21], 0, v3
	;; [unrolled: 1-line block ×11, first 2 shown]
	s_bcnt1_i32_b64 s18, s[18:19]
	s_bcnt1_i32_b64 s19, s[20:21]
	;; [unrolled: 1-line block ×8, first 2 shown]
	v_cmp_ne_u32_e64 s[34:35], 0, v22
	v_cmp_ne_u32_e64 s[40:41], 0, v39
	;; [unrolled: 1-line block ×3, first 2 shown]
	s_bcnt1_i32_b64 s23, s[28:29]
	s_bcnt1_i32_b64 s27, s[38:39]
	;; [unrolled: 1-line block ×3, first 2 shown]
	s_add_i32 s11, s11, s18
	s_add_i32 s10, s10, s22
	;; [unrolled: 1-line block ×4, first 2 shown]
	v_cmp_ne_u32_e64 s[42:43], 0, v40
	v_cmp_ne_u32_e64 s[50:51], 0, v44
	s_bcnt1_i32_b64 s25, s[34:35]
	s_bcnt1_i32_b64 s28, s[40:41]
	s_bcnt1_i32_b64 s34, s[48:49]
	s_add_i32 s11, s11, s19
	s_add_i32 s10, s10, s23
	;; [unrolled: 1-line block ×4, first 2 shown]
	s_bcnt1_i32_b64 s29, s[42:43]
	s_bcnt1_i32_b64 s35, s[50:51]
	s_add_i32 s11, s11, s20
	s_add_i32 s10, s10, s24
	s_add_i32 s18, s18, s28
	s_add_i32 s19, s19, s34
	s_add_i32 s11, s11, s21
	s_add_i32 s10, s10, s25
	s_add_i32 s79, s18, s29
	s_add_i32 s78, s19, s35
	s_or_b64 s[88:89], vcc, s[88:89]
	v_mov_b32_e32 v2, s11
	v_mov_b32_e32 v3, s10
	;; [unrolled: 1-line block ×4, first 2 shown]
	s_andn2_b64 exec, exec, s[88:89]
	s_cbranch_execnz .LBB49_59
; %bb.60:                               ;   in Loop: Header=BB49_8 Depth=1
	s_or_b64 exec, exec, s[88:89]
.LBB49_61:                              ;   in Loop: Header=BB49_8 Depth=1
	s_or_b64 exec, exec, s[86:87]
	v_add_u32_e32 v8, s6, v0
	v_cmp_gt_i32_e32 vcc, s73, v8
	s_and_saveexec_b64 s[28:29], vcc
	s_cbranch_execz .LBB49_65
; %bb.62:                               ;   in Loop: Header=BB49_8 Depth=1
	s_and_b32 s6, s0, 0xfe
	v_lshlrev_b32_e32 v17, 2, v8
	s_mov_b64 s[30:31], 0
.LBB49_63:                              ;   Parent Loop BB49_8 Depth=1
                                        ; =>  This Inner Loop Header: Depth=2
	ds_read_b32 v18, v17
	v_add_u32_e32 v8, s33, v8
	v_cmp_le_i32_e32 vcc, s73, v8
	v_add_u32_e32 v17, s82, v17
	s_waitcnt lgkmcnt(0)
	v_cmp_lt_i32_e64 s[18:19], -1, v18
	v_cndmask_b32_e64 v20, -1, v36, s[18:19]
	v_xor_b32_e32 v20, v20, v18
	v_cmp_o_f32_e64 s[18:19], v18, v18
	v_cndmask_b32_e64 v18, -1, v20, s[18:19]
	v_and_b32_e32 v20, s76, v18
	v_bfe_u32 v18, v18, s6, 2
	v_cmp_eq_u32_e64 s[18:19], s77, v20
	v_cmp_eq_u32_e64 s[20:21], 0, v18
	;; [unrolled: 1-line block ×3, first 2 shown]
	s_and_b64 s[10:11], s[18:19], s[20:21]
	v_cmp_eq_u32_e64 s[24:25], 2, v18
	v_cmp_eq_u32_e64 s[26:27], 3, v18
	v_cndmask_b32_e64 v18, 0, 1, s[10:11]
	s_and_b64 s[10:11], s[18:19], s[22:23]
	v_cndmask_b32_e64 v20, 0, 1, s[10:11]
	s_and_b64 s[10:11], s[18:19], s[24:25]
	;; [unrolled: 2-line block ×3, first 2 shown]
	v_cndmask_b32_e64 v22, 0, 1, s[10:11]
	v_cmp_ne_u32_e64 s[18:19], 0, v18
	v_cmp_ne_u32_e64 s[20:21], 0, v20
	;; [unrolled: 1-line block ×4, first 2 shown]
	s_bcnt1_i32_b64 s7, s[18:19]
	s_bcnt1_i32_b64 s10, s[20:21]
	;; [unrolled: 1-line block ×4, first 2 shown]
	v_add_u32_e32 v2, s7, v2
	v_add_u32_e32 v3, s10, v3
	v_add_u32_e32 v4, s11, v4
	s_or_b64 s[30:31], vcc, s[30:31]
	v_add_u32_e32 v5, s18, v5
	s_andn2_b64 exec, exec, s[30:31]
	s_cbranch_execnz .LBB49_63
; %bb.64:                               ;   in Loop: Header=BB49_8 Depth=1
	s_or_b64 exec, exec, s[30:31]
	s_or_b64 s[84:85], s[84:85], exec
.LBB49_65:                              ;   in Loop: Header=BB49_8 Depth=1
	s_or_b64 exec, exec, s[28:29]
.LBB49_66:                              ;   in Loop: Header=BB49_8 Depth=1
	s_and_saveexec_b64 s[18:19], s[84:85]
	s_or_b64 exec, exec, s[18:19]
	s_lshl_b32 s6, s1, 6
	s_and_saveexec_b64 s[18:19], s[2:3]
	s_cbranch_execz .LBB49_68
; %bb.67:                               ;   in Loop: Header=BB49_8 Depth=1
	v_or_b32_e32 v8, s6, v26
	v_lshlrev_b32_e32 v8, 2, v8
	s_waitcnt vmcnt(0)
	ds_write_b128 v8, v[2:5] offset:3072
.LBB49_68:                              ;   in Loop: Header=BB49_8 Depth=1
	s_or_b64 exec, exec, s[18:19]
	s_waitcnt lgkmcnt(0)
	s_barrier
	s_and_saveexec_b64 s[18:19], s[74:75]
	s_cbranch_execz .LBB49_82
; %bb.69:                               ;   in Loop: Header=BB49_8 Depth=1
	v_readlane_b32 s10, v50, 24
	v_readlane_b32 s11, v50, 25
	v_add_u32_e32 v4, s6, v13
	s_andn2_b64 vcc, exec, s[10:11]
	s_waitcnt vmcnt(0)
	v_mov_b32_e32 v2, 0
	s_cbranch_vccnz .LBB49_81
; %bb.70:                               ;   in Loop: Header=BB49_8 Depth=1
	v_readlane_b32 s10, v50, 28
	v_readlane_b32 s11, v50, 29
	s_mov_b32 s7, 0
	s_and_b64 vcc, exec, s[10:11]
	v_mov_b32_e32 v2, 0
	s_cbranch_vccz .LBB49_74
; %bb.71:                               ;   in Loop: Header=BB49_8 Depth=1
	v_readlane_b32 s10, v50, 34
	v_readlane_b32 s11, v50, 35
	v_lshl_add_u32 v5, v4, 2, v37
	s_andn2_b64 vcc, exec, s[10:11]
	s_cbranch_vccnz .LBB49_75
; %bb.72:                               ;   in Loop: Header=BB49_8 Depth=1
	s_mov_b32 s21, 1
	s_mov_b32 s20, 0
	v_mov_b32_e32 v2, 0
	v_readlane_b32 s7, v50, 36
	v_mov_b32_e32 v3, 0
.LBB49_73:                              ;   Parent Loop BB49_8 Depth=1
                                        ; =>  This Inner Loop Header: Depth=2
	v_lshl_add_u32 v8, s20, 4, v5
	v_lshl_add_u32 v17, s21, 4, v5
	ds_read2_b32 v[20:21], v8 offset1:8
	ds_read2_b32 v[22:23], v17 offset1:8
	ds_read2_b32 v[38:39], v8 offset0:16 offset1:24
	ds_read2_b32 v[40:41], v17 offset0:16 offset1:24
	;; [unrolled: 1-line block ×6, first 2 shown]
	s_waitcnt lgkmcnt(7)
	v_add3_u32 v2, v20, v2, v21
	s_waitcnt lgkmcnt(6)
	v_add3_u32 v3, v22, v3, v23
	;; [unrolled: 2-line block ×3, first 2 shown]
	v_add3_u32 v2, v38, v2, v39
	s_add_i32 s21, s21, 16
	s_add_i32 s20, s20, 16
	s_add_i32 s7, s7, -8
	s_waitcnt lgkmcnt(3)
	v_add3_u32 v2, v42, v2, v43
	s_waitcnt lgkmcnt(2)
	v_add3_u32 v3, v44, v3, v45
	s_cmp_lg_u32 s7, 0
	s_waitcnt lgkmcnt(0)
	v_add3_u32 v3, v48, v3, v49
	v_add3_u32 v2, v46, v2, v47
	s_cbranch_scc1 .LBB49_73
	s_branch .LBB49_76
.LBB49_74:                              ;   in Loop: Header=BB49_8 Depth=1
	s_cbranch_execnz .LBB49_79
	s_branch .LBB49_81
.LBB49_75:                              ;   in Loop: Header=BB49_8 Depth=1
	s_mov_b32 s73, s72
	v_pk_mov_b32 v[2:3], s[72:73], s[72:73] op_sel:[0,1]
	s_mov_b32 s73, 1
	s_mov_b64 s[20:21], s[72:73]
.LBB49_76:                              ;   in Loop: Header=BB49_8 Depth=1
	v_readlane_b32 s10, v50, 38
	v_readlane_b32 s11, v50, 39
	s_andn2_b64 vcc, exec, s[10:11]
	v_readlane_b32 s7, v50, 37
	s_cbranch_vccnz .LBB49_78
.LBB49_77:                              ;   Parent Loop BB49_8 Depth=1
                                        ; =>  This Inner Loop Header: Depth=2
	v_lshl_add_u32 v8, s20, 4, v5
	v_lshl_add_u32 v17, s21, 4, v5
	ds_read_b32 v17, v17
	ds_read_b32 v8, v8
	s_add_i32 s21, s21, 2
	s_add_i32 s20, s20, 2
	s_add_i32 s7, s7, -1
	s_cmp_lg_u32 s7, 0
	s_waitcnt lgkmcnt(1)
	v_add_u32_e32 v3, v17, v3
	s_waitcnt lgkmcnt(0)
	v_add_u32_e32 v2, v8, v2
	s_cbranch_scc1 .LBB49_77
.LBB49_78:                              ;   in Loop: Header=BB49_8 Depth=1
	v_readlane_b32 s20, v50, 42
	v_add_u32_e32 v2, v2, v3
	v_readlane_b32 s7, v50, 41
	v_readlane_b32 s21, v50, 43
	s_and_b64 vcc, exec, s[20:21]
	s_cbranch_vccz .LBB49_81
.LBB49_79:                              ;   in Loop: Header=BB49_8 Depth=1
	s_lshl_b32 s10, s1, 8
	s_lshl_b32 s11, s7, 4
	s_add_i32 s10, s10, s11
	v_add_u32_e32 v3, s10, v35
	v_readlane_b32 s10, v50, 40
	s_sub_i32 s7, s10, s7
.LBB49_80:                              ;   Parent Loop BB49_8 Depth=1
                                        ; =>  This Inner Loop Header: Depth=2
	ds_read_b32 v5, v3
	s_add_i32 s7, s7, -1
	v_add_u32_e32 v3, 16, v3
	s_cmp_eq_u32 s7, 0
	s_waitcnt lgkmcnt(0)
	v_add_u32_e32 v2, v5, v2
	s_cbranch_scc0 .LBB49_80
.LBB49_81:                              ;   in Loop: Header=BB49_8 Depth=1
	v_lshlrev_b32_e32 v3, 2, v4
	ds_write_b32 v3, v2 offset:3072
.LBB49_82:                              ;   in Loop: Header=BB49_8 Depth=1
	s_or_b64 exec, exec, s[18:19]
	s_lshl_b32 s6, s6, 2
	s_waitcnt vmcnt(0)
	v_mov_b32_e32 v2, s6
	s_waitcnt lgkmcnt(0)
	s_barrier
	ds_read_b128 v[2:5], v2 offset:3072
	s_and_b32 s47, s0, 0xfe
	s_lshl_b32 s55, 3, s47
	s_not_b32 s48, s55
	s_mov_b64 s[22:23], -1
	s_waitcnt lgkmcnt(0)
	v_readfirstlane_b32 s34, v2
	s_cmp_eq_u32 s34, 1
	s_cselect_b64 s[6:7], -1, 0
	s_cmp_eq_u32 s61, 1
	s_cselect_b64 s[10:11], -1, 0
	s_and_b64 s[24:25], s[6:7], s[10:11]
	v_readfirstlane_b32 s38, v3
	v_readfirstlane_b32 s46, v4
	;; [unrolled: 1-line block ×3, first 2 shown]
	s_and_b64 vcc, exec, s[24:25]
	s_cbranch_vccz .LBB49_94
; %bb.83:                               ;   in Loop: Header=BB49_8 Depth=1
	ds_read_b32 v2, v9 offset:4096
	s_waitcnt lgkmcnt(0)
	s_barrier
	v_readfirstlane_b32 s6, v2
	s_and_saveexec_b64 s[18:19], s[4:5]
	s_cbranch_execz .LBB49_85
; %bb.84:                               ;   in Loop: Header=BB49_8 Depth=1
	ds_write_b32 v25, v9
.LBB49_85:                              ;   in Loop: Header=BB49_8 Depth=1
	s_or_b64 exec, exec, s[18:19]
	s_and_b32 s77, s77, s48
	s_or_b32 s76, s76, s55
	s_cmp_lt_i32 s6, 1
	s_waitcnt lgkmcnt(0)
	s_barrier
	s_cbranch_scc0 .LBB49_95
; %bb.86:                               ;   in Loop: Header=BB49_8 Depth=1
	s_mov_b64 s[18:19], 0
                                        ; implicit-def: $vgpr19
	s_mov_b64 s[20:21], exec
	v_readlane_b32 s10, v50, 47
	v_readlane_b32 s11, v50, 48
	s_and_b64 s[10:11], s[20:21], s[10:11]
	s_mov_b64 exec, s[10:11]
	s_cbranch_execz .LBB49_97
; %bb.87:                               ;   in Loop: Header=BB49_8 Depth=1
	s_mov_b64 s[26:27], 0
	v_mov_b32_e32 v2, v6
	v_mov_b32_e32 v4, v0
                                        ; implicit-def: $sgpr28_sgpr29
	s_branch .LBB49_89
.LBB49_88:                              ;   in Loop: Header=BB49_89 Depth=2
	s_or_b64 exec, exec, s[18:19]
	s_waitcnt lgkmcnt(0)
	s_barrier
	ds_read_b64 v[18:19], v9 offset:3072
	v_add_u32_e32 v4, s33, v4
	v_cmp_le_i32_e64 s[18:19], s17, v4
	v_add_u32_e32 v2, s81, v2
	s_waitcnt lgkmcnt(0)
	v_cmp_neq_f32_e32 vcc, 0, v18
	s_or_b64 s[10:11], s[18:19], vcc
	s_and_b64 s[10:11], exec, s[10:11]
	s_or_b64 s[26:27], s[10:11], s[26:27]
	s_andn2_b64 s[10:11], s[28:29], exec
	s_and_b64 s[18:19], vcc, exec
	s_or_b64 s[28:29], s[10:11], s[18:19]
	s_barrier
	s_andn2_b64 exec, exec, s[26:27]
	s_cbranch_execz .LBB49_96
.LBB49_89:                              ;   Parent Loop BB49_8 Depth=1
                                        ; =>  This Inner Loop Header: Depth=2
	v_cmp_gt_i32_e32 vcc, s60, v4
	s_waitcnt vmcnt(0)
	v_mov_b32_e32 v17, 0
	s_and_saveexec_b64 s[30:31], vcc
	s_cbranch_execz .LBB49_91
; %bb.90:                               ;   in Loop: Header=BB49_89 Depth=2
	v_ashrrev_i32_e32 v3, 31, v2
	v_lshlrev_b64 v[18:19], 2, v[2:3]
	v_mov_b32_e32 v3, s80
	v_add_co_u32_e64 v18, s[18:19], s62, v18
	v_addc_co_u32_e64 v19, s[18:19], v3, v19, s[18:19]
	global_load_dword v17, v[18:19], off
.LBB49_91:                              ;   in Loop: Header=BB49_89 Depth=2
	s_or_b64 exec, exec, s[30:31]
	s_and_saveexec_b64 s[18:19], vcc
	s_cbranch_execz .LBB49_88
; %bb.92:                               ;   in Loop: Header=BB49_89 Depth=2
	s_waitcnt vmcnt(0)
	v_cmp_lt_i32_e32 vcc, -1, v17
	v_cndmask_b32_e32 v3, -1, v36, vcc
	v_xor_b32_e32 v3, v3, v17
	v_cmp_o_f32_e32 vcc, v17, v17
	v_cndmask_b32_e32 v3, -1, v3, vcc
	v_and_b32_e32 v3, s76, v3
	v_cmp_eq_u32_e32 vcc, s77, v3
	s_and_b64 exec, exec, vcc
	s_cbranch_execz .LBB49_88
; %bb.93:                               ;   in Loop: Header=BB49_89 Depth=2
	ds_write_b64 v9, v[16:17] offset:3072
	s_branch .LBB49_88
.LBB49_94:                              ;   in Loop: Header=BB49_8 Depth=1
	s_mov_b64 s[18:19], -1
                                        ; implicit-def: $sgpr20_sgpr21
                                        ; implicit-def: $sgpr28_sgpr29
                                        ; implicit-def: $sgpr26_sgpr27
	s_branch .LBB49_108
.LBB49_95:                              ;   in Loop: Header=BB49_8 Depth=1
	s_mov_b64 s[20:21], -1
	s_mov_b64 s[18:19], 0
                                        ; implicit-def: $sgpr26_sgpr27
                                        ; implicit-def: $vgpr19
	s_mov_b64 s[28:29], s[20:21]
	s_cbranch_execnz .LBB49_98
	s_branch .LBB49_108
.LBB49_96:                              ;   in Loop: Header=BB49_8 Depth=1
	s_or_b64 exec, exec, s[26:27]
	s_and_b64 s[18:19], s[28:29], exec
.LBB49_97:                              ;   in Loop: Header=BB49_8 Depth=1
	s_or_b64 exec, exec, s[20:21]
	s_mov_b64 s[26:27], -1
	s_mov_b64 s[20:21], 0
	s_mov_b64 s[28:29], s[20:21]
	s_branch .LBB49_108
.LBB49_98:                              ;   in Loop: Header=BB49_8 Depth=1
	v_readlane_b32 s7, v50, 21
	s_add_i32 s7, s6, s7
	s_abs_i32 s11, s7
	v_readlane_b32 s18, v50, 46
	s_mul_hi_u32 s18, s11, s18
	s_mul_i32 s18, s18, s33
	s_sub_i32 s11, s11, s18
	s_ashr_i32 s10, s7, 31
	s_sub_i32 s18, s11, s33
	s_cmp_ge_u32 s11, s33
	s_cselect_b32 s11, s18, s11
	s_sub_i32 s18, s11, s33
	s_cmp_ge_u32 s11, s33
	s_cselect_b32 s11, s18, s11
	s_xor_b32 s11, s11, s10
	s_sub_i32 s10, s10, s11
	s_add_i32 s7, s7, s10
	v_cmp_gt_i32_e32 vcc, s7, v0
	s_mov_b64 s[18:19], 0
                                        ; implicit-def: $vgpr19
	s_and_saveexec_b64 s[20:21], vcc
	s_cbranch_execz .LBB49_107
; %bb.99:                               ;   in Loop: Header=BB49_8 Depth=1
	s_mov_b64 s[26:27], 0
	v_mov_b32_e32 v2, v24
	v_mov_b32_e32 v3, v0
                                        ; implicit-def: $sgpr28_sgpr29
	s_branch .LBB49_101
.LBB49_100:                             ;   in Loop: Header=BB49_101 Depth=2
	s_or_b64 exec, exec, s[18:19]
	s_waitcnt lgkmcnt(0)
	s_barrier
	ds_read_b64 v[18:19], v9 offset:3072
	v_add_u32_e32 v3, s33, v3
	v_cmp_le_i32_e64 s[18:19], s7, v3
	v_add_u32_e32 v2, s82, v2
	s_waitcnt lgkmcnt(0)
	v_cmp_neq_f32_e32 vcc, 0, v18
	s_or_b64 s[10:11], s[18:19], vcc
	s_and_b64 s[10:11], exec, s[10:11]
	s_or_b64 s[26:27], s[10:11], s[26:27]
	s_andn2_b64 s[10:11], s[28:29], exec
	s_and_b64 s[18:19], vcc, exec
	s_or_b64 s[28:29], s[10:11], s[18:19]
	s_barrier
	s_andn2_b64 exec, exec, s[26:27]
	s_cbranch_execz .LBB49_106
.LBB49_101:                             ;   Parent Loop BB49_8 Depth=1
                                        ; =>  This Inner Loop Header: Depth=2
	v_cmp_gt_i32_e32 vcc, s6, v3
	s_waitcnt vmcnt(0)
	v_mov_b32_e32 v17, 0
	s_and_saveexec_b64 s[18:19], vcc
	s_cbranch_execz .LBB49_103
; %bb.102:                              ;   in Loop: Header=BB49_101 Depth=2
	ds_read_b32 v17, v2
.LBB49_103:                             ;   in Loop: Header=BB49_101 Depth=2
	s_or_b64 exec, exec, s[18:19]
	s_and_saveexec_b64 s[18:19], vcc
	s_cbranch_execz .LBB49_100
; %bb.104:                              ;   in Loop: Header=BB49_101 Depth=2
	s_waitcnt lgkmcnt(0)
	v_cmp_lt_i32_e32 vcc, -1, v17
	v_cndmask_b32_e32 v4, -1, v36, vcc
	v_xor_b32_e32 v4, v4, v17
	v_cmp_o_f32_e32 vcc, v17, v17
	v_cndmask_b32_e32 v4, -1, v4, vcc
	v_and_b32_e32 v4, s76, v4
	v_cmp_eq_u32_e32 vcc, s77, v4
	s_and_b64 exec, exec, vcc
	s_cbranch_execz .LBB49_100
; %bb.105:                              ;   in Loop: Header=BB49_101 Depth=2
	ds_write_b64 v9, v[16:17] offset:3072
	s_branch .LBB49_100
.LBB49_106:                             ;   in Loop: Header=BB49_8 Depth=1
	s_or_b64 exec, exec, s[26:27]
	s_and_b64 s[18:19], s[28:29], exec
.LBB49_107:                             ;   in Loop: Header=BB49_8 Depth=1
	s_or_b64 exec, exec, s[20:21]
	s_mov_b64 s[28:29], -1
	s_mov_b64 s[20:21], 0
	s_mov_b64 s[26:27], 0
.LBB49_108:                             ;   in Loop: Header=BB49_8 Depth=1
	s_andn2_b64 s[6:7], s[70:71], exec
	s_and_b64 s[10:11], s[20:21], exec
	s_or_b64 s[70:71], s[6:7], s[10:11]
	s_andn2_b64 s[6:7], s[68:69], exec
	s_and_b64 s[10:11], s[28:29], exec
	s_or_b64 s[68:69], s[6:7], s[10:11]
	;; [unrolled: 3-line block ×3, first 2 shown]
	s_and_saveexec_b64 s[20:21], s[18:19]
	s_cbranch_execz .LBB49_7
; %bb.109:                              ;   in Loop: Header=BB49_8 Depth=1
	s_xor_b64 s[6:7], s[24:25], -1
	s_mov_b64 s[18:19], 0
	s_andn2_b64 vcc, exec, s[6:7]
	s_mov_b32 s39, 1
	s_cbranch_vccnz .LBB49_120
; %bb.110:                              ;   in Loop: Header=BB49_8 Depth=1
	s_cmp_gt_i32 s61, s34
	s_mov_b64 s[18:19], -1
                                        ; implicit-def: $sgpr57
                                        ; implicit-def: $sgpr6
                                        ; implicit-def: $sgpr7
	s_cbranch_scc1 .LBB49_116
; %bb.111:                              ;   in Loop: Header=BB49_8 Depth=1
	ds_read_b32 v2, v9 offset:4096
	s_waitcnt lgkmcnt(0)
	v_cmp_ne_u32_e32 vcc, 0, v2
	s_cbranch_vccnz .LBB49_115
; %bb.112:                              ;   in Loop: Header=BB49_8 Depth=1
	s_mov_b64 s[18:19], exec
	v_readlane_b32 s6, v50, 12
	v_readlane_b32 s7, v50, 13
	s_and_b64 s[6:7], s[18:19], s[6:7]
	s_mov_b64 exec, s[6:7]
	s_cbranch_execz .LBB49_114
; %bb.113:                              ;   in Loop: Header=BB49_8 Depth=1
	v_mov_b32_e32 v2, s34
	ds_write_b32 v9, v2 offset:4100
.LBB49_114:                             ;   in Loop: Header=BB49_8 Depth=1
	s_or_b64 exec, exec, s[18:19]
	s_waitcnt lgkmcnt(0)
	s_barrier
.LBB49_115:                             ;   in Loop: Header=BB49_8 Depth=1
	s_and_b32 s6, s77, s48
	s_or_b32 s7, s76, s55
	s_mov_b64 s[18:19], 0
	s_mov_b32 s57, 8
.LBB49_116:                             ;   in Loop: Header=BB49_8 Depth=1
	s_andn2_b64 vcc, exec, s[18:19]
	s_cbranch_vccnz .LBB49_118
; %bb.117:                              ;   in Loop: Header=BB49_8 Depth=1
	s_sub_i32 s61, s61, s34
	s_mov_b64 s[18:19], -1
	s_mov_b32 s57, 0
	s_mov_b32 s6, s77
	s_mov_b32 s7, s76
.LBB49_118:                             ;   in Loop: Header=BB49_8 Depth=1
	s_mov_b32 s76, s7
	s_mov_b32 s77, s6
	;; [unrolled: 1-line block ×3, first 2 shown]
	s_mov_b64 s[22:23], -1
	s_and_b64 vcc, exec, s[18:19]
	s_cbranch_vccnz .LBB49_121
.LBB49_119:                             ;   in Loop: Header=BB49_8 Depth=1
	s_mov_b64 s[36:37], -1
                                        ; implicit-def: $sgpr24_sgpr25
                                        ; implicit-def: $sgpr28_sgpr29
                                        ; implicit-def: $sgpr26_sgpr27
	s_and_saveexec_b64 s[6:7], s[36:37]
	s_xor_b64 s[18:19], exec, s[6:7]
	s_cbranch_execz .LBB49_6
	s_branch .LBB49_244
.LBB49_120:                             ;   in Loop: Header=BB49_8 Depth=1
	s_mov_b32 s57, 1
	s_mov_b64 s[22:23], -1
	s_and_b64 vcc, exec, s[18:19]
	s_cbranch_vccz .LBB49_119
.LBB49_121:                             ;   in Loop: Header=BB49_8 Depth=1
	s_cmp_eq_u32 s38, 1
	s_cselect_b64 s[6:7], -1, 0
	s_cmp_eq_u32 s39, 1
	s_cselect_b64 s[10:11], -1, 0
	s_and_b64 s[34:35], s[6:7], s[10:11]
	s_mov_b64 s[18:19], -1
	s_and_b64 vcc, exec, s[34:35]
	s_cbranch_vccz .LBB49_133
; %bb.122:                              ;   in Loop: Header=BB49_8 Depth=1
	ds_read_b32 v2, v9 offset:4096
	s_waitcnt lgkmcnt(0)
	s_barrier
	v_readfirstlane_b32 s6, v2
	s_and_saveexec_b64 s[18:19], s[4:5]
	s_cbranch_execz .LBB49_124
; %bb.123:                              ;   in Loop: Header=BB49_8 Depth=1
	ds_write_b32 v25, v9
.LBB49_124:                             ;   in Loop: Header=BB49_8 Depth=1
	s_or_b64 exec, exec, s[18:19]
	s_lshl_b32 s7, 1, s47
	s_and_b32 s10, s77, s48
	s_or_b32 s77, s10, s7
	s_or_b32 s76, s76, s55
	s_cmp_gt_i32 s6, 0
	s_waitcnt lgkmcnt(0)
	s_barrier
	s_cbranch_scc1 .LBB49_134
; %bb.125:                              ;   in Loop: Header=BB49_8 Depth=1
	s_mov_b64 s[18:19], 0
                                        ; implicit-def: $vgpr19
	s_mov_b64 s[24:25], exec
	v_readlane_b32 s10, v50, 47
	v_readlane_b32 s11, v50, 48
	s_and_b64 s[10:11], s[24:25], s[10:11]
	s_mov_b64 exec, s[10:11]
	s_cbranch_execz .LBB49_136
; %bb.126:                              ;   in Loop: Header=BB49_8 Depth=1
	s_mov_b64 s[26:27], 0
	v_mov_b32_e32 v2, v6
	v_mov_b32_e32 v4, v0
                                        ; implicit-def: $sgpr28_sgpr29
	s_branch .LBB49_128
.LBB49_127:                             ;   in Loop: Header=BB49_128 Depth=2
	s_or_b64 exec, exec, s[18:19]
	s_waitcnt lgkmcnt(0)
	s_barrier
	ds_read_b64 v[18:19], v9 offset:3072
	v_add_u32_e32 v4, s33, v4
	v_cmp_le_i32_e64 s[18:19], s17, v4
	v_add_u32_e32 v2, s81, v2
	s_waitcnt lgkmcnt(0)
	v_cmp_neq_f32_e32 vcc, 0, v18
	s_or_b64 s[10:11], s[18:19], vcc
	s_and_b64 s[10:11], exec, s[10:11]
	s_or_b64 s[26:27], s[10:11], s[26:27]
	s_andn2_b64 s[10:11], s[28:29], exec
	s_and_b64 s[18:19], vcc, exec
	s_or_b64 s[28:29], s[10:11], s[18:19]
	s_barrier
	s_andn2_b64 exec, exec, s[26:27]
	s_cbranch_execz .LBB49_135
.LBB49_128:                             ;   Parent Loop BB49_8 Depth=1
                                        ; =>  This Inner Loop Header: Depth=2
	v_cmp_gt_i32_e32 vcc, s60, v4
	s_waitcnt vmcnt(0)
	v_mov_b32_e32 v17, 0
	s_and_saveexec_b64 s[30:31], vcc
	s_cbranch_execz .LBB49_130
; %bb.129:                              ;   in Loop: Header=BB49_128 Depth=2
	v_ashrrev_i32_e32 v3, 31, v2
	v_lshlrev_b64 v[18:19], 2, v[2:3]
	v_mov_b32_e32 v3, s80
	v_add_co_u32_e64 v18, s[18:19], s62, v18
	v_addc_co_u32_e64 v19, s[18:19], v3, v19, s[18:19]
	global_load_dword v17, v[18:19], off
.LBB49_130:                             ;   in Loop: Header=BB49_128 Depth=2
	s_or_b64 exec, exec, s[30:31]
	s_and_saveexec_b64 s[18:19], vcc
	s_cbranch_execz .LBB49_127
; %bb.131:                              ;   in Loop: Header=BB49_128 Depth=2
	s_waitcnt vmcnt(0)
	v_cmp_lt_i32_e32 vcc, -1, v17
	v_cndmask_b32_e32 v3, -1, v36, vcc
	v_xor_b32_e32 v3, v3, v17
	v_cmp_o_f32_e32 vcc, v17, v17
	v_cndmask_b32_e32 v3, -1, v3, vcc
	v_and_b32_e32 v3, s76, v3
	v_cmp_eq_u32_e32 vcc, s77, v3
	s_and_b64 exec, exec, vcc
	s_cbranch_execz .LBB49_127
; %bb.132:                              ;   in Loop: Header=BB49_128 Depth=2
	ds_write_b64 v9, v[16:17] offset:3072
	s_branch .LBB49_127
.LBB49_133:                             ;   in Loop: Header=BB49_8 Depth=1
                                        ; implicit-def: $sgpr26_sgpr27
                                        ; implicit-def: $sgpr28_sgpr29
                                        ; implicit-def: $sgpr24_sgpr25
	s_branch .LBB49_147
.LBB49_134:                             ;   in Loop: Header=BB49_8 Depth=1
	s_mov_b64 s[26:27], -1
	s_mov_b64 s[18:19], 0
                                        ; implicit-def: $sgpr24_sgpr25
                                        ; implicit-def: $vgpr19
	s_mov_b64 s[28:29], s[26:27]
	s_cbranch_execnz .LBB49_137
	s_branch .LBB49_147
.LBB49_135:                             ;   in Loop: Header=BB49_8 Depth=1
	s_or_b64 exec, exec, s[26:27]
	s_and_b64 s[18:19], s[28:29], exec
.LBB49_136:                             ;   in Loop: Header=BB49_8 Depth=1
	s_or_b64 exec, exec, s[24:25]
	s_mov_b64 s[24:25], -1
	s_mov_b64 s[26:27], 0
	s_mov_b64 s[28:29], s[26:27]
	s_branch .LBB49_147
.LBB49_137:                             ;   in Loop: Header=BB49_8 Depth=1
	v_readlane_b32 s7, v50, 21
	s_add_i32 s7, s6, s7
	s_abs_i32 s11, s7
	v_readlane_b32 s18, v50, 46
	s_mul_hi_u32 s18, s11, s18
	s_mul_i32 s18, s18, s33
	s_sub_i32 s11, s11, s18
	s_ashr_i32 s10, s7, 31
	s_sub_i32 s18, s11, s33
	s_cmp_ge_u32 s11, s33
	s_cselect_b32 s11, s18, s11
	s_sub_i32 s18, s11, s33
	s_cmp_ge_u32 s11, s33
	s_cselect_b32 s11, s18, s11
	s_xor_b32 s11, s11, s10
	s_sub_i32 s10, s10, s11
	s_add_i32 s7, s7, s10
	v_cmp_gt_i32_e32 vcc, s7, v0
	s_mov_b64 s[18:19], 0
                                        ; implicit-def: $vgpr19
	s_and_saveexec_b64 s[24:25], vcc
	s_cbranch_execz .LBB49_146
; %bb.138:                              ;   in Loop: Header=BB49_8 Depth=1
	s_mov_b64 s[26:27], 0
	v_mov_b32_e32 v2, v24
	v_mov_b32_e32 v3, v0
                                        ; implicit-def: $sgpr28_sgpr29
	s_branch .LBB49_140
.LBB49_139:                             ;   in Loop: Header=BB49_140 Depth=2
	s_or_b64 exec, exec, s[18:19]
	s_waitcnt lgkmcnt(0)
	s_barrier
	ds_read_b64 v[18:19], v9 offset:3072
	v_add_u32_e32 v3, s33, v3
	v_cmp_le_i32_e64 s[18:19], s7, v3
	v_add_u32_e32 v2, s82, v2
	s_waitcnt lgkmcnt(0)
	v_cmp_neq_f32_e32 vcc, 0, v18
	s_or_b64 s[10:11], s[18:19], vcc
	s_and_b64 s[10:11], exec, s[10:11]
	s_or_b64 s[26:27], s[10:11], s[26:27]
	s_andn2_b64 s[10:11], s[28:29], exec
	s_and_b64 s[18:19], vcc, exec
	s_or_b64 s[28:29], s[10:11], s[18:19]
	s_barrier
	s_andn2_b64 exec, exec, s[26:27]
	s_cbranch_execz .LBB49_145
.LBB49_140:                             ;   Parent Loop BB49_8 Depth=1
                                        ; =>  This Inner Loop Header: Depth=2
	v_cmp_gt_i32_e32 vcc, s6, v3
	s_waitcnt vmcnt(0)
	v_mov_b32_e32 v17, 0
	s_and_saveexec_b64 s[18:19], vcc
	s_cbranch_execz .LBB49_142
; %bb.141:                              ;   in Loop: Header=BB49_140 Depth=2
	ds_read_b32 v17, v2
.LBB49_142:                             ;   in Loop: Header=BB49_140 Depth=2
	s_or_b64 exec, exec, s[18:19]
	s_and_saveexec_b64 s[18:19], vcc
	s_cbranch_execz .LBB49_139
; %bb.143:                              ;   in Loop: Header=BB49_140 Depth=2
	s_waitcnt lgkmcnt(0)
	v_cmp_lt_i32_e32 vcc, -1, v17
	v_cndmask_b32_e32 v4, -1, v36, vcc
	v_xor_b32_e32 v4, v4, v17
	v_cmp_o_f32_e32 vcc, v17, v17
	v_cndmask_b32_e32 v4, -1, v4, vcc
	v_and_b32_e32 v4, s76, v4
	v_cmp_eq_u32_e32 vcc, s77, v4
	s_and_b64 exec, exec, vcc
	s_cbranch_execz .LBB49_139
; %bb.144:                              ;   in Loop: Header=BB49_140 Depth=2
	ds_write_b64 v9, v[16:17] offset:3072
	s_branch .LBB49_139
.LBB49_145:                             ;   in Loop: Header=BB49_8 Depth=1
	s_or_b64 exec, exec, s[26:27]
	s_and_b64 s[18:19], s[28:29], exec
.LBB49_146:                             ;   in Loop: Header=BB49_8 Depth=1
	s_or_b64 exec, exec, s[24:25]
	s_mov_b64 s[28:29], -1
	s_mov_b64 s[26:27], 0
	s_mov_b64 s[24:25], 0
.LBB49_147:                             ;   in Loop: Header=BB49_8 Depth=1
	s_mov_b64 s[36:37], 0
                                        ; implicit-def: $sgpr57
	s_and_saveexec_b64 s[30:31], s[18:19]
	s_cbranch_execz .LBB49_243
; %bb.148:                              ;   in Loop: Header=BB49_8 Depth=1
	s_xor_b64 s[6:7], s[34:35], -1
	s_mov_b64 s[18:19], 0
	s_andn2_b64 vcc, exec, s[6:7]
	s_mov_b32 s49, 1
	s_cbranch_vccnz .LBB49_159
; %bb.149:                              ;   in Loop: Header=BB49_8 Depth=1
	s_cmp_gt_i32 s39, s38
	s_mov_b64 s[18:19], -1
                                        ; implicit-def: $sgpr57
                                        ; implicit-def: $sgpr6
                                        ; implicit-def: $sgpr7
	s_cbranch_scc1 .LBB49_155
; %bb.150:                              ;   in Loop: Header=BB49_8 Depth=1
	ds_read_b32 v2, v9 offset:4096
	s_waitcnt lgkmcnt(0)
	v_cmp_ne_u32_e32 vcc, 0, v2
	s_cbranch_vccnz .LBB49_154
; %bb.151:                              ;   in Loop: Header=BB49_8 Depth=1
	s_mov_b64 s[18:19], exec
	v_readlane_b32 s6, v50, 12
	v_readlane_b32 s7, v50, 13
	s_and_b64 s[6:7], s[18:19], s[6:7]
	s_mov_b64 exec, s[6:7]
	s_cbranch_execz .LBB49_153
; %bb.152:                              ;   in Loop: Header=BB49_8 Depth=1
	v_mov_b32_e32 v2, s38
	ds_write_b32 v9, v2 offset:4100
.LBB49_153:                             ;   in Loop: Header=BB49_8 Depth=1
	s_or_b64 exec, exec, s[18:19]
	s_waitcnt lgkmcnt(0)
	s_barrier
.LBB49_154:                             ;   in Loop: Header=BB49_8 Depth=1
	s_lshl_b32 s6, 1, s47
	s_and_b32 s7, s77, s48
	s_or_b32 s6, s7, s6
	s_or_b32 s7, s76, s55
	s_mov_b64 s[18:19], 0
	s_mov_b32 s57, 8
.LBB49_155:                             ;   in Loop: Header=BB49_8 Depth=1
	s_andn2_b64 vcc, exec, s[18:19]
	s_cbranch_vccnz .LBB49_157
; %bb.156:                              ;   in Loop: Header=BB49_8 Depth=1
	s_sub_i32 s39, s39, s38
	s_mov_b64 s[18:19], -1
	s_mov_b32 s57, 0
	s_mov_b32 s6, s77
	s_mov_b32 s7, s76
.LBB49_157:                             ;   in Loop: Header=BB49_8 Depth=1
	s_mov_b32 s76, s7
	s_mov_b32 s77, s6
	;; [unrolled: 1-line block ×3, first 2 shown]
	s_andn2_b64 vcc, exec, s[18:19]
	s_mov_b64 s[44:45], -1
	s_cbranch_vccz .LBB49_160
.LBB49_158:                             ;   in Loop: Header=BB49_8 Depth=1
                                        ; implicit-def: $sgpr36_sgpr37
                                        ; implicit-def: $sgpr38_sgpr39
                                        ; implicit-def: $sgpr34_sgpr35
	s_branch .LBB49_242
.LBB49_159:                             ;   in Loop: Header=BB49_8 Depth=1
	s_mov_b32 s57, 1
	s_andn2_b64 vcc, exec, s[18:19]
	s_mov_b64 s[44:45], -1
	s_cbranch_vccnz .LBB49_158
.LBB49_160:                             ;   in Loop: Header=BB49_8 Depth=1
	s_cmp_eq_u32 s46, 1
	s_cselect_b64 s[6:7], -1, 0
	s_cmp_eq_u32 s49, 1
	s_cselect_b64 s[10:11], -1, 0
	s_and_b64 s[42:43], s[6:7], s[10:11]
	s_mov_b64 s[18:19], -1
	s_and_b64 vcc, exec, s[42:43]
	s_cbranch_vccz .LBB49_172
; %bb.161:                              ;   in Loop: Header=BB49_8 Depth=1
	ds_read_b32 v2, v9 offset:4096
	s_waitcnt lgkmcnt(0)
	s_barrier
	v_readfirstlane_b32 s6, v2
	s_and_saveexec_b64 s[18:19], s[4:5]
	s_cbranch_execz .LBB49_163
; %bb.162:                              ;   in Loop: Header=BB49_8 Depth=1
	ds_write_b32 v25, v9
.LBB49_163:                             ;   in Loop: Header=BB49_8 Depth=1
	s_or_b64 exec, exec, s[18:19]
	s_lshl_b32 s7, 2, s47
	s_and_b32 s10, s77, s48
	s_or_b32 s77, s10, s7
	s_or_b32 s76, s76, s55
	s_cmp_gt_i32 s6, 0
	s_waitcnt lgkmcnt(0)
	s_barrier
	s_cbranch_scc1 .LBB49_173
; %bb.164:                              ;   in Loop: Header=BB49_8 Depth=1
	s_mov_b64 s[18:19], 0
                                        ; implicit-def: $vgpr19
	s_mov_b64 s[34:35], exec
	v_readlane_b32 s10, v50, 47
	v_readlane_b32 s11, v50, 48
	s_and_b64 s[10:11], s[34:35], s[10:11]
	s_mov_b64 exec, s[10:11]
	s_cbranch_execz .LBB49_175
; %bb.165:                              ;   in Loop: Header=BB49_8 Depth=1
	v_mov_b32_e32 v2, v6
	v_mov_b32_e32 v4, v0
                                        ; implicit-def: $sgpr38_sgpr39
	s_branch .LBB49_167
.LBB49_166:                             ;   in Loop: Header=BB49_167 Depth=2
	s_or_b64 exec, exec, s[18:19]
	s_waitcnt lgkmcnt(0)
	s_barrier
	ds_read_b64 v[18:19], v9 offset:3072
	v_add_u32_e32 v4, s33, v4
	v_cmp_le_i32_e64 s[18:19], s17, v4
	v_add_u32_e32 v2, s81, v2
	s_waitcnt lgkmcnt(0)
	v_cmp_neq_f32_e32 vcc, 0, v18
	s_or_b64 s[10:11], s[18:19], vcc
	s_and_b64 s[10:11], exec, s[10:11]
	s_or_b64 s[36:37], s[10:11], s[36:37]
	s_andn2_b64 s[10:11], s[38:39], exec
	s_and_b64 s[18:19], vcc, exec
	s_or_b64 s[38:39], s[10:11], s[18:19]
	s_barrier
	s_andn2_b64 exec, exec, s[36:37]
	s_cbranch_execz .LBB49_174
.LBB49_167:                             ;   Parent Loop BB49_8 Depth=1
                                        ; =>  This Inner Loop Header: Depth=2
	v_cmp_gt_i32_e32 vcc, s60, v4
	s_waitcnt vmcnt(0)
	v_mov_b32_e32 v17, 0
	s_and_saveexec_b64 s[40:41], vcc
	s_cbranch_execz .LBB49_169
; %bb.168:                              ;   in Loop: Header=BB49_167 Depth=2
	v_ashrrev_i32_e32 v3, 31, v2
	v_lshlrev_b64 v[18:19], 2, v[2:3]
	v_mov_b32_e32 v3, s80
	v_add_co_u32_e64 v18, s[18:19], s62, v18
	v_addc_co_u32_e64 v19, s[18:19], v3, v19, s[18:19]
	global_load_dword v17, v[18:19], off
.LBB49_169:                             ;   in Loop: Header=BB49_167 Depth=2
	s_or_b64 exec, exec, s[40:41]
	s_and_saveexec_b64 s[18:19], vcc
	s_cbranch_execz .LBB49_166
; %bb.170:                              ;   in Loop: Header=BB49_167 Depth=2
	s_waitcnt vmcnt(0)
	v_cmp_lt_i32_e32 vcc, -1, v17
	v_cndmask_b32_e32 v3, -1, v36, vcc
	v_xor_b32_e32 v3, v3, v17
	v_cmp_o_f32_e32 vcc, v17, v17
	v_cndmask_b32_e32 v3, -1, v3, vcc
	v_and_b32_e32 v3, s76, v3
	v_cmp_eq_u32_e32 vcc, s77, v3
	s_and_b64 exec, exec, vcc
	s_cbranch_execz .LBB49_166
; %bb.171:                              ;   in Loop: Header=BB49_167 Depth=2
	ds_write_b64 v9, v[16:17] offset:3072
	s_branch .LBB49_166
.LBB49_172:                             ;   in Loop: Header=BB49_8 Depth=1
                                        ; implicit-def: $sgpr34_sgpr35
                                        ; implicit-def: $sgpr38_sgpr39
                                        ; implicit-def: $sgpr36_sgpr37
	s_branch .LBB49_186
.LBB49_173:                             ;   in Loop: Header=BB49_8 Depth=1
	s_mov_b64 s[34:35], -1
	s_mov_b64 s[18:19], 0
                                        ; implicit-def: $sgpr36_sgpr37
                                        ; implicit-def: $vgpr19
	s_mov_b64 s[38:39], s[34:35]
	s_cbranch_execnz .LBB49_176
	s_branch .LBB49_186
.LBB49_174:                             ;   in Loop: Header=BB49_8 Depth=1
	s_or_b64 exec, exec, s[36:37]
	s_and_b64 s[18:19], s[38:39], exec
.LBB49_175:                             ;   in Loop: Header=BB49_8 Depth=1
	s_or_b64 exec, exec, s[34:35]
	s_mov_b64 s[36:37], -1
	s_mov_b64 s[34:35], 0
	s_mov_b64 s[38:39], s[34:35]
	s_branch .LBB49_186
.LBB49_176:                             ;   in Loop: Header=BB49_8 Depth=1
	v_readlane_b32 s7, v50, 21
	s_add_i32 s7, s6, s7
	s_abs_i32 s11, s7
	v_readlane_b32 s18, v50, 46
	s_mul_hi_u32 s18, s11, s18
	s_mul_i32 s18, s18, s33
	s_sub_i32 s11, s11, s18
	s_ashr_i32 s10, s7, 31
	s_sub_i32 s18, s11, s33
	s_cmp_ge_u32 s11, s33
	s_cselect_b32 s11, s18, s11
	s_sub_i32 s18, s11, s33
	s_cmp_ge_u32 s11, s33
	s_cselect_b32 s11, s18, s11
	s_xor_b32 s11, s11, s10
	s_sub_i32 s10, s10, s11
	s_add_i32 s7, s7, s10
	v_cmp_gt_i32_e32 vcc, s7, v0
	s_mov_b64 s[18:19], 0
                                        ; implicit-def: $vgpr19
	s_and_saveexec_b64 s[34:35], vcc
	s_cbranch_execz .LBB49_185
; %bb.177:                              ;   in Loop: Header=BB49_8 Depth=1
	s_mov_b64 s[36:37], 0
	v_mov_b32_e32 v2, v24
	v_mov_b32_e32 v3, v0
                                        ; implicit-def: $sgpr38_sgpr39
	s_branch .LBB49_179
.LBB49_178:                             ;   in Loop: Header=BB49_179 Depth=2
	s_or_b64 exec, exec, s[18:19]
	s_waitcnt lgkmcnt(0)
	s_barrier
	ds_read_b64 v[18:19], v9 offset:3072
	v_add_u32_e32 v3, s33, v3
	v_cmp_le_i32_e64 s[18:19], s7, v3
	v_add_u32_e32 v2, s82, v2
	s_waitcnt lgkmcnt(0)
	v_cmp_neq_f32_e32 vcc, 0, v18
	s_or_b64 s[10:11], s[18:19], vcc
	s_and_b64 s[10:11], exec, s[10:11]
	s_or_b64 s[36:37], s[10:11], s[36:37]
	s_andn2_b64 s[10:11], s[38:39], exec
	s_and_b64 s[18:19], vcc, exec
	s_or_b64 s[38:39], s[10:11], s[18:19]
	s_barrier
	s_andn2_b64 exec, exec, s[36:37]
	s_cbranch_execz .LBB49_184
.LBB49_179:                             ;   Parent Loop BB49_8 Depth=1
                                        ; =>  This Inner Loop Header: Depth=2
	v_cmp_gt_i32_e32 vcc, s6, v3
	s_waitcnt vmcnt(0)
	v_mov_b32_e32 v17, 0
	s_and_saveexec_b64 s[18:19], vcc
	s_cbranch_execz .LBB49_181
; %bb.180:                              ;   in Loop: Header=BB49_179 Depth=2
	ds_read_b32 v17, v2
.LBB49_181:                             ;   in Loop: Header=BB49_179 Depth=2
	s_or_b64 exec, exec, s[18:19]
	s_and_saveexec_b64 s[18:19], vcc
	s_cbranch_execz .LBB49_178
; %bb.182:                              ;   in Loop: Header=BB49_179 Depth=2
	s_waitcnt lgkmcnt(0)
	v_cmp_lt_i32_e32 vcc, -1, v17
	v_cndmask_b32_e32 v4, -1, v36, vcc
	v_xor_b32_e32 v4, v4, v17
	v_cmp_o_f32_e32 vcc, v17, v17
	v_cndmask_b32_e32 v4, -1, v4, vcc
	v_and_b32_e32 v4, s76, v4
	v_cmp_eq_u32_e32 vcc, s77, v4
	s_and_b64 exec, exec, vcc
	s_cbranch_execz .LBB49_178
; %bb.183:                              ;   in Loop: Header=BB49_179 Depth=2
	ds_write_b64 v9, v[16:17] offset:3072
	s_branch .LBB49_178
.LBB49_184:                             ;   in Loop: Header=BB49_8 Depth=1
	s_or_b64 exec, exec, s[36:37]
	s_and_b64 s[18:19], s[38:39], exec
.LBB49_185:                             ;   in Loop: Header=BB49_8 Depth=1
	s_or_b64 exec, exec, s[34:35]
	s_mov_b64 s[38:39], -1
	s_mov_b64 s[34:35], 0
	s_mov_b64 s[36:37], 0
.LBB49_186:                             ;   in Loop: Header=BB49_8 Depth=1
	s_mov_b64 s[44:45], 0
                                        ; implicit-def: $sgpr57
	s_and_saveexec_b64 s[40:41], s[18:19]
	s_cbranch_execz .LBB49_241
; %bb.187:                              ;   in Loop: Header=BB49_8 Depth=1
	s_xor_b64 s[6:7], s[42:43], -1
	s_mov_b64 s[18:19], 0
	s_andn2_b64 vcc, exec, s[6:7]
	s_mov_b32 s56, 1
	s_cbranch_vccnz .LBB49_198
; %bb.188:                              ;   in Loop: Header=BB49_8 Depth=1
	s_cmp_gt_i32 s49, s46
	s_mov_b64 s[18:19], -1
                                        ; implicit-def: $sgpr57
                                        ; implicit-def: $sgpr6
                                        ; implicit-def: $sgpr7
	s_cbranch_scc1 .LBB49_194
; %bb.189:                              ;   in Loop: Header=BB49_8 Depth=1
	ds_read_b32 v2, v9 offset:4096
	s_waitcnt lgkmcnt(0)
	v_cmp_ne_u32_e32 vcc, 0, v2
	s_cbranch_vccnz .LBB49_193
; %bb.190:                              ;   in Loop: Header=BB49_8 Depth=1
	s_mov_b64 s[18:19], exec
	v_readlane_b32 s6, v50, 12
	v_readlane_b32 s7, v50, 13
	s_and_b64 s[6:7], s[18:19], s[6:7]
	s_mov_b64 exec, s[6:7]
	s_cbranch_execz .LBB49_192
; %bb.191:                              ;   in Loop: Header=BB49_8 Depth=1
	v_mov_b32_e32 v2, s46
	ds_write_b32 v9, v2 offset:4100
.LBB49_192:                             ;   in Loop: Header=BB49_8 Depth=1
	s_or_b64 exec, exec, s[18:19]
	s_waitcnt lgkmcnt(0)
	s_barrier
.LBB49_193:                             ;   in Loop: Header=BB49_8 Depth=1
	s_lshl_b32 s6, 2, s47
	s_and_b32 s7, s77, s48
	s_or_b32 s6, s7, s6
	s_or_b32 s7, s76, s55
	s_mov_b64 s[18:19], 0
	s_mov_b32 s57, 8
.LBB49_194:                             ;   in Loop: Header=BB49_8 Depth=1
	s_andn2_b64 vcc, exec, s[18:19]
	s_cbranch_vccnz .LBB49_196
; %bb.195:                              ;   in Loop: Header=BB49_8 Depth=1
	s_sub_i32 s49, s49, s46
	s_mov_b64 s[18:19], -1
	s_mov_b32 s57, 0
	s_mov_b32 s6, s77
	;; [unrolled: 1-line block ×3, first 2 shown]
.LBB49_196:                             ;   in Loop: Header=BB49_8 Depth=1
	s_mov_b32 s76, s7
	s_mov_b32 s77, s6
	;; [unrolled: 1-line block ×3, first 2 shown]
	s_andn2_b64 vcc, exec, s[18:19]
	s_mov_b64 s[52:53], -1
	s_cbranch_vccz .LBB49_199
.LBB49_197:                             ;   in Loop: Header=BB49_8 Depth=1
                                        ; implicit-def: $sgpr18_sgpr19
                                        ; implicit-def: $sgpr46_sgpr47
                                        ; implicit-def: $sgpr44_sgpr45
	s_branch .LBB49_240
.LBB49_198:                             ;   in Loop: Header=BB49_8 Depth=1
	s_mov_b32 s57, 1
	s_andn2_b64 vcc, exec, s[18:19]
	s_mov_b64 s[52:53], -1
	s_cbranch_vccnz .LBB49_197
.LBB49_199:                             ;   in Loop: Header=BB49_8 Depth=1
	s_cmp_eq_u32 s54, 1
	s_cselect_b64 s[6:7], -1, 0
	s_cmp_eq_u32 s56, 1
	s_cselect_b64 s[10:11], -1, 0
	s_and_b64 s[42:43], s[6:7], s[10:11]
	s_mov_b64 s[48:49], -1
	s_and_b64 vcc, exec, s[42:43]
	s_cbranch_vccz .LBB49_211
; %bb.200:                              ;   in Loop: Header=BB49_8 Depth=1
	ds_read_b32 v2, v9 offset:4096
	s_waitcnt lgkmcnt(0)
	s_barrier
	v_readfirstlane_b32 s6, v2
	s_and_saveexec_b64 s[18:19], s[4:5]
	s_cbranch_execz .LBB49_202
; %bb.201:                              ;   in Loop: Header=BB49_8 Depth=1
	ds_write_b32 v25, v9
.LBB49_202:                             ;   in Loop: Header=BB49_8 Depth=1
	s_or_b64 exec, exec, s[18:19]
	s_or_b32 s77, s77, s55
	s_or_b32 s76, s76, s55
	s_cmp_gt_i32 s6, 0
	s_waitcnt lgkmcnt(0)
	s_barrier
	s_cbranch_scc1 .LBB49_212
; %bb.203:                              ;   in Loop: Header=BB49_8 Depth=1
	s_mov_b64 s[48:49], 0
                                        ; implicit-def: $vgpr19
	s_mov_b64 s[44:45], exec
	v_readlane_b32 s10, v50, 47
	v_readlane_b32 s11, v50, 48
	s_and_b64 s[10:11], s[44:45], s[10:11]
	s_mov_b64 exec, s[10:11]
	s_cbranch_execz .LBB49_214
; %bb.204:                              ;   in Loop: Header=BB49_8 Depth=1
	s_mov_b64 s[46:47], 0
	v_mov_b32_e32 v2, v6
	v_mov_b32_e32 v4, v0
                                        ; implicit-def: $sgpr48_sgpr49
	s_branch .LBB49_206
.LBB49_205:                             ;   in Loop: Header=BB49_206 Depth=2
	s_or_b64 exec, exec, s[18:19]
	s_waitcnt lgkmcnt(0)
	s_barrier
	ds_read_b64 v[18:19], v9 offset:3072
	v_add_u32_e32 v4, s33, v4
	v_cmp_le_i32_e64 s[18:19], s17, v4
	v_add_u32_e32 v2, s81, v2
	s_waitcnt lgkmcnt(0)
	v_cmp_neq_f32_e32 vcc, 0, v18
	s_or_b64 s[10:11], s[18:19], vcc
	s_and_b64 s[10:11], exec, s[10:11]
	s_or_b64 s[46:47], s[10:11], s[46:47]
	s_andn2_b64 s[10:11], s[48:49], exec
	s_and_b64 s[18:19], vcc, exec
	s_or_b64 s[48:49], s[10:11], s[18:19]
	s_barrier
	s_andn2_b64 exec, exec, s[46:47]
	s_cbranch_execz .LBB49_213
.LBB49_206:                             ;   Parent Loop BB49_8 Depth=1
                                        ; =>  This Inner Loop Header: Depth=2
	v_cmp_gt_i32_e32 vcc, s60, v4
	s_waitcnt vmcnt(0)
	v_mov_b32_e32 v17, 0
	s_and_saveexec_b64 s[50:51], vcc
	s_cbranch_execz .LBB49_208
; %bb.207:                              ;   in Loop: Header=BB49_206 Depth=2
	v_ashrrev_i32_e32 v3, 31, v2
	v_lshlrev_b64 v[18:19], 2, v[2:3]
	v_mov_b32_e32 v3, s80
	v_add_co_u32_e64 v18, s[18:19], s62, v18
	v_addc_co_u32_e64 v19, s[18:19], v3, v19, s[18:19]
	global_load_dword v17, v[18:19], off
.LBB49_208:                             ;   in Loop: Header=BB49_206 Depth=2
	s_or_b64 exec, exec, s[50:51]
	s_and_saveexec_b64 s[18:19], vcc
	s_cbranch_execz .LBB49_205
; %bb.209:                              ;   in Loop: Header=BB49_206 Depth=2
	s_waitcnt vmcnt(0)
	v_cmp_lt_i32_e32 vcc, -1, v17
	v_cndmask_b32_e32 v3, -1, v36, vcc
	v_xor_b32_e32 v3, v3, v17
	v_cmp_o_f32_e32 vcc, v17, v17
	v_cndmask_b32_e32 v3, -1, v3, vcc
	v_and_b32_e32 v3, s76, v3
	v_cmp_eq_u32_e32 vcc, s77, v3
	s_and_b64 exec, exec, vcc
	s_cbranch_execz .LBB49_205
; %bb.210:                              ;   in Loop: Header=BB49_206 Depth=2
	ds_write_b64 v9, v[16:17] offset:3072
	s_branch .LBB49_205
.LBB49_211:                             ;   in Loop: Header=BB49_8 Depth=1
                                        ; implicit-def: $sgpr18_sgpr19
                                        ; implicit-def: $sgpr46_sgpr47
                                        ; implicit-def: $sgpr44_sgpr45
	s_branch .LBB49_225
.LBB49_212:                             ;   in Loop: Header=BB49_8 Depth=1
	s_mov_b64 s[18:19], -1
	s_mov_b64 s[48:49], 0
                                        ; implicit-def: $sgpr44_sgpr45
                                        ; implicit-def: $vgpr19
	s_mov_b64 s[46:47], s[18:19]
	s_cbranch_execnz .LBB49_215
	s_branch .LBB49_225
.LBB49_213:                             ;   in Loop: Header=BB49_8 Depth=1
	s_or_b64 exec, exec, s[46:47]
	s_and_b64 s[48:49], s[48:49], exec
.LBB49_214:                             ;   in Loop: Header=BB49_8 Depth=1
	s_or_b64 exec, exec, s[44:45]
	s_mov_b64 s[44:45], -1
	s_mov_b64 s[18:19], 0
	s_mov_b64 s[46:47], s[18:19]
	s_branch .LBB49_225
.LBB49_215:                             ;   in Loop: Header=BB49_8 Depth=1
	v_readlane_b32 s7, v50, 21
	s_add_i32 s7, s6, s7
	s_abs_i32 s11, s7
	v_readlane_b32 s18, v50, 46
	s_mul_hi_u32 s18, s11, s18
	s_mul_i32 s18, s18, s33
	s_sub_i32 s11, s11, s18
	s_ashr_i32 s10, s7, 31
	s_sub_i32 s18, s11, s33
	s_cmp_ge_u32 s11, s33
	s_cselect_b32 s11, s18, s11
	s_sub_i32 s18, s11, s33
	s_cmp_ge_u32 s11, s33
	s_cselect_b32 s11, s18, s11
	s_xor_b32 s11, s11, s10
	s_sub_i32 s10, s10, s11
	s_add_i32 s7, s7, s10
	v_cmp_gt_i32_e32 vcc, s7, v0
	s_mov_b64 s[48:49], 0
                                        ; implicit-def: $vgpr19
	s_and_saveexec_b64 s[44:45], vcc
	s_cbranch_execz .LBB49_224
; %bb.216:                              ;   in Loop: Header=BB49_8 Depth=1
	s_mov_b64 s[46:47], 0
	v_mov_b32_e32 v2, v24
	v_mov_b32_e32 v3, v0
                                        ; implicit-def: $sgpr48_sgpr49
	s_branch .LBB49_218
.LBB49_217:                             ;   in Loop: Header=BB49_218 Depth=2
	s_or_b64 exec, exec, s[18:19]
	s_waitcnt lgkmcnt(0)
	s_barrier
	ds_read_b64 v[18:19], v9 offset:3072
	v_add_u32_e32 v3, s33, v3
	v_cmp_le_i32_e64 s[18:19], s7, v3
	v_add_u32_e32 v2, s82, v2
	s_waitcnt lgkmcnt(0)
	v_cmp_neq_f32_e32 vcc, 0, v18
	s_or_b64 s[10:11], s[18:19], vcc
	s_and_b64 s[10:11], exec, s[10:11]
	s_or_b64 s[46:47], s[10:11], s[46:47]
	s_andn2_b64 s[10:11], s[48:49], exec
	s_and_b64 s[18:19], vcc, exec
	s_or_b64 s[48:49], s[10:11], s[18:19]
	s_barrier
	s_andn2_b64 exec, exec, s[46:47]
	s_cbranch_execz .LBB49_223
.LBB49_218:                             ;   Parent Loop BB49_8 Depth=1
                                        ; =>  This Inner Loop Header: Depth=2
	v_cmp_gt_i32_e32 vcc, s6, v3
	s_waitcnt vmcnt(0)
	v_mov_b32_e32 v17, 0
	s_and_saveexec_b64 s[18:19], vcc
	s_cbranch_execz .LBB49_220
; %bb.219:                              ;   in Loop: Header=BB49_218 Depth=2
	ds_read_b32 v17, v2
.LBB49_220:                             ;   in Loop: Header=BB49_218 Depth=2
	s_or_b64 exec, exec, s[18:19]
	s_and_saveexec_b64 s[18:19], vcc
	s_cbranch_execz .LBB49_217
; %bb.221:                              ;   in Loop: Header=BB49_218 Depth=2
	s_waitcnt lgkmcnt(0)
	v_cmp_lt_i32_e32 vcc, -1, v17
	v_cndmask_b32_e32 v4, -1, v36, vcc
	v_xor_b32_e32 v4, v4, v17
	v_cmp_o_f32_e32 vcc, v17, v17
	v_cndmask_b32_e32 v4, -1, v4, vcc
	v_and_b32_e32 v4, s76, v4
	v_cmp_eq_u32_e32 vcc, s77, v4
	s_and_b64 exec, exec, vcc
	s_cbranch_execz .LBB49_217
; %bb.222:                              ;   in Loop: Header=BB49_218 Depth=2
	ds_write_b64 v9, v[16:17] offset:3072
	s_branch .LBB49_217
.LBB49_223:                             ;   in Loop: Header=BB49_8 Depth=1
	s_or_b64 exec, exec, s[46:47]
	s_and_b64 s[48:49], s[48:49], exec
.LBB49_224:                             ;   in Loop: Header=BB49_8 Depth=1
	s_or_b64 exec, exec, s[44:45]
	s_mov_b64 s[46:47], -1
	s_mov_b64 s[18:19], 0
	s_mov_b64 s[44:45], 0
.LBB49_225:                             ;   in Loop: Header=BB49_8 Depth=1
	s_mov_b64 s[52:53], 0
                                        ; implicit-def: $sgpr57
	s_and_saveexec_b64 s[50:51], s[48:49]
	s_cbranch_execz .LBB49_239
; %bb.226:                              ;   in Loop: Header=BB49_8 Depth=1
	s_xor_b64 s[6:7], s[42:43], -1
	s_andn2_b64 vcc, exec, s[6:7]
	s_mov_b32 s57, 1
	s_cbranch_vccnz .LBB49_233
; %bb.227:                              ;   in Loop: Header=BB49_8 Depth=1
	s_cmp_gt_i32 s56, s54
	s_cbranch_scc1 .LBB49_234
; %bb.228:                              ;   in Loop: Header=BB49_8 Depth=1
	ds_read_b32 v2, v9 offset:4096
	s_waitcnt lgkmcnt(0)
	v_cmp_ne_u32_e32 vcc, 0, v2
	s_cbranch_vccnz .LBB49_232
; %bb.229:                              ;   in Loop: Header=BB49_8 Depth=1
	s_mov_b64 s[42:43], exec
	v_readlane_b32 s6, v50, 12
	v_readlane_b32 s7, v50, 13
	s_and_b64 s[6:7], s[42:43], s[6:7]
	s_mov_b64 exec, s[6:7]
	s_cbranch_execz .LBB49_231
; %bb.230:                              ;   in Loop: Header=BB49_8 Depth=1
	v_mov_b32_e32 v2, s54
	ds_write_b32 v9, v2 offset:4100
.LBB49_231:                             ;   in Loop: Header=BB49_8 Depth=1
	s_or_b64 exec, exec, s[42:43]
	s_waitcnt lgkmcnt(0)
	s_barrier
.LBB49_232:                             ;   in Loop: Header=BB49_8 Depth=1
	s_or_b32 s6, s77, s55
	s_or_b32 s7, s76, s55
	s_mov_b64 s[42:43], 0
	s_mov_b32 s57, 8
	s_branch .LBB49_235
.LBB49_233:                             ;   in Loop: Header=BB49_8 Depth=1
	s_mov_b32 s56, 1
	s_branch .LBB49_238
.LBB49_234:                             ;   in Loop: Header=BB49_8 Depth=1
	s_mov_b64 s[42:43], -1
                                        ; implicit-def: $sgpr57
                                        ; implicit-def: $sgpr6
                                        ; implicit-def: $sgpr7
.LBB49_235:                             ;   in Loop: Header=BB49_8 Depth=1
	s_andn2_b64 vcc, exec, s[42:43]
	s_cbranch_vccnz .LBB49_237
; %bb.236:                              ;   in Loop: Header=BB49_8 Depth=1
	s_sub_i32 s56, s56, s54
	s_mov_b32 s57, 8
	s_mov_b32 s6, s77
	;; [unrolled: 1-line block ×3, first 2 shown]
.LBB49_237:                             ;   in Loop: Header=BB49_8 Depth=1
	s_mov_b32 s77, s6
	s_mov_b32 s76, s7
.LBB49_238:                             ;   in Loop: Header=BB49_8 Depth=1
	s_mov_b64 s[52:53], exec
.LBB49_239:                             ;   in Loop: Header=BB49_8 Depth=1
	s_or_b64 exec, exec, s[50:51]
.LBB49_240:                             ;   in Loop: Header=BB49_8 Depth=1
	s_andn2_b64 s[6:7], s[34:35], exec
	s_and_b64 s[10:11], s[18:19], exec
	s_or_b64 s[34:35], s[6:7], s[10:11]
	s_andn2_b64 s[6:7], s[38:39], exec
	s_and_b64 s[10:11], s[46:47], exec
	s_or_b64 s[38:39], s[6:7], s[10:11]
	;; [unrolled: 3-line block ×3, first 2 shown]
	s_and_b64 s[44:45], s[52:53], exec
	s_mov_b32 s49, s56
.LBB49_241:                             ;   in Loop: Header=BB49_8 Depth=1
	s_or_b64 exec, exec, s[40:41]
.LBB49_242:                             ;   in Loop: Header=BB49_8 Depth=1
	s_andn2_b64 s[6:7], s[26:27], exec
	s_and_b64 s[10:11], s[34:35], exec
	s_or_b64 s[26:27], s[6:7], s[10:11]
	s_andn2_b64 s[6:7], s[28:29], exec
	s_and_b64 s[10:11], s[38:39], exec
	s_or_b64 s[28:29], s[6:7], s[10:11]
	;; [unrolled: 3-line block ×3, first 2 shown]
	s_and_b64 s[36:37], s[44:45], exec
	s_mov_b32 s39, s49
.LBB49_243:                             ;   in Loop: Header=BB49_8 Depth=1
	s_or_b64 exec, exec, s[30:31]
	s_and_saveexec_b64 s[6:7], s[36:37]
	s_xor_b64 s[18:19], exec, s[6:7]
	s_cbranch_execz .LBB49_6
.LBB49_244:                             ;   in Loop: Header=BB49_8 Depth=1
	s_and_b32 s6, s57, -9
	s_cmp_eq_u32 s6, 0
	s_cbranch_scc1 .LBB49_4
; %bb.245:                              ;   in Loop: Header=BB49_8 Depth=1
	s_mov_b64 s[22:23], -1
                                        ; implicit-def: $sgpr76
                                        ; implicit-def: $sgpr39
                                        ; implicit-def: $sgpr0
                                        ; implicit-def: $sgpr1
	s_mov_b64 s[30:31], -1
	s_branch .LBB49_5
.LBB49_246:
	s_or_b64 exec, exec, s[90:91]
	s_xor_b64 s[6:7], s[64:65], -1
	s_xor_b64 s[0:1], s[92:93], -1
	;; [unrolled: 1-line block ×3, first 2 shown]
	s_mov_b64 s[2:3], 0
	s_and_saveexec_b64 s[4:5], s[0:1]
	s_xor_b64 s[4:5], exec, s[4:5]
	s_cbranch_execnz .LBB49_251
; %bb.247:
	s_andn2_saveexec_b64 s[0:1], s[4:5]
	s_cbranch_execnz .LBB49_271
.LBB49_248:
	s_or_b64 exec, exec, s[0:1]
	s_and_saveexec_b64 s[0:1], s[2:3]
.LBB49_249:
	; divergent unreachable
.LBB49_250:
	s_endpgm
.LBB49_251:
	s_and_saveexec_b64 s[0:1], s[6:7]
	s_xor_b64 s[6:7], exec, s[0:1]
	s_cbranch_execz .LBB49_269
; %bb.252:
	s_and_saveexec_b64 s[0:1], s[8:9]
	s_xor_b64 s[2:3], exec, s[0:1]
; %bb.253:
	v_bfrev_b32_e32 v1, 1
	v_cmp_lt_i32_e32 vcc, -1, v2
	v_cndmask_b32_e64 v1, v1, -1, vcc
	v_xor_b32_e32 v19, v1, v2
; %bb.254:
	s_or_b64 exec, exec, s[2:3]
	s_mov_b64 s[2:3], exec
	v_readlane_b32 s0, v50, 12
	v_readlane_b32 s1, v50, 13
	s_and_b64 s[0:1], s[2:3], s[0:1]
	v_readlane_b32 s20, v50, 20
	v_readlane_b32 s21, v50, 16
	;; [unrolled: 1-line block ×5, first 2 shown]
	s_mov_b64 exec, s[0:1]
	s_cbranch_execz .LBB49_256
; %bb.255:
	v_mov_b32_e32 v1, 0
	v_mov_b32_e32 v2, s60
	ds_write_b32 v1, v2 offset:4108
.LBB49_256:
	s_or_b64 exec, exec, s[2:3]
	v_mov_b32_e32 v1, 0
	s_waitcnt lgkmcnt(0)
	s_barrier
	ds_read_b32 v1, v1 offset:4108
	s_waitcnt lgkmcnt(0)
	v_min_i32_e32 v1, s60, v1
	v_cmp_lt_i32_e32 vcc, v0, v1
	s_and_saveexec_b64 s[8:9], vcc
	s_cbranch_execz .LBB49_266
; %bb.257:
	v_cmp_u_f32_e32 vcc, v19, v19
	s_mov_b64 s[10:11], 0
	v_mov_b32_e32 v3, s80
	s_xor_b64 s[14:15], vcc, -1
                                        ; implicit-def: $sgpr12_sgpr13
                                        ; implicit-def: $sgpr18_sgpr19
                                        ; implicit-def: $sgpr16_sgpr17
	s_branch .LBB49_259
.LBB49_258:                             ;   in Loop: Header=BB49_259 Depth=1
	s_or_b64 exec, exec, s[2:3]
	s_and_b64 s[0:1], exec, s[18:19]
	s_or_b64 s[10:11], s[0:1], s[10:11]
	s_andn2_b64 s[0:1], s[12:13], exec
	s_and_b64 s[2:3], s[16:17], exec
	s_or_b64 s[12:13], s[0:1], s[2:3]
	s_andn2_b64 exec, exec, s[10:11]
	s_cbranch_execz .LBB49_261
.LBB49_259:                             ; =>This Inner Loop Header: Depth=1
	v_ashrrev_i32_e32 v7, 31, v6
	v_lshlrev_b64 v[4:5], 2, v[6:7]
	v_add_co_u32_e32 v4, vcc, s62, v4
	v_addc_co_u32_e32 v5, vcc, v3, v5, vcc
	global_load_dword v4, v[4:5], off
	v_mov_b32_e32 v2, v0
	s_or_b64 s[16:17], s[16:17], exec
	s_or_b64 s[18:19], s[18:19], exec
                                        ; implicit-def: $vgpr0
	s_waitcnt vmcnt(0)
	v_cmp_o_f32_e64 s[2:3], v4, v4
	v_cmp_neq_f32_e32 vcc, v4, v19
	s_or_b64 s[0:1], s[2:3], s[14:15]
	s_and_b64 s[0:1], vcc, s[0:1]
	s_and_saveexec_b64 s[2:3], s[0:1]
	s_cbranch_execz .LBB49_258
; %bb.260:                              ;   in Loop: Header=BB49_259 Depth=1
	v_add_u32_e32 v0, s33, v2
	v_cmp_ge_i32_e32 vcc, v0, v1
	s_andn2_b64 s[0:1], s[18:19], exec
	s_and_b64 s[18:19], vcc, exec
	v_add_u32_e32 v6, s81, v6
	s_andn2_b64 s[16:17], s[16:17], exec
	s_or_b64 s[18:19], s[0:1], s[18:19]
	s_branch .LBB49_258
.LBB49_261:
	s_or_b64 exec, exec, s[10:11]
	s_and_saveexec_b64 s[0:1], s[12:13]
	s_xor_b64 s[0:1], exec, s[0:1]
	s_cbranch_execz .LBB49_266
; %bb.262:
	s_mov_b64 s[2:3], exec
	s_brev_b32 s0, -2
.LBB49_263:                             ; =>This Inner Loop Header: Depth=1
	s_ff1_i32_b64 s1, s[2:3]
	v_readlane_b32 s12, v2, s1
	s_lshl_b64 s[10:11], 1, s1
	s_min_i32 s0, s0, s12
	s_andn2_b64 s[2:3], s[2:3], s[10:11]
	s_cmp_lg_u64 s[2:3], 0
	s_cbranch_scc1 .LBB49_263
; %bb.264:
	v_mbcnt_lo_u32_b32 v0, exec_lo, 0
	v_mbcnt_hi_u32_b32 v0, exec_hi, v0
	v_cmp_eq_u32_e32 vcc, 0, v0
	s_and_saveexec_b64 s[2:3], vcc
	s_xor_b64 s[2:3], exec, s[2:3]
	s_cbranch_execz .LBB49_266
; %bb.265:
	v_mov_b32_e32 v0, 0
	v_mov_b32_e32 v1, s0
	ds_min_i32 v0, v1 offset:4108
.LBB49_266:
	s_or_b64 exec, exec, s[8:9]
	s_waitcnt lgkmcnt(0)
	s_barrier
	s_mov_b64 s[2:3], exec
	v_readlane_b32 s0, v50, 12
	v_readlane_b32 s1, v50, 13
	s_and_b64 s[0:1], s[2:3], s[0:1]
	s_mov_b64 exec, s[0:1]
	s_cbranch_execz .LBB49_268
; %bb.267:
	v_readlane_b32 s10, v50, 8
	v_readlane_b32 s11, v50, 9
	s_mul_i32 s1, s11, s10
	v_readlane_b32 s0, v50, 15
	s_sub_i32 s1, s23, s1
	s_xor_b32 s0, s22, s0
	s_add_i32 s8, s11, 1
	s_sub_i32 s9, s1, s10
	s_cmp_ge_u32 s1, s10
	s_cselect_b32 s8, s8, s11
	s_cselect_b32 s1, s9, s1
	s_add_i32 s9, s8, 1
	s_cmp_ge_u32 s1, s10
	s_cselect_b32 s1, s9, s8
	s_xor_b32 s1, s1, s0
	s_sub_i32 s0, s1, s0
	s_mul_i32 s1, s0, s24
	v_readlane_b32 s8, v50, 6
	s_sub_i32 s1, s20, s1
	v_readlane_b32 s9, v50, 7
	v_readlane_b32 s11, v50, 10
	;; [unrolled: 1-line block ×3, first 2 shown]
	s_mul_i32 s1, s1, s9
	s_mul_i32 s0, s0, s8
	;; [unrolled: 1-line block ×3, first 2 shown]
	s_add_i32 s0, s0, s1
	v_readlane_b32 s1, v50, 17
	s_sub_i32 s8, s23, s8
	s_xor_b32 s1, s22, s1
	s_add_i32 s9, s12, 1
	s_sub_i32 s10, s8, s11
	s_cmp_ge_u32 s8, s11
	s_cselect_b32 s9, s9, s12
	s_cselect_b32 s8, s10, s8
	s_add_i32 s10, s9, 1
	s_cmp_ge_u32 s8, s11
	s_cselect_b32 s8, s10, s9
	s_xor_b32 s8, s8, s1
	s_sub_i32 s1, s8, s1
	s_mul_i32 s8, s1, s21
	v_readlane_b32 s10, v50, 2
	s_sub_i32 s8, s20, s8
	v_readlane_b32 s11, v50, 3
	s_mul_i32 s8, s8, s11
	s_mul_i32 s1, s1, s10
	s_add_i32 s8, s1, s8
	s_ashr_i32 s1, s0, 31
	v_mov_b32_e32 v2, 0
	s_lshl_b64 s[0:1], s[0:1], 2
	v_readlane_b32 s10, v50, 0
	ds_read_b32 v0, v2 offset:4108
	v_readlane_b32 s11, v50, 1
	s_add_u32 s0, s10, s0
	s_addc_u32 s1, s11, s1
	s_ashr_i32 s9, s8, 31
	s_lshl_b64 s[8:9], s[8:9], 3
	v_readlane_b32 s10, v50, 4
	v_readlane_b32 s11, v50, 5
	s_add_u32 s8, s10, s8
	s_addc_u32 s9, s11, s9
	s_waitcnt lgkmcnt(0)
	v_ashrrev_i32_e32 v1, 31, v0
	global_store_dwordx2 v2, v[0:1], s[8:9]
	global_store_dword v2, v19, s[0:1]
.LBB49_268:
	s_or_b64 exec, exec, s[2:3]
.LBB49_269:
	s_or_saveexec_b64 s[0:1], s[6:7]
	s_mov_b64 s[2:3], 0
	s_xor_b64 exec, exec, s[0:1]
	s_cbranch_execnz .LBB49_272
.LBB49_270:
	s_or_b64 exec, exec, s[0:1]
	s_and_b64 s[2:3], s[2:3], exec
	s_andn2_saveexec_b64 s[0:1], s[4:5]
	s_cbranch_execz .LBB49_248
.LBB49_271:
	s_or_b64 s[2:3], s[2:3], exec
	s_trap 2
	s_or_b64 exec, exec, s[0:1]
	s_and_saveexec_b64 s[0:1], s[2:3]
	s_cbranch_execnz .LBB49_249
	s_branch .LBB49_250
.LBB49_272:
	s_mov_b64 s[2:3], exec
	s_trap 2
	s_branch .LBB49_270
	.section	.rodata,"a",@progbits
	.p2align	6, 0x0
	.amdhsa_kernel _ZN2at6native12_GLOBAL__N_114gatherKthValueIfiLi2EEEvNS_4cuda6detail10TensorInfoIKT_T0_EES8_S8_S8_S8_NS5_IS6_S8_EENS5_IlS8_EE
		.amdhsa_group_segment_fixed_size 4112
		.amdhsa_private_segment_fixed_size 0
		.amdhsa_kernarg_size 920
		.amdhsa_user_sgpr_count 6
		.amdhsa_user_sgpr_private_segment_buffer 1
		.amdhsa_user_sgpr_dispatch_ptr 0
		.amdhsa_user_sgpr_queue_ptr 0
		.amdhsa_user_sgpr_kernarg_segment_ptr 1
		.amdhsa_user_sgpr_dispatch_id 0
		.amdhsa_user_sgpr_flat_scratch_init 0
		.amdhsa_user_sgpr_kernarg_preload_length 0
		.amdhsa_user_sgpr_kernarg_preload_offset 0
		.amdhsa_user_sgpr_private_segment_size 0
		.amdhsa_uses_dynamic_stack 0
		.amdhsa_system_sgpr_private_segment_wavefront_offset 0
		.amdhsa_system_sgpr_workgroup_id_x 1
		.amdhsa_system_sgpr_workgroup_id_y 1
		.amdhsa_system_sgpr_workgroup_id_z 1
		.amdhsa_system_sgpr_workgroup_info 0
		.amdhsa_system_vgpr_workitem_id 0
		.amdhsa_next_free_vgpr 51
		.amdhsa_next_free_sgpr 96
		.amdhsa_accum_offset 52
		.amdhsa_reserve_vcc 1
		.amdhsa_reserve_flat_scratch 0
		.amdhsa_float_round_mode_32 0
		.amdhsa_float_round_mode_16_64 0
		.amdhsa_float_denorm_mode_32 3
		.amdhsa_float_denorm_mode_16_64 3
		.amdhsa_dx10_clamp 1
		.amdhsa_ieee_mode 1
		.amdhsa_fp16_overflow 0
		.amdhsa_tg_split 0
		.amdhsa_exception_fp_ieee_invalid_op 0
		.amdhsa_exception_fp_denorm_src 0
		.amdhsa_exception_fp_ieee_div_zero 0
		.amdhsa_exception_fp_ieee_overflow 0
		.amdhsa_exception_fp_ieee_underflow 0
		.amdhsa_exception_fp_ieee_inexact 0
		.amdhsa_exception_int_div_zero 0
	.end_amdhsa_kernel
	.section	.text._ZN2at6native12_GLOBAL__N_114gatherKthValueIfiLi2EEEvNS_4cuda6detail10TensorInfoIKT_T0_EES8_S8_S8_S8_NS5_IS6_S8_EENS5_IlS8_EE,"axG",@progbits,_ZN2at6native12_GLOBAL__N_114gatherKthValueIfiLi2EEEvNS_4cuda6detail10TensorInfoIKT_T0_EES8_S8_S8_S8_NS5_IS6_S8_EENS5_IlS8_EE,comdat
.Lfunc_end49:
	.size	_ZN2at6native12_GLOBAL__N_114gatherKthValueIfiLi2EEEvNS_4cuda6detail10TensorInfoIKT_T0_EES8_S8_S8_S8_NS5_IS6_S8_EENS5_IlS8_EE, .Lfunc_end49-_ZN2at6native12_GLOBAL__N_114gatherKthValueIfiLi2EEEvNS_4cuda6detail10TensorInfoIKT_T0_EES8_S8_S8_S8_NS5_IS6_S8_EENS5_IlS8_EE
                                        ; -- End function
	.section	.AMDGPU.csdata,"",@progbits
; Kernel info:
; codeLenInByte = 10820
; NumSgprs: 100
; NumVgprs: 51
; NumAgprs: 0
; TotalNumVgprs: 51
; ScratchSize: 0
; MemoryBound: 0
; FloatMode: 240
; IeeeMode: 1
; LDSByteSize: 4112 bytes/workgroup (compile time only)
; SGPRBlocks: 12
; VGPRBlocks: 6
; NumSGPRsForWavesPerEU: 100
; NumVGPRsForWavesPerEU: 51
; AccumOffset: 52
; Occupancy: 8
; WaveLimiterHint : 1
; COMPUTE_PGM_RSRC2:SCRATCH_EN: 0
; COMPUTE_PGM_RSRC2:USER_SGPR: 6
; COMPUTE_PGM_RSRC2:TRAP_HANDLER: 0
; COMPUTE_PGM_RSRC2:TGID_X_EN: 1
; COMPUTE_PGM_RSRC2:TGID_Y_EN: 1
; COMPUTE_PGM_RSRC2:TGID_Z_EN: 1
; COMPUTE_PGM_RSRC2:TIDIG_COMP_CNT: 0
; COMPUTE_PGM_RSRC3_GFX90A:ACCUM_OFFSET: 12
; COMPUTE_PGM_RSRC3_GFX90A:TG_SPLIT: 0
	.section	.text._ZN2at6native12_GLOBAL__N_114gatherKthValueIfiLi3EEEvNS_4cuda6detail10TensorInfoIKT_T0_EES8_S8_S8_S8_NS5_IS6_S8_EENS5_IlS8_EE,"axG",@progbits,_ZN2at6native12_GLOBAL__N_114gatherKthValueIfiLi3EEEvNS_4cuda6detail10TensorInfoIKT_T0_EES8_S8_S8_S8_NS5_IS6_S8_EENS5_IlS8_EE,comdat
	.globl	_ZN2at6native12_GLOBAL__N_114gatherKthValueIfiLi3EEEvNS_4cuda6detail10TensorInfoIKT_T0_EES8_S8_S8_S8_NS5_IS6_S8_EENS5_IlS8_EE ; -- Begin function _ZN2at6native12_GLOBAL__N_114gatherKthValueIfiLi3EEEvNS_4cuda6detail10TensorInfoIKT_T0_EES8_S8_S8_S8_NS5_IS6_S8_EENS5_IlS8_EE
	.p2align	8
	.type	_ZN2at6native12_GLOBAL__N_114gatherKthValueIfiLi3EEEvNS_4cuda6detail10TensorInfoIKT_T0_EES8_S8_S8_S8_NS5_IS6_S8_EENS5_IlS8_EE,@function
_ZN2at6native12_GLOBAL__N_114gatherKthValueIfiLi3EEEvNS_4cuda6detail10TensorInfoIKT_T0_EES8_S8_S8_S8_NS5_IS6_S8_EENS5_IlS8_EE: ; @_ZN2at6native12_GLOBAL__N_114gatherKthValueIfiLi3EEEvNS_4cuda6detail10TensorInfoIKT_T0_EES8_S8_S8_S8_NS5_IS6_S8_EENS5_IlS8_EE
; %bb.0:
	s_load_dwordx2 s[14:15], s[4:5], 0x298
	s_load_dwordx4 s[68:71], s[4:5], 0xd8
	s_add_u32 s12, s4, 0x298
	s_addc_u32 s13, s5, 0
	s_waitcnt lgkmcnt(0)
	s_mul_i32 s0, s15, s8
	s_add_i32 s0, s0, s7
	s_mul_i32 s0, s0, s14
	s_add_i32 s23, s0, s6
	s_cmp_ge_i32 s23, s70
	s_cbranch_scc1 .LBB50_250
; %bb.1:
	s_load_dwordx2 s[2:3], s[4:5], 0xc
	s_load_dwordx2 s[24:25], s[4:5], 0xf4
	s_ashr_i32 s8, s23, 31
	s_abs_i32 s9, s23
	s_load_dwordx4 s[28:31], s[4:5], 0x154
	s_waitcnt lgkmcnt(0)
	s_ashr_i32 s0, s3, 31
	s_add_i32 s1, s3, s0
	s_xor_b32 s1, s1, s0
	v_cvt_f32_u32_e32 v1, s1
	s_xor_b32 s7, s8, s0
	s_sub_i32 s0, 0, s1
                                        ; implicit-def: $vgpr50 : SGPR spill to VGPR lane
                                        ; kill: killed $sgpr4 killed $sgpr5
	s_mov_b32 s80, 0
	v_rcp_iflag_f32_e32 v1, v1
	v_writelane_b32 v50, s28, 0
	v_writelane_b32 v50, s29, 1
	;; [unrolled: 1-line block ×3, first 2 shown]
	v_mul_f32_e32 v1, 0x4f7ffffe, v1
	v_cvt_u32_f32_e32 v1, v1
	v_writelane_b32 v50, s31, 3
	v_readfirstlane_b32 s10, v1
	s_mul_i32 s0, s0, s10
	s_mul_hi_u32 s0, s10, s0
	s_add_i32 s10, s10, s0
	s_mul_hi_u32 s0, s9, s10
	s_mul_i32 s10, s0, s1
	s_sub_i32 s10, s9, s10
	s_add_i32 s11, s0, 1
	s_sub_i32 s15, s10, s1
	s_cmp_ge_u32 s10, s1
	s_cselect_b32 s0, s11, s0
	s_cselect_b32 s10, s15, s10
	s_add_i32 s11, s0, 1
	s_cmp_ge_u32 s10, s1
	s_cselect_b32 s10, s11, s0
	s_abs_i32 s0, s2
	s_ashr_i32 s11, s25, 31
	v_cvt_f32_u32_e32 v1, s0
	s_add_i32 s15, s25, s11
	s_xor_b32 s19, s8, s11
	s_xor_b32 s11, s15, s11
	v_cvt_f32_u32_e32 v2, s11
	v_rcp_iflag_f32_e32 v1, v1
	s_xor_b32 s10, s10, s7
	s_sub_i32 s16, 0, s0
	v_rcp_iflag_f32_e32 v2, v2
	v_mul_f32_e32 v1, 0x4f7ffffe, v1
	v_cvt_u32_f32_e32 v1, v1
	s_sub_i32 s7, s10, s7
	v_mul_f32_e32 v2, 0x4f7ffffe, v2
	v_cvt_u32_f32_e32 v2, v2
	v_readfirstlane_b32 s10, v1
	s_mul_i32 s16, s16, s10
	s_mul_hi_u32 s16, s10, s16
	s_add_i32 s20, s10, s16
	s_sub_i32 s10, 0, s11
	v_readfirstlane_b32 s16, v2
	s_mul_i32 s10, s10, s16
	s_mul_hi_u32 s10, s16, s10
	s_add_i32 s16, s16, s10
	s_mul_hi_u32 s10, s9, s16
	s_mul_i32 s16, s10, s11
	s_sub_i32 s16, s9, s16
	s_ashr_i32 s1, s2, 31
	s_ashr_i32 s15, s7, 31
	s_abs_i32 s18, s7
	s_add_i32 s17, s10, 1
	s_sub_i32 s21, s16, s11
	s_cmp_ge_u32 s16, s11
	s_cselect_b32 s10, s17, s10
	s_cselect_b32 s16, s21, s16
	s_add_i32 s17, s10, 1
	s_cmp_ge_u32 s16, s11
	s_cselect_b32 s10, s17, s10
	s_load_dwordx2 s[16:17], s[4:5], 0x0
	s_load_dwordx4 s[28:31], s[4:5], 0x22c
	s_abs_i32 s21, s24
	v_cvt_f32_u32_e32 v1, s21
	s_xor_b32 s10, s10, s19
	s_waitcnt lgkmcnt(0)
	v_writelane_b32 v50, s28, 4
	v_writelane_b32 v50, s29, 5
	;; [unrolled: 1-line block ×4, first 2 shown]
	s_load_dwordx2 s[28:29], s[4:5], 0x1cc
	s_load_dwordx2 s[26:27], s[4:5], 0x1c0
	v_rcp_iflag_f32_e32 v1, v1
	s_waitcnt lgkmcnt(0)
	v_writelane_b32 v50, s26, 8
	v_writelane_b32 v50, s27, 9
	s_sub_i32 s26, s10, s19
	s_ashr_i32 s10, s29, 31
	s_add_i32 s11, s29, s10
	s_xor_b32 s11, s11, s10
	v_cvt_f32_u32_e32 v2, s11
	v_mul_f32_e32 v1, 0x4f7ffffe, v1
	v_cvt_u32_f32_e32 v1, v1
	v_writelane_b32 v50, s21, 10
	v_rcp_iflag_f32_e32 v2, v2
	s_sub_i32 s19, 0, s21
	v_readfirstlane_b32 s21, v1
	s_mul_i32 s19, s19, s21
	v_mul_f32_e32 v1, 0x4f7ffffe, v2
	v_cvt_u32_f32_e32 v1, v1
	s_mul_hi_u32 s19, s21, s19
	s_add_i32 s21, s21, s19
	s_xor_b32 s19, s8, s10
	s_sub_i32 s8, 0, s11
	v_readfirstlane_b32 s10, v1
	s_mul_i32 s8, s8, s10
	s_mul_hi_u32 s8, s10, s8
	s_add_i32 s10, s10, s8
	s_mul_hi_u32 s8, s9, s10
	s_mul_i32 s10, s8, s11
	s_sub_i32 s9, s9, s10
	s_abs_i32 s27, s26
	s_add_i32 s10, s8, 1
	s_sub_i32 s22, s9, s11
	s_cmp_ge_u32 s9, s11
	s_cselect_b32 s8, s10, s8
	s_cselect_b32 s9, s22, s9
	s_add_i32 s10, s8, 1
	s_cmp_ge_u32 s9, s11
	s_cselect_b32 s22, s10, s8
	s_abs_i32 s30, s28
	v_cvt_f32_u32_e32 v1, s30
	s_load_dwordx2 s[8:9], s[4:5], 0xe8
	v_rcp_iflag_f32_e32 v1, v1
	s_waitcnt lgkmcnt(0)
	v_writelane_b32 v50, s8, 11
	v_writelane_b32 v50, s9, 12
	v_mul_f32_e32 v1, 0x4f7ffffe, v1
	v_cvt_u32_f32_e32 v1, v1
	s_load_dwordx4 s[8:11], s[4:5], 0x6c
	v_writelane_b32 v50, s27, 13
	s_mul_hi_u32 s4, s27, s21
	v_writelane_b32 v50, s4, 14
	s_xor_b32 s4, s22, s19
	s_sub_i32 s19, s4, s19
	s_sub_i32 s4, 0, s30
	v_readfirstlane_b32 s5, v1
	s_mul_i32 s4, s4, s5
	s_mul_hi_u32 s4, s5, s4
	s_waitcnt lgkmcnt(0)
	s_mul_hi_u32 s11, s18, s20
	s_abs_i32 s20, s19
	v_writelane_b32 v50, s30, 15
	s_add_i32 s5, s5, s4
	v_writelane_b32 v50, s20, 16
	s_mul_hi_u32 s4, s20, s5
	v_writelane_b32 v50, s4, 17
	v_cmp_eq_u32_e64 s[20:21], 0, v0
	s_mov_b64 s[4:5], exec
	v_writelane_b32 v50, s20, 18
	v_writelane_b32 v50, s21, 19
	s_and_b64 s[20:21], s[4:5], s[20:21]
	s_mov_b64 exec, s[20:21]
	s_cbranch_execz .LBB50_3
; %bb.2:
	v_mov_b32_e32 v2, 0
	v_mov_b32_e32 v3, s68
	v_mov_b32_e32 v4, v2
	ds_write_b96 v2, v[2:4] offset:4096
.LBB50_3:
	s_or_b64 exec, exec, s[4:5]
	v_writelane_b32 v50, s26, 20
	s_ashr_i32 s4, s26, 31
	v_writelane_b32 v50, s4, 21
	v_writelane_b32 v50, s24, 22
	;; [unrolled: 1-line block ×3, first 2 shown]
	s_ashr_i32 s4, s24, 31
	v_writelane_b32 v50, s4, 24
	v_writelane_b32 v50, s19, 25
	s_ashr_i32 s4, s19, 31
	v_writelane_b32 v50, s4, 26
	v_writelane_b32 v50, s28, 27
	;; [unrolled: 1-line block ×3, first 2 shown]
	s_ashr_i32 s4, s28, 31
	v_writelane_b32 v50, s4, 29
	s_mul_i32 s3, s7, s3
	s_mul_i32 s4, s11, s0
	s_sub_i32 s3, s23, s3
	s_sub_i32 s4, s18, s4
	s_mul_i32 s3, s3, s10
	s_xor_b32 s1, s15, s1
	s_add_i32 s5, s11, 1
	s_sub_i32 s10, s4, s0
	s_cmp_ge_u32 s4, s0
	s_cselect_b32 s5, s5, s11
	s_cselect_b32 s4, s10, s4
	s_add_i32 s10, s5, 1
	s_cmp_ge_u32 s4, s0
	s_cselect_b32 s0, s10, s5
	s_xor_b32 s0, s0, s1
	s_sub_i32 s0, s0, s1
	s_mul_i32 s1, s0, s2
	s_sub_i32 s1, s7, s1
	s_mul_i32 s1, s1, s9
	s_add_i32 s1, s1, s3
	s_mul_i32 s0, s0, s8
	s_waitcnt lgkmcnt(0)
	s_barrier
	s_load_dword s2, s[12:13], 0xc
	s_add_i32 s0, s1, s0
	s_ashr_i32 s1, s0, 31
	s_lshl_b64 s[0:1], s[0:1], 2
	s_add_u32 s70, s16, s0
	v_mbcnt_lo_u32_b32 v1, -1, 0
	s_addc_u32 s88, s17, s1
	s_waitcnt lgkmcnt(0)
	s_and_b32 s33, s2, 0xffff
	v_mbcnt_hi_u32_b32 v13, -1, v1
	s_bfe_u32 s7, s2, 0xa0006
	v_cmp_gt_u32_e32 vcc, 64, v0
	v_cmp_gt_i32_e64 s[2:3], 4, v13
	s_add_i32 s0, s33, -1
	s_lshl_b32 s90, s33, 2
	s_and_b64 s[82:83], vcc, s[2:3]
	s_add_i32 s17, s0, s68
	v_writelane_b32 v50, s23, 30
	s_cmpk_gt_i32 s68, 0x300
	v_writelane_b32 v50, s0, 31
	s_cselect_b64 s[0:1], -1, 0
	v_writelane_b32 v50, s0, 32
	s_cmp_gt_u32 s33, 63
	v_writelane_b32 v50, s1, 33
	s_cselect_b64 s[0:1], -1, 0
	v_writelane_b32 v50, s0, 34
	s_cmp_lt_u32 s6, s14
	v_writelane_b32 v50, s1, 35
	s_cselect_b32 s0, 12, 18
	s_add_u32 s0, s12, s0
	s_addc_u32 s1, s13, 0
	v_writelane_b32 v50, s0, 36
	v_writelane_b32 v50, s1, 37
	s_add_i32 s0, s7, -2
	s_lshr_b32 s1, s0, 1
	s_add_i32 s1, s1, 1
	s_cmpk_gt_u32 s33, 0x7f
	v_mov_b32_e32 v9, 0
	s_cselect_b64 s[2:3], -1, 0
	v_writelane_b32 v50, s2, 38
	v_mul_lo_u32 v6, v0, s71
	v_mov_b32_e32 v7, v9
	v_writelane_b32 v50, s3, 39
	v_cmp_gt_u32_e64 s[8:9], s68, v0
	v_lshlrev_b64 v[2:3], 2, v[6:7]
	v_writelane_b32 v50, s8, 40
	v_mov_b32_e32 v7, s88
	v_add_co_u32_e32 v10, vcc, s70, v2
	v_writelane_b32 v50, s9, 41
	v_addc_co_u32_e32 v11, vcc, v7, v3, vcc
	v_cmp_gt_i32_e64 s[8:9], s68, v0
	v_lshlrev_b64 v[2:3], v13, -1
	v_writelane_b32 v50, s8, 42
	v_not_b32_e32 v12, v2
	v_cvt_f32_u32_e32 v2, s90
	v_writelane_b32 v50, s9, 43
	s_and_b32 s6, s7, 0x3fe
	s_and_b32 s8, s1, 7
	s_cmp_gt_u32 s0, 13
	s_cselect_b64 s[10:11], -1, 0
	v_writelane_b32 v50, s10, 44
	v_rcp_iflag_f32_e32 v2, v2
	v_writelane_b32 v50, s11, 45
	s_and_b32 s0, s1, -8
	v_writelane_b32 v50, s0, 46
	s_cmp_lg_u32 s8, 0
	v_writelane_b32 v50, s8, 47
	s_cselect_b64 s[0:1], -1, 0
	v_writelane_b32 v50, s0, 48
	v_mul_f32_e32 v2, 0x4f7ffffe, v2
	v_writelane_b32 v50, s1, 49
	v_cvt_u32_f32_e32 v2, v2
	v_writelane_b32 v50, s7, 50
	s_cmp_lg_u32 s6, s7
	v_writelane_b32 v50, s6, 51
	s_cselect_b64 s[0:1], -1, 0
	v_writelane_b32 v50, s0, 52
	v_writelane_b32 v50, s1, 53
	s_sub_i32 s0, 0, s90
	v_readfirstlane_b32 s1, v2
	s_mul_i32 s0, s0, s1
	s_mul_hi_u32 s0, s1, s0
	s_add_i32 s8, s1, s0
	s_mul_hi_u32 s0, s68, s8
	s_mul_i32 s0, s0, s90
	s_sub_i32 s0, s68, s0
	s_sub_i32 s1, s0, s90
	s_cmp_ge_u32 s0, s90
	s_cselect_b32 s0, s1, s0
	s_sub_i32 s1, s0, s90
	v_cvt_f32_u32_e32 v5, s33
	s_cmp_ge_u32 s0, s90
	s_cselect_b32 s0, s1, s0
	s_sub_i32 s9, s68, s0
	v_add_u32_e32 v28, s9, v0
	v_rcp_iflag_f32_e32 v5, v5
	v_lshrrev_b32_e32 v1, 4, v0
	v_mul_lo_u32 v2, v28, s71
	v_and_b32_e32 v26, 60, v1
	v_not_b32_e32 v1, v3
	v_ashrrev_i32_e32 v3, 31, v2
	v_lshlrev_b64 v[2:3], 2, v[2:3]
	v_add_co_u32_e32 v14, vcc, s70, v2
	v_mul_f32_e32 v2, 0x4f7ffffe, v5
	v_cvt_u32_f32_e32 v2, v2
	v_lshlrev_b32_e32 v24, 2, v0
	v_cmp_gt_i32_e64 s[6:7], s9, v24
	v_writelane_b32 v50, s6, 54
	v_writelane_b32 v50, s7, 55
	s_sub_i32 s7, 0, s33
	v_readfirstlane_b32 s10, v2
	s_mul_i32 s7, s7, s10
	s_mul_hi_u32 s7, s10, s7
	s_abs_i32 s6, s17
	s_add_i32 s7, s10, s7
	v_writelane_b32 v50, s7, 56
	s_mul_hi_u32 s7, s6, s7
	s_mul_i32 s7, s7, s33
	s_sub_i32 s6, s6, s7
	s_ashr_i32 s1, s17, 31
	s_sub_i32 s7, s6, s33
	s_cmp_ge_u32 s6, s33
	s_cselect_b32 s6, s7, s6
	s_sub_i32 s7, s6, s33
	s_cmp_ge_u32 s6, s33
	s_cselect_b32 s6, s7, s6
	s_xor_b32 s6, s6, s1
	v_mul_lo_u32 v2, s71, v24
	s_sub_i32 s1, s1, s6
	v_add_u32_e32 v29, s71, v2
	v_or_b32_e32 v2, 2, v24
	s_add_i32 s17, s17, s1
	v_mul_lo_u32 v30, s71, v2
	v_or_b32_e32 v2, 3, v24
	s_add_i32 s1, s33, s68
	v_mul_lo_u32 v31, s71, v2
	v_add_u32_e32 v2, s1, v0
	v_lshlrev_b32_e32 v4, 2, v13
	v_mov_b32_e32 v8, s88
	v_cmp_gt_i32_e64 s[6:7], s17, v0
	s_mul_i32 s89, s71, s33
	v_subrev_u32_e32 v2, s0, v2
	v_cmp_eq_u32_e64 s[2:3], 0, v13
	v_cmp_gt_u32_e64 s[4:5], 2, v0
	v_add_u32_e32 v25, 0xc00, v24
	v_and_b32_e32 v27, 0x100, v4
	v_cmp_gt_u32_e64 s[12:13], s68, v28
	v_addc_co_u32_e32 v15, vcc, v8, v3, vcc
	v_cmp_gt_i32_e64 s[14:15], s68, v28
	v_writelane_b32 v50, s6, 57
	s_lshl_b32 s91, s89, 2
	v_lshlrev_b32_e32 v32, 2, v6
	v_mul_lo_u32 v33, s71, v2
	v_lshlrev_b32_e32 v34, 4, v0
	s_lshl_b32 s16, s33, 4
	v_or_b32_e32 v35, 0xc00, v4
	s_mov_b32 s0, 30
	s_mov_b64 s[78:79], 0
	v_mov_b32_e32 v16, 1.0
	v_bfrev_b32_e32 v36, 1
	v_mov_b32_e32 v37, 0xc00
	v_mov_b32_e32 v19, 0
	s_mov_b32 s1, 0
	s_mov_b32 s85, 0
	;; [unrolled: 1-line block ×3, first 2 shown]
	v_writelane_b32 v50, s7, 58
                                        ; implicit-def: $sgpr60_sgpr61
                                        ; implicit-def: $sgpr64_sgpr65
                                        ; implicit-def: $sgpr62_sgpr63
                                        ; implicit-def: $sgpr66_sgpr67
                                        ; implicit-def: $sgpr72_sgpr73
                                        ; implicit-def: $sgpr76_sgpr77
	s_branch .LBB50_8
.LBB50_4:                               ;   in Loop: Header=BB50_8 Depth=1
	s_xor_b32 s1, s1, 1
	s_add_i32 s6, s0, -2
	s_cmp_eq_u32 s0, 0
	s_mov_b64 s[22:23], 0
	s_cselect_b64 s[30:31], -1, 0
	s_mov_b32 s0, s6
.LBB50_5:                               ;   in Loop: Header=BB50_8 Depth=1
	s_andn2_b64 s[6:7], s[26:27], exec
	s_and_b64 s[10:11], s[22:23], exec
	s_or_b64 s[26:27], s[6:7], s[10:11]
	s_andn2_b64 s[28:29], s[28:29], exec
	s_andn2_b64 s[24:25], s[24:25], exec
	s_orn2_b64 s[22:23], s[30:31], exec
	s_mov_b32 s69, s39
.LBB50_6:                               ;   in Loop: Header=BB50_8 Depth=1
	s_or_b64 exec, exec, s[18:19]
	s_andn2_b64 s[6:7], s[76:77], exec
	s_and_b64 s[10:11], s[26:27], exec
	s_or_b64 s[76:77], s[6:7], s[10:11]
	s_andn2_b64 s[6:7], s[72:73], exec
	s_and_b64 s[10:11], s[28:29], exec
	s_or_b64 s[72:73], s[6:7], s[10:11]
	;; [unrolled: 3-line block ×3, first 2 shown]
	s_orn2_b64 s[22:23], s[22:23], exec
.LBB50_7:                               ;   in Loop: Header=BB50_8 Depth=1
	s_or_b64 exec, exec, s[20:21]
	s_and_b64 s[6:7], exec, s[22:23]
	s_or_b64 s[78:79], s[6:7], s[78:79]
	s_andn2_b64 s[6:7], s[62:63], exec
	s_and_b64 s[10:11], s[76:77], exec
	s_or_b64 s[62:63], s[6:7], s[10:11]
	s_andn2_b64 s[6:7], s[64:65], exec
	s_and_b64 s[10:11], s[72:73], exec
	;; [unrolled: 3-line block ×3, first 2 shown]
	v_mov_b32_e32 v2, s85
	s_or_b64 s[60:61], s[6:7], s[10:11]
	s_andn2_b64 exec, exec, s[78:79]
	s_cbranch_execz .LBB50_246
.LBB50_8:                               ; =>This Loop Header: Depth=1
                                        ;     Child Loop BB50_16 Depth 2
                                        ;     Child Loop BB50_35 Depth 2
	;; [unrolled: 1-line block ×17, first 2 shown]
	ds_read_b64 v[2:3], v9 offset:4096
	s_waitcnt lgkmcnt(0)
	v_readfirstlane_b32 s81, v2
	s_cmp_gt_i32 s81, 0
	s_cbranch_scc1 .LBB50_42
; %bb.9:                                ;   in Loop: Header=BB50_8 Depth=1
	v_readlane_b32 s6, v50, 32
	v_readlane_b32 s7, v50, 33
	s_and_b64 vcc, exec, s[6:7]
	s_cbranch_vccz .LBB50_24
; %bb.10:                               ;   in Loop: Header=BB50_8 Depth=1
	s_movk_i32 s6, 0x301
	v_cmp_gt_i32_e32 vcc, s6, v3
	s_mov_b64 s[20:21], 0
	s_mov_b64 s[18:19], 0
	s_cbranch_vccz .LBB50_29
; %bb.11:                               ;   in Loop: Header=BB50_8 Depth=1
	v_mov_b32_e32 v2, 0
	s_mov_b64 s[18:19], exec
	v_readlane_b32 s6, v50, 40
	v_readlane_b32 s7, v50, 41
	s_and_b64 s[6:7], s[18:19], s[6:7]
	s_mov_b64 exec, s[6:7]
	s_cbranch_execz .LBB50_13
; %bb.12:                               ;   in Loop: Header=BB50_8 Depth=1
	global_load_dword v2, v[10:11], off
.LBB50_13:                              ;   in Loop: Header=BB50_8 Depth=1
	s_or_b64 exec, exec, s[18:19]
	s_mov_b64 s[22:23], exec
	v_readlane_b32 s6, v50, 40
	v_readlane_b32 s7, v50, 41
	s_and_b64 s[6:7], s[22:23], s[6:7]
	s_mov_b64 exec, s[6:7]
	s_cbranch_execz .LBB50_25
; %bb.14:                               ;   in Loop: Header=BB50_8 Depth=1
	v_readlane_b32 s6, v50, 36
	v_readlane_b32 s7, v50, 37
	s_mov_b64 s[24:25], 0
	s_nop 3
	global_load_ushort v3, v9, s[6:7]
	s_waitcnt vmcnt(0)
	v_add_u32_e32 v5, v0, v3
	v_mul_lo_u32 v4, s71, v3
	v_mul_lo_u32 v8, s71, v5
	v_mov_b32_e32 v5, v0
	s_branch .LBB50_16
.LBB50_15:                              ;   in Loop: Header=BB50_16 Depth=2
	s_or_b64 exec, exec, s[18:19]
	v_cmp_le_i32_e32 vcc, s68, v5
	v_add_u32_e32 v8, v8, v4
	s_or_b64 s[24:25], vcc, s[24:25]
	s_waitcnt vmcnt(0)
	v_mov_b32_e32 v2, v17
	s_andn2_b64 exec, exec, s[24:25]
	s_cbranch_execz .LBB50_25
.LBB50_16:                              ;   Parent Loop BB50_8 Depth=1
                                        ; =>  This Inner Loop Header: Depth=2
	v_add_u32_e32 v5, v5, v3
	v_cmp_gt_u32_e32 vcc, s68, v5
	s_waitcnt lgkmcnt(0)
	v_mov_b32_e32 v18, 0
	v_mov_b32_e32 v17, 0
	s_and_saveexec_b64 s[18:19], vcc
	s_cbranch_execz .LBB50_18
; %bb.17:                               ;   in Loop: Header=BB50_16 Depth=2
	v_lshlrev_b64 v[20:21], 2, v[8:9]
	v_add_co_u32_e32 v20, vcc, s70, v20
	v_addc_co_u32_e32 v21, vcc, v7, v21, vcc
	global_load_dword v17, v[20:21], off
.LBB50_18:                              ;   in Loop: Header=BB50_16 Depth=2
	s_or_b64 exec, exec, s[18:19]
	v_cmp_lt_i32_e32 vcc, -1, v2
	v_cndmask_b32_e32 v20, -1, v36, vcc
	v_xor_b32_e32 v20, v20, v2
	v_cmp_o_f32_e32 vcc, v2, v2
	v_cndmask_b32_e32 v20, -1, v20, vcc
	v_and_b32_e32 v20, s84, v20
	v_cmp_eq_u32_e32 vcc, s85, v20
	s_cmp_lg_u64 vcc, 0
	s_cselect_b64 s[6:7], -1, 0
	s_and_b64 s[6:7], s[2:3], s[6:7]
	s_and_saveexec_b64 s[26:27], s[6:7]
	s_cbranch_execz .LBB50_22
; %bb.19:                               ;   in Loop: Header=BB50_16 Depth=2
	s_mov_b64 s[30:31], exec
	v_mbcnt_lo_u32_b32 v18, s30, 0
	v_mbcnt_hi_u32_b32 v18, s31, v18
	s_bcnt1_i32_b64 s6, vcc
	v_cmp_eq_u32_e64 s[18:19], 0, v18
                                        ; implicit-def: $vgpr20
	s_and_saveexec_b64 s[28:29], s[18:19]
	s_cbranch_execz .LBB50_21
; %bb.20:                               ;   in Loop: Header=BB50_16 Depth=2
	s_bcnt1_i32_b64 s7, s[30:31]
	s_mul_i32 s7, s6, s7
	v_mov_b32_e32 v20, s7
	ds_add_rtn_u32 v20, v9, v20 offset:4104
.LBB50_21:                              ;   in Loop: Header=BB50_16 Depth=2
	s_or_b64 exec, exec, s[28:29]
	s_waitcnt lgkmcnt(0)
	v_readfirstlane_b32 s7, v20
	v_mov_b32_e32 v20, s7
	v_mad_u32_u24 v18, s6, v18, v20
.LBB50_22:                              ;   in Loop: Header=BB50_16 Depth=2
	s_or_b64 exec, exec, s[26:27]
	ds_bpermute_b32 v18, v27, v18
	s_and_saveexec_b64 s[18:19], vcc
	s_cbranch_execz .LBB50_15
; %bb.23:                               ;   in Loop: Header=BB50_16 Depth=2
	v_and_b32_e32 v21, vcc_lo, v12
	v_and_b32_e32 v20, vcc_hi, v1
	v_bcnt_u32_b32 v21, v21, 0
	v_bcnt_u32_b32 v20, v20, v21
	v_lshlrev_b32_e32 v20, 2, v20
	s_waitcnt lgkmcnt(0)
	v_lshl_add_u32 v18, v18, 2, v20
	ds_write_b32 v18, v2
	s_branch .LBB50_15
.LBB50_24:                              ;   in Loop: Header=BB50_8 Depth=1
	s_mov_b64 s[20:21], -1
	s_mov_b64 s[18:19], 0
	s_branch .LBB50_28
.LBB50_25:                              ;   in Loop: Header=BB50_8 Depth=1
	s_or_b64 exec, exec, s[22:23]
	s_waitcnt lgkmcnt(0)
	s_barrier
	s_mov_b64 s[18:19], exec
	v_readlane_b32 s6, v50, 18
	v_readlane_b32 s7, v50, 19
	s_and_b64 s[6:7], s[18:19], s[6:7]
	s_mov_b64 exec, s[6:7]
	s_cbranch_execz .LBB50_27
; %bb.26:                               ;   in Loop: Header=BB50_8 Depth=1
	s_waitcnt vmcnt(0)
	ds_read_b32 v2, v9 offset:4104
	s_waitcnt lgkmcnt(0)
	ds_write_b32 v9, v2 offset:4096
.LBB50_27:                              ;   in Loop: Header=BB50_8 Depth=1
	s_or_b64 exec, exec, s[18:19]
	s_waitcnt lgkmcnt(0)
	s_barrier
	s_mov_b64 s[18:19], -1
.LBB50_28:                              ;   in Loop: Header=BB50_8 Depth=1
                                        ; implicit-def: $sgpr81
.LBB50_29:                              ;   in Loop: Header=BB50_8 Depth=1
	s_and_b64 vcc, exec, s[20:21]
	s_cbranch_vccz .LBB50_40
; %bb.30:                               ;   in Loop: Header=BB50_8 Depth=1
	s_waitcnt vmcnt(0)
	v_mov_b32_e32 v2, 0
	s_mov_b64 s[18:19], exec
	v_readlane_b32 s6, v50, 40
	v_readlane_b32 s7, v50, 41
	s_and_b64 s[6:7], s[18:19], s[6:7]
	s_mov_b64 exec, s[6:7]
	s_cbranch_execz .LBB50_32
; %bb.31:                               ;   in Loop: Header=BB50_8 Depth=1
	global_load_dword v2, v[10:11], off
.LBB50_32:                              ;   in Loop: Header=BB50_8 Depth=1
	s_or_b64 exec, exec, s[18:19]
	s_mov_b64 s[18:19], exec
	v_readlane_b32 s6, v50, 42
	v_readlane_b32 s7, v50, 43
	s_and_b64 s[6:7], s[18:19], s[6:7]
	s_mov_b64 exec, s[6:7]
	s_cbranch_execz .LBB50_37
; %bb.33:                               ;   in Loop: Header=BB50_8 Depth=1
	v_readlane_b32 s6, v50, 36
	v_readlane_b32 s7, v50, 37
	s_mov_b64 s[20:21], 0
	v_mov_b32_e32 v4, v24
	v_mov_b32_e32 v18, v0
	s_nop 1
	global_load_ushort v3, v9, s[6:7]
	s_waitcnt vmcnt(0)
	v_add_u32_e32 v8, v0, v3
	v_lshlrev_b32_e32 v5, 2, v3
	v_mul_lo_u32 v17, s71, v3
	v_mul_lo_u32 v8, s71, v8
	s_branch .LBB50_35
.LBB50_34:                              ;   in Loop: Header=BB50_35 Depth=2
	s_or_b64 exec, exec, s[22:23]
	v_cmp_le_i32_e32 vcc, s68, v18
	ds_write_b32 v4, v2
	v_add_u32_e32 v4, v4, v5
	v_add_u32_e32 v8, v8, v17
	s_or_b64 s[20:21], vcc, s[20:21]
	s_waitcnt vmcnt(0)
	v_mov_b32_e32 v2, v20
	s_andn2_b64 exec, exec, s[20:21]
	s_cbranch_execz .LBB50_37
.LBB50_35:                              ;   Parent Loop BB50_8 Depth=1
                                        ; =>  This Inner Loop Header: Depth=2
	v_add_u32_e32 v18, v18, v3
	v_cmp_gt_u32_e32 vcc, s68, v18
	v_mov_b32_e32 v20, 0
	s_and_saveexec_b64 s[22:23], vcc
	s_cbranch_execz .LBB50_34
; %bb.36:                               ;   in Loop: Header=BB50_35 Depth=2
	v_lshlrev_b64 v[20:21], 2, v[8:9]
	v_mov_b32_e32 v22, s88
	v_add_co_u32_e32 v20, vcc, s70, v20
	v_addc_co_u32_e32 v21, vcc, v22, v21, vcc
	global_load_dword v20, v[20:21], off
	s_branch .LBB50_34
.LBB50_37:                              ;   in Loop: Header=BB50_8 Depth=1
	s_or_b64 exec, exec, s[18:19]
	s_waitcnt lgkmcnt(0)
	s_barrier
	s_mov_b64 s[18:19], exec
	v_readlane_b32 s6, v50, 18
	v_readlane_b32 s7, v50, 19
	s_and_b64 s[6:7], s[18:19], s[6:7]
	s_mov_b64 exec, s[6:7]
	s_cbranch_execz .LBB50_39
; %bb.38:                               ;   in Loop: Header=BB50_8 Depth=1
	s_waitcnt vmcnt(0)
	v_mov_b32_e32 v2, s68
	ds_write_b32 v9, v2 offset:4096
.LBB50_39:                              ;   in Loop: Header=BB50_8 Depth=1
	s_or_b64 exec, exec, s[18:19]
	s_mov_b64 s[18:19], -1
	s_waitcnt lgkmcnt(0)
	s_barrier
                                        ; implicit-def: $sgpr81
.LBB50_40:                              ;   in Loop: Header=BB50_8 Depth=1
	s_and_b64 vcc, exec, s[18:19]
	s_cbranch_vccz .LBB50_42
; %bb.41:                               ;   in Loop: Header=BB50_8 Depth=1
	s_waitcnt vmcnt(0)
	ds_read_b32 v2, v9 offset:4096
	s_waitcnt lgkmcnt(0)
	v_readfirstlane_b32 s81, v2
.LBB50_42:                              ;   in Loop: Header=BB50_8 Depth=1
	s_cmp_lt_i32 s81, 1
	s_cbranch_scc0 .LBB50_54
; %bb.43:                               ;   in Loop: Header=BB50_8 Depth=1
	s_waitcnt vmcnt(0)
	v_mov_b32_e32 v2, 0
	s_mov_b32 s74, 0
	v_mov_b32_e32 v3, 0
	v_mov_b32_e32 v4, v2
	;; [unrolled: 1-line block ×3, first 2 shown]
	s_mov_b64 s[92:93], exec
	v_readlane_b32 s6, v50, 54
	v_readlane_b32 s7, v50, 55
	s_and_b64 s[6:7], s[92:93], s[6:7]
	s_mov_b64 exec, s[6:7]
	s_cbranch_execz .LBB50_47
; %bb.44:                               ;   in Loop: Header=BB50_8 Depth=1
	s_and_b32 s75, s0, 0xfe
	s_mov_b64 s[94:95], 0
	s_mov_b32 s86, 0
	s_mov_b32 s87, 0
	;; [unrolled: 1-line block ×4, first 2 shown]
	v_mov_b32_e32 v8, v24
.LBB50_45:                              ;   Parent Loop BB50_8 Depth=1
                                        ; =>  This Inner Loop Header: Depth=2
	v_add_u32_e32 v2, s74, v32
	v_ashrrev_i32_e32 v3, 31, v2
	v_add_u32_e32 v4, s74, v29
	v_lshlrev_b64 v[2:3], 2, v[2:3]
	v_mov_b32_e32 v17, s88
	v_ashrrev_i32_e32 v5, 31, v4
	v_add_co_u32_e64 v2, s[18:19], s70, v2
	v_add_u32_e32 v20, s74, v30
	v_lshlrev_b64 v[4:5], 2, v[4:5]
	v_addc_co_u32_e64 v3, s[18:19], v17, v3, s[18:19]
	v_ashrrev_i32_e32 v21, 31, v20
	v_add_co_u32_e64 v4, s[18:19], s70, v4
	v_add_u32_e32 v22, s74, v31
	v_lshlrev_b64 v[20:21], 2, v[20:21]
	v_addc_co_u32_e64 v5, s[18:19], v17, v5, s[18:19]
	v_ashrrev_i32_e32 v23, 31, v22
	v_add_co_u32_e64 v20, s[18:19], s70, v20
	v_lshlrev_b64 v[22:23], 2, v[22:23]
	v_addc_co_u32_e64 v21, s[18:19], v17, v21, s[18:19]
	v_add_co_u32_e64 v22, s[18:19], s70, v22
	v_addc_co_u32_e64 v23, s[18:19], v17, v23, s[18:19]
	global_load_dword v2, v[2:3], off
	s_nop 0
	global_load_dword v3, v[4:5], off
	s_nop 0
	global_load_dword v4, v[20:21], off
	global_load_dword v5, v[22:23], off
	v_add_u32_e32 v8, s90, v8
	s_add_i32 s74, s74, s91
	v_cmp_le_i32_e32 vcc, s9, v8
	s_waitcnt vmcnt(3)
	v_cmp_lt_i32_e64 s[18:19], -1, v2
	v_cndmask_b32_e64 v17, -1, v36, s[18:19]
	s_waitcnt vmcnt(2)
	v_cmp_lt_i32_e64 s[18:19], -1, v3
	v_cndmask_b32_e64 v18, -1, v36, s[18:19]
	;; [unrolled: 3-line block ×4, first 2 shown]
	v_xor_b32_e32 v18, v18, v3
	v_cmp_o_f32_e64 s[18:19], v3, v3
	v_xor_b32_e32 v3, v20, v4
	v_cmp_o_f32_e64 s[20:21], v4, v4
	v_xor_b32_e32 v4, v21, v5
	v_cmp_o_f32_e64 s[22:23], v5, v5
	v_xor_b32_e32 v5, v17, v2
	v_cmp_o_f32_e64 s[24:25], v2, v2
	v_cndmask_b32_e64 v2, -1, v5, s[24:25]
	v_cndmask_b32_e64 v5, -1, v18, s[18:19]
	v_and_b32_e32 v17, s84, v2
	v_bfe_u32 v2, v2, s75, 2
	v_cndmask_b32_e64 v3, -1, v3, s[20:21]
	v_and_b32_e32 v18, s84, v5
	v_bfe_u32 v5, v5, s75, 2
	v_cmp_eq_u32_e64 s[18:19], s85, v17
	v_cmp_eq_u32_e64 s[26:27], 0, v2
	v_cndmask_b32_e64 v4, -1, v4, s[22:23]
	v_and_b32_e32 v20, s84, v3
	v_bfe_u32 v3, v3, s75, 2
	v_cmp_eq_u32_e64 s[20:21], s85, v18
	v_cmp_eq_u32_e64 s[28:29], 0, v5
	s_and_b64 s[10:11], s[18:19], s[26:27]
	v_and_b32_e32 v21, s84, v4
	v_bfe_u32 v4, v4, s75, 2
	v_cmp_eq_u32_e64 s[22:23], s85, v20
	v_cmp_eq_u32_e64 s[30:31], 0, v3
	;; [unrolled: 1-line block ×5, first 2 shown]
	v_cndmask_b32_e64 v2, 0, 1, s[10:11]
	s_and_b64 s[10:11], s[20:21], s[28:29]
	v_cmp_eq_u32_e64 s[24:25], s85, v21
	v_cmp_eq_u32_e64 s[34:35], 0, v4
	;; [unrolled: 1-line block ×5, first 2 shown]
	v_cndmask_b32_e64 v3, 0, 1, s[10:11]
	s_and_b64 s[10:11], s[22:23], s[30:31]
	v_cmp_eq_u32_e64 s[42:43], 1, v4
	v_cmp_eq_u32_e64 s[50:51], 2, v4
	;; [unrolled: 1-line block ×3, first 2 shown]
	v_cndmask_b32_e64 v4, 0, 1, s[10:11]
	s_and_b64 s[10:11], s[24:25], s[34:35]
	v_cmp_eq_u32_e64 s[38:39], 1, v5
	v_cmp_eq_u32_e64 s[46:47], 2, v5
	;; [unrolled: 1-line block ×3, first 2 shown]
	v_cndmask_b32_e64 v5, 0, 1, s[10:11]
	s_and_b64 s[10:11], s[18:19], s[36:37]
	v_cndmask_b32_e64 v17, 0, 1, s[10:11]
	s_and_b64 s[10:11], s[20:21], s[38:39]
	;; [unrolled: 2-line block ×12, first 2 shown]
	v_cmp_ne_u32_e64 s[18:19], 0, v2
	v_cmp_ne_u32_e64 s[20:21], 0, v3
	;; [unrolled: 1-line block ×7, first 2 shown]
	v_cndmask_b32_e64 v43, 0, 1, s[10:11]
	v_cmp_ne_u32_e64 s[38:39], 0, v23
	v_cmp_ne_u32_e64 s[46:47], 0, v41
	s_bcnt1_i32_b64 s10, s[18:19]
	s_bcnt1_i32_b64 s11, s[20:21]
	;; [unrolled: 1-line block ×7, first 2 shown]
	v_cmp_ne_u32_e64 s[22:23], 0, v4
	v_cmp_ne_u32_e64 s[30:31], 0, v20
	;; [unrolled: 1-line block ×4, first 2 shown]
	s_bcnt1_i32_b64 s25, s[38:39]
	s_bcnt1_i32_b64 s29, s[46:47]
	s_add_i32 s7, s7, s10
	s_add_i32 s6, s6, s20
	;; [unrolled: 1-line block ×4, first 2 shown]
	v_cmp_ne_u32_e64 s[34:35], 0, v21
	v_cmp_ne_u32_e64 s[42:43], 0, v39
	;; [unrolled: 1-line block ×3, first 2 shown]
	s_bcnt1_i32_b64 s18, s[22:23]
	s_bcnt1_i32_b64 s22, s[30:31]
	;; [unrolled: 1-line block ×4, first 2 shown]
	s_add_i32 s7, s7, s11
	s_add_i32 s6, s6, s21
	;; [unrolled: 1-line block ×4, first 2 shown]
	s_bcnt1_i32_b64 s23, s[34:35]
	s_bcnt1_i32_b64 s27, s[42:43]
	s_bcnt1_i32_b64 s31, s[50:51]
	s_add_i32 s7, s7, s18
	s_add_i32 s6, s6, s22
	;; [unrolled: 1-line block ×8, first 2 shown]
	s_or_b64 s[94:95], vcc, s[94:95]
	v_mov_b32_e32 v2, s7
	v_mov_b32_e32 v3, s6
	;; [unrolled: 1-line block ×4, first 2 shown]
	s_andn2_b64 exec, exec, s[94:95]
	s_cbranch_execnz .LBB50_45
; %bb.46:                               ;   in Loop: Header=BB50_8 Depth=1
	s_or_b64 exec, exec, s[94:95]
.LBB50_47:                              ;   in Loop: Header=BB50_8 Depth=1
	s_or_b64 exec, exec, s[92:93]
	v_mov_b32_e32 v17, 0
	s_and_saveexec_b64 s[18:19], s[12:13]
	s_cbranch_execz .LBB50_49
; %bb.48:                               ;   in Loop: Header=BB50_8 Depth=1
	global_load_dword v17, v[14:15], off
.LBB50_49:                              ;   in Loop: Header=BB50_8 Depth=1
	s_or_b64 exec, exec, s[18:19]
	s_mov_b64 s[20:21], 0
	s_mov_b64 s[92:93], 0
	s_and_saveexec_b64 s[22:23], s[14:15]
	s_cbranch_execz .LBB50_56
; %bb.50:                               ;   in Loop: Header=BB50_8 Depth=1
	s_and_b32 s6, s0, 0xfe
	s_mov_b64 s[24:25], 0
	v_mov_b32_e32 v20, v33
	v_mov_b32_e32 v8, v28
	s_branch .LBB50_52
.LBB50_51:                              ;   in Loop: Header=BB50_52 Depth=2
	s_or_b64 exec, exec, s[18:19]
	s_waitcnt vmcnt(0)
	v_cmp_lt_i32_e32 vcc, -1, v17
	v_cndmask_b32_e32 v21, -1, v36, vcc
	v_xor_b32_e32 v21, v21, v17
	v_cmp_o_f32_e32 vcc, v17, v17
	v_cndmask_b32_e32 v17, -1, v21, vcc
	v_and_b32_e32 v21, s84, v17
	v_bfe_u32 v17, v17, s6, 2
	v_cmp_eq_u32_e32 vcc, s85, v21
	v_cmp_eq_u32_e64 s[18:19], 0, v17
	s_and_b64 s[10:11], vcc, s[18:19]
	v_cndmask_b32_e64 v21, 0, 1, s[10:11]
	v_cmp_ne_u32_e64 s[18:19], 0, v21
	s_bcnt1_i32_b64 s7, s[18:19]
	v_cmp_eq_u32_e64 s[18:19], 1, v17
	s_and_b64 s[10:11], vcc, s[18:19]
	v_cndmask_b32_e64 v21, 0, 1, s[10:11]
	v_cmp_ne_u32_e64 s[18:19], 0, v21
	v_add_u32_e32 v2, s7, v2
	s_bcnt1_i32_b64 s7, s[18:19]
	v_cmp_eq_u32_e64 s[18:19], 2, v17
	s_and_b64 s[10:11], vcc, s[18:19]
	v_cndmask_b32_e64 v21, 0, 1, s[10:11]
	v_cmp_ne_u32_e64 s[18:19], 0, v21
	v_add_u32_e32 v3, s7, v3
	s_bcnt1_i32_b64 s7, s[18:19]
	v_cmp_eq_u32_e64 s[18:19], 3, v17
	s_and_b64 s[10:11], vcc, s[18:19]
	v_cndmask_b32_e64 v17, 0, 1, s[10:11]
	v_cmp_ne_u32_e32 vcc, 0, v17
	v_add_u32_e32 v4, s7, v4
	s_bcnt1_i32_b64 s7, vcc
	v_cmp_le_i32_e32 vcc, s68, v8
	v_add_u32_e32 v5, s7, v5
	v_add_u32_e32 v20, s89, v20
	s_or_b64 s[24:25], vcc, s[24:25]
	v_mov_b32_e32 v17, v18
	s_andn2_b64 exec, exec, s[24:25]
	s_cbranch_execz .LBB50_55
.LBB50_52:                              ;   Parent Loop BB50_8 Depth=1
                                        ; =>  This Inner Loop Header: Depth=2
	v_add_u32_e32 v8, s33, v8
	v_cmp_gt_u32_e32 vcc, s68, v8
	v_mov_b32_e32 v18, 0
	s_and_saveexec_b64 s[18:19], vcc
	s_cbranch_execz .LBB50_51
; %bb.53:                               ;   in Loop: Header=BB50_52 Depth=2
	v_ashrrev_i32_e32 v21, 31, v20
	v_lshlrev_b64 v[22:23], 2, v[20:21]
	v_mov_b32_e32 v18, s88
	v_add_co_u32_e32 v22, vcc, s70, v22
	v_addc_co_u32_e32 v23, vcc, v18, v23, vcc
	global_load_dword v18, v[22:23], off
	s_branch .LBB50_51
.LBB50_54:                              ;   in Loop: Header=BB50_8 Depth=1
	s_mov_b64 s[92:93], 0
                                        ; implicit-def: $vgpr5
	s_cbranch_execnz .LBB50_57
	s_branch .LBB50_66
.LBB50_55:                              ;   in Loop: Header=BB50_8 Depth=1
	s_or_b64 exec, exec, s[24:25]
	s_mov_b64 s[92:93], exec
.LBB50_56:                              ;   in Loop: Header=BB50_8 Depth=1
	s_or_b64 exec, exec, s[22:23]
	s_and_b64 vcc, exec, s[20:21]
	s_cbranch_vccz .LBB50_66
.LBB50_57:                              ;   in Loop: Header=BB50_8 Depth=1
	s_mul_hi_u32 s6, s81, s8
	s_mul_i32 s6, s6, s90
	s_sub_i32 s6, s81, s6
	s_sub_i32 s7, s6, s90
	s_cmp_ge_u32 s6, s90
	s_cselect_b32 s6, s7, s6
	s_sub_i32 s7, s6, s90
	s_cmp_ge_u32 s6, s90
	s_cselect_b32 s6, s7, s6
	s_sub_i32 s6, s81, s6
	v_cmp_gt_u32_e32 vcc, s6, v24
	s_mov_b32 s86, 0
	s_waitcnt vmcnt(0)
	v_mov_b32_e32 v2, 0
	v_mov_b32_e32 v3, 0
	;; [unrolled: 1-line block ×4, first 2 shown]
	s_and_saveexec_b64 s[94:95], vcc
	s_cbranch_execz .LBB50_61
; %bb.58:                               ;   in Loop: Header=BB50_8 Depth=1
	s_and_b32 s7, s0, 0xfe
	s_mov_b64 s[74:75], 0
	v_mov_b32_e32 v8, v34
	s_mov_b32 s87, 0
	s_mov_b32 s10, 0
	;; [unrolled: 1-line block ×3, first 2 shown]
	v_mov_b32_e32 v17, v24
.LBB50_59:                              ;   Parent Loop BB50_8 Depth=1
                                        ; =>  This Inner Loop Header: Depth=2
	ds_read_b128 v[2:5], v8
	v_add_u32_e32 v17, s90, v17
	v_cmp_le_i32_e32 vcc, s6, v17
	v_add_u32_e32 v8, s16, v8
	s_waitcnt lgkmcnt(0)
	v_cmp_lt_i32_e64 s[18:19], -1, v2
	v_cndmask_b32_e64 v18, -1, v36, s[18:19]
	v_cmp_lt_i32_e64 s[18:19], -1, v3
	v_cndmask_b32_e64 v20, -1, v36, s[18:19]
	;; [unrolled: 2-line block ×4, first 2 shown]
	v_xor_b32_e32 v20, v20, v3
	v_cmp_o_f32_e64 s[18:19], v3, v3
	v_xor_b32_e32 v3, v21, v4
	v_cmp_o_f32_e64 s[20:21], v4, v4
	;; [unrolled: 2-line block ×4, first 2 shown]
	v_cndmask_b32_e64 v2, -1, v5, s[24:25]
	v_cndmask_b32_e64 v5, -1, v20, s[18:19]
	v_and_b32_e32 v18, s84, v2
	v_bfe_u32 v2, v2, s7, 2
	v_cndmask_b32_e64 v3, -1, v3, s[20:21]
	v_and_b32_e32 v20, s84, v5
	v_bfe_u32 v5, v5, s7, 2
	v_cmp_eq_u32_e64 s[18:19], s85, v18
	v_cmp_eq_u32_e64 s[26:27], 0, v2
	v_cndmask_b32_e64 v4, -1, v4, s[22:23]
	v_and_b32_e32 v21, s84, v3
	v_bfe_u32 v3, v3, s7, 2
	v_cmp_eq_u32_e64 s[20:21], s85, v20
	v_cmp_eq_u32_e64 s[28:29], 0, v5
	s_and_b64 s[26:27], s[18:19], s[26:27]
	v_and_b32_e32 v22, s84, v4
	v_bfe_u32 v4, v4, s7, 2
	v_cmp_eq_u32_e64 s[22:23], s85, v21
	v_cmp_eq_u32_e64 s[30:31], 0, v3
	;; [unrolled: 1-line block ×5, first 2 shown]
	v_cndmask_b32_e64 v2, 0, 1, s[26:27]
	s_and_b64 s[26:27], s[20:21], s[28:29]
	v_cmp_eq_u32_e64 s[24:25], s85, v22
	v_cmp_eq_u32_e64 s[34:35], 0, v4
	;; [unrolled: 1-line block ×5, first 2 shown]
	v_cndmask_b32_e64 v3, 0, 1, s[26:27]
	s_and_b64 s[26:27], s[22:23], s[30:31]
	v_cmp_eq_u32_e64 s[42:43], 1, v4
	v_cmp_eq_u32_e64 s[50:51], 2, v4
	v_cmp_eq_u32_e64 s[58:59], 3, v4
	v_cndmask_b32_e64 v4, 0, 1, s[26:27]
	s_and_b64 s[26:27], s[24:25], s[34:35]
	v_cmp_eq_u32_e64 s[38:39], 1, v5
	v_cmp_eq_u32_e64 s[46:47], 2, v5
	;; [unrolled: 1-line block ×3, first 2 shown]
	v_cndmask_b32_e64 v5, 0, 1, s[26:27]
	s_and_b64 s[26:27], s[18:19], s[36:37]
	v_cndmask_b32_e64 v18, 0, 1, s[26:27]
	s_and_b64 s[26:27], s[20:21], s[38:39]
	;; [unrolled: 2-line block ×5, first 2 shown]
	s_and_b64 s[18:19], s[18:19], s[52:53]
	v_cndmask_b32_e64 v23, 0, 1, s[26:27]
	s_and_b64 s[26:27], s[20:21], s[46:47]
	v_cndmask_b32_e64 v41, 0, 1, s[18:19]
	;; [unrolled: 2-line block ×7, first 2 shown]
	v_cndmask_b32_e64 v44, 0, 1, s[18:19]
	v_cmp_ne_u32_e64 s[18:19], 0, v2
	v_cmp_ne_u32_e64 s[20:21], 0, v3
	;; [unrolled: 1-line block ×11, first 2 shown]
	s_bcnt1_i32_b64 s18, s[18:19]
	s_bcnt1_i32_b64 s19, s[20:21]
	;; [unrolled: 1-line block ×8, first 2 shown]
	v_cmp_ne_u32_e64 s[34:35], 0, v22
	v_cmp_ne_u32_e64 s[40:41], 0, v39
	;; [unrolled: 1-line block ×3, first 2 shown]
	s_bcnt1_i32_b64 s23, s[28:29]
	s_bcnt1_i32_b64 s27, s[38:39]
	;; [unrolled: 1-line block ×3, first 2 shown]
	s_add_i32 s11, s11, s18
	s_add_i32 s10, s10, s22
	;; [unrolled: 1-line block ×4, first 2 shown]
	v_cmp_ne_u32_e64 s[42:43], 0, v40
	v_cmp_ne_u32_e64 s[50:51], 0, v44
	s_bcnt1_i32_b64 s25, s[34:35]
	s_bcnt1_i32_b64 s28, s[40:41]
	;; [unrolled: 1-line block ×3, first 2 shown]
	s_add_i32 s11, s11, s19
	s_add_i32 s10, s10, s23
	;; [unrolled: 1-line block ×4, first 2 shown]
	s_bcnt1_i32_b64 s29, s[42:43]
	s_bcnt1_i32_b64 s35, s[50:51]
	s_add_i32 s11, s11, s20
	s_add_i32 s10, s10, s24
	;; [unrolled: 1-line block ×8, first 2 shown]
	s_or_b64 s[74:75], vcc, s[74:75]
	v_mov_b32_e32 v2, s11
	v_mov_b32_e32 v3, s10
	;; [unrolled: 1-line block ×4, first 2 shown]
	s_andn2_b64 exec, exec, s[74:75]
	s_cbranch_execnz .LBB50_59
; %bb.60:                               ;   in Loop: Header=BB50_8 Depth=1
	s_or_b64 exec, exec, s[74:75]
.LBB50_61:                              ;   in Loop: Header=BB50_8 Depth=1
	s_or_b64 exec, exec, s[94:95]
	v_add_u32_e32 v8, s6, v0
	v_cmp_gt_i32_e32 vcc, s81, v8
	s_and_saveexec_b64 s[28:29], vcc
	s_cbranch_execz .LBB50_65
; %bb.62:                               ;   in Loop: Header=BB50_8 Depth=1
	s_and_b32 s6, s0, 0xfe
	v_lshlrev_b32_e32 v17, 2, v8
	s_mov_b64 s[30:31], 0
.LBB50_63:                              ;   Parent Loop BB50_8 Depth=1
                                        ; =>  This Inner Loop Header: Depth=2
	ds_read_b32 v18, v17
	v_add_u32_e32 v8, s33, v8
	v_cmp_le_i32_e32 vcc, s81, v8
	v_add_u32_e32 v17, s90, v17
	s_waitcnt lgkmcnt(0)
	v_cmp_lt_i32_e64 s[18:19], -1, v18
	v_cndmask_b32_e64 v20, -1, v36, s[18:19]
	v_xor_b32_e32 v20, v20, v18
	v_cmp_o_f32_e64 s[18:19], v18, v18
	v_cndmask_b32_e64 v18, -1, v20, s[18:19]
	v_and_b32_e32 v20, s84, v18
	v_bfe_u32 v18, v18, s6, 2
	v_cmp_eq_u32_e64 s[18:19], s85, v20
	v_cmp_eq_u32_e64 s[20:21], 0, v18
	;; [unrolled: 1-line block ×3, first 2 shown]
	s_and_b64 s[10:11], s[18:19], s[20:21]
	v_cmp_eq_u32_e64 s[24:25], 2, v18
	v_cmp_eq_u32_e64 s[26:27], 3, v18
	v_cndmask_b32_e64 v18, 0, 1, s[10:11]
	s_and_b64 s[10:11], s[18:19], s[22:23]
	v_cndmask_b32_e64 v20, 0, 1, s[10:11]
	s_and_b64 s[10:11], s[18:19], s[24:25]
	;; [unrolled: 2-line block ×3, first 2 shown]
	v_cndmask_b32_e64 v22, 0, 1, s[10:11]
	v_cmp_ne_u32_e64 s[18:19], 0, v18
	v_cmp_ne_u32_e64 s[20:21], 0, v20
	;; [unrolled: 1-line block ×4, first 2 shown]
	s_bcnt1_i32_b64 s7, s[18:19]
	s_bcnt1_i32_b64 s10, s[20:21]
	;; [unrolled: 1-line block ×4, first 2 shown]
	v_add_u32_e32 v2, s7, v2
	v_add_u32_e32 v3, s10, v3
	;; [unrolled: 1-line block ×3, first 2 shown]
	s_or_b64 s[30:31], vcc, s[30:31]
	v_add_u32_e32 v5, s18, v5
	s_andn2_b64 exec, exec, s[30:31]
	s_cbranch_execnz .LBB50_63
; %bb.64:                               ;   in Loop: Header=BB50_8 Depth=1
	s_or_b64 exec, exec, s[30:31]
	s_or_b64 s[92:93], s[92:93], exec
.LBB50_65:                              ;   in Loop: Header=BB50_8 Depth=1
	s_or_b64 exec, exec, s[28:29]
.LBB50_66:                              ;   in Loop: Header=BB50_8 Depth=1
	s_and_saveexec_b64 s[18:19], s[92:93]
	s_or_b64 exec, exec, s[18:19]
	s_lshl_b32 s6, s1, 6
	s_and_saveexec_b64 s[18:19], s[2:3]
	s_cbranch_execz .LBB50_68
; %bb.67:                               ;   in Loop: Header=BB50_8 Depth=1
	v_or_b32_e32 v8, s6, v26
	v_lshlrev_b32_e32 v8, 2, v8
	s_waitcnt vmcnt(0)
	ds_write_b128 v8, v[2:5] offset:3072
.LBB50_68:                              ;   in Loop: Header=BB50_8 Depth=1
	s_or_b64 exec, exec, s[18:19]
	s_waitcnt lgkmcnt(0)
	s_barrier
	s_and_saveexec_b64 s[18:19], s[82:83]
	s_cbranch_execz .LBB50_82
; %bb.69:                               ;   in Loop: Header=BB50_8 Depth=1
	v_readlane_b32 s10, v50, 34
	v_readlane_b32 s11, v50, 35
	v_add_u32_e32 v4, s6, v13
	s_andn2_b64 vcc, exec, s[10:11]
	s_waitcnt vmcnt(0)
	v_mov_b32_e32 v2, 0
	s_cbranch_vccnz .LBB50_81
; %bb.70:                               ;   in Loop: Header=BB50_8 Depth=1
	v_readlane_b32 s10, v50, 38
	v_readlane_b32 s11, v50, 39
	s_mov_b32 s7, 0
	s_and_b64 vcc, exec, s[10:11]
	v_mov_b32_e32 v2, 0
	s_cbranch_vccz .LBB50_74
; %bb.71:                               ;   in Loop: Header=BB50_8 Depth=1
	v_readlane_b32 s10, v50, 44
	v_readlane_b32 s11, v50, 45
	v_lshl_add_u32 v5, v4, 2, v37
	s_andn2_b64 vcc, exec, s[10:11]
	s_cbranch_vccnz .LBB50_75
; %bb.72:                               ;   in Loop: Header=BB50_8 Depth=1
	s_mov_b32 s21, 1
	s_mov_b32 s20, 0
	v_mov_b32_e32 v2, 0
	v_readlane_b32 s7, v50, 46
	v_mov_b32_e32 v3, 0
.LBB50_73:                              ;   Parent Loop BB50_8 Depth=1
                                        ; =>  This Inner Loop Header: Depth=2
	v_lshl_add_u32 v8, s20, 4, v5
	v_lshl_add_u32 v17, s21, 4, v5
	ds_read2_b32 v[20:21], v8 offset1:8
	ds_read2_b32 v[22:23], v17 offset1:8
	ds_read2_b32 v[38:39], v8 offset0:16 offset1:24
	ds_read2_b32 v[40:41], v17 offset0:16 offset1:24
	;; [unrolled: 1-line block ×6, first 2 shown]
	s_waitcnt lgkmcnt(7)
	v_add3_u32 v2, v20, v2, v21
	s_waitcnt lgkmcnt(6)
	v_add3_u32 v3, v22, v3, v23
	;; [unrolled: 2-line block ×3, first 2 shown]
	v_add3_u32 v2, v38, v2, v39
	s_add_i32 s21, s21, 16
	s_add_i32 s20, s20, 16
	s_add_i32 s7, s7, -8
	s_waitcnt lgkmcnt(3)
	v_add3_u32 v2, v42, v2, v43
	s_waitcnt lgkmcnt(2)
	v_add3_u32 v3, v44, v3, v45
	s_cmp_lg_u32 s7, 0
	s_waitcnt lgkmcnt(0)
	v_add3_u32 v3, v48, v3, v49
	v_add3_u32 v2, v46, v2, v47
	s_cbranch_scc1 .LBB50_73
	s_branch .LBB50_76
.LBB50_74:                              ;   in Loop: Header=BB50_8 Depth=1
	s_cbranch_execnz .LBB50_79
	s_branch .LBB50_81
.LBB50_75:                              ;   in Loop: Header=BB50_8 Depth=1
	s_mov_b32 s81, s80
	v_pk_mov_b32 v[2:3], s[80:81], s[80:81] op_sel:[0,1]
	s_mov_b32 s81, 1
	s_mov_b64 s[20:21], s[80:81]
.LBB50_76:                              ;   in Loop: Header=BB50_8 Depth=1
	v_readlane_b32 s10, v50, 48
	v_readlane_b32 s11, v50, 49
	s_andn2_b64 vcc, exec, s[10:11]
	v_readlane_b32 s7, v50, 47
	s_cbranch_vccnz .LBB50_78
.LBB50_77:                              ;   Parent Loop BB50_8 Depth=1
                                        ; =>  This Inner Loop Header: Depth=2
	v_lshl_add_u32 v8, s20, 4, v5
	v_lshl_add_u32 v17, s21, 4, v5
	ds_read_b32 v17, v17
	ds_read_b32 v8, v8
	s_add_i32 s21, s21, 2
	s_add_i32 s20, s20, 2
	s_add_i32 s7, s7, -1
	s_cmp_lg_u32 s7, 0
	s_waitcnt lgkmcnt(1)
	v_add_u32_e32 v3, v17, v3
	s_waitcnt lgkmcnt(0)
	v_add_u32_e32 v2, v8, v2
	s_cbranch_scc1 .LBB50_77
.LBB50_78:                              ;   in Loop: Header=BB50_8 Depth=1
	v_readlane_b32 s20, v50, 52
	v_add_u32_e32 v2, v2, v3
	v_readlane_b32 s7, v50, 51
	v_readlane_b32 s21, v50, 53
	s_and_b64 vcc, exec, s[20:21]
	s_cbranch_vccz .LBB50_81
.LBB50_79:                              ;   in Loop: Header=BB50_8 Depth=1
	s_lshl_b32 s10, s1, 8
	s_lshl_b32 s11, s7, 4
	s_add_i32 s10, s10, s11
	v_add_u32_e32 v3, s10, v35
	v_readlane_b32 s10, v50, 50
	s_sub_i32 s7, s10, s7
.LBB50_80:                              ;   Parent Loop BB50_8 Depth=1
                                        ; =>  This Inner Loop Header: Depth=2
	ds_read_b32 v5, v3
	s_add_i32 s7, s7, -1
	v_add_u32_e32 v3, 16, v3
	s_cmp_eq_u32 s7, 0
	s_waitcnt lgkmcnt(0)
	v_add_u32_e32 v2, v5, v2
	s_cbranch_scc0 .LBB50_80
.LBB50_81:                              ;   in Loop: Header=BB50_8 Depth=1
	v_lshlrev_b32_e32 v3, 2, v4
	ds_write_b32 v3, v2 offset:3072
.LBB50_82:                              ;   in Loop: Header=BB50_8 Depth=1
	s_or_b64 exec, exec, s[18:19]
	s_lshl_b32 s6, s6, 2
	s_waitcnt vmcnt(0)
	v_mov_b32_e32 v2, s6
	s_waitcnt lgkmcnt(0)
	s_barrier
	ds_read_b128 v[2:5], v2 offset:3072
	s_and_b32 s47, s0, 0xfe
	s_lshl_b32 s55, 3, s47
	s_not_b32 s48, s55
	s_mov_b64 s[22:23], -1
	s_waitcnt lgkmcnt(0)
	v_readfirstlane_b32 s34, v2
	s_cmp_eq_u32 s34, 1
	s_cselect_b64 s[6:7], -1, 0
	s_cmp_eq_u32 s69, 1
	s_cselect_b64 s[10:11], -1, 0
	s_and_b64 s[24:25], s[6:7], s[10:11]
	v_readfirstlane_b32 s38, v3
	v_readfirstlane_b32 s46, v4
	;; [unrolled: 1-line block ×3, first 2 shown]
	s_and_b64 vcc, exec, s[24:25]
	s_cbranch_vccz .LBB50_94
; %bb.83:                               ;   in Loop: Header=BB50_8 Depth=1
	ds_read_b32 v2, v9 offset:4096
	s_waitcnt lgkmcnt(0)
	s_barrier
	v_readfirstlane_b32 s6, v2
	s_and_saveexec_b64 s[18:19], s[4:5]
	s_cbranch_execz .LBB50_85
; %bb.84:                               ;   in Loop: Header=BB50_8 Depth=1
	ds_write_b32 v25, v9
.LBB50_85:                              ;   in Loop: Header=BB50_8 Depth=1
	s_or_b64 exec, exec, s[18:19]
	s_and_b32 s85, s85, s48
	s_or_b32 s84, s84, s55
	s_cmp_lt_i32 s6, 1
	s_waitcnt lgkmcnt(0)
	s_barrier
	s_cbranch_scc0 .LBB50_95
; %bb.86:                               ;   in Loop: Header=BB50_8 Depth=1
	s_mov_b64 s[18:19], 0
                                        ; implicit-def: $vgpr19
	s_mov_b64 s[20:21], exec
	v_readlane_b32 s10, v50, 57
	v_readlane_b32 s11, v50, 58
	s_and_b64 s[10:11], s[20:21], s[10:11]
	s_mov_b64 exec, s[10:11]
	s_cbranch_execz .LBB50_97
; %bb.87:                               ;   in Loop: Header=BB50_8 Depth=1
	s_mov_b64 s[26:27], 0
	v_mov_b32_e32 v2, v6
	v_mov_b32_e32 v4, v0
                                        ; implicit-def: $sgpr28_sgpr29
	s_branch .LBB50_89
.LBB50_88:                              ;   in Loop: Header=BB50_89 Depth=2
	s_or_b64 exec, exec, s[18:19]
	s_waitcnt lgkmcnt(0)
	s_barrier
	ds_read_b64 v[18:19], v9 offset:3072
	v_add_u32_e32 v4, s33, v4
	v_cmp_le_i32_e64 s[18:19], s17, v4
	v_add_u32_e32 v2, s89, v2
	s_waitcnt lgkmcnt(0)
	v_cmp_neq_f32_e32 vcc, 0, v18
	s_or_b64 s[10:11], s[18:19], vcc
	s_and_b64 s[10:11], exec, s[10:11]
	s_or_b64 s[26:27], s[10:11], s[26:27]
	s_andn2_b64 s[10:11], s[28:29], exec
	s_and_b64 s[18:19], vcc, exec
	s_or_b64 s[28:29], s[10:11], s[18:19]
	s_barrier
	s_andn2_b64 exec, exec, s[26:27]
	s_cbranch_execz .LBB50_96
.LBB50_89:                              ;   Parent Loop BB50_8 Depth=1
                                        ; =>  This Inner Loop Header: Depth=2
	v_cmp_gt_i32_e32 vcc, s68, v4
	s_waitcnt vmcnt(0)
	v_mov_b32_e32 v17, 0
	s_and_saveexec_b64 s[30:31], vcc
	s_cbranch_execz .LBB50_91
; %bb.90:                               ;   in Loop: Header=BB50_89 Depth=2
	v_ashrrev_i32_e32 v3, 31, v2
	v_lshlrev_b64 v[18:19], 2, v[2:3]
	v_mov_b32_e32 v3, s88
	v_add_co_u32_e64 v18, s[18:19], s70, v18
	v_addc_co_u32_e64 v19, s[18:19], v3, v19, s[18:19]
	global_load_dword v17, v[18:19], off
.LBB50_91:                              ;   in Loop: Header=BB50_89 Depth=2
	s_or_b64 exec, exec, s[30:31]
	s_and_saveexec_b64 s[18:19], vcc
	s_cbranch_execz .LBB50_88
; %bb.92:                               ;   in Loop: Header=BB50_89 Depth=2
	s_waitcnt vmcnt(0)
	v_cmp_lt_i32_e32 vcc, -1, v17
	v_cndmask_b32_e32 v3, -1, v36, vcc
	v_xor_b32_e32 v3, v3, v17
	v_cmp_o_f32_e32 vcc, v17, v17
	v_cndmask_b32_e32 v3, -1, v3, vcc
	v_and_b32_e32 v3, s84, v3
	v_cmp_eq_u32_e32 vcc, s85, v3
	s_and_b64 exec, exec, vcc
	s_cbranch_execz .LBB50_88
; %bb.93:                               ;   in Loop: Header=BB50_89 Depth=2
	ds_write_b64 v9, v[16:17] offset:3072
	s_branch .LBB50_88
.LBB50_94:                              ;   in Loop: Header=BB50_8 Depth=1
	s_mov_b64 s[18:19], -1
                                        ; implicit-def: $sgpr20_sgpr21
                                        ; implicit-def: $sgpr28_sgpr29
                                        ; implicit-def: $sgpr26_sgpr27
	s_branch .LBB50_108
.LBB50_95:                              ;   in Loop: Header=BB50_8 Depth=1
	s_mov_b64 s[20:21], -1
	s_mov_b64 s[18:19], 0
                                        ; implicit-def: $sgpr26_sgpr27
                                        ; implicit-def: $vgpr19
	s_mov_b64 s[28:29], s[20:21]
	s_cbranch_execnz .LBB50_98
	s_branch .LBB50_108
.LBB50_96:                              ;   in Loop: Header=BB50_8 Depth=1
	s_or_b64 exec, exec, s[26:27]
	s_and_b64 s[18:19], s[28:29], exec
.LBB50_97:                              ;   in Loop: Header=BB50_8 Depth=1
	s_or_b64 exec, exec, s[20:21]
	s_mov_b64 s[26:27], -1
	s_mov_b64 s[20:21], 0
	s_mov_b64 s[28:29], s[20:21]
	s_branch .LBB50_108
.LBB50_98:                              ;   in Loop: Header=BB50_8 Depth=1
	v_readlane_b32 s7, v50, 31
	s_add_i32 s7, s6, s7
	s_abs_i32 s11, s7
	v_readlane_b32 s18, v50, 56
	s_mul_hi_u32 s18, s11, s18
	s_mul_i32 s18, s18, s33
	s_sub_i32 s11, s11, s18
	s_ashr_i32 s10, s7, 31
	s_sub_i32 s18, s11, s33
	s_cmp_ge_u32 s11, s33
	s_cselect_b32 s11, s18, s11
	s_sub_i32 s18, s11, s33
	s_cmp_ge_u32 s11, s33
	s_cselect_b32 s11, s18, s11
	s_xor_b32 s11, s11, s10
	s_sub_i32 s10, s10, s11
	s_add_i32 s7, s7, s10
	v_cmp_gt_i32_e32 vcc, s7, v0
	s_mov_b64 s[18:19], 0
                                        ; implicit-def: $vgpr19
	s_and_saveexec_b64 s[20:21], vcc
	s_cbranch_execz .LBB50_107
; %bb.99:                               ;   in Loop: Header=BB50_8 Depth=1
	s_mov_b64 s[26:27], 0
	v_mov_b32_e32 v2, v24
	v_mov_b32_e32 v3, v0
                                        ; implicit-def: $sgpr28_sgpr29
	s_branch .LBB50_101
.LBB50_100:                             ;   in Loop: Header=BB50_101 Depth=2
	s_or_b64 exec, exec, s[18:19]
	s_waitcnt lgkmcnt(0)
	s_barrier
	ds_read_b64 v[18:19], v9 offset:3072
	v_add_u32_e32 v3, s33, v3
	v_cmp_le_i32_e64 s[18:19], s7, v3
	v_add_u32_e32 v2, s90, v2
	s_waitcnt lgkmcnt(0)
	v_cmp_neq_f32_e32 vcc, 0, v18
	s_or_b64 s[10:11], s[18:19], vcc
	s_and_b64 s[10:11], exec, s[10:11]
	s_or_b64 s[26:27], s[10:11], s[26:27]
	s_andn2_b64 s[10:11], s[28:29], exec
	s_and_b64 s[18:19], vcc, exec
	s_or_b64 s[28:29], s[10:11], s[18:19]
	s_barrier
	s_andn2_b64 exec, exec, s[26:27]
	s_cbranch_execz .LBB50_106
.LBB50_101:                             ;   Parent Loop BB50_8 Depth=1
                                        ; =>  This Inner Loop Header: Depth=2
	v_cmp_gt_i32_e32 vcc, s6, v3
	s_waitcnt vmcnt(0)
	v_mov_b32_e32 v17, 0
	s_and_saveexec_b64 s[18:19], vcc
	s_cbranch_execz .LBB50_103
; %bb.102:                              ;   in Loop: Header=BB50_101 Depth=2
	ds_read_b32 v17, v2
.LBB50_103:                             ;   in Loop: Header=BB50_101 Depth=2
	s_or_b64 exec, exec, s[18:19]
	s_and_saveexec_b64 s[18:19], vcc
	s_cbranch_execz .LBB50_100
; %bb.104:                              ;   in Loop: Header=BB50_101 Depth=2
	s_waitcnt lgkmcnt(0)
	v_cmp_lt_i32_e32 vcc, -1, v17
	v_cndmask_b32_e32 v4, -1, v36, vcc
	v_xor_b32_e32 v4, v4, v17
	v_cmp_o_f32_e32 vcc, v17, v17
	v_cndmask_b32_e32 v4, -1, v4, vcc
	v_and_b32_e32 v4, s84, v4
	v_cmp_eq_u32_e32 vcc, s85, v4
	s_and_b64 exec, exec, vcc
	s_cbranch_execz .LBB50_100
; %bb.105:                              ;   in Loop: Header=BB50_101 Depth=2
	ds_write_b64 v9, v[16:17] offset:3072
	s_branch .LBB50_100
.LBB50_106:                             ;   in Loop: Header=BB50_8 Depth=1
	s_or_b64 exec, exec, s[26:27]
	s_and_b64 s[18:19], s[28:29], exec
.LBB50_107:                             ;   in Loop: Header=BB50_8 Depth=1
	s_or_b64 exec, exec, s[20:21]
	s_mov_b64 s[28:29], -1
	s_mov_b64 s[20:21], 0
	s_mov_b64 s[26:27], 0
.LBB50_108:                             ;   in Loop: Header=BB50_8 Depth=1
	s_andn2_b64 s[6:7], s[76:77], exec
	s_and_b64 s[10:11], s[20:21], exec
	s_or_b64 s[76:77], s[6:7], s[10:11]
	s_andn2_b64 s[6:7], s[72:73], exec
	s_and_b64 s[10:11], s[28:29], exec
	s_or_b64 s[72:73], s[6:7], s[10:11]
	;; [unrolled: 3-line block ×3, first 2 shown]
	s_and_saveexec_b64 s[20:21], s[18:19]
	s_cbranch_execz .LBB50_7
; %bb.109:                              ;   in Loop: Header=BB50_8 Depth=1
	s_xor_b64 s[6:7], s[24:25], -1
	s_mov_b64 s[18:19], 0
	s_andn2_b64 vcc, exec, s[6:7]
	s_mov_b32 s39, 1
	s_cbranch_vccnz .LBB50_120
; %bb.110:                              ;   in Loop: Header=BB50_8 Depth=1
	s_cmp_gt_i32 s69, s34
	s_mov_b64 s[18:19], -1
                                        ; implicit-def: $sgpr57
                                        ; implicit-def: $sgpr6
                                        ; implicit-def: $sgpr7
	s_cbranch_scc1 .LBB50_116
; %bb.111:                              ;   in Loop: Header=BB50_8 Depth=1
	ds_read_b32 v2, v9 offset:4096
	s_waitcnt lgkmcnt(0)
	v_cmp_ne_u32_e32 vcc, 0, v2
	s_cbranch_vccnz .LBB50_115
; %bb.112:                              ;   in Loop: Header=BB50_8 Depth=1
	s_mov_b64 s[18:19], exec
	v_readlane_b32 s6, v50, 18
	v_readlane_b32 s7, v50, 19
	s_and_b64 s[6:7], s[18:19], s[6:7]
	s_mov_b64 exec, s[6:7]
	s_cbranch_execz .LBB50_114
; %bb.113:                              ;   in Loop: Header=BB50_8 Depth=1
	v_mov_b32_e32 v2, s34
	ds_write_b32 v9, v2 offset:4100
.LBB50_114:                             ;   in Loop: Header=BB50_8 Depth=1
	s_or_b64 exec, exec, s[18:19]
	s_waitcnt lgkmcnt(0)
	s_barrier
.LBB50_115:                             ;   in Loop: Header=BB50_8 Depth=1
	s_and_b32 s6, s85, s48
	s_or_b32 s7, s84, s55
	s_mov_b64 s[18:19], 0
	s_mov_b32 s57, 8
.LBB50_116:                             ;   in Loop: Header=BB50_8 Depth=1
	s_andn2_b64 vcc, exec, s[18:19]
	s_cbranch_vccnz .LBB50_118
; %bb.117:                              ;   in Loop: Header=BB50_8 Depth=1
	s_sub_i32 s69, s69, s34
	s_mov_b64 s[18:19], -1
	s_mov_b32 s57, 0
	s_mov_b32 s6, s85
	;; [unrolled: 1-line block ×3, first 2 shown]
.LBB50_118:                             ;   in Loop: Header=BB50_8 Depth=1
	s_mov_b32 s84, s7
	s_mov_b32 s85, s6
	;; [unrolled: 1-line block ×3, first 2 shown]
	s_mov_b64 s[22:23], -1
	s_and_b64 vcc, exec, s[18:19]
	s_cbranch_vccnz .LBB50_121
.LBB50_119:                             ;   in Loop: Header=BB50_8 Depth=1
	s_mov_b64 s[36:37], -1
                                        ; implicit-def: $sgpr24_sgpr25
                                        ; implicit-def: $sgpr28_sgpr29
                                        ; implicit-def: $sgpr26_sgpr27
	s_and_saveexec_b64 s[6:7], s[36:37]
	s_xor_b64 s[18:19], exec, s[6:7]
	s_cbranch_execz .LBB50_6
	s_branch .LBB50_244
.LBB50_120:                             ;   in Loop: Header=BB50_8 Depth=1
	s_mov_b32 s57, 1
	s_mov_b64 s[22:23], -1
	s_and_b64 vcc, exec, s[18:19]
	s_cbranch_vccz .LBB50_119
.LBB50_121:                             ;   in Loop: Header=BB50_8 Depth=1
	s_cmp_eq_u32 s38, 1
	s_cselect_b64 s[6:7], -1, 0
	s_cmp_eq_u32 s39, 1
	s_cselect_b64 s[10:11], -1, 0
	s_and_b64 s[34:35], s[6:7], s[10:11]
	s_mov_b64 s[18:19], -1
	s_and_b64 vcc, exec, s[34:35]
	s_cbranch_vccz .LBB50_133
; %bb.122:                              ;   in Loop: Header=BB50_8 Depth=1
	ds_read_b32 v2, v9 offset:4096
	s_waitcnt lgkmcnt(0)
	s_barrier
	v_readfirstlane_b32 s6, v2
	s_and_saveexec_b64 s[18:19], s[4:5]
	s_cbranch_execz .LBB50_124
; %bb.123:                              ;   in Loop: Header=BB50_8 Depth=1
	ds_write_b32 v25, v9
.LBB50_124:                             ;   in Loop: Header=BB50_8 Depth=1
	s_or_b64 exec, exec, s[18:19]
	s_lshl_b32 s7, 1, s47
	s_and_b32 s10, s85, s48
	s_or_b32 s85, s10, s7
	s_or_b32 s84, s84, s55
	s_cmp_gt_i32 s6, 0
	s_waitcnt lgkmcnt(0)
	s_barrier
	s_cbranch_scc1 .LBB50_134
; %bb.125:                              ;   in Loop: Header=BB50_8 Depth=1
	s_mov_b64 s[18:19], 0
                                        ; implicit-def: $vgpr19
	s_mov_b64 s[24:25], exec
	v_readlane_b32 s10, v50, 57
	v_readlane_b32 s11, v50, 58
	s_and_b64 s[10:11], s[24:25], s[10:11]
	s_mov_b64 exec, s[10:11]
	s_cbranch_execz .LBB50_136
; %bb.126:                              ;   in Loop: Header=BB50_8 Depth=1
	s_mov_b64 s[26:27], 0
	v_mov_b32_e32 v2, v6
	v_mov_b32_e32 v4, v0
                                        ; implicit-def: $sgpr28_sgpr29
	s_branch .LBB50_128
.LBB50_127:                             ;   in Loop: Header=BB50_128 Depth=2
	s_or_b64 exec, exec, s[18:19]
	s_waitcnt lgkmcnt(0)
	s_barrier
	ds_read_b64 v[18:19], v9 offset:3072
	v_add_u32_e32 v4, s33, v4
	v_cmp_le_i32_e64 s[18:19], s17, v4
	v_add_u32_e32 v2, s89, v2
	s_waitcnt lgkmcnt(0)
	v_cmp_neq_f32_e32 vcc, 0, v18
	s_or_b64 s[10:11], s[18:19], vcc
	s_and_b64 s[10:11], exec, s[10:11]
	s_or_b64 s[26:27], s[10:11], s[26:27]
	s_andn2_b64 s[10:11], s[28:29], exec
	s_and_b64 s[18:19], vcc, exec
	s_or_b64 s[28:29], s[10:11], s[18:19]
	s_barrier
	s_andn2_b64 exec, exec, s[26:27]
	s_cbranch_execz .LBB50_135
.LBB50_128:                             ;   Parent Loop BB50_8 Depth=1
                                        ; =>  This Inner Loop Header: Depth=2
	v_cmp_gt_i32_e32 vcc, s68, v4
	s_waitcnt vmcnt(0)
	v_mov_b32_e32 v17, 0
	s_and_saveexec_b64 s[30:31], vcc
	s_cbranch_execz .LBB50_130
; %bb.129:                              ;   in Loop: Header=BB50_128 Depth=2
	v_ashrrev_i32_e32 v3, 31, v2
	v_lshlrev_b64 v[18:19], 2, v[2:3]
	v_mov_b32_e32 v3, s88
	v_add_co_u32_e64 v18, s[18:19], s70, v18
	v_addc_co_u32_e64 v19, s[18:19], v3, v19, s[18:19]
	global_load_dword v17, v[18:19], off
.LBB50_130:                             ;   in Loop: Header=BB50_128 Depth=2
	s_or_b64 exec, exec, s[30:31]
	s_and_saveexec_b64 s[18:19], vcc
	s_cbranch_execz .LBB50_127
; %bb.131:                              ;   in Loop: Header=BB50_128 Depth=2
	s_waitcnt vmcnt(0)
	v_cmp_lt_i32_e32 vcc, -1, v17
	v_cndmask_b32_e32 v3, -1, v36, vcc
	v_xor_b32_e32 v3, v3, v17
	v_cmp_o_f32_e32 vcc, v17, v17
	v_cndmask_b32_e32 v3, -1, v3, vcc
	v_and_b32_e32 v3, s84, v3
	v_cmp_eq_u32_e32 vcc, s85, v3
	s_and_b64 exec, exec, vcc
	s_cbranch_execz .LBB50_127
; %bb.132:                              ;   in Loop: Header=BB50_128 Depth=2
	ds_write_b64 v9, v[16:17] offset:3072
	s_branch .LBB50_127
.LBB50_133:                             ;   in Loop: Header=BB50_8 Depth=1
                                        ; implicit-def: $sgpr26_sgpr27
                                        ; implicit-def: $sgpr28_sgpr29
                                        ; implicit-def: $sgpr24_sgpr25
	s_branch .LBB50_147
.LBB50_134:                             ;   in Loop: Header=BB50_8 Depth=1
	s_mov_b64 s[26:27], -1
	s_mov_b64 s[18:19], 0
                                        ; implicit-def: $sgpr24_sgpr25
                                        ; implicit-def: $vgpr19
	s_mov_b64 s[28:29], s[26:27]
	s_cbranch_execnz .LBB50_137
	s_branch .LBB50_147
.LBB50_135:                             ;   in Loop: Header=BB50_8 Depth=1
	s_or_b64 exec, exec, s[26:27]
	s_and_b64 s[18:19], s[28:29], exec
.LBB50_136:                             ;   in Loop: Header=BB50_8 Depth=1
	s_or_b64 exec, exec, s[24:25]
	s_mov_b64 s[24:25], -1
	s_mov_b64 s[26:27], 0
	s_mov_b64 s[28:29], s[26:27]
	s_branch .LBB50_147
.LBB50_137:                             ;   in Loop: Header=BB50_8 Depth=1
	v_readlane_b32 s7, v50, 31
	s_add_i32 s7, s6, s7
	s_abs_i32 s11, s7
	v_readlane_b32 s18, v50, 56
	s_mul_hi_u32 s18, s11, s18
	s_mul_i32 s18, s18, s33
	s_sub_i32 s11, s11, s18
	s_ashr_i32 s10, s7, 31
	s_sub_i32 s18, s11, s33
	s_cmp_ge_u32 s11, s33
	s_cselect_b32 s11, s18, s11
	s_sub_i32 s18, s11, s33
	s_cmp_ge_u32 s11, s33
	s_cselect_b32 s11, s18, s11
	s_xor_b32 s11, s11, s10
	s_sub_i32 s10, s10, s11
	s_add_i32 s7, s7, s10
	v_cmp_gt_i32_e32 vcc, s7, v0
	s_mov_b64 s[18:19], 0
                                        ; implicit-def: $vgpr19
	s_and_saveexec_b64 s[24:25], vcc
	s_cbranch_execz .LBB50_146
; %bb.138:                              ;   in Loop: Header=BB50_8 Depth=1
	s_mov_b64 s[26:27], 0
	v_mov_b32_e32 v2, v24
	v_mov_b32_e32 v3, v0
                                        ; implicit-def: $sgpr28_sgpr29
	s_branch .LBB50_140
.LBB50_139:                             ;   in Loop: Header=BB50_140 Depth=2
	s_or_b64 exec, exec, s[18:19]
	s_waitcnt lgkmcnt(0)
	s_barrier
	ds_read_b64 v[18:19], v9 offset:3072
	v_add_u32_e32 v3, s33, v3
	v_cmp_le_i32_e64 s[18:19], s7, v3
	v_add_u32_e32 v2, s90, v2
	s_waitcnt lgkmcnt(0)
	v_cmp_neq_f32_e32 vcc, 0, v18
	s_or_b64 s[10:11], s[18:19], vcc
	s_and_b64 s[10:11], exec, s[10:11]
	s_or_b64 s[26:27], s[10:11], s[26:27]
	s_andn2_b64 s[10:11], s[28:29], exec
	s_and_b64 s[18:19], vcc, exec
	s_or_b64 s[28:29], s[10:11], s[18:19]
	s_barrier
	s_andn2_b64 exec, exec, s[26:27]
	s_cbranch_execz .LBB50_145
.LBB50_140:                             ;   Parent Loop BB50_8 Depth=1
                                        ; =>  This Inner Loop Header: Depth=2
	v_cmp_gt_i32_e32 vcc, s6, v3
	s_waitcnt vmcnt(0)
	v_mov_b32_e32 v17, 0
	s_and_saveexec_b64 s[18:19], vcc
	s_cbranch_execz .LBB50_142
; %bb.141:                              ;   in Loop: Header=BB50_140 Depth=2
	ds_read_b32 v17, v2
.LBB50_142:                             ;   in Loop: Header=BB50_140 Depth=2
	s_or_b64 exec, exec, s[18:19]
	s_and_saveexec_b64 s[18:19], vcc
	s_cbranch_execz .LBB50_139
; %bb.143:                              ;   in Loop: Header=BB50_140 Depth=2
	s_waitcnt lgkmcnt(0)
	v_cmp_lt_i32_e32 vcc, -1, v17
	v_cndmask_b32_e32 v4, -1, v36, vcc
	v_xor_b32_e32 v4, v4, v17
	v_cmp_o_f32_e32 vcc, v17, v17
	v_cndmask_b32_e32 v4, -1, v4, vcc
	v_and_b32_e32 v4, s84, v4
	v_cmp_eq_u32_e32 vcc, s85, v4
	s_and_b64 exec, exec, vcc
	s_cbranch_execz .LBB50_139
; %bb.144:                              ;   in Loop: Header=BB50_140 Depth=2
	ds_write_b64 v9, v[16:17] offset:3072
	s_branch .LBB50_139
.LBB50_145:                             ;   in Loop: Header=BB50_8 Depth=1
	s_or_b64 exec, exec, s[26:27]
	s_and_b64 s[18:19], s[28:29], exec
.LBB50_146:                             ;   in Loop: Header=BB50_8 Depth=1
	s_or_b64 exec, exec, s[24:25]
	s_mov_b64 s[28:29], -1
	s_mov_b64 s[26:27], 0
	s_mov_b64 s[24:25], 0
.LBB50_147:                             ;   in Loop: Header=BB50_8 Depth=1
	s_mov_b64 s[36:37], 0
                                        ; implicit-def: $sgpr57
	s_and_saveexec_b64 s[30:31], s[18:19]
	s_cbranch_execz .LBB50_243
; %bb.148:                              ;   in Loop: Header=BB50_8 Depth=1
	s_xor_b64 s[6:7], s[34:35], -1
	s_mov_b64 s[18:19], 0
	s_andn2_b64 vcc, exec, s[6:7]
	s_mov_b32 s49, 1
	s_cbranch_vccnz .LBB50_159
; %bb.149:                              ;   in Loop: Header=BB50_8 Depth=1
	s_cmp_gt_i32 s39, s38
	s_mov_b64 s[18:19], -1
                                        ; implicit-def: $sgpr57
                                        ; implicit-def: $sgpr6
                                        ; implicit-def: $sgpr7
	s_cbranch_scc1 .LBB50_155
; %bb.150:                              ;   in Loop: Header=BB50_8 Depth=1
	ds_read_b32 v2, v9 offset:4096
	s_waitcnt lgkmcnt(0)
	v_cmp_ne_u32_e32 vcc, 0, v2
	s_cbranch_vccnz .LBB50_154
; %bb.151:                              ;   in Loop: Header=BB50_8 Depth=1
	s_mov_b64 s[18:19], exec
	v_readlane_b32 s6, v50, 18
	v_readlane_b32 s7, v50, 19
	s_and_b64 s[6:7], s[18:19], s[6:7]
	s_mov_b64 exec, s[6:7]
	s_cbranch_execz .LBB50_153
; %bb.152:                              ;   in Loop: Header=BB50_8 Depth=1
	v_mov_b32_e32 v2, s38
	ds_write_b32 v9, v2 offset:4100
.LBB50_153:                             ;   in Loop: Header=BB50_8 Depth=1
	s_or_b64 exec, exec, s[18:19]
	s_waitcnt lgkmcnt(0)
	s_barrier
.LBB50_154:                             ;   in Loop: Header=BB50_8 Depth=1
	s_lshl_b32 s6, 1, s47
	s_and_b32 s7, s85, s48
	s_or_b32 s6, s7, s6
	s_or_b32 s7, s84, s55
	s_mov_b64 s[18:19], 0
	s_mov_b32 s57, 8
.LBB50_155:                             ;   in Loop: Header=BB50_8 Depth=1
	s_andn2_b64 vcc, exec, s[18:19]
	s_cbranch_vccnz .LBB50_157
; %bb.156:                              ;   in Loop: Header=BB50_8 Depth=1
	s_sub_i32 s39, s39, s38
	s_mov_b64 s[18:19], -1
	s_mov_b32 s57, 0
	s_mov_b32 s6, s85
	;; [unrolled: 1-line block ×3, first 2 shown]
.LBB50_157:                             ;   in Loop: Header=BB50_8 Depth=1
	s_mov_b32 s84, s7
	s_mov_b32 s85, s6
	;; [unrolled: 1-line block ×3, first 2 shown]
	s_andn2_b64 vcc, exec, s[18:19]
	s_mov_b64 s[44:45], -1
	s_cbranch_vccz .LBB50_160
.LBB50_158:                             ;   in Loop: Header=BB50_8 Depth=1
                                        ; implicit-def: $sgpr36_sgpr37
                                        ; implicit-def: $sgpr38_sgpr39
                                        ; implicit-def: $sgpr34_sgpr35
	s_branch .LBB50_242
.LBB50_159:                             ;   in Loop: Header=BB50_8 Depth=1
	s_mov_b32 s57, 1
	s_andn2_b64 vcc, exec, s[18:19]
	s_mov_b64 s[44:45], -1
	s_cbranch_vccnz .LBB50_158
.LBB50_160:                             ;   in Loop: Header=BB50_8 Depth=1
	s_cmp_eq_u32 s46, 1
	s_cselect_b64 s[6:7], -1, 0
	s_cmp_eq_u32 s49, 1
	s_cselect_b64 s[10:11], -1, 0
	s_and_b64 s[42:43], s[6:7], s[10:11]
	s_mov_b64 s[18:19], -1
	s_and_b64 vcc, exec, s[42:43]
	s_cbranch_vccz .LBB50_172
; %bb.161:                              ;   in Loop: Header=BB50_8 Depth=1
	ds_read_b32 v2, v9 offset:4096
	s_waitcnt lgkmcnt(0)
	s_barrier
	v_readfirstlane_b32 s6, v2
	s_and_saveexec_b64 s[18:19], s[4:5]
	s_cbranch_execz .LBB50_163
; %bb.162:                              ;   in Loop: Header=BB50_8 Depth=1
	ds_write_b32 v25, v9
.LBB50_163:                             ;   in Loop: Header=BB50_8 Depth=1
	s_or_b64 exec, exec, s[18:19]
	s_lshl_b32 s7, 2, s47
	s_and_b32 s10, s85, s48
	s_or_b32 s85, s10, s7
	s_or_b32 s84, s84, s55
	s_cmp_gt_i32 s6, 0
	s_waitcnt lgkmcnt(0)
	s_barrier
	s_cbranch_scc1 .LBB50_173
; %bb.164:                              ;   in Loop: Header=BB50_8 Depth=1
	s_mov_b64 s[18:19], 0
                                        ; implicit-def: $vgpr19
	s_mov_b64 s[34:35], exec
	v_readlane_b32 s10, v50, 57
	v_readlane_b32 s11, v50, 58
	s_and_b64 s[10:11], s[34:35], s[10:11]
	s_mov_b64 exec, s[10:11]
	s_cbranch_execz .LBB50_175
; %bb.165:                              ;   in Loop: Header=BB50_8 Depth=1
	v_mov_b32_e32 v2, v6
	v_mov_b32_e32 v4, v0
                                        ; implicit-def: $sgpr38_sgpr39
	s_branch .LBB50_167
.LBB50_166:                             ;   in Loop: Header=BB50_167 Depth=2
	s_or_b64 exec, exec, s[18:19]
	s_waitcnt lgkmcnt(0)
	s_barrier
	ds_read_b64 v[18:19], v9 offset:3072
	v_add_u32_e32 v4, s33, v4
	v_cmp_le_i32_e64 s[18:19], s17, v4
	v_add_u32_e32 v2, s89, v2
	s_waitcnt lgkmcnt(0)
	v_cmp_neq_f32_e32 vcc, 0, v18
	s_or_b64 s[10:11], s[18:19], vcc
	s_and_b64 s[10:11], exec, s[10:11]
	s_or_b64 s[36:37], s[10:11], s[36:37]
	s_andn2_b64 s[10:11], s[38:39], exec
	s_and_b64 s[18:19], vcc, exec
	s_or_b64 s[38:39], s[10:11], s[18:19]
	s_barrier
	s_andn2_b64 exec, exec, s[36:37]
	s_cbranch_execz .LBB50_174
.LBB50_167:                             ;   Parent Loop BB50_8 Depth=1
                                        ; =>  This Inner Loop Header: Depth=2
	v_cmp_gt_i32_e32 vcc, s68, v4
	s_waitcnt vmcnt(0)
	v_mov_b32_e32 v17, 0
	s_and_saveexec_b64 s[40:41], vcc
	s_cbranch_execz .LBB50_169
; %bb.168:                              ;   in Loop: Header=BB50_167 Depth=2
	v_ashrrev_i32_e32 v3, 31, v2
	v_lshlrev_b64 v[18:19], 2, v[2:3]
	v_mov_b32_e32 v3, s88
	v_add_co_u32_e64 v18, s[18:19], s70, v18
	v_addc_co_u32_e64 v19, s[18:19], v3, v19, s[18:19]
	global_load_dword v17, v[18:19], off
.LBB50_169:                             ;   in Loop: Header=BB50_167 Depth=2
	s_or_b64 exec, exec, s[40:41]
	s_and_saveexec_b64 s[18:19], vcc
	s_cbranch_execz .LBB50_166
; %bb.170:                              ;   in Loop: Header=BB50_167 Depth=2
	s_waitcnt vmcnt(0)
	v_cmp_lt_i32_e32 vcc, -1, v17
	v_cndmask_b32_e32 v3, -1, v36, vcc
	v_xor_b32_e32 v3, v3, v17
	v_cmp_o_f32_e32 vcc, v17, v17
	v_cndmask_b32_e32 v3, -1, v3, vcc
	v_and_b32_e32 v3, s84, v3
	v_cmp_eq_u32_e32 vcc, s85, v3
	s_and_b64 exec, exec, vcc
	s_cbranch_execz .LBB50_166
; %bb.171:                              ;   in Loop: Header=BB50_167 Depth=2
	ds_write_b64 v9, v[16:17] offset:3072
	s_branch .LBB50_166
.LBB50_172:                             ;   in Loop: Header=BB50_8 Depth=1
                                        ; implicit-def: $sgpr34_sgpr35
                                        ; implicit-def: $sgpr38_sgpr39
                                        ; implicit-def: $sgpr36_sgpr37
	s_branch .LBB50_186
.LBB50_173:                             ;   in Loop: Header=BB50_8 Depth=1
	s_mov_b64 s[34:35], -1
	s_mov_b64 s[18:19], 0
                                        ; implicit-def: $sgpr36_sgpr37
                                        ; implicit-def: $vgpr19
	s_mov_b64 s[38:39], s[34:35]
	s_cbranch_execnz .LBB50_176
	s_branch .LBB50_186
.LBB50_174:                             ;   in Loop: Header=BB50_8 Depth=1
	s_or_b64 exec, exec, s[36:37]
	s_and_b64 s[18:19], s[38:39], exec
.LBB50_175:                             ;   in Loop: Header=BB50_8 Depth=1
	s_or_b64 exec, exec, s[34:35]
	s_mov_b64 s[36:37], -1
	s_mov_b64 s[34:35], 0
	s_mov_b64 s[38:39], s[34:35]
	s_branch .LBB50_186
.LBB50_176:                             ;   in Loop: Header=BB50_8 Depth=1
	v_readlane_b32 s7, v50, 31
	s_add_i32 s7, s6, s7
	s_abs_i32 s11, s7
	v_readlane_b32 s18, v50, 56
	s_mul_hi_u32 s18, s11, s18
	s_mul_i32 s18, s18, s33
	s_sub_i32 s11, s11, s18
	s_ashr_i32 s10, s7, 31
	s_sub_i32 s18, s11, s33
	s_cmp_ge_u32 s11, s33
	s_cselect_b32 s11, s18, s11
	s_sub_i32 s18, s11, s33
	s_cmp_ge_u32 s11, s33
	s_cselect_b32 s11, s18, s11
	s_xor_b32 s11, s11, s10
	s_sub_i32 s10, s10, s11
	s_add_i32 s7, s7, s10
	v_cmp_gt_i32_e32 vcc, s7, v0
	s_mov_b64 s[18:19], 0
                                        ; implicit-def: $vgpr19
	s_and_saveexec_b64 s[34:35], vcc
	s_cbranch_execz .LBB50_185
; %bb.177:                              ;   in Loop: Header=BB50_8 Depth=1
	s_mov_b64 s[36:37], 0
	v_mov_b32_e32 v2, v24
	v_mov_b32_e32 v3, v0
                                        ; implicit-def: $sgpr38_sgpr39
	s_branch .LBB50_179
.LBB50_178:                             ;   in Loop: Header=BB50_179 Depth=2
	s_or_b64 exec, exec, s[18:19]
	s_waitcnt lgkmcnt(0)
	s_barrier
	ds_read_b64 v[18:19], v9 offset:3072
	v_add_u32_e32 v3, s33, v3
	v_cmp_le_i32_e64 s[18:19], s7, v3
	v_add_u32_e32 v2, s90, v2
	s_waitcnt lgkmcnt(0)
	v_cmp_neq_f32_e32 vcc, 0, v18
	s_or_b64 s[10:11], s[18:19], vcc
	s_and_b64 s[10:11], exec, s[10:11]
	s_or_b64 s[36:37], s[10:11], s[36:37]
	s_andn2_b64 s[10:11], s[38:39], exec
	s_and_b64 s[18:19], vcc, exec
	s_or_b64 s[38:39], s[10:11], s[18:19]
	s_barrier
	s_andn2_b64 exec, exec, s[36:37]
	s_cbranch_execz .LBB50_184
.LBB50_179:                             ;   Parent Loop BB50_8 Depth=1
                                        ; =>  This Inner Loop Header: Depth=2
	v_cmp_gt_i32_e32 vcc, s6, v3
	s_waitcnt vmcnt(0)
	v_mov_b32_e32 v17, 0
	s_and_saveexec_b64 s[18:19], vcc
	s_cbranch_execz .LBB50_181
; %bb.180:                              ;   in Loop: Header=BB50_179 Depth=2
	ds_read_b32 v17, v2
.LBB50_181:                             ;   in Loop: Header=BB50_179 Depth=2
	s_or_b64 exec, exec, s[18:19]
	s_and_saveexec_b64 s[18:19], vcc
	s_cbranch_execz .LBB50_178
; %bb.182:                              ;   in Loop: Header=BB50_179 Depth=2
	s_waitcnt lgkmcnt(0)
	v_cmp_lt_i32_e32 vcc, -1, v17
	v_cndmask_b32_e32 v4, -1, v36, vcc
	v_xor_b32_e32 v4, v4, v17
	v_cmp_o_f32_e32 vcc, v17, v17
	v_cndmask_b32_e32 v4, -1, v4, vcc
	v_and_b32_e32 v4, s84, v4
	v_cmp_eq_u32_e32 vcc, s85, v4
	s_and_b64 exec, exec, vcc
	s_cbranch_execz .LBB50_178
; %bb.183:                              ;   in Loop: Header=BB50_179 Depth=2
	ds_write_b64 v9, v[16:17] offset:3072
	s_branch .LBB50_178
.LBB50_184:                             ;   in Loop: Header=BB50_8 Depth=1
	s_or_b64 exec, exec, s[36:37]
	s_and_b64 s[18:19], s[38:39], exec
.LBB50_185:                             ;   in Loop: Header=BB50_8 Depth=1
	s_or_b64 exec, exec, s[34:35]
	s_mov_b64 s[38:39], -1
	s_mov_b64 s[34:35], 0
	s_mov_b64 s[36:37], 0
.LBB50_186:                             ;   in Loop: Header=BB50_8 Depth=1
	s_mov_b64 s[44:45], 0
                                        ; implicit-def: $sgpr57
	s_and_saveexec_b64 s[40:41], s[18:19]
	s_cbranch_execz .LBB50_241
; %bb.187:                              ;   in Loop: Header=BB50_8 Depth=1
	s_xor_b64 s[6:7], s[42:43], -1
	s_mov_b64 s[18:19], 0
	s_andn2_b64 vcc, exec, s[6:7]
	s_mov_b32 s56, 1
	s_cbranch_vccnz .LBB50_198
; %bb.188:                              ;   in Loop: Header=BB50_8 Depth=1
	s_cmp_gt_i32 s49, s46
	s_mov_b64 s[18:19], -1
                                        ; implicit-def: $sgpr57
                                        ; implicit-def: $sgpr6
                                        ; implicit-def: $sgpr7
	s_cbranch_scc1 .LBB50_194
; %bb.189:                              ;   in Loop: Header=BB50_8 Depth=1
	ds_read_b32 v2, v9 offset:4096
	s_waitcnt lgkmcnt(0)
	v_cmp_ne_u32_e32 vcc, 0, v2
	s_cbranch_vccnz .LBB50_193
; %bb.190:                              ;   in Loop: Header=BB50_8 Depth=1
	s_mov_b64 s[18:19], exec
	v_readlane_b32 s6, v50, 18
	v_readlane_b32 s7, v50, 19
	s_and_b64 s[6:7], s[18:19], s[6:7]
	s_mov_b64 exec, s[6:7]
	s_cbranch_execz .LBB50_192
; %bb.191:                              ;   in Loop: Header=BB50_8 Depth=1
	v_mov_b32_e32 v2, s46
	ds_write_b32 v9, v2 offset:4100
.LBB50_192:                             ;   in Loop: Header=BB50_8 Depth=1
	s_or_b64 exec, exec, s[18:19]
	s_waitcnt lgkmcnt(0)
	s_barrier
.LBB50_193:                             ;   in Loop: Header=BB50_8 Depth=1
	s_lshl_b32 s6, 2, s47
	s_and_b32 s7, s85, s48
	s_or_b32 s6, s7, s6
	s_or_b32 s7, s84, s55
	s_mov_b64 s[18:19], 0
	s_mov_b32 s57, 8
.LBB50_194:                             ;   in Loop: Header=BB50_8 Depth=1
	s_andn2_b64 vcc, exec, s[18:19]
	s_cbranch_vccnz .LBB50_196
; %bb.195:                              ;   in Loop: Header=BB50_8 Depth=1
	s_sub_i32 s49, s49, s46
	s_mov_b64 s[18:19], -1
	s_mov_b32 s57, 0
	s_mov_b32 s6, s85
	;; [unrolled: 1-line block ×3, first 2 shown]
.LBB50_196:                             ;   in Loop: Header=BB50_8 Depth=1
	s_mov_b32 s84, s7
	s_mov_b32 s85, s6
	;; [unrolled: 1-line block ×3, first 2 shown]
	s_andn2_b64 vcc, exec, s[18:19]
	s_mov_b64 s[52:53], -1
	s_cbranch_vccz .LBB50_199
.LBB50_197:                             ;   in Loop: Header=BB50_8 Depth=1
                                        ; implicit-def: $sgpr18_sgpr19
                                        ; implicit-def: $sgpr46_sgpr47
                                        ; implicit-def: $sgpr44_sgpr45
	s_branch .LBB50_240
.LBB50_198:                             ;   in Loop: Header=BB50_8 Depth=1
	s_mov_b32 s57, 1
	s_andn2_b64 vcc, exec, s[18:19]
	s_mov_b64 s[52:53], -1
	s_cbranch_vccnz .LBB50_197
.LBB50_199:                             ;   in Loop: Header=BB50_8 Depth=1
	s_cmp_eq_u32 s54, 1
	s_cselect_b64 s[6:7], -1, 0
	s_cmp_eq_u32 s56, 1
	s_cselect_b64 s[10:11], -1, 0
	s_and_b64 s[42:43], s[6:7], s[10:11]
	s_mov_b64 s[48:49], -1
	s_and_b64 vcc, exec, s[42:43]
	s_cbranch_vccz .LBB50_211
; %bb.200:                              ;   in Loop: Header=BB50_8 Depth=1
	ds_read_b32 v2, v9 offset:4096
	s_waitcnt lgkmcnt(0)
	s_barrier
	v_readfirstlane_b32 s6, v2
	s_and_saveexec_b64 s[18:19], s[4:5]
	s_cbranch_execz .LBB50_202
; %bb.201:                              ;   in Loop: Header=BB50_8 Depth=1
	ds_write_b32 v25, v9
.LBB50_202:                             ;   in Loop: Header=BB50_8 Depth=1
	s_or_b64 exec, exec, s[18:19]
	s_or_b32 s85, s85, s55
	s_or_b32 s84, s84, s55
	s_cmp_gt_i32 s6, 0
	s_waitcnt lgkmcnt(0)
	s_barrier
	s_cbranch_scc1 .LBB50_212
; %bb.203:                              ;   in Loop: Header=BB50_8 Depth=1
	s_mov_b64 s[48:49], 0
                                        ; implicit-def: $vgpr19
	s_mov_b64 s[44:45], exec
	v_readlane_b32 s10, v50, 57
	v_readlane_b32 s11, v50, 58
	s_and_b64 s[10:11], s[44:45], s[10:11]
	s_mov_b64 exec, s[10:11]
	s_cbranch_execz .LBB50_214
; %bb.204:                              ;   in Loop: Header=BB50_8 Depth=1
	s_mov_b64 s[46:47], 0
	v_mov_b32_e32 v2, v6
	v_mov_b32_e32 v4, v0
                                        ; implicit-def: $sgpr48_sgpr49
	s_branch .LBB50_206
.LBB50_205:                             ;   in Loop: Header=BB50_206 Depth=2
	s_or_b64 exec, exec, s[18:19]
	s_waitcnt lgkmcnt(0)
	s_barrier
	ds_read_b64 v[18:19], v9 offset:3072
	v_add_u32_e32 v4, s33, v4
	v_cmp_le_i32_e64 s[18:19], s17, v4
	v_add_u32_e32 v2, s89, v2
	s_waitcnt lgkmcnt(0)
	v_cmp_neq_f32_e32 vcc, 0, v18
	s_or_b64 s[10:11], s[18:19], vcc
	s_and_b64 s[10:11], exec, s[10:11]
	s_or_b64 s[46:47], s[10:11], s[46:47]
	s_andn2_b64 s[10:11], s[48:49], exec
	s_and_b64 s[18:19], vcc, exec
	s_or_b64 s[48:49], s[10:11], s[18:19]
	s_barrier
	s_andn2_b64 exec, exec, s[46:47]
	s_cbranch_execz .LBB50_213
.LBB50_206:                             ;   Parent Loop BB50_8 Depth=1
                                        ; =>  This Inner Loop Header: Depth=2
	v_cmp_gt_i32_e32 vcc, s68, v4
	s_waitcnt vmcnt(0)
	v_mov_b32_e32 v17, 0
	s_and_saveexec_b64 s[50:51], vcc
	s_cbranch_execz .LBB50_208
; %bb.207:                              ;   in Loop: Header=BB50_206 Depth=2
	v_ashrrev_i32_e32 v3, 31, v2
	v_lshlrev_b64 v[18:19], 2, v[2:3]
	v_mov_b32_e32 v3, s88
	v_add_co_u32_e64 v18, s[18:19], s70, v18
	v_addc_co_u32_e64 v19, s[18:19], v3, v19, s[18:19]
	global_load_dword v17, v[18:19], off
.LBB50_208:                             ;   in Loop: Header=BB50_206 Depth=2
	s_or_b64 exec, exec, s[50:51]
	s_and_saveexec_b64 s[18:19], vcc
	s_cbranch_execz .LBB50_205
; %bb.209:                              ;   in Loop: Header=BB50_206 Depth=2
	s_waitcnt vmcnt(0)
	v_cmp_lt_i32_e32 vcc, -1, v17
	v_cndmask_b32_e32 v3, -1, v36, vcc
	v_xor_b32_e32 v3, v3, v17
	v_cmp_o_f32_e32 vcc, v17, v17
	v_cndmask_b32_e32 v3, -1, v3, vcc
	v_and_b32_e32 v3, s84, v3
	v_cmp_eq_u32_e32 vcc, s85, v3
	s_and_b64 exec, exec, vcc
	s_cbranch_execz .LBB50_205
; %bb.210:                              ;   in Loop: Header=BB50_206 Depth=2
	ds_write_b64 v9, v[16:17] offset:3072
	s_branch .LBB50_205
.LBB50_211:                             ;   in Loop: Header=BB50_8 Depth=1
                                        ; implicit-def: $sgpr18_sgpr19
                                        ; implicit-def: $sgpr46_sgpr47
                                        ; implicit-def: $sgpr44_sgpr45
	s_branch .LBB50_225
.LBB50_212:                             ;   in Loop: Header=BB50_8 Depth=1
	s_mov_b64 s[18:19], -1
	s_mov_b64 s[48:49], 0
                                        ; implicit-def: $sgpr44_sgpr45
                                        ; implicit-def: $vgpr19
	s_mov_b64 s[46:47], s[18:19]
	s_cbranch_execnz .LBB50_215
	s_branch .LBB50_225
.LBB50_213:                             ;   in Loop: Header=BB50_8 Depth=1
	s_or_b64 exec, exec, s[46:47]
	s_and_b64 s[48:49], s[48:49], exec
.LBB50_214:                             ;   in Loop: Header=BB50_8 Depth=1
	s_or_b64 exec, exec, s[44:45]
	s_mov_b64 s[44:45], -1
	s_mov_b64 s[18:19], 0
	s_mov_b64 s[46:47], s[18:19]
	s_branch .LBB50_225
.LBB50_215:                             ;   in Loop: Header=BB50_8 Depth=1
	v_readlane_b32 s7, v50, 31
	s_add_i32 s7, s6, s7
	s_abs_i32 s11, s7
	v_readlane_b32 s18, v50, 56
	s_mul_hi_u32 s18, s11, s18
	s_mul_i32 s18, s18, s33
	s_sub_i32 s11, s11, s18
	s_ashr_i32 s10, s7, 31
	s_sub_i32 s18, s11, s33
	s_cmp_ge_u32 s11, s33
	s_cselect_b32 s11, s18, s11
	s_sub_i32 s18, s11, s33
	s_cmp_ge_u32 s11, s33
	s_cselect_b32 s11, s18, s11
	s_xor_b32 s11, s11, s10
	s_sub_i32 s10, s10, s11
	s_add_i32 s7, s7, s10
	v_cmp_gt_i32_e32 vcc, s7, v0
	s_mov_b64 s[48:49], 0
                                        ; implicit-def: $vgpr19
	s_and_saveexec_b64 s[44:45], vcc
	s_cbranch_execz .LBB50_224
; %bb.216:                              ;   in Loop: Header=BB50_8 Depth=1
	s_mov_b64 s[46:47], 0
	v_mov_b32_e32 v2, v24
	v_mov_b32_e32 v3, v0
                                        ; implicit-def: $sgpr48_sgpr49
	s_branch .LBB50_218
.LBB50_217:                             ;   in Loop: Header=BB50_218 Depth=2
	s_or_b64 exec, exec, s[18:19]
	s_waitcnt lgkmcnt(0)
	s_barrier
	ds_read_b64 v[18:19], v9 offset:3072
	v_add_u32_e32 v3, s33, v3
	v_cmp_le_i32_e64 s[18:19], s7, v3
	v_add_u32_e32 v2, s90, v2
	s_waitcnt lgkmcnt(0)
	v_cmp_neq_f32_e32 vcc, 0, v18
	s_or_b64 s[10:11], s[18:19], vcc
	s_and_b64 s[10:11], exec, s[10:11]
	s_or_b64 s[46:47], s[10:11], s[46:47]
	s_andn2_b64 s[10:11], s[48:49], exec
	s_and_b64 s[18:19], vcc, exec
	s_or_b64 s[48:49], s[10:11], s[18:19]
	s_barrier
	s_andn2_b64 exec, exec, s[46:47]
	s_cbranch_execz .LBB50_223
.LBB50_218:                             ;   Parent Loop BB50_8 Depth=1
                                        ; =>  This Inner Loop Header: Depth=2
	v_cmp_gt_i32_e32 vcc, s6, v3
	s_waitcnt vmcnt(0)
	v_mov_b32_e32 v17, 0
	s_and_saveexec_b64 s[18:19], vcc
	s_cbranch_execz .LBB50_220
; %bb.219:                              ;   in Loop: Header=BB50_218 Depth=2
	ds_read_b32 v17, v2
.LBB50_220:                             ;   in Loop: Header=BB50_218 Depth=2
	s_or_b64 exec, exec, s[18:19]
	s_and_saveexec_b64 s[18:19], vcc
	s_cbranch_execz .LBB50_217
; %bb.221:                              ;   in Loop: Header=BB50_218 Depth=2
	s_waitcnt lgkmcnt(0)
	v_cmp_lt_i32_e32 vcc, -1, v17
	v_cndmask_b32_e32 v4, -1, v36, vcc
	v_xor_b32_e32 v4, v4, v17
	v_cmp_o_f32_e32 vcc, v17, v17
	v_cndmask_b32_e32 v4, -1, v4, vcc
	v_and_b32_e32 v4, s84, v4
	v_cmp_eq_u32_e32 vcc, s85, v4
	s_and_b64 exec, exec, vcc
	s_cbranch_execz .LBB50_217
; %bb.222:                              ;   in Loop: Header=BB50_218 Depth=2
	ds_write_b64 v9, v[16:17] offset:3072
	s_branch .LBB50_217
.LBB50_223:                             ;   in Loop: Header=BB50_8 Depth=1
	s_or_b64 exec, exec, s[46:47]
	s_and_b64 s[48:49], s[48:49], exec
.LBB50_224:                             ;   in Loop: Header=BB50_8 Depth=1
	s_or_b64 exec, exec, s[44:45]
	s_mov_b64 s[46:47], -1
	s_mov_b64 s[18:19], 0
	s_mov_b64 s[44:45], 0
.LBB50_225:                             ;   in Loop: Header=BB50_8 Depth=1
	s_mov_b64 s[52:53], 0
                                        ; implicit-def: $sgpr57
	s_and_saveexec_b64 s[50:51], s[48:49]
	s_cbranch_execz .LBB50_239
; %bb.226:                              ;   in Loop: Header=BB50_8 Depth=1
	s_xor_b64 s[6:7], s[42:43], -1
	s_andn2_b64 vcc, exec, s[6:7]
	s_mov_b32 s57, 1
	s_cbranch_vccnz .LBB50_233
; %bb.227:                              ;   in Loop: Header=BB50_8 Depth=1
	s_cmp_gt_i32 s56, s54
	s_cbranch_scc1 .LBB50_234
; %bb.228:                              ;   in Loop: Header=BB50_8 Depth=1
	ds_read_b32 v2, v9 offset:4096
	s_waitcnt lgkmcnt(0)
	v_cmp_ne_u32_e32 vcc, 0, v2
	s_cbranch_vccnz .LBB50_232
; %bb.229:                              ;   in Loop: Header=BB50_8 Depth=1
	s_mov_b64 s[42:43], exec
	v_readlane_b32 s6, v50, 18
	v_readlane_b32 s7, v50, 19
	s_and_b64 s[6:7], s[42:43], s[6:7]
	s_mov_b64 exec, s[6:7]
	s_cbranch_execz .LBB50_231
; %bb.230:                              ;   in Loop: Header=BB50_8 Depth=1
	v_mov_b32_e32 v2, s54
	ds_write_b32 v9, v2 offset:4100
.LBB50_231:                             ;   in Loop: Header=BB50_8 Depth=1
	s_or_b64 exec, exec, s[42:43]
	s_waitcnt lgkmcnt(0)
	s_barrier
.LBB50_232:                             ;   in Loop: Header=BB50_8 Depth=1
	s_or_b32 s6, s85, s55
	s_or_b32 s7, s84, s55
	s_mov_b64 s[42:43], 0
	s_mov_b32 s57, 8
	s_branch .LBB50_235
.LBB50_233:                             ;   in Loop: Header=BB50_8 Depth=1
	s_mov_b32 s56, 1
	s_branch .LBB50_238
.LBB50_234:                             ;   in Loop: Header=BB50_8 Depth=1
	s_mov_b64 s[42:43], -1
                                        ; implicit-def: $sgpr57
                                        ; implicit-def: $sgpr6
                                        ; implicit-def: $sgpr7
.LBB50_235:                             ;   in Loop: Header=BB50_8 Depth=1
	s_andn2_b64 vcc, exec, s[42:43]
	s_cbranch_vccnz .LBB50_237
; %bb.236:                              ;   in Loop: Header=BB50_8 Depth=1
	s_sub_i32 s56, s56, s54
	s_mov_b32 s57, 8
	s_mov_b32 s6, s85
	;; [unrolled: 1-line block ×3, first 2 shown]
.LBB50_237:                             ;   in Loop: Header=BB50_8 Depth=1
	s_mov_b32 s85, s6
	s_mov_b32 s84, s7
.LBB50_238:                             ;   in Loop: Header=BB50_8 Depth=1
	s_mov_b64 s[52:53], exec
.LBB50_239:                             ;   in Loop: Header=BB50_8 Depth=1
	s_or_b64 exec, exec, s[50:51]
.LBB50_240:                             ;   in Loop: Header=BB50_8 Depth=1
	s_andn2_b64 s[6:7], s[34:35], exec
	s_and_b64 s[10:11], s[18:19], exec
	s_or_b64 s[34:35], s[6:7], s[10:11]
	s_andn2_b64 s[6:7], s[38:39], exec
	s_and_b64 s[10:11], s[46:47], exec
	s_or_b64 s[38:39], s[6:7], s[10:11]
	;; [unrolled: 3-line block ×3, first 2 shown]
	s_and_b64 s[44:45], s[52:53], exec
	s_mov_b32 s49, s56
.LBB50_241:                             ;   in Loop: Header=BB50_8 Depth=1
	s_or_b64 exec, exec, s[40:41]
.LBB50_242:                             ;   in Loop: Header=BB50_8 Depth=1
	s_andn2_b64 s[6:7], s[26:27], exec
	s_and_b64 s[10:11], s[34:35], exec
	s_or_b64 s[26:27], s[6:7], s[10:11]
	s_andn2_b64 s[6:7], s[28:29], exec
	s_and_b64 s[10:11], s[38:39], exec
	s_or_b64 s[28:29], s[6:7], s[10:11]
	;; [unrolled: 3-line block ×3, first 2 shown]
	s_and_b64 s[36:37], s[44:45], exec
	s_mov_b32 s39, s49
.LBB50_243:                             ;   in Loop: Header=BB50_8 Depth=1
	s_or_b64 exec, exec, s[30:31]
	s_and_saveexec_b64 s[6:7], s[36:37]
	s_xor_b64 s[18:19], exec, s[6:7]
	s_cbranch_execz .LBB50_6
.LBB50_244:                             ;   in Loop: Header=BB50_8 Depth=1
	s_and_b32 s6, s57, -9
	s_cmp_eq_u32 s6, 0
	s_cbranch_scc1 .LBB50_4
; %bb.245:                              ;   in Loop: Header=BB50_8 Depth=1
	s_mov_b64 s[22:23], -1
                                        ; implicit-def: $sgpr84
                                        ; implicit-def: $sgpr39
                                        ; implicit-def: $sgpr0
                                        ; implicit-def: $sgpr1
	s_mov_b64 s[30:31], -1
	s_branch .LBB50_5
.LBB50_246:
	s_or_b64 exec, exec, s[78:79]
	s_xor_b64 s[6:7], s[64:65], -1
	s_xor_b64 s[0:1], s[60:61], -1
	;; [unrolled: 1-line block ×3, first 2 shown]
	s_mov_b64 s[2:3], 0
	s_and_saveexec_b64 s[4:5], s[0:1]
	s_xor_b64 s[4:5], exec, s[4:5]
	s_cbranch_execnz .LBB50_251
; %bb.247:
	s_andn2_saveexec_b64 s[0:1], s[4:5]
	s_cbranch_execnz .LBB50_271
.LBB50_248:
	s_or_b64 exec, exec, s[0:1]
	s_and_saveexec_b64 s[0:1], s[2:3]
.LBB50_249:
	; divergent unreachable
.LBB50_250:
	s_endpgm
.LBB50_251:
	s_and_saveexec_b64 s[0:1], s[6:7]
	s_xor_b64 s[6:7], exec, s[0:1]
	s_cbranch_execz .LBB50_269
; %bb.252:
	s_and_saveexec_b64 s[0:1], s[8:9]
	s_xor_b64 s[2:3], exec, s[0:1]
; %bb.253:
	v_bfrev_b32_e32 v1, 1
	v_cmp_lt_i32_e32 vcc, -1, v2
	v_cndmask_b32_e64 v1, v1, -1, vcc
	v_xor_b32_e32 v19, v1, v2
; %bb.254:
	s_or_b64 exec, exec, s[2:3]
	s_mov_b64 s[2:3], exec
	v_readlane_b32 s0, v50, 18
	v_readlane_b32 s1, v50, 19
	;; [unrolled: 1-line block ×4, first 2 shown]
	s_and_b64 s[0:1], s[2:3], s[0:1]
	v_readlane_b32 s20, v50, 30
	v_readlane_b32 s23, v50, 23
	;; [unrolled: 1-line block ×5, first 2 shown]
	s_mov_b64 exec, s[0:1]
	s_cbranch_execz .LBB50_256
; %bb.255:
	v_mov_b32_e32 v1, 0
	v_mov_b32_e32 v2, s68
	ds_write_b32 v1, v2 offset:4108
.LBB50_256:
	s_or_b64 exec, exec, s[2:3]
	v_mov_b32_e32 v1, 0
	s_waitcnt lgkmcnt(0)
	s_barrier
	ds_read_b32 v1, v1 offset:4108
	s_waitcnt lgkmcnt(0)
	v_min_i32_e32 v1, s68, v1
	v_cmp_lt_i32_e32 vcc, v0, v1
	s_and_saveexec_b64 s[8:9], vcc
	s_cbranch_execz .LBB50_266
; %bb.257:
	v_cmp_u_f32_e32 vcc, v19, v19
	s_mov_b64 s[10:11], 0
	v_mov_b32_e32 v3, s88
	s_xor_b64 s[14:15], vcc, -1
                                        ; implicit-def: $sgpr12_sgpr13
                                        ; implicit-def: $sgpr18_sgpr19
                                        ; implicit-def: $sgpr16_sgpr17
	s_branch .LBB50_259
.LBB50_258:                             ;   in Loop: Header=BB50_259 Depth=1
	s_or_b64 exec, exec, s[2:3]
	s_and_b64 s[0:1], exec, s[18:19]
	s_or_b64 s[10:11], s[0:1], s[10:11]
	s_andn2_b64 s[0:1], s[12:13], exec
	s_and_b64 s[2:3], s[16:17], exec
	s_or_b64 s[12:13], s[0:1], s[2:3]
	s_andn2_b64 exec, exec, s[10:11]
	s_cbranch_execz .LBB50_261
.LBB50_259:                             ; =>This Inner Loop Header: Depth=1
	v_ashrrev_i32_e32 v7, 31, v6
	v_lshlrev_b64 v[4:5], 2, v[6:7]
	v_add_co_u32_e32 v4, vcc, s70, v4
	v_addc_co_u32_e32 v5, vcc, v3, v5, vcc
	global_load_dword v4, v[4:5], off
	v_mov_b32_e32 v2, v0
	s_or_b64 s[16:17], s[16:17], exec
	s_or_b64 s[18:19], s[18:19], exec
                                        ; implicit-def: $vgpr0
	s_waitcnt vmcnt(0)
	v_cmp_o_f32_e64 s[2:3], v4, v4
	v_cmp_neq_f32_e32 vcc, v4, v19
	s_or_b64 s[0:1], s[2:3], s[14:15]
	s_and_b64 s[0:1], vcc, s[0:1]
	s_and_saveexec_b64 s[2:3], s[0:1]
	s_cbranch_execz .LBB50_258
; %bb.260:                              ;   in Loop: Header=BB50_259 Depth=1
	v_add_u32_e32 v0, s33, v2
	v_cmp_ge_i32_e32 vcc, v0, v1
	s_andn2_b64 s[0:1], s[18:19], exec
	s_and_b64 s[18:19], vcc, exec
	v_add_u32_e32 v6, s89, v6
	s_andn2_b64 s[16:17], s[16:17], exec
	s_or_b64 s[18:19], s[0:1], s[18:19]
	s_branch .LBB50_258
.LBB50_261:
	s_or_b64 exec, exec, s[10:11]
	s_and_saveexec_b64 s[0:1], s[12:13]
	s_xor_b64 s[0:1], exec, s[0:1]
	s_cbranch_execz .LBB50_266
; %bb.262:
	s_mov_b64 s[2:3], exec
	s_brev_b32 s0, -2
.LBB50_263:                             ; =>This Inner Loop Header: Depth=1
	s_ff1_i32_b64 s1, s[2:3]
	v_readlane_b32 s12, v2, s1
	s_lshl_b64 s[10:11], 1, s1
	s_min_i32 s0, s0, s12
	s_andn2_b64 s[2:3], s[2:3], s[10:11]
	s_cmp_lg_u64 s[2:3], 0
	s_cbranch_scc1 .LBB50_263
; %bb.264:
	v_mbcnt_lo_u32_b32 v0, exec_lo, 0
	v_mbcnt_hi_u32_b32 v0, exec_hi, v0
	v_cmp_eq_u32_e32 vcc, 0, v0
	s_and_saveexec_b64 s[2:3], vcc
	s_xor_b64 s[2:3], exec, s[2:3]
	s_cbranch_execz .LBB50_266
; %bb.265:
	v_mov_b32_e32 v0, 0
	v_mov_b32_e32 v1, s0
	ds_min_i32 v0, v1 offset:4108
.LBB50_266:
	s_or_b64 exec, exec, s[8:9]
	s_waitcnt lgkmcnt(0)
	s_barrier
	s_mov_b64 s[2:3], exec
	v_readlane_b32 s0, v50, 18
	v_readlane_b32 s1, v50, 19
	s_and_b64 s[0:1], s[2:3], s[0:1]
	s_mov_b64 exec, s[0:1]
	s_cbranch_execz .LBB50_268
; %bb.267:
	v_readlane_b32 s8, v50, 0
	s_mul_i32 s0, s21, s23
	v_readlane_b32 s10, v50, 2
	s_sub_i32 s0, s20, s0
	v_readlane_b32 s9, v50, 1
	v_readlane_b32 s11, v50, 3
	s_mov_b32 s14, s10
	s_mov_b64 s[12:13], s[8:9]
	s_mul_i32 s0, s0, s14
	v_readlane_b32 s1, v50, 21
	v_readlane_b32 s8, v50, 24
	;; [unrolled: 1-line block ×4, first 2 shown]
	s_xor_b32 s1, s1, s8
	s_mul_i32 s8, s14, s11
	v_readlane_b32 s9, v50, 13
	s_sub_i32 s8, s9, s8
	s_add_i32 s9, s14, 1
	s_sub_i32 s10, s8, s11
	s_cmp_ge_u32 s8, s11
	s_cselect_b32 s9, s9, s14
	s_cselect_b32 s8, s10, s8
	s_add_i32 s10, s9, 1
	s_cmp_ge_u32 s8, s11
	s_cselect_b32 s8, s10, s9
	s_xor_b32 s8, s8, s1
	s_sub_i32 s1, s8, s1
	s_mul_i32 s8, s1, s22
	s_sub_i32 s8, s21, s8
	s_mul_i32 s8, s8, s13
	s_add_i32 s0, s8, s0
	s_mul_i32 s1, s1, s12
	v_readlane_b32 s8, v50, 4
	s_add_i32 s0, s0, s1
	s_mul_i32 s1, s26, s25
	v_readlane_b32 s10, v50, 6
	s_sub_i32 s1, s20, s1
	v_readlane_b32 s9, v50, 5
	s_mov_b32 s14, s10
	s_mov_b64 s[12:13], s[8:9]
	s_mul_i32 s1, s1, s14
	v_readlane_b32 s8, v50, 26
	v_readlane_b32 s9, v50, 29
	;; [unrolled: 1-line block ×4, first 2 shown]
	s_xor_b32 s8, s8, s9
	s_mul_i32 s9, s15, s14
	v_readlane_b32 s10, v50, 16
	v_readlane_b32 s11, v50, 7
	s_sub_i32 s9, s10, s9
	s_add_i32 s10, s15, 1
	s_sub_i32 s11, s9, s14
	s_cmp_ge_u32 s9, s14
	s_cselect_b32 s10, s10, s15
	s_cselect_b32 s9, s11, s9
	s_add_i32 s11, s10, 1
	s_cmp_ge_u32 s9, s14
	s_cselect_b32 s9, s11, s10
	s_xor_b32 s9, s9, s8
	s_sub_i32 s8, s9, s8
	s_mul_i32 s9, s8, s24
	s_sub_i32 s9, s26, s9
	s_mul_i32 s9, s9, s13
	s_add_i32 s1, s9, s1
	s_mul_i32 s8, s8, s12
	s_add_i32 s8, s1, s8
	s_ashr_i32 s1, s0, 31
	v_mov_b32_e32 v2, 0
	s_lshl_b64 s[0:1], s[0:1], 2
	v_readlane_b32 s10, v50, 11
	ds_read_b32 v0, v2 offset:4108
	v_readlane_b32 s11, v50, 12
	s_add_u32 s0, s10, s0
	s_addc_u32 s1, s11, s1
	s_ashr_i32 s9, s8, 31
	s_lshl_b64 s[8:9], s[8:9], 3
	v_readlane_b32 s10, v50, 8
	v_readlane_b32 s11, v50, 9
	s_add_u32 s8, s10, s8
	s_addc_u32 s9, s11, s9
	s_waitcnt lgkmcnt(0)
	v_ashrrev_i32_e32 v1, 31, v0
	global_store_dwordx2 v2, v[0:1], s[8:9]
	global_store_dword v2, v19, s[0:1]
.LBB50_268:
	s_or_b64 exec, exec, s[2:3]
.LBB50_269:
	s_or_saveexec_b64 s[0:1], s[6:7]
	s_mov_b64 s[2:3], 0
	s_xor_b64 exec, exec, s[0:1]
	s_cbranch_execnz .LBB50_272
.LBB50_270:
	s_or_b64 exec, exec, s[0:1]
	s_and_b64 s[2:3], s[2:3], exec
	s_andn2_saveexec_b64 s[0:1], s[4:5]
	s_cbranch_execz .LBB50_248
.LBB50_271:
	s_or_b64 s[2:3], s[2:3], exec
	s_trap 2
	s_or_b64 exec, exec, s[0:1]
	s_and_saveexec_b64 s[0:1], s[2:3]
	s_cbranch_execnz .LBB50_249
	s_branch .LBB50_250
.LBB50_272:
	s_mov_b64 s[2:3], exec
	s_trap 2
	s_branch .LBB50_270
	.section	.rodata,"a",@progbits
	.p2align	6, 0x0
	.amdhsa_kernel _ZN2at6native12_GLOBAL__N_114gatherKthValueIfiLi3EEEvNS_4cuda6detail10TensorInfoIKT_T0_EES8_S8_S8_S8_NS5_IS6_S8_EENS5_IlS8_EE
		.amdhsa_group_segment_fixed_size 4112
		.amdhsa_private_segment_fixed_size 0
		.amdhsa_kernarg_size 920
		.amdhsa_user_sgpr_count 6
		.amdhsa_user_sgpr_private_segment_buffer 1
		.amdhsa_user_sgpr_dispatch_ptr 0
		.amdhsa_user_sgpr_queue_ptr 0
		.amdhsa_user_sgpr_kernarg_segment_ptr 1
		.amdhsa_user_sgpr_dispatch_id 0
		.amdhsa_user_sgpr_flat_scratch_init 0
		.amdhsa_user_sgpr_kernarg_preload_length 0
		.amdhsa_user_sgpr_kernarg_preload_offset 0
		.amdhsa_user_sgpr_private_segment_size 0
		.amdhsa_uses_dynamic_stack 0
		.amdhsa_system_sgpr_private_segment_wavefront_offset 0
		.amdhsa_system_sgpr_workgroup_id_x 1
		.amdhsa_system_sgpr_workgroup_id_y 1
		.amdhsa_system_sgpr_workgroup_id_z 1
		.amdhsa_system_sgpr_workgroup_info 0
		.amdhsa_system_vgpr_workitem_id 0
		.amdhsa_next_free_vgpr 51
		.amdhsa_next_free_sgpr 96
		.amdhsa_accum_offset 52
		.amdhsa_reserve_vcc 1
		.amdhsa_reserve_flat_scratch 0
		.amdhsa_float_round_mode_32 0
		.amdhsa_float_round_mode_16_64 0
		.amdhsa_float_denorm_mode_32 3
		.amdhsa_float_denorm_mode_16_64 3
		.amdhsa_dx10_clamp 1
		.amdhsa_ieee_mode 1
		.amdhsa_fp16_overflow 0
		.amdhsa_tg_split 0
		.amdhsa_exception_fp_ieee_invalid_op 0
		.amdhsa_exception_fp_denorm_src 0
		.amdhsa_exception_fp_ieee_div_zero 0
		.amdhsa_exception_fp_ieee_overflow 0
		.amdhsa_exception_fp_ieee_underflow 0
		.amdhsa_exception_fp_ieee_inexact 0
		.amdhsa_exception_int_div_zero 0
	.end_amdhsa_kernel
	.section	.text._ZN2at6native12_GLOBAL__N_114gatherKthValueIfiLi3EEEvNS_4cuda6detail10TensorInfoIKT_T0_EES8_S8_S8_S8_NS5_IS6_S8_EENS5_IlS8_EE,"axG",@progbits,_ZN2at6native12_GLOBAL__N_114gatherKthValueIfiLi3EEEvNS_4cuda6detail10TensorInfoIKT_T0_EES8_S8_S8_S8_NS5_IS6_S8_EENS5_IlS8_EE,comdat
.Lfunc_end50:
	.size	_ZN2at6native12_GLOBAL__N_114gatherKthValueIfiLi3EEEvNS_4cuda6detail10TensorInfoIKT_T0_EES8_S8_S8_S8_NS5_IS6_S8_EENS5_IlS8_EE, .Lfunc_end50-_ZN2at6native12_GLOBAL__N_114gatherKthValueIfiLi3EEEvNS_4cuda6detail10TensorInfoIKT_T0_EES8_S8_S8_S8_NS5_IS6_S8_EENS5_IlS8_EE
                                        ; -- End function
	.section	.AMDGPU.csdata,"",@progbits
; Kernel info:
; codeLenInByte = 11396
; NumSgprs: 100
; NumVgprs: 51
; NumAgprs: 0
; TotalNumVgprs: 51
; ScratchSize: 0
; MemoryBound: 0
; FloatMode: 240
; IeeeMode: 1
; LDSByteSize: 4112 bytes/workgroup (compile time only)
; SGPRBlocks: 12
; VGPRBlocks: 6
; NumSGPRsForWavesPerEU: 100
; NumVGPRsForWavesPerEU: 51
; AccumOffset: 52
; Occupancy: 8
; WaveLimiterHint : 1
; COMPUTE_PGM_RSRC2:SCRATCH_EN: 0
; COMPUTE_PGM_RSRC2:USER_SGPR: 6
; COMPUTE_PGM_RSRC2:TRAP_HANDLER: 0
; COMPUTE_PGM_RSRC2:TGID_X_EN: 1
; COMPUTE_PGM_RSRC2:TGID_Y_EN: 1
; COMPUTE_PGM_RSRC2:TGID_Z_EN: 1
; COMPUTE_PGM_RSRC2:TIDIG_COMP_CNT: 0
; COMPUTE_PGM_RSRC3_GFX90A:ACCUM_OFFSET: 12
; COMPUTE_PGM_RSRC3_GFX90A:TG_SPLIT: 0
	.section	.text._ZN2at6native12_GLOBAL__N_114gatherKthValueIfiLin1EEEvNS_4cuda6detail10TensorInfoIKT_T0_EES8_S8_S8_S8_NS5_IS6_S8_EENS5_IlS8_EE,"axG",@progbits,_ZN2at6native12_GLOBAL__N_114gatherKthValueIfiLin1EEEvNS_4cuda6detail10TensorInfoIKT_T0_EES8_S8_S8_S8_NS5_IS6_S8_EENS5_IlS8_EE,comdat
	.globl	_ZN2at6native12_GLOBAL__N_114gatherKthValueIfiLin1EEEvNS_4cuda6detail10TensorInfoIKT_T0_EES8_S8_S8_S8_NS5_IS6_S8_EENS5_IlS8_EE ; -- Begin function _ZN2at6native12_GLOBAL__N_114gatherKthValueIfiLin1EEEvNS_4cuda6detail10TensorInfoIKT_T0_EES8_S8_S8_S8_NS5_IS6_S8_EENS5_IlS8_EE
	.p2align	8
	.type	_ZN2at6native12_GLOBAL__N_114gatherKthValueIfiLin1EEEvNS_4cuda6detail10TensorInfoIKT_T0_EES8_S8_S8_S8_NS5_IS6_S8_EENS5_IlS8_EE,@function
_ZN2at6native12_GLOBAL__N_114gatherKthValueIfiLin1EEEvNS_4cuda6detail10TensorInfoIKT_T0_EES8_S8_S8_S8_NS5_IS6_S8_EENS5_IlS8_EE: ; @_ZN2at6native12_GLOBAL__N_114gatherKthValueIfiLin1EEEvNS_4cuda6detail10TensorInfoIKT_T0_EES8_S8_S8_S8_NS5_IS6_S8_EENS5_IlS8_EE
; %bb.0:
	s_load_dwordx2 s[12:13], s[4:5], 0x298
	s_load_dwordx4 s[60:63], s[4:5], 0xd8
	s_add_u32 s10, s4, 0x298
	s_addc_u32 s11, s5, 0
	s_waitcnt lgkmcnt(0)
	s_mul_i32 s0, s13, s8
	s_add_i32 s0, s0, s7
	s_mul_i32 s0, s0, s12
	s_add_i32 s33, s0, s6
	s_cmp_ge_i32 s33, s62
	s_cbranch_scc1 .LBB51_259
; %bb.1:
	s_load_dword s0, s[4:5], 0xd0
	s_mov_b32 s3, 0
	s_mov_b32 s2, s33
	s_waitcnt lgkmcnt(0)
	s_cmp_lt_i32 s0, 2
	s_cbranch_scc1 .LBB51_4
; %bb.2:
	s_add_i32 s2, s0, -1
	s_add_i32 s7, s0, 1
	s_lshl_b64 s[0:1], s[2:3], 2
	s_add_u32 s0, s0, s4
	s_addc_u32 s1, s1, s5
	s_add_u32 s0, s0, 8
	s_addc_u32 s1, s1, 0
	s_mov_b32 s2, s33
.LBB51_3:                               ; =>This Inner Loop Header: Depth=1
	s_load_dword s8, s[0:1], 0x0
	s_load_dword s13, s[0:1], 0x64
	s_mov_b32 s9, s2
	s_abs_i32 s2, s2
	s_waitcnt lgkmcnt(0)
	s_abs_i32 s15, s8
	v_cvt_f32_u32_e32 v1, s15
	s_sub_i32 s16, 0, s15
	s_xor_b32 s14, s9, s8
	s_ashr_i32 s14, s14, 31
	v_rcp_iflag_f32_e32 v1, v1
	v_mul_f32_e32 v1, 0x4f7ffffe, v1
	v_cvt_u32_f32_e32 v1, v1
	v_readfirstlane_b32 s17, v1
	s_mul_i32 s16, s16, s17
	s_mul_hi_u32 s16, s17, s16
	s_add_i32 s17, s17, s16
	s_mul_hi_u32 s16, s2, s17
	s_mul_i32 s17, s16, s15
	s_sub_i32 s2, s2, s17
	s_add_i32 s18, s16, 1
	s_sub_i32 s17, s2, s15
	s_cmp_ge_u32 s2, s15
	s_cselect_b32 s16, s18, s16
	s_cselect_b32 s2, s17, s2
	s_add_i32 s17, s16, 1
	s_cmp_ge_u32 s2, s15
	s_cselect_b32 s2, s17, s16
	s_xor_b32 s2, s2, s14
	s_sub_i32 s2, s2, s14
	s_mul_i32 s8, s2, s8
	s_sub_i32 s8, s9, s8
	s_mul_i32 s8, s13, s8
	s_add_i32 s7, s7, -1
	s_add_i32 s3, s8, s3
	s_add_u32 s0, s0, -4
	s_addc_u32 s1, s1, -1
	s_cmp_gt_u32 s7, 2
	s_cbranch_scc1 .LBB51_3
.LBB51_4:
	s_load_dword s8, s[4:5], 0x1b8
	s_add_u32 s0, s4, 0xe8
	s_addc_u32 s1, s5, 0
	s_mov_b32 s65, 0
	s_mov_b32 s62, s33
	s_waitcnt lgkmcnt(0)
	s_cmp_lt_i32 s8, 2
	s_cbranch_scc1 .LBB51_7
; %bb.5:
	s_add_i32 s64, s8, -1
	s_add_i32 s7, s8, 1
	s_lshl_b64 s[8:9], s[64:65], 2
	s_add_u32 s8, s8, s0
	s_addc_u32 s9, s9, s1
	s_add_u32 s8, s8, 8
	s_addc_u32 s9, s9, 0
	s_mov_b32 s62, s33
.LBB51_6:                               ; =>This Inner Loop Header: Depth=1
	s_load_dword s13, s[8:9], 0x0
	s_load_dword s15, s[8:9], 0x64
	s_abs_i32 s16, s62
	s_mov_b32 s14, s62
	s_waitcnt lgkmcnt(0)
	s_abs_i32 s18, s13
	v_cvt_f32_u32_e32 v1, s18
	s_sub_i32 s19, 0, s18
	s_xor_b32 s17, s62, s13
	s_ashr_i32 s17, s17, 31
	v_rcp_iflag_f32_e32 v1, v1
	v_mul_f32_e32 v1, 0x4f7ffffe, v1
	v_cvt_u32_f32_e32 v1, v1
	v_readfirstlane_b32 s20, v1
	s_mul_i32 s19, s19, s20
	s_mul_hi_u32 s19, s20, s19
	s_add_i32 s20, s20, s19
	s_mul_hi_u32 s19, s16, s20
	s_mul_i32 s20, s19, s18
	s_sub_i32 s16, s16, s20
	s_add_i32 s21, s19, 1
	s_sub_i32 s20, s16, s18
	s_cmp_ge_u32 s16, s18
	s_cselect_b32 s19, s21, s19
	s_cselect_b32 s16, s20, s16
	s_add_i32 s20, s19, 1
	s_cmp_ge_u32 s16, s18
	s_cselect_b32 s16, s20, s19
	s_xor_b32 s16, s16, s17
	s_sub_i32 s62, s16, s17
	s_mul_i32 s13, s62, s13
	s_sub_i32 s13, s14, s13
	s_mul_i32 s13, s15, s13
	s_add_i32 s7, s7, -1
	s_add_i32 s65, s13, s65
	s_add_u32 s8, s8, -4
	s_addc_u32 s9, s9, -1
	s_cmp_gt_u32 s7, 2
	s_cbranch_scc1 .LBB51_6
.LBB51_7:
	s_load_dword s7, s[4:5], 0x6c
	s_load_dword s14, s[4:5], 0x290
	s_add_u32 s8, s4, 0x1c0
	s_addc_u32 s9, s5, 0
	s_mov_b32 s67, 0
	s_waitcnt lgkmcnt(0)
	s_cmp_lt_i32 s14, 2
	s_cbranch_scc1 .LBB51_10
; %bb.8:
	s_add_i32 s66, s14, -1
	s_add_i32 s13, s14, 1
	s_lshl_b64 s[14:15], s[66:67], 2
	s_add_u32 s8, s14, s8
	s_addc_u32 s9, s15, s9
	s_add_u32 s8, s8, 8
	s_addc_u32 s9, s9, 0
.LBB51_9:                               ; =>This Inner Loop Header: Depth=1
	s_load_dword s14, s[8:9], 0x0
	s_load_dword s16, s[8:9], 0x64
	s_abs_i32 s17, s33
	s_mov_b32 s15, s33
	s_waitcnt lgkmcnt(0)
	s_abs_i32 s19, s14
	v_cvt_f32_u32_e32 v1, s19
	s_sub_i32 s20, 0, s19
	s_xor_b32 s18, s33, s14
	s_ashr_i32 s18, s18, 31
	v_rcp_iflag_f32_e32 v1, v1
	v_mul_f32_e32 v1, 0x4f7ffffe, v1
	v_cvt_u32_f32_e32 v1, v1
	v_readfirstlane_b32 s21, v1
	s_mul_i32 s20, s20, s21
	s_mul_hi_u32 s20, s21, s20
	s_add_i32 s21, s21, s20
	s_mul_hi_u32 s20, s17, s21
	s_mul_i32 s21, s20, s19
	s_sub_i32 s17, s17, s21
	s_add_i32 s22, s20, 1
	s_sub_i32 s21, s17, s19
	s_cmp_ge_u32 s17, s19
	s_cselect_b32 s20, s22, s20
	s_cselect_b32 s17, s21, s17
	s_add_i32 s21, s20, 1
	s_cmp_ge_u32 s17, s19
	s_cselect_b32 s17, s21, s20
	s_xor_b32 s17, s17, s18
	s_sub_i32 s33, s17, s18
	s_mul_i32 s14, s33, s14
	s_sub_i32 s14, s15, s14
	s_mul_i32 s14, s16, s14
	s_add_i32 s13, s13, -1
	s_add_i32 s67, s14, s67
	s_add_u32 s8, s8, -4
	s_addc_u32 s9, s9, -1
	s_cmp_gt_u32 s13, 2
	s_cbranch_scc1 .LBB51_9
.LBB51_10:
	s_load_dword s0, s[0:1], 0x6c
                                        ; implicit-def: $vgpr50 : SGPR spill to VGPR lane
	s_mov_b32 s72, 0
	s_waitcnt lgkmcnt(0)
	v_writelane_b32 v50, s0, 0
	s_load_dwordx2 s[8:9], s[4:5], 0x0
	s_load_dwordx2 s[0:1], s[4:5], 0xe8
	s_waitcnt lgkmcnt(0)
	v_writelane_b32 v50, s0, 1
	v_writelane_b32 v50, s1, 2
	s_load_dwordx2 s[0:1], s[4:5], 0x1c0
	s_waitcnt lgkmcnt(0)
	v_writelane_b32 v50, s0, 3
	v_writelane_b32 v50, s1, 4
	v_cmp_eq_u32_e64 s[0:1], 0, v0
	s_mov_b64 s[14:15], exec
	v_writelane_b32 v50, s0, 5
	v_writelane_b32 v50, s1, 6
	s_and_b64 s[0:1], s[14:15], s[0:1]
	s_mov_b64 exec, s[0:1]
	s_cbranch_execz .LBB51_12
; %bb.11:
	v_mov_b32_e32 v2, 0
	v_mov_b32_e32 v3, s60
	;; [unrolled: 1-line block ×3, first 2 shown]
	ds_write_b96 v2, v[2:4] offset:4096
.LBB51_12:
	s_or_b64 exec, exec, s[14:15]
	s_load_dword s0, s[4:5], 0x22c
	s_waitcnt lgkmcnt(0)
	s_barrier
	v_mbcnt_lo_u32_b32 v1, -1, 0
	v_writelane_b32 v50, s0, 7
	s_mul_i32 s0, s7, s2
	s_load_dword s2, s[10:11], 0xc
	s_add_i32 s0, s0, s3
	s_ashr_i32 s1, s0, 31
	s_lshl_b64 s[0:1], s[0:1], 2
	s_add_u32 s64, s8, s0
	s_addc_u32 s16, s9, s1
	s_waitcnt lgkmcnt(0)
	s_and_b32 s66, s2, 0xffff
	v_mbcnt_hi_u32_b32 v13, -1, v1
	s_bfe_u32 s7, s2, 0xa0006
	v_cmp_gt_u32_e32 vcc, 64, v0
	v_cmp_gt_i32_e64 s[2:3], 4, v13
	s_add_i32 s0, s66, -1
	s_lshl_b32 s1, s66, 2
	s_and_b64 s[74:75], vcc, s[2:3]
	s_add_i32 s17, s0, s60
	s_cmpk_gt_i32 s60, 0x300
	v_writelane_b32 v50, s0, 8
	s_cselect_b64 s[2:3], -1, 0
	v_writelane_b32 v50, s2, 9
	s_cmp_gt_u32 s66, 63
	v_writelane_b32 v50, s3, 10
	s_cselect_b64 s[2:3], -1, 0
	s_cmp_lt_u32 s6, s12
	v_writelane_b32 v50, s2, 11
	s_cselect_b32 s0, 12, 18
	v_writelane_b32 v50, s3, 12
	s_add_u32 s2, s10, s0
	s_addc_u32 s3, s11, 0
	v_writelane_b32 v50, s2, 13
	s_add_i32 s0, s7, -2
	v_writelane_b32 v50, s3, 14
	s_lshr_b32 s2, s0, 1
	s_add_i32 s6, s2, 1
	s_cmpk_gt_u32 s66, 0x7f
	v_mov_b32_e32 v9, 0
	s_cselect_b64 s[2:3], -1, 0
	v_writelane_b32 v50, s2, 15
	v_mul_lo_u32 v6, v0, s63
	v_mov_b32_e32 v7, v9
	v_writelane_b32 v50, s3, 16
	v_cmp_gt_u32_e64 s[8:9], s60, v0
	v_lshlrev_b64 v[2:3], 2, v[6:7]
	v_writelane_b32 v50, s8, 17
	v_mov_b32_e32 v7, s16
	v_add_co_u32_e32 v10, vcc, s64, v2
	v_writelane_b32 v50, s9, 18
	v_addc_co_u32_e32 v11, vcc, v7, v3, vcc
	v_cmp_gt_i32_e64 s[8:9], s60, v0
	v_lshlrev_b64 v[2:3], v13, -1
	v_writelane_b32 v50, s8, 19
	v_not_b32_e32 v12, v2
	v_cvt_f32_u32_e32 v2, s1
	v_writelane_b32 v50, s9, 20
	s_and_b32 s8, s7, 0x3fe
	s_and_b32 s9, s6, 7
	s_cmp_gt_u32 s0, 13
	s_cselect_b64 s[10:11], -1, 0
	v_writelane_b32 v50, s10, 21
	v_rcp_iflag_f32_e32 v2, v2
	v_writelane_b32 v50, s11, 22
	s_and_b32 s0, s6, -8
	v_writelane_b32 v50, s0, 23
	s_cmp_lg_u32 s9, 0
	v_writelane_b32 v50, s9, 24
	s_cselect_b64 s[10:11], -1, 0
	v_writelane_b32 v50, s10, 25
	v_mul_f32_e32 v2, 0x4f7ffffe, v2
	v_writelane_b32 v50, s11, 26
	v_cvt_u32_f32_e32 v2, v2
	v_writelane_b32 v50, s7, 27
	s_cmp_lg_u32 s8, s7
	v_writelane_b32 v50, s8, 28
	s_cselect_b64 s[6:7], -1, 0
	v_writelane_b32 v50, s6, 29
	v_writelane_b32 v50, s7, 30
	s_sub_i32 s0, 0, s1
	v_readfirstlane_b32 s6, v2
	s_mul_i32 s0, s0, s6
	s_mul_hi_u32 s0, s6, s0
	s_add_i32 s8, s6, s0
	s_mul_hi_u32 s0, s60, s8
	s_mul_i32 s0, s0, s1
	s_sub_i32 s0, s60, s0
	s_sub_i32 s6, s0, s1
	s_cmp_ge_u32 s0, s1
	s_cselect_b32 s0, s6, s0
	s_sub_i32 s6, s0, s1
	v_cvt_f32_u32_e32 v5, s66
	s_cmp_ge_u32 s0, s1
	s_cselect_b32 s6, s6, s0
	s_sub_i32 s9, s60, s6
	v_add_u32_e32 v28, s9, v0
	v_rcp_iflag_f32_e32 v5, v5
	v_lshrrev_b32_e32 v1, 4, v0
	v_mul_lo_u32 v2, v28, s63
	v_lshlrev_b32_e32 v24, 2, v0
	v_and_b32_e32 v26, 60, v1
	v_not_b32_e32 v1, v3
	v_ashrrev_i32_e32 v3, 31, v2
	v_cmp_gt_i32_e64 s[10:11], s9, v24
	v_lshlrev_b64 v[2:3], 2, v[2:3]
	v_writelane_b32 v50, s10, 31
	v_add_co_u32_e32 v14, vcc, s64, v2
	v_mul_f32_e32 v2, 0x4f7ffffe, v5
	v_writelane_b32 v50, s11, 32
	v_cmp_gt_u32_e64 s[10:11], s60, v28
	v_cvt_u32_f32_e32 v2, v2
	v_writelane_b32 v50, s10, 33
	v_writelane_b32 v50, s11, 34
	v_cmp_gt_i32_e64 s[10:11], s60, v28
	v_writelane_b32 v50, s10, 35
	v_writelane_b32 v50, s11, 36
	s_sub_i32 s10, 0, s66
	v_readfirstlane_b32 s11, v2
	s_mul_i32 s10, s10, s11
	s_mul_hi_u32 s10, s11, s10
	s_abs_i32 s7, s17
	s_add_i32 s10, s11, s10
	v_writelane_b32 v50, s10, 37
	s_mul_hi_u32 s10, s7, s10
	s_mul_i32 s10, s10, s66
	s_sub_i32 s7, s7, s10
	s_ashr_i32 s0, s17, 31
	s_sub_i32 s10, s7, s66
	s_cmp_ge_u32 s7, s66
	s_cselect_b32 s7, s10, s7
	s_sub_i32 s10, s7, s66
	s_cmp_ge_u32 s7, s66
	s_cselect_b32 s7, s10, s7
	v_mul_lo_u32 v2, s63, v24
	s_xor_b32 s7, s7, s0
	v_add_u32_e32 v29, s63, v2
	v_or_b32_e32 v2, 2, v24
	s_sub_i32 s0, s0, s7
	v_mul_lo_u32 v30, s63, v2
	v_or_b32_e32 v2, 3, v24
	s_add_i32 s7, s66, s60
	s_add_i32 s17, s17, s0
	v_mul_lo_u32 v31, s63, v2
	v_add_u32_e32 v2, s7, v0
	v_lshlrev_b32_e32 v4, 2, v13
	v_mov_b32_e32 v8, s16
	v_cmp_gt_i32_e64 s[10:11], s17, v0
	s_mul_i32 s0, s63, s66
	v_subrev_u32_e32 v2, s6, v2
	v_cmp_eq_u32_e64 s[2:3], 0, v13
	v_cmp_gt_u32_e64 s[4:5], 2, v0
	v_add_u32_e32 v25, 0xc00, v24
	v_and_b32_e32 v27, 0x100, v4
	v_addc_co_u32_e32 v15, vcc, v8, v3, vcc
	v_writelane_b32 v50, s10, 38
	s_lshl_b32 s76, s0, 2
	v_lshlrev_b32_e32 v32, 2, v6
	v_mul_lo_u32 v33, s63, v2
	v_lshlrev_b32_e32 v34, 4, v0
	s_lshl_b32 s77, s66, 4
	v_or_b32_e32 v35, 0xc00, v4
	s_mov_b32 s78, 30
	s_mov_b64 s[90:91], 0
	v_mov_b32_e32 v16, 1.0
	v_bfrev_b32_e32 v36, 1
	v_mov_b32_e32 v37, 0xc00
	v_mov_b32_e32 v19, 0
	s_mov_b32 s79, 0
	s_mov_b32 s7, 0
	;; [unrolled: 1-line block ×3, first 2 shown]
	v_writelane_b32 v50, s11, 39
                                        ; implicit-def: $sgpr92_sgpr93
                                        ; implicit-def: $sgpr68_sgpr69
                                        ; implicit-def: $sgpr94_sgpr95
                                        ; implicit-def: $sgpr70_sgpr71
                                        ; implicit-def: $sgpr84_sgpr85
                                        ; implicit-def: $sgpr86_sgpr87
	s_branch .LBB51_17
.LBB51_13:                              ;   in Loop: Header=BB51_17 Depth=1
	s_xor_b32 s79, s79, 1
	s_add_i32 s10, s78, -2
	s_cmp_eq_u32 s78, 0
	s_mov_b64 s[22:23], 0
	s_cselect_b64 s[30:31], -1, 0
	s_mov_b32 s78, s10
.LBB51_14:                              ;   in Loop: Header=BB51_17 Depth=1
	s_andn2_b64 s[10:11], s[26:27], exec
	s_and_b64 s[12:13], s[22:23], exec
	s_or_b64 s[26:27], s[10:11], s[12:13]
	s_andn2_b64 s[28:29], s[28:29], exec
	s_andn2_b64 s[24:25], s[24:25], exec
	s_orn2_b64 s[22:23], s[30:31], exec
	s_mov_b32 s61, s39
.LBB51_15:                              ;   in Loop: Header=BB51_17 Depth=1
	s_or_b64 exec, exec, s[18:19]
	s_andn2_b64 s[10:11], s[86:87], exec
	s_and_b64 s[12:13], s[26:27], exec
	s_or_b64 s[86:87], s[10:11], s[12:13]
	s_andn2_b64 s[10:11], s[84:85], exec
	s_and_b64 s[12:13], s[28:29], exec
	s_or_b64 s[84:85], s[10:11], s[12:13]
	;; [unrolled: 3-line block ×3, first 2 shown]
	s_orn2_b64 s[22:23], s[22:23], exec
.LBB51_16:                              ;   in Loop: Header=BB51_17 Depth=1
	s_or_b64 exec, exec, s[20:21]
	s_and_b64 s[10:11], exec, s[22:23]
	s_or_b64 s[90:91], s[10:11], s[90:91]
	s_andn2_b64 s[10:11], s[94:95], exec
	s_and_b64 s[12:13], s[86:87], exec
	s_or_b64 s[94:95], s[10:11], s[12:13]
	s_andn2_b64 s[10:11], s[68:69], exec
	s_and_b64 s[12:13], s[84:85], exec
	;; [unrolled: 3-line block ×3, first 2 shown]
	v_mov_b32_e32 v2, s7
	s_or_b64 s[92:93], s[10:11], s[12:13]
	s_andn2_b64 exec, exec, s[90:91]
	s_cbranch_execz .LBB51_255
.LBB51_17:                              ; =>This Loop Header: Depth=1
                                        ;     Child Loop BB51_25 Depth 2
                                        ;     Child Loop BB51_44 Depth 2
	;; [unrolled: 1-line block ×17, first 2 shown]
	ds_read_b64 v[2:3], v9 offset:4096
	s_waitcnt lgkmcnt(0)
	v_readfirstlane_b32 s73, v2
	s_cmp_gt_i32 s73, 0
	s_cbranch_scc1 .LBB51_51
; %bb.18:                               ;   in Loop: Header=BB51_17 Depth=1
	v_readlane_b32 s10, v50, 9
	v_readlane_b32 s11, v50, 10
	s_and_b64 vcc, exec, s[10:11]
	s_cbranch_vccz .LBB51_33
; %bb.19:                               ;   in Loop: Header=BB51_17 Depth=1
	s_movk_i32 s10, 0x301
	v_cmp_gt_i32_e32 vcc, s10, v3
	s_mov_b64 s[20:21], 0
	s_mov_b64 s[18:19], 0
	s_cbranch_vccz .LBB51_38
; %bb.20:                               ;   in Loop: Header=BB51_17 Depth=1
	v_mov_b32_e32 v2, 0
	s_mov_b64 s[18:19], exec
	v_readlane_b32 s10, v50, 17
	v_readlane_b32 s11, v50, 18
	s_and_b64 s[10:11], s[18:19], s[10:11]
	s_mov_b64 exec, s[10:11]
	s_cbranch_execz .LBB51_22
; %bb.21:                               ;   in Loop: Header=BB51_17 Depth=1
	global_load_dword v2, v[10:11], off
.LBB51_22:                              ;   in Loop: Header=BB51_17 Depth=1
	s_or_b64 exec, exec, s[18:19]
	s_mov_b64 s[22:23], exec
	v_readlane_b32 s10, v50, 17
	v_readlane_b32 s11, v50, 18
	s_and_b64 s[10:11], s[22:23], s[10:11]
	s_mov_b64 exec, s[10:11]
	s_cbranch_execz .LBB51_34
; %bb.23:                               ;   in Loop: Header=BB51_17 Depth=1
	v_readlane_b32 s10, v50, 13
	v_readlane_b32 s11, v50, 14
	s_mov_b64 s[24:25], 0
	s_nop 3
	global_load_ushort v3, v9, s[10:11]
	s_waitcnt vmcnt(0)
	v_add_u32_e32 v5, v0, v3
	v_mul_lo_u32 v4, s63, v3
	v_mul_lo_u32 v8, s63, v5
	v_mov_b32_e32 v5, v0
	s_branch .LBB51_25
.LBB51_24:                              ;   in Loop: Header=BB51_25 Depth=2
	s_or_b64 exec, exec, s[18:19]
	v_cmp_le_i32_e32 vcc, s60, v5
	v_add_u32_e32 v8, v8, v4
	s_or_b64 s[24:25], vcc, s[24:25]
	s_waitcnt vmcnt(0)
	v_mov_b32_e32 v2, v17
	s_andn2_b64 exec, exec, s[24:25]
	s_cbranch_execz .LBB51_34
.LBB51_25:                              ;   Parent Loop BB51_17 Depth=1
                                        ; =>  This Inner Loop Header: Depth=2
	v_add_u32_e32 v5, v5, v3
	v_cmp_gt_u32_e32 vcc, s60, v5
	s_waitcnt lgkmcnt(0)
	v_mov_b32_e32 v18, 0
	v_mov_b32_e32 v17, 0
	s_and_saveexec_b64 s[18:19], vcc
	s_cbranch_execz .LBB51_27
; %bb.26:                               ;   in Loop: Header=BB51_25 Depth=2
	v_lshlrev_b64 v[20:21], 2, v[8:9]
	v_add_co_u32_e32 v20, vcc, s64, v20
	v_addc_co_u32_e32 v21, vcc, v7, v21, vcc
	global_load_dword v17, v[20:21], off
.LBB51_27:                              ;   in Loop: Header=BB51_25 Depth=2
	s_or_b64 exec, exec, s[18:19]
	v_cmp_lt_i32_e32 vcc, -1, v2
	v_cndmask_b32_e32 v20, -1, v36, vcc
	v_xor_b32_e32 v20, v20, v2
	v_cmp_o_f32_e32 vcc, v2, v2
	v_cndmask_b32_e32 v20, -1, v20, vcc
	v_and_b32_e32 v20, s6, v20
	v_cmp_eq_u32_e32 vcc, s7, v20
	s_cmp_lg_u64 vcc, 0
	s_cselect_b64 s[10:11], -1, 0
	s_and_b64 s[10:11], s[2:3], s[10:11]
	s_and_saveexec_b64 s[26:27], s[10:11]
	s_cbranch_execz .LBB51_31
; %bb.28:                               ;   in Loop: Header=BB51_25 Depth=2
	s_mov_b64 s[30:31], exec
	v_mbcnt_lo_u32_b32 v18, s30, 0
	v_mbcnt_hi_u32_b32 v18, s31, v18
	s_bcnt1_i32_b64 s10, vcc
	v_cmp_eq_u32_e64 s[18:19], 0, v18
                                        ; implicit-def: $vgpr20
	s_and_saveexec_b64 s[28:29], s[18:19]
	s_cbranch_execz .LBB51_30
; %bb.29:                               ;   in Loop: Header=BB51_25 Depth=2
	s_bcnt1_i32_b64 s11, s[30:31]
	s_mul_i32 s11, s10, s11
	v_mov_b32_e32 v20, s11
	ds_add_rtn_u32 v20, v9, v20 offset:4104
.LBB51_30:                              ;   in Loop: Header=BB51_25 Depth=2
	s_or_b64 exec, exec, s[28:29]
	s_waitcnt lgkmcnt(0)
	v_readfirstlane_b32 s11, v20
	v_mov_b32_e32 v20, s11
	v_mad_u32_u24 v18, s10, v18, v20
.LBB51_31:                              ;   in Loop: Header=BB51_25 Depth=2
	s_or_b64 exec, exec, s[26:27]
	ds_bpermute_b32 v18, v27, v18
	s_and_saveexec_b64 s[18:19], vcc
	s_cbranch_execz .LBB51_24
; %bb.32:                               ;   in Loop: Header=BB51_25 Depth=2
	v_and_b32_e32 v21, vcc_lo, v12
	v_and_b32_e32 v20, vcc_hi, v1
	v_bcnt_u32_b32 v21, v21, 0
	v_bcnt_u32_b32 v20, v20, v21
	v_lshlrev_b32_e32 v20, 2, v20
	s_waitcnt lgkmcnt(0)
	v_lshl_add_u32 v18, v18, 2, v20
	ds_write_b32 v18, v2
	s_branch .LBB51_24
.LBB51_33:                              ;   in Loop: Header=BB51_17 Depth=1
	s_mov_b64 s[20:21], -1
	s_mov_b64 s[18:19], 0
	s_branch .LBB51_37
.LBB51_34:                              ;   in Loop: Header=BB51_17 Depth=1
	s_or_b64 exec, exec, s[22:23]
	s_waitcnt lgkmcnt(0)
	s_barrier
	s_mov_b64 s[18:19], exec
	v_readlane_b32 s10, v50, 5
	v_readlane_b32 s11, v50, 6
	s_and_b64 s[10:11], s[18:19], s[10:11]
	s_mov_b64 exec, s[10:11]
	s_cbranch_execz .LBB51_36
; %bb.35:                               ;   in Loop: Header=BB51_17 Depth=1
	s_waitcnt vmcnt(0)
	ds_read_b32 v2, v9 offset:4104
	s_waitcnt lgkmcnt(0)
	ds_write_b32 v9, v2 offset:4096
.LBB51_36:                              ;   in Loop: Header=BB51_17 Depth=1
	s_or_b64 exec, exec, s[18:19]
	s_waitcnt lgkmcnt(0)
	s_barrier
	s_mov_b64 s[18:19], -1
.LBB51_37:                              ;   in Loop: Header=BB51_17 Depth=1
                                        ; implicit-def: $sgpr73
.LBB51_38:                              ;   in Loop: Header=BB51_17 Depth=1
	s_and_b64 vcc, exec, s[20:21]
	s_cbranch_vccz .LBB51_49
; %bb.39:                               ;   in Loop: Header=BB51_17 Depth=1
	s_waitcnt vmcnt(0)
	v_mov_b32_e32 v2, 0
	s_mov_b64 s[18:19], exec
	v_readlane_b32 s10, v50, 17
	v_readlane_b32 s11, v50, 18
	s_and_b64 s[10:11], s[18:19], s[10:11]
	s_mov_b64 exec, s[10:11]
	s_cbranch_execz .LBB51_41
; %bb.40:                               ;   in Loop: Header=BB51_17 Depth=1
	global_load_dword v2, v[10:11], off
.LBB51_41:                              ;   in Loop: Header=BB51_17 Depth=1
	s_or_b64 exec, exec, s[18:19]
	s_mov_b64 s[18:19], exec
	v_readlane_b32 s10, v50, 19
	v_readlane_b32 s11, v50, 20
	s_and_b64 s[10:11], s[18:19], s[10:11]
	s_mov_b64 exec, s[10:11]
	s_cbranch_execz .LBB51_46
; %bb.42:                               ;   in Loop: Header=BB51_17 Depth=1
	v_readlane_b32 s10, v50, 13
	v_readlane_b32 s11, v50, 14
	s_mov_b64 s[20:21], 0
	v_mov_b32_e32 v4, v24
	v_mov_b32_e32 v18, v0
	s_nop 1
	global_load_ushort v3, v9, s[10:11]
	s_waitcnt vmcnt(0)
	v_add_u32_e32 v8, v0, v3
	v_lshlrev_b32_e32 v5, 2, v3
	v_mul_lo_u32 v17, s63, v3
	v_mul_lo_u32 v8, s63, v8
	s_branch .LBB51_44
.LBB51_43:                              ;   in Loop: Header=BB51_44 Depth=2
	s_or_b64 exec, exec, s[22:23]
	v_cmp_le_i32_e32 vcc, s60, v18
	ds_write_b32 v4, v2
	v_add_u32_e32 v4, v4, v5
	v_add_u32_e32 v8, v8, v17
	s_or_b64 s[20:21], vcc, s[20:21]
	s_waitcnt vmcnt(0)
	v_mov_b32_e32 v2, v20
	s_andn2_b64 exec, exec, s[20:21]
	s_cbranch_execz .LBB51_46
.LBB51_44:                              ;   Parent Loop BB51_17 Depth=1
                                        ; =>  This Inner Loop Header: Depth=2
	v_add_u32_e32 v18, v18, v3
	v_cmp_gt_u32_e32 vcc, s60, v18
	v_mov_b32_e32 v20, 0
	s_and_saveexec_b64 s[22:23], vcc
	s_cbranch_execz .LBB51_43
; %bb.45:                               ;   in Loop: Header=BB51_44 Depth=2
	v_lshlrev_b64 v[20:21], 2, v[8:9]
	v_mov_b32_e32 v22, s16
	v_add_co_u32_e32 v20, vcc, s64, v20
	v_addc_co_u32_e32 v21, vcc, v22, v21, vcc
	global_load_dword v20, v[20:21], off
	s_branch .LBB51_43
.LBB51_46:                              ;   in Loop: Header=BB51_17 Depth=1
	s_or_b64 exec, exec, s[18:19]
	s_waitcnt lgkmcnt(0)
	s_barrier
	s_mov_b64 s[18:19], exec
	v_readlane_b32 s10, v50, 5
	v_readlane_b32 s11, v50, 6
	s_and_b64 s[10:11], s[18:19], s[10:11]
	s_mov_b64 exec, s[10:11]
	s_cbranch_execz .LBB51_48
; %bb.47:                               ;   in Loop: Header=BB51_17 Depth=1
	s_waitcnt vmcnt(0)
	v_mov_b32_e32 v2, s60
	ds_write_b32 v9, v2 offset:4096
.LBB51_48:                              ;   in Loop: Header=BB51_17 Depth=1
	s_or_b64 exec, exec, s[18:19]
	s_mov_b64 s[18:19], -1
	s_waitcnt lgkmcnt(0)
	s_barrier
                                        ; implicit-def: $sgpr73
.LBB51_49:                              ;   in Loop: Header=BB51_17 Depth=1
	s_and_b64 vcc, exec, s[18:19]
	s_cbranch_vccz .LBB51_51
; %bb.50:                               ;   in Loop: Header=BB51_17 Depth=1
	s_waitcnt vmcnt(0)
	ds_read_b32 v2, v9 offset:4096
	s_waitcnt lgkmcnt(0)
	v_readfirstlane_b32 s73, v2
.LBB51_51:                              ;   in Loop: Header=BB51_17 Depth=1
	s_cmp_lt_i32 s73, 1
	s_cbranch_scc0 .LBB51_63
; %bb.52:                               ;   in Loop: Header=BB51_17 Depth=1
	s_waitcnt vmcnt(0)
	v_mov_b32_e32 v2, 0
	s_mov_b32 s82, 0
	v_mov_b32_e32 v3, 0
	v_mov_b32_e32 v4, v2
	;; [unrolled: 1-line block ×3, first 2 shown]
	s_mov_b64 s[88:89], exec
	v_readlane_b32 s10, v50, 31
	v_readlane_b32 s11, v50, 32
	s_and_b64 s[10:11], s[88:89], s[10:11]
	s_mov_b64 exec, s[10:11]
	s_cbranch_execz .LBB51_56
; %bb.53:                               ;   in Loop: Header=BB51_17 Depth=1
	s_and_b32 s83, s78, 0xfe
	s_mov_b64 s[80:81], 0
	s_mov_b32 s10, 0
	s_mov_b32 s11, 0
	;; [unrolled: 1-line block ×4, first 2 shown]
	v_mov_b32_e32 v8, v24
.LBB51_54:                              ;   Parent Loop BB51_17 Depth=1
                                        ; =>  This Inner Loop Header: Depth=2
	v_add_u32_e32 v2, s82, v32
	v_ashrrev_i32_e32 v3, 31, v2
	v_add_u32_e32 v4, s82, v29
	v_lshlrev_b64 v[2:3], 2, v[2:3]
	v_mov_b32_e32 v17, s16
	v_ashrrev_i32_e32 v5, 31, v4
	v_add_co_u32_e64 v2, s[18:19], s64, v2
	v_add_u32_e32 v20, s82, v30
	v_lshlrev_b64 v[4:5], 2, v[4:5]
	v_addc_co_u32_e64 v3, s[18:19], v17, v3, s[18:19]
	v_ashrrev_i32_e32 v21, 31, v20
	v_add_co_u32_e64 v4, s[18:19], s64, v4
	v_add_u32_e32 v22, s82, v31
	v_lshlrev_b64 v[20:21], 2, v[20:21]
	v_addc_co_u32_e64 v5, s[18:19], v17, v5, s[18:19]
	v_ashrrev_i32_e32 v23, 31, v22
	v_add_co_u32_e64 v20, s[18:19], s64, v20
	v_lshlrev_b64 v[22:23], 2, v[22:23]
	v_addc_co_u32_e64 v21, s[18:19], v17, v21, s[18:19]
	v_add_co_u32_e64 v22, s[18:19], s64, v22
	v_addc_co_u32_e64 v23, s[18:19], v17, v23, s[18:19]
	global_load_dword v2, v[2:3], off
	s_nop 0
	global_load_dword v3, v[4:5], off
	s_nop 0
	global_load_dword v4, v[20:21], off
	global_load_dword v5, v[22:23], off
	v_add_u32_e32 v8, s1, v8
	s_add_i32 s82, s82, s76
	v_cmp_le_i32_e32 vcc, s9, v8
	s_waitcnt vmcnt(3)
	v_cmp_lt_i32_e64 s[18:19], -1, v2
	v_cndmask_b32_e64 v17, -1, v36, s[18:19]
	s_waitcnt vmcnt(2)
	v_cmp_lt_i32_e64 s[18:19], -1, v3
	v_cndmask_b32_e64 v18, -1, v36, s[18:19]
	;; [unrolled: 3-line block ×4, first 2 shown]
	v_xor_b32_e32 v18, v18, v3
	v_cmp_o_f32_e64 s[18:19], v3, v3
	v_xor_b32_e32 v3, v20, v4
	v_cmp_o_f32_e64 s[20:21], v4, v4
	;; [unrolled: 2-line block ×4, first 2 shown]
	v_cndmask_b32_e64 v2, -1, v5, s[24:25]
	v_cndmask_b32_e64 v5, -1, v18, s[18:19]
	v_and_b32_e32 v17, s6, v2
	v_bfe_u32 v2, v2, s83, 2
	v_cndmask_b32_e64 v3, -1, v3, s[20:21]
	v_and_b32_e32 v18, s6, v5
	v_bfe_u32 v5, v5, s83, 2
	v_cmp_eq_u32_e64 s[18:19], s7, v17
	v_cmp_eq_u32_e64 s[26:27], 0, v2
	v_cndmask_b32_e64 v4, -1, v4, s[22:23]
	v_and_b32_e32 v20, s6, v3
	v_bfe_u32 v3, v3, s83, 2
	v_cmp_eq_u32_e64 s[20:21], s7, v18
	v_cmp_eq_u32_e64 s[28:29], 0, v5
	s_and_b64 s[14:15], s[18:19], s[26:27]
	v_and_b32_e32 v21, s6, v4
	v_bfe_u32 v4, v4, s83, 2
	v_cmp_eq_u32_e64 s[22:23], s7, v20
	v_cmp_eq_u32_e64 s[30:31], 0, v3
	;; [unrolled: 1-line block ×5, first 2 shown]
	v_cndmask_b32_e64 v2, 0, 1, s[14:15]
	s_and_b64 s[14:15], s[20:21], s[28:29]
	v_cmp_eq_u32_e64 s[24:25], s7, v21
	v_cmp_eq_u32_e64 s[34:35], 0, v4
	;; [unrolled: 1-line block ×5, first 2 shown]
	v_cndmask_b32_e64 v3, 0, 1, s[14:15]
	s_and_b64 s[14:15], s[22:23], s[30:31]
	v_cmp_eq_u32_e64 s[42:43], 1, v4
	v_cmp_eq_u32_e64 s[50:51], 2, v4
	;; [unrolled: 1-line block ×3, first 2 shown]
	v_cndmask_b32_e64 v4, 0, 1, s[14:15]
	s_and_b64 s[14:15], s[24:25], s[34:35]
	v_cmp_eq_u32_e64 s[38:39], 1, v5
	v_cmp_eq_u32_e64 s[46:47], 2, v5
	;; [unrolled: 1-line block ×3, first 2 shown]
	v_cndmask_b32_e64 v5, 0, 1, s[14:15]
	s_and_b64 s[14:15], s[18:19], s[36:37]
	v_cndmask_b32_e64 v17, 0, 1, s[14:15]
	s_and_b64 s[14:15], s[20:21], s[38:39]
	;; [unrolled: 2-line block ×12, first 2 shown]
	v_cmp_ne_u32_e64 s[18:19], 0, v2
	v_cmp_ne_u32_e64 s[20:21], 0, v3
	;; [unrolled: 1-line block ×7, first 2 shown]
	v_cndmask_b32_e64 v43, 0, 1, s[14:15]
	v_cmp_ne_u32_e64 s[38:39], 0, v23
	v_cmp_ne_u32_e64 s[46:47], 0, v41
	s_bcnt1_i32_b64 s14, s[18:19]
	s_bcnt1_i32_b64 s15, s[20:21]
	;; [unrolled: 1-line block ×7, first 2 shown]
	v_cmp_ne_u32_e64 s[22:23], 0, v4
	v_cmp_ne_u32_e64 s[30:31], 0, v20
	;; [unrolled: 1-line block ×4, first 2 shown]
	s_bcnt1_i32_b64 s25, s[38:39]
	s_bcnt1_i32_b64 s29, s[46:47]
	s_add_i32 s13, s13, s14
	s_add_i32 s12, s12, s20
	;; [unrolled: 1-line block ×4, first 2 shown]
	v_cmp_ne_u32_e64 s[34:35], 0, v21
	v_cmp_ne_u32_e64 s[42:43], 0, v39
	;; [unrolled: 1-line block ×3, first 2 shown]
	s_bcnt1_i32_b64 s18, s[22:23]
	s_bcnt1_i32_b64 s22, s[30:31]
	;; [unrolled: 1-line block ×4, first 2 shown]
	s_add_i32 s13, s13, s15
	s_add_i32 s12, s12, s21
	;; [unrolled: 1-line block ×4, first 2 shown]
	s_bcnt1_i32_b64 s23, s[34:35]
	s_bcnt1_i32_b64 s27, s[42:43]
	;; [unrolled: 1-line block ×3, first 2 shown]
	s_add_i32 s13, s13, s18
	s_add_i32 s12, s12, s22
	;; [unrolled: 1-line block ×8, first 2 shown]
	s_or_b64 s[80:81], vcc, s[80:81]
	v_mov_b32_e32 v2, s13
	v_mov_b32_e32 v3, s12
	;; [unrolled: 1-line block ×4, first 2 shown]
	s_andn2_b64 exec, exec, s[80:81]
	s_cbranch_execnz .LBB51_54
; %bb.55:                               ;   in Loop: Header=BB51_17 Depth=1
	s_or_b64 exec, exec, s[80:81]
.LBB51_56:                              ;   in Loop: Header=BB51_17 Depth=1
	s_or_b64 exec, exec, s[88:89]
	v_mov_b32_e32 v8, 0
	s_mov_b64 s[18:19], exec
	v_readlane_b32 s10, v50, 33
	v_readlane_b32 s11, v50, 34
	s_and_b64 s[10:11], s[18:19], s[10:11]
	s_mov_b64 exec, s[10:11]
	s_cbranch_execz .LBB51_58
; %bb.57:                               ;   in Loop: Header=BB51_17 Depth=1
	global_load_dword v8, v[14:15], off
.LBB51_58:                              ;   in Loop: Header=BB51_17 Depth=1
	s_or_b64 exec, exec, s[18:19]
	s_mov_b64 s[20:21], 0
	s_mov_b64 s[88:89], 0
	s_mov_b64 s[22:23], exec
	v_readlane_b32 s10, v50, 35
	v_readlane_b32 s11, v50, 36
	s_and_b64 s[10:11], s[22:23], s[10:11]
	s_mov_b64 exec, s[10:11]
	s_cbranch_execz .LBB51_65
; %bb.59:                               ;   in Loop: Header=BB51_17 Depth=1
	s_and_b32 s10, s78, 0xfe
	s_mov_b64 s[24:25], 0
	v_mov_b32_e32 v20, v33
	v_mov_b32_e32 v17, v28
	s_branch .LBB51_61
.LBB51_60:                              ;   in Loop: Header=BB51_61 Depth=2
	s_or_b64 exec, exec, s[18:19]
	s_waitcnt vmcnt(0)
	v_cmp_lt_i32_e32 vcc, -1, v8
	v_cndmask_b32_e32 v21, -1, v36, vcc
	v_xor_b32_e32 v21, v21, v8
	v_cmp_o_f32_e32 vcc, v8, v8
	v_cndmask_b32_e32 v8, -1, v21, vcc
	v_and_b32_e32 v21, s6, v8
	v_bfe_u32 v8, v8, s10, 2
	v_cmp_eq_u32_e32 vcc, s7, v21
	v_cmp_eq_u32_e64 s[18:19], 0, v8
	s_and_b64 s[12:13], vcc, s[18:19]
	v_cndmask_b32_e64 v21, 0, 1, s[12:13]
	v_cmp_ne_u32_e64 s[18:19], 0, v21
	s_bcnt1_i32_b64 s11, s[18:19]
	v_cmp_eq_u32_e64 s[18:19], 1, v8
	s_and_b64 s[12:13], vcc, s[18:19]
	v_cndmask_b32_e64 v21, 0, 1, s[12:13]
	v_cmp_ne_u32_e64 s[18:19], 0, v21
	v_add_u32_e32 v2, s11, v2
	s_bcnt1_i32_b64 s11, s[18:19]
	v_cmp_eq_u32_e64 s[18:19], 2, v8
	s_and_b64 s[12:13], vcc, s[18:19]
	v_cndmask_b32_e64 v21, 0, 1, s[12:13]
	v_cmp_ne_u32_e64 s[18:19], 0, v21
	v_add_u32_e32 v3, s11, v3
	s_bcnt1_i32_b64 s11, s[18:19]
	v_cmp_eq_u32_e64 s[18:19], 3, v8
	s_and_b64 s[12:13], vcc, s[18:19]
	v_cndmask_b32_e64 v8, 0, 1, s[12:13]
	v_cmp_ne_u32_e32 vcc, 0, v8
	v_add_u32_e32 v4, s11, v4
	s_bcnt1_i32_b64 s11, vcc
	v_cmp_le_i32_e32 vcc, s60, v17
	v_add_u32_e32 v5, s11, v5
	v_add_u32_e32 v20, s0, v20
	s_or_b64 s[24:25], vcc, s[24:25]
	v_mov_b32_e32 v8, v18
	s_andn2_b64 exec, exec, s[24:25]
	s_cbranch_execz .LBB51_64
.LBB51_61:                              ;   Parent Loop BB51_17 Depth=1
                                        ; =>  This Inner Loop Header: Depth=2
	v_add_u32_e32 v17, s66, v17
	v_cmp_gt_u32_e32 vcc, s60, v17
	v_mov_b32_e32 v18, 0
	s_and_saveexec_b64 s[18:19], vcc
	s_cbranch_execz .LBB51_60
; %bb.62:                               ;   in Loop: Header=BB51_61 Depth=2
	v_ashrrev_i32_e32 v21, 31, v20
	v_lshlrev_b64 v[22:23], 2, v[20:21]
	v_mov_b32_e32 v18, s16
	v_add_co_u32_e32 v22, vcc, s64, v22
	v_addc_co_u32_e32 v23, vcc, v18, v23, vcc
	global_load_dword v18, v[22:23], off
	s_branch .LBB51_60
.LBB51_63:                              ;   in Loop: Header=BB51_17 Depth=1
	s_mov_b64 s[88:89], 0
                                        ; implicit-def: $vgpr5
	s_cbranch_execnz .LBB51_66
	s_branch .LBB51_75
.LBB51_64:                              ;   in Loop: Header=BB51_17 Depth=1
	s_or_b64 exec, exec, s[24:25]
	s_mov_b64 s[88:89], exec
.LBB51_65:                              ;   in Loop: Header=BB51_17 Depth=1
	s_or_b64 exec, exec, s[22:23]
	s_and_b64 vcc, exec, s[20:21]
	s_cbranch_vccz .LBB51_75
.LBB51_66:                              ;   in Loop: Header=BB51_17 Depth=1
	s_mul_hi_u32 s10, s73, s8
	s_mul_i32 s10, s10, s1
	s_sub_i32 s10, s73, s10
	s_sub_i32 s11, s10, s1
	s_cmp_ge_u32 s10, s1
	s_cselect_b32 s10, s11, s10
	s_sub_i32 s11, s10, s1
	s_cmp_ge_u32 s10, s1
	s_cselect_b32 s10, s11, s10
	s_sub_i32 s10, s73, s10
	v_cmp_gt_u32_e32 vcc, s10, v24
	s_mov_b32 s12, 0
	s_waitcnt vmcnt(0)
	v_mov_b32_e32 v2, 0
	v_mov_b32_e32 v3, 0
	;; [unrolled: 1-line block ×4, first 2 shown]
	s_and_saveexec_b64 s[80:81], vcc
	s_cbranch_execz .LBB51_70
; %bb.67:                               ;   in Loop: Header=BB51_17 Depth=1
	s_and_b32 s11, s78, 0xfe
	s_mov_b64 s[82:83], 0
	v_mov_b32_e32 v8, v34
	s_mov_b32 s13, 0
	s_mov_b32 s14, 0
	;; [unrolled: 1-line block ×3, first 2 shown]
	v_mov_b32_e32 v17, v24
.LBB51_68:                              ;   Parent Loop BB51_17 Depth=1
                                        ; =>  This Inner Loop Header: Depth=2
	ds_read_b128 v[2:5], v8
	v_add_u32_e32 v17, s1, v17
	v_cmp_le_i32_e32 vcc, s10, v17
	v_add_u32_e32 v8, s77, v8
	s_waitcnt lgkmcnt(0)
	v_cmp_lt_i32_e64 s[18:19], -1, v2
	v_cndmask_b32_e64 v18, -1, v36, s[18:19]
	v_cmp_lt_i32_e64 s[18:19], -1, v3
	v_cndmask_b32_e64 v20, -1, v36, s[18:19]
	;; [unrolled: 2-line block ×4, first 2 shown]
	v_xor_b32_e32 v20, v20, v3
	v_cmp_o_f32_e64 s[18:19], v3, v3
	v_xor_b32_e32 v3, v21, v4
	v_cmp_o_f32_e64 s[20:21], v4, v4
	;; [unrolled: 2-line block ×4, first 2 shown]
	v_cndmask_b32_e64 v2, -1, v5, s[24:25]
	v_cndmask_b32_e64 v5, -1, v20, s[18:19]
	v_and_b32_e32 v18, s6, v2
	v_bfe_u32 v2, v2, s11, 2
	v_cndmask_b32_e64 v3, -1, v3, s[20:21]
	v_and_b32_e32 v20, s6, v5
	v_bfe_u32 v5, v5, s11, 2
	v_cmp_eq_u32_e64 s[18:19], s7, v18
	v_cmp_eq_u32_e64 s[26:27], 0, v2
	v_cndmask_b32_e64 v4, -1, v4, s[22:23]
	v_and_b32_e32 v21, s6, v3
	v_bfe_u32 v3, v3, s11, 2
	v_cmp_eq_u32_e64 s[20:21], s7, v20
	v_cmp_eq_u32_e64 s[28:29], 0, v5
	s_and_b64 s[26:27], s[18:19], s[26:27]
	v_and_b32_e32 v22, s6, v4
	v_bfe_u32 v4, v4, s11, 2
	v_cmp_eq_u32_e64 s[22:23], s7, v21
	v_cmp_eq_u32_e64 s[30:31], 0, v3
	;; [unrolled: 1-line block ×5, first 2 shown]
	v_cndmask_b32_e64 v2, 0, 1, s[26:27]
	s_and_b64 s[26:27], s[20:21], s[28:29]
	v_cmp_eq_u32_e64 s[24:25], s7, v22
	v_cmp_eq_u32_e64 s[34:35], 0, v4
	;; [unrolled: 1-line block ×5, first 2 shown]
	v_cndmask_b32_e64 v3, 0, 1, s[26:27]
	s_and_b64 s[26:27], s[22:23], s[30:31]
	v_cmp_eq_u32_e64 s[42:43], 1, v4
	v_cmp_eq_u32_e64 s[50:51], 2, v4
	;; [unrolled: 1-line block ×3, first 2 shown]
	v_cndmask_b32_e64 v4, 0, 1, s[26:27]
	s_and_b64 s[26:27], s[24:25], s[34:35]
	v_cmp_eq_u32_e64 s[38:39], 1, v5
	v_cmp_eq_u32_e64 s[46:47], 2, v5
	;; [unrolled: 1-line block ×3, first 2 shown]
	v_cndmask_b32_e64 v5, 0, 1, s[26:27]
	s_and_b64 s[26:27], s[18:19], s[36:37]
	v_cndmask_b32_e64 v18, 0, 1, s[26:27]
	s_and_b64 s[26:27], s[20:21], s[38:39]
	;; [unrolled: 2-line block ×5, first 2 shown]
	s_and_b64 s[18:19], s[18:19], s[52:53]
	v_cndmask_b32_e64 v23, 0, 1, s[26:27]
	s_and_b64 s[26:27], s[20:21], s[46:47]
	v_cndmask_b32_e64 v41, 0, 1, s[18:19]
	s_and_b64 s[18:19], s[20:21], s[54:55]
	v_cndmask_b32_e64 v38, 0, 1, s[26:27]
	s_and_b64 s[26:27], s[22:23], s[48:49]
	v_cndmask_b32_e64 v42, 0, 1, s[18:19]
	s_and_b64 s[18:19], s[22:23], s[56:57]
	v_cndmask_b32_e64 v39, 0, 1, s[26:27]
	s_and_b64 s[26:27], s[24:25], s[50:51]
	v_cndmask_b32_e64 v43, 0, 1, s[18:19]
	s_and_b64 s[18:19], s[24:25], s[58:59]
	v_cndmask_b32_e64 v40, 0, 1, s[26:27]
	v_cndmask_b32_e64 v44, 0, 1, s[18:19]
	v_cmp_ne_u32_e64 s[18:19], 0, v2
	v_cmp_ne_u32_e64 s[20:21], 0, v3
	;; [unrolled: 1-line block ×11, first 2 shown]
	s_bcnt1_i32_b64 s18, s[18:19]
	s_bcnt1_i32_b64 s19, s[20:21]
	;; [unrolled: 1-line block ×8, first 2 shown]
	v_cmp_ne_u32_e64 s[34:35], 0, v22
	v_cmp_ne_u32_e64 s[40:41], 0, v39
	;; [unrolled: 1-line block ×3, first 2 shown]
	s_bcnt1_i32_b64 s23, s[28:29]
	s_bcnt1_i32_b64 s27, s[38:39]
	;; [unrolled: 1-line block ×3, first 2 shown]
	s_add_i32 s15, s15, s18
	s_add_i32 s14, s14, s22
	;; [unrolled: 1-line block ×4, first 2 shown]
	v_cmp_ne_u32_e64 s[42:43], 0, v40
	v_cmp_ne_u32_e64 s[50:51], 0, v44
	s_bcnt1_i32_b64 s25, s[34:35]
	s_bcnt1_i32_b64 s28, s[40:41]
	;; [unrolled: 1-line block ×3, first 2 shown]
	s_add_i32 s15, s15, s19
	s_add_i32 s14, s14, s23
	;; [unrolled: 1-line block ×4, first 2 shown]
	s_bcnt1_i32_b64 s29, s[42:43]
	s_bcnt1_i32_b64 s35, s[50:51]
	s_add_i32 s15, s15, s20
	s_add_i32 s14, s14, s24
	;; [unrolled: 1-line block ×8, first 2 shown]
	s_or_b64 s[82:83], vcc, s[82:83]
	v_mov_b32_e32 v2, s15
	v_mov_b32_e32 v3, s14
	;; [unrolled: 1-line block ×4, first 2 shown]
	s_andn2_b64 exec, exec, s[82:83]
	s_cbranch_execnz .LBB51_68
; %bb.69:                               ;   in Loop: Header=BB51_17 Depth=1
	s_or_b64 exec, exec, s[82:83]
.LBB51_70:                              ;   in Loop: Header=BB51_17 Depth=1
	s_or_b64 exec, exec, s[80:81]
	v_add_u32_e32 v8, s10, v0
	v_cmp_gt_i32_e32 vcc, s73, v8
	s_and_saveexec_b64 s[28:29], vcc
	s_cbranch_execz .LBB51_74
; %bb.71:                               ;   in Loop: Header=BB51_17 Depth=1
	s_and_b32 s10, s78, 0xfe
	v_lshlrev_b32_e32 v17, 2, v8
	s_mov_b64 s[30:31], 0
.LBB51_72:                              ;   Parent Loop BB51_17 Depth=1
                                        ; =>  This Inner Loop Header: Depth=2
	ds_read_b32 v18, v17
	v_add_u32_e32 v8, s66, v8
	v_cmp_le_i32_e32 vcc, s73, v8
	v_add_u32_e32 v17, s1, v17
	s_waitcnt lgkmcnt(0)
	v_cmp_lt_i32_e64 s[18:19], -1, v18
	v_cndmask_b32_e64 v20, -1, v36, s[18:19]
	v_xor_b32_e32 v20, v20, v18
	v_cmp_o_f32_e64 s[18:19], v18, v18
	v_cndmask_b32_e64 v18, -1, v20, s[18:19]
	v_and_b32_e32 v20, s6, v18
	v_bfe_u32 v18, v18, s10, 2
	v_cmp_eq_u32_e64 s[18:19], s7, v20
	v_cmp_eq_u32_e64 s[20:21], 0, v18
	;; [unrolled: 1-line block ×3, first 2 shown]
	s_and_b64 s[12:13], s[18:19], s[20:21]
	v_cmp_eq_u32_e64 s[24:25], 2, v18
	v_cmp_eq_u32_e64 s[26:27], 3, v18
	v_cndmask_b32_e64 v18, 0, 1, s[12:13]
	s_and_b64 s[12:13], s[18:19], s[22:23]
	v_cndmask_b32_e64 v20, 0, 1, s[12:13]
	s_and_b64 s[12:13], s[18:19], s[24:25]
	v_cndmask_b32_e64 v21, 0, 1, s[12:13]
	s_and_b64 s[12:13], s[18:19], s[26:27]
	v_cndmask_b32_e64 v22, 0, 1, s[12:13]
	v_cmp_ne_u32_e64 s[18:19], 0, v18
	v_cmp_ne_u32_e64 s[20:21], 0, v20
	;; [unrolled: 1-line block ×4, first 2 shown]
	s_bcnt1_i32_b64 s11, s[18:19]
	s_bcnt1_i32_b64 s12, s[20:21]
	;; [unrolled: 1-line block ×4, first 2 shown]
	v_add_u32_e32 v2, s11, v2
	v_add_u32_e32 v3, s12, v3
	;; [unrolled: 1-line block ×3, first 2 shown]
	s_or_b64 s[30:31], vcc, s[30:31]
	v_add_u32_e32 v5, s14, v5
	s_andn2_b64 exec, exec, s[30:31]
	s_cbranch_execnz .LBB51_72
; %bb.73:                               ;   in Loop: Header=BB51_17 Depth=1
	s_or_b64 exec, exec, s[30:31]
	s_or_b64 s[88:89], s[88:89], exec
.LBB51_74:                              ;   in Loop: Header=BB51_17 Depth=1
	s_or_b64 exec, exec, s[28:29]
.LBB51_75:                              ;   in Loop: Header=BB51_17 Depth=1
	s_and_saveexec_b64 s[18:19], s[88:89]
	s_or_b64 exec, exec, s[18:19]
	s_lshl_b32 s10, s79, 6
	s_and_saveexec_b64 s[18:19], s[2:3]
	s_cbranch_execz .LBB51_77
; %bb.76:                               ;   in Loop: Header=BB51_17 Depth=1
	s_waitcnt vmcnt(0)
	v_or_b32_e32 v8, s10, v26
	v_lshlrev_b32_e32 v8, 2, v8
	ds_write_b128 v8, v[2:5] offset:3072
.LBB51_77:                              ;   in Loop: Header=BB51_17 Depth=1
	s_or_b64 exec, exec, s[18:19]
	s_waitcnt lgkmcnt(0)
	s_barrier
	s_and_saveexec_b64 s[18:19], s[74:75]
	s_cbranch_execz .LBB51_91
; %bb.78:                               ;   in Loop: Header=BB51_17 Depth=1
	v_readlane_b32 s12, v50, 11
	v_readlane_b32 s13, v50, 12
	v_add_u32_e32 v4, s10, v13
	s_andn2_b64 vcc, exec, s[12:13]
	s_waitcnt vmcnt(0)
	v_mov_b32_e32 v2, 0
	s_cbranch_vccnz .LBB51_90
; %bb.79:                               ;   in Loop: Header=BB51_17 Depth=1
	v_readlane_b32 s12, v50, 15
	v_readlane_b32 s13, v50, 16
	s_mov_b32 s11, 0
	s_and_b64 vcc, exec, s[12:13]
	v_mov_b32_e32 v2, 0
	s_cbranch_vccz .LBB51_83
; %bb.80:                               ;   in Loop: Header=BB51_17 Depth=1
	v_readlane_b32 s12, v50, 21
	v_readlane_b32 s13, v50, 22
	v_lshl_add_u32 v5, v4, 2, v37
	s_andn2_b64 vcc, exec, s[12:13]
	s_cbranch_vccnz .LBB51_84
; %bb.81:                               ;   in Loop: Header=BB51_17 Depth=1
	s_mov_b32 s21, 1
	s_mov_b32 s20, 0
	v_mov_b32_e32 v2, 0
	v_readlane_b32 s11, v50, 23
	v_mov_b32_e32 v3, 0
.LBB51_82:                              ;   Parent Loop BB51_17 Depth=1
                                        ; =>  This Inner Loop Header: Depth=2
	v_lshl_add_u32 v8, s20, 4, v5
	v_lshl_add_u32 v17, s21, 4, v5
	ds_read2_b32 v[20:21], v8 offset1:8
	ds_read2_b32 v[22:23], v17 offset1:8
	ds_read2_b32 v[38:39], v8 offset0:16 offset1:24
	ds_read2_b32 v[40:41], v17 offset0:16 offset1:24
	;; [unrolled: 1-line block ×6, first 2 shown]
	s_waitcnt lgkmcnt(7)
	v_add3_u32 v2, v20, v2, v21
	s_waitcnt lgkmcnt(6)
	v_add3_u32 v3, v22, v3, v23
	;; [unrolled: 2-line block ×3, first 2 shown]
	v_add3_u32 v2, v38, v2, v39
	s_add_i32 s21, s21, 16
	s_add_i32 s20, s20, 16
	s_add_i32 s11, s11, -8
	s_waitcnt lgkmcnt(3)
	v_add3_u32 v2, v42, v2, v43
	s_waitcnt lgkmcnt(2)
	v_add3_u32 v3, v44, v3, v45
	s_cmp_lg_u32 s11, 0
	s_waitcnt lgkmcnt(0)
	v_add3_u32 v3, v48, v3, v49
	v_add3_u32 v2, v46, v2, v47
	s_cbranch_scc1 .LBB51_82
	s_branch .LBB51_85
.LBB51_83:                              ;   in Loop: Header=BB51_17 Depth=1
	s_cbranch_execnz .LBB51_88
	s_branch .LBB51_90
.LBB51_84:                              ;   in Loop: Header=BB51_17 Depth=1
	s_mov_b32 s73, s72
	v_pk_mov_b32 v[2:3], s[72:73], s[72:73] op_sel:[0,1]
	s_mov_b32 s73, 1
	s_mov_b64 s[20:21], s[72:73]
.LBB51_85:                              ;   in Loop: Header=BB51_17 Depth=1
	v_readlane_b32 s12, v50, 25
	v_readlane_b32 s13, v50, 26
	s_andn2_b64 vcc, exec, s[12:13]
	v_readlane_b32 s11, v50, 24
	s_cbranch_vccnz .LBB51_87
.LBB51_86:                              ;   Parent Loop BB51_17 Depth=1
                                        ; =>  This Inner Loop Header: Depth=2
	v_lshl_add_u32 v8, s20, 4, v5
	v_lshl_add_u32 v17, s21, 4, v5
	ds_read_b32 v17, v17
	ds_read_b32 v8, v8
	s_add_i32 s21, s21, 2
	s_add_i32 s20, s20, 2
	s_add_i32 s11, s11, -1
	s_cmp_lg_u32 s11, 0
	s_waitcnt lgkmcnt(1)
	v_add_u32_e32 v3, v17, v3
	s_waitcnt lgkmcnt(0)
	v_add_u32_e32 v2, v8, v2
	s_cbranch_scc1 .LBB51_86
.LBB51_87:                              ;   in Loop: Header=BB51_17 Depth=1
	v_readlane_b32 s20, v50, 29
	v_add_u32_e32 v2, v2, v3
	v_readlane_b32 s11, v50, 28
	v_readlane_b32 s21, v50, 30
	s_and_b64 vcc, exec, s[20:21]
	s_cbranch_vccz .LBB51_90
.LBB51_88:                              ;   in Loop: Header=BB51_17 Depth=1
	s_lshl_b32 s12, s79, 8
	s_lshl_b32 s13, s11, 4
	s_add_i32 s12, s12, s13
	v_add_u32_e32 v3, s12, v35
	v_readlane_b32 s12, v50, 27
	s_sub_i32 s11, s12, s11
.LBB51_89:                              ;   Parent Loop BB51_17 Depth=1
                                        ; =>  This Inner Loop Header: Depth=2
	ds_read_b32 v5, v3
	s_add_i32 s11, s11, -1
	v_add_u32_e32 v3, 16, v3
	s_cmp_eq_u32 s11, 0
	s_waitcnt lgkmcnt(0)
	v_add_u32_e32 v2, v5, v2
	s_cbranch_scc0 .LBB51_89
.LBB51_90:                              ;   in Loop: Header=BB51_17 Depth=1
	v_lshlrev_b32_e32 v3, 2, v4
	ds_write_b32 v3, v2 offset:3072
.LBB51_91:                              ;   in Loop: Header=BB51_17 Depth=1
	s_or_b64 exec, exec, s[18:19]
	s_lshl_b32 s10, s10, 2
	s_waitcnt vmcnt(0)
	v_mov_b32_e32 v2, s10
	s_waitcnt lgkmcnt(0)
	s_barrier
	ds_read_b128 v[2:5], v2 offset:3072
	s_and_b32 s47, s78, 0xfe
	s_lshl_b32 s55, 3, s47
	s_not_b32 s48, s55
	s_mov_b64 s[22:23], -1
	s_waitcnt lgkmcnt(0)
	v_readfirstlane_b32 s34, v2
	s_cmp_eq_u32 s34, 1
	s_cselect_b64 s[10:11], -1, 0
	s_cmp_eq_u32 s61, 1
	s_cselect_b64 s[12:13], -1, 0
	s_and_b64 s[24:25], s[10:11], s[12:13]
	v_readfirstlane_b32 s38, v3
	v_readfirstlane_b32 s46, v4
	;; [unrolled: 1-line block ×3, first 2 shown]
	s_and_b64 vcc, exec, s[24:25]
	s_cbranch_vccz .LBB51_103
; %bb.92:                               ;   in Loop: Header=BB51_17 Depth=1
	ds_read_b32 v2, v9 offset:4096
	s_waitcnt lgkmcnt(0)
	s_barrier
	v_readfirstlane_b32 s10, v2
	s_and_saveexec_b64 s[18:19], s[4:5]
	s_cbranch_execz .LBB51_94
; %bb.93:                               ;   in Loop: Header=BB51_17 Depth=1
	ds_write_b32 v25, v9
.LBB51_94:                              ;   in Loop: Header=BB51_17 Depth=1
	s_or_b64 exec, exec, s[18:19]
	s_and_b32 s7, s7, s48
	s_or_b32 s6, s6, s55
	s_cmp_lt_i32 s10, 1
	s_waitcnt lgkmcnt(0)
	s_barrier
	s_cbranch_scc0 .LBB51_104
; %bb.95:                               ;   in Loop: Header=BB51_17 Depth=1
	s_mov_b64 s[18:19], 0
                                        ; implicit-def: $vgpr19
	s_mov_b64 s[20:21], exec
	v_readlane_b32 s12, v50, 38
	v_readlane_b32 s13, v50, 39
	s_and_b64 s[12:13], s[20:21], s[12:13]
	s_mov_b64 exec, s[12:13]
	s_cbranch_execz .LBB51_106
; %bb.96:                               ;   in Loop: Header=BB51_17 Depth=1
	s_mov_b64 s[26:27], 0
	v_mov_b32_e32 v2, v6
	v_mov_b32_e32 v4, v0
                                        ; implicit-def: $sgpr28_sgpr29
	s_branch .LBB51_98
.LBB51_97:                              ;   in Loop: Header=BB51_98 Depth=2
	s_or_b64 exec, exec, s[18:19]
	s_waitcnt lgkmcnt(0)
	s_barrier
	ds_read_b64 v[18:19], v9 offset:3072
	v_add_u32_e32 v4, s66, v4
	v_cmp_le_i32_e64 s[18:19], s17, v4
	v_add_u32_e32 v2, s0, v2
	s_waitcnt lgkmcnt(0)
	v_cmp_neq_f32_e32 vcc, 0, v18
	s_or_b64 s[12:13], s[18:19], vcc
	s_and_b64 s[12:13], exec, s[12:13]
	s_or_b64 s[26:27], s[12:13], s[26:27]
	s_andn2_b64 s[12:13], s[28:29], exec
	s_and_b64 s[14:15], vcc, exec
	s_or_b64 s[28:29], s[12:13], s[14:15]
	s_barrier
	s_andn2_b64 exec, exec, s[26:27]
	s_cbranch_execz .LBB51_105
.LBB51_98:                              ;   Parent Loop BB51_17 Depth=1
                                        ; =>  This Inner Loop Header: Depth=2
	v_cmp_gt_i32_e32 vcc, s60, v4
	s_waitcnt vmcnt(0)
	v_mov_b32_e32 v17, 0
	s_and_saveexec_b64 s[30:31], vcc
	s_cbranch_execz .LBB51_100
; %bb.99:                               ;   in Loop: Header=BB51_98 Depth=2
	v_ashrrev_i32_e32 v3, 31, v2
	v_lshlrev_b64 v[18:19], 2, v[2:3]
	v_mov_b32_e32 v3, s16
	v_add_co_u32_e64 v18, s[18:19], s64, v18
	v_addc_co_u32_e64 v19, s[18:19], v3, v19, s[18:19]
	global_load_dword v17, v[18:19], off
.LBB51_100:                             ;   in Loop: Header=BB51_98 Depth=2
	s_or_b64 exec, exec, s[30:31]
	s_and_saveexec_b64 s[18:19], vcc
	s_cbranch_execz .LBB51_97
; %bb.101:                              ;   in Loop: Header=BB51_98 Depth=2
	s_waitcnt vmcnt(0)
	v_cmp_lt_i32_e32 vcc, -1, v17
	v_cndmask_b32_e32 v3, -1, v36, vcc
	v_xor_b32_e32 v3, v3, v17
	v_cmp_o_f32_e32 vcc, v17, v17
	v_cndmask_b32_e32 v3, -1, v3, vcc
	v_and_b32_e32 v3, s6, v3
	v_cmp_eq_u32_e32 vcc, s7, v3
	s_and_b64 exec, exec, vcc
	s_cbranch_execz .LBB51_97
; %bb.102:                              ;   in Loop: Header=BB51_98 Depth=2
	ds_write_b64 v9, v[16:17] offset:3072
	s_branch .LBB51_97
.LBB51_103:                             ;   in Loop: Header=BB51_17 Depth=1
	s_mov_b64 s[18:19], -1
                                        ; implicit-def: $sgpr20_sgpr21
                                        ; implicit-def: $sgpr28_sgpr29
                                        ; implicit-def: $sgpr26_sgpr27
	s_branch .LBB51_117
.LBB51_104:                             ;   in Loop: Header=BB51_17 Depth=1
	s_mov_b64 s[20:21], -1
	s_mov_b64 s[18:19], 0
                                        ; implicit-def: $sgpr26_sgpr27
                                        ; implicit-def: $vgpr19
	s_mov_b64 s[28:29], s[20:21]
	s_cbranch_execnz .LBB51_107
	s_branch .LBB51_117
.LBB51_105:                             ;   in Loop: Header=BB51_17 Depth=1
	s_or_b64 exec, exec, s[26:27]
	s_and_b64 s[18:19], s[28:29], exec
.LBB51_106:                             ;   in Loop: Header=BB51_17 Depth=1
	s_or_b64 exec, exec, s[20:21]
	s_mov_b64 s[26:27], -1
	s_mov_b64 s[20:21], 0
	s_mov_b64 s[28:29], s[20:21]
	s_branch .LBB51_117
.LBB51_107:                             ;   in Loop: Header=BB51_17 Depth=1
	v_readlane_b32 s11, v50, 8
	s_add_i32 s11, s10, s11
	s_abs_i32 s13, s11
	v_readlane_b32 s14, v50, 37
	s_mul_hi_u32 s14, s13, s14
	s_mul_i32 s14, s14, s66
	s_sub_i32 s13, s13, s14
	s_ashr_i32 s12, s11, 31
	s_sub_i32 s14, s13, s66
	s_cmp_ge_u32 s13, s66
	s_cselect_b32 s13, s14, s13
	s_sub_i32 s14, s13, s66
	s_cmp_ge_u32 s13, s66
	s_cselect_b32 s13, s14, s13
	s_xor_b32 s13, s13, s12
	s_sub_i32 s12, s12, s13
	s_add_i32 s11, s11, s12
	v_cmp_gt_i32_e32 vcc, s11, v0
	s_mov_b64 s[18:19], 0
                                        ; implicit-def: $vgpr19
	s_and_saveexec_b64 s[20:21], vcc
	s_cbranch_execz .LBB51_116
; %bb.108:                              ;   in Loop: Header=BB51_17 Depth=1
	s_mov_b64 s[26:27], 0
	v_mov_b32_e32 v2, v24
	v_mov_b32_e32 v3, v0
                                        ; implicit-def: $sgpr28_sgpr29
	s_branch .LBB51_110
.LBB51_109:                             ;   in Loop: Header=BB51_110 Depth=2
	s_or_b64 exec, exec, s[18:19]
	s_waitcnt lgkmcnt(0)
	s_barrier
	ds_read_b64 v[18:19], v9 offset:3072
	v_add_u32_e32 v3, s66, v3
	v_cmp_le_i32_e64 s[18:19], s11, v3
	v_add_u32_e32 v2, s1, v2
	s_waitcnt lgkmcnt(0)
	v_cmp_neq_f32_e32 vcc, 0, v18
	s_or_b64 s[12:13], s[18:19], vcc
	s_and_b64 s[12:13], exec, s[12:13]
	s_or_b64 s[26:27], s[12:13], s[26:27]
	s_andn2_b64 s[12:13], s[28:29], exec
	s_and_b64 s[14:15], vcc, exec
	s_or_b64 s[28:29], s[12:13], s[14:15]
	s_barrier
	s_andn2_b64 exec, exec, s[26:27]
	s_cbranch_execz .LBB51_115
.LBB51_110:                             ;   Parent Loop BB51_17 Depth=1
                                        ; =>  This Inner Loop Header: Depth=2
	v_cmp_gt_i32_e32 vcc, s10, v3
	s_waitcnt vmcnt(0)
	v_mov_b32_e32 v17, 0
	s_and_saveexec_b64 s[18:19], vcc
	s_cbranch_execz .LBB51_112
; %bb.111:                              ;   in Loop: Header=BB51_110 Depth=2
	ds_read_b32 v17, v2
.LBB51_112:                             ;   in Loop: Header=BB51_110 Depth=2
	s_or_b64 exec, exec, s[18:19]
	s_and_saveexec_b64 s[18:19], vcc
	s_cbranch_execz .LBB51_109
; %bb.113:                              ;   in Loop: Header=BB51_110 Depth=2
	s_waitcnt lgkmcnt(0)
	v_cmp_lt_i32_e32 vcc, -1, v17
	v_cndmask_b32_e32 v4, -1, v36, vcc
	v_xor_b32_e32 v4, v4, v17
	v_cmp_o_f32_e32 vcc, v17, v17
	v_cndmask_b32_e32 v4, -1, v4, vcc
	v_and_b32_e32 v4, s6, v4
	v_cmp_eq_u32_e32 vcc, s7, v4
	s_and_b64 exec, exec, vcc
	s_cbranch_execz .LBB51_109
; %bb.114:                              ;   in Loop: Header=BB51_110 Depth=2
	ds_write_b64 v9, v[16:17] offset:3072
	s_branch .LBB51_109
.LBB51_115:                             ;   in Loop: Header=BB51_17 Depth=1
	s_or_b64 exec, exec, s[26:27]
	s_and_b64 s[18:19], s[28:29], exec
.LBB51_116:                             ;   in Loop: Header=BB51_17 Depth=1
	s_or_b64 exec, exec, s[20:21]
	s_mov_b64 s[28:29], -1
	s_mov_b64 s[20:21], 0
	s_mov_b64 s[26:27], 0
.LBB51_117:                             ;   in Loop: Header=BB51_17 Depth=1
	s_andn2_b64 s[10:11], s[86:87], exec
	s_and_b64 s[12:13], s[20:21], exec
	s_or_b64 s[86:87], s[10:11], s[12:13]
	s_andn2_b64 s[10:11], s[84:85], exec
	s_and_b64 s[12:13], s[28:29], exec
	s_or_b64 s[84:85], s[10:11], s[12:13]
	;; [unrolled: 3-line block ×3, first 2 shown]
	s_and_saveexec_b64 s[20:21], s[18:19]
	s_cbranch_execz .LBB51_16
; %bb.118:                              ;   in Loop: Header=BB51_17 Depth=1
	s_xor_b64 s[10:11], s[24:25], -1
	s_mov_b64 s[18:19], 0
	s_andn2_b64 vcc, exec, s[10:11]
	s_mov_b32 s39, 1
	s_cbranch_vccnz .LBB51_129
; %bb.119:                              ;   in Loop: Header=BB51_17 Depth=1
	s_cmp_gt_i32 s61, s34
	s_mov_b64 s[18:19], -1
                                        ; implicit-def: $sgpr57
                                        ; implicit-def: $sgpr10
                                        ; implicit-def: $sgpr11
	s_cbranch_scc1 .LBB51_125
; %bb.120:                              ;   in Loop: Header=BB51_17 Depth=1
	ds_read_b32 v2, v9 offset:4096
	s_waitcnt lgkmcnt(0)
	v_cmp_ne_u32_e32 vcc, 0, v2
	s_cbranch_vccnz .LBB51_124
; %bb.121:                              ;   in Loop: Header=BB51_17 Depth=1
	s_mov_b64 s[18:19], exec
	v_readlane_b32 s10, v50, 5
	v_readlane_b32 s11, v50, 6
	s_and_b64 s[10:11], s[18:19], s[10:11]
	s_mov_b64 exec, s[10:11]
	s_cbranch_execz .LBB51_123
; %bb.122:                              ;   in Loop: Header=BB51_17 Depth=1
	v_mov_b32_e32 v2, s34
	ds_write_b32 v9, v2 offset:4100
.LBB51_123:                             ;   in Loop: Header=BB51_17 Depth=1
	s_or_b64 exec, exec, s[18:19]
	s_waitcnt lgkmcnt(0)
	s_barrier
.LBB51_124:                             ;   in Loop: Header=BB51_17 Depth=1
	s_and_b32 s10, s7, s48
	s_or_b32 s11, s6, s55
	s_mov_b64 s[18:19], 0
	s_mov_b32 s57, 8
.LBB51_125:                             ;   in Loop: Header=BB51_17 Depth=1
	s_andn2_b64 vcc, exec, s[18:19]
	s_cbranch_vccnz .LBB51_127
; %bb.126:                              ;   in Loop: Header=BB51_17 Depth=1
	s_sub_i32 s61, s61, s34
	s_mov_b64 s[18:19], -1
	s_mov_b32 s57, 0
	s_mov_b32 s10, s7
	;; [unrolled: 1-line block ×3, first 2 shown]
.LBB51_127:                             ;   in Loop: Header=BB51_17 Depth=1
	s_mov_b32 s6, s11
	s_mov_b32 s7, s10
	;; [unrolled: 1-line block ×3, first 2 shown]
	s_mov_b64 s[22:23], -1
	s_and_b64 vcc, exec, s[18:19]
	s_cbranch_vccnz .LBB51_130
.LBB51_128:                             ;   in Loop: Header=BB51_17 Depth=1
	s_mov_b64 s[36:37], -1
                                        ; implicit-def: $sgpr24_sgpr25
                                        ; implicit-def: $sgpr28_sgpr29
                                        ; implicit-def: $sgpr26_sgpr27
	s_and_saveexec_b64 s[10:11], s[36:37]
	s_xor_b64 s[18:19], exec, s[10:11]
	s_cbranch_execz .LBB51_15
	s_branch .LBB51_253
.LBB51_129:                             ;   in Loop: Header=BB51_17 Depth=1
	s_mov_b32 s57, 1
	s_mov_b64 s[22:23], -1
	s_and_b64 vcc, exec, s[18:19]
	s_cbranch_vccz .LBB51_128
.LBB51_130:                             ;   in Loop: Header=BB51_17 Depth=1
	s_cmp_eq_u32 s38, 1
	s_cselect_b64 s[10:11], -1, 0
	s_cmp_eq_u32 s39, 1
	s_cselect_b64 s[12:13], -1, 0
	s_and_b64 s[34:35], s[10:11], s[12:13]
	s_mov_b64 s[18:19], -1
	s_and_b64 vcc, exec, s[34:35]
	s_cbranch_vccz .LBB51_142
; %bb.131:                              ;   in Loop: Header=BB51_17 Depth=1
	ds_read_b32 v2, v9 offset:4096
	s_waitcnt lgkmcnt(0)
	s_barrier
	v_readfirstlane_b32 s10, v2
	s_and_saveexec_b64 s[18:19], s[4:5]
	s_cbranch_execz .LBB51_133
; %bb.132:                              ;   in Loop: Header=BB51_17 Depth=1
	ds_write_b32 v25, v9
.LBB51_133:                             ;   in Loop: Header=BB51_17 Depth=1
	s_or_b64 exec, exec, s[18:19]
	s_lshl_b32 s11, 1, s47
	s_and_b32 s7, s7, s48
	s_or_b32 s7, s7, s11
	s_or_b32 s6, s6, s55
	s_cmp_gt_i32 s10, 0
	s_waitcnt lgkmcnt(0)
	s_barrier
	s_cbranch_scc1 .LBB51_143
; %bb.134:                              ;   in Loop: Header=BB51_17 Depth=1
	s_mov_b64 s[18:19], 0
                                        ; implicit-def: $vgpr19
	s_mov_b64 s[24:25], exec
	v_readlane_b32 s12, v50, 38
	v_readlane_b32 s13, v50, 39
	s_and_b64 s[12:13], s[24:25], s[12:13]
	s_mov_b64 exec, s[12:13]
	s_cbranch_execz .LBB51_145
; %bb.135:                              ;   in Loop: Header=BB51_17 Depth=1
	s_mov_b64 s[26:27], 0
	v_mov_b32_e32 v2, v6
	v_mov_b32_e32 v4, v0
                                        ; implicit-def: $sgpr28_sgpr29
	s_branch .LBB51_137
.LBB51_136:                             ;   in Loop: Header=BB51_137 Depth=2
	s_or_b64 exec, exec, s[18:19]
	s_waitcnt lgkmcnt(0)
	s_barrier
	ds_read_b64 v[18:19], v9 offset:3072
	v_add_u32_e32 v4, s66, v4
	v_cmp_le_i32_e64 s[18:19], s17, v4
	v_add_u32_e32 v2, s0, v2
	s_waitcnt lgkmcnt(0)
	v_cmp_neq_f32_e32 vcc, 0, v18
	s_or_b64 s[12:13], s[18:19], vcc
	s_and_b64 s[12:13], exec, s[12:13]
	s_or_b64 s[26:27], s[12:13], s[26:27]
	s_andn2_b64 s[12:13], s[28:29], exec
	s_and_b64 s[14:15], vcc, exec
	s_or_b64 s[28:29], s[12:13], s[14:15]
	s_barrier
	s_andn2_b64 exec, exec, s[26:27]
	s_cbranch_execz .LBB51_144
.LBB51_137:                             ;   Parent Loop BB51_17 Depth=1
                                        ; =>  This Inner Loop Header: Depth=2
	v_cmp_gt_i32_e32 vcc, s60, v4
	s_waitcnt vmcnt(0)
	v_mov_b32_e32 v17, 0
	s_and_saveexec_b64 s[30:31], vcc
	s_cbranch_execz .LBB51_139
; %bb.138:                              ;   in Loop: Header=BB51_137 Depth=2
	v_ashrrev_i32_e32 v3, 31, v2
	v_lshlrev_b64 v[18:19], 2, v[2:3]
	v_mov_b32_e32 v3, s16
	v_add_co_u32_e64 v18, s[18:19], s64, v18
	v_addc_co_u32_e64 v19, s[18:19], v3, v19, s[18:19]
	global_load_dword v17, v[18:19], off
.LBB51_139:                             ;   in Loop: Header=BB51_137 Depth=2
	s_or_b64 exec, exec, s[30:31]
	s_and_saveexec_b64 s[18:19], vcc
	s_cbranch_execz .LBB51_136
; %bb.140:                              ;   in Loop: Header=BB51_137 Depth=2
	s_waitcnt vmcnt(0)
	v_cmp_lt_i32_e32 vcc, -1, v17
	v_cndmask_b32_e32 v3, -1, v36, vcc
	v_xor_b32_e32 v3, v3, v17
	v_cmp_o_f32_e32 vcc, v17, v17
	v_cndmask_b32_e32 v3, -1, v3, vcc
	v_and_b32_e32 v3, s6, v3
	v_cmp_eq_u32_e32 vcc, s7, v3
	s_and_b64 exec, exec, vcc
	s_cbranch_execz .LBB51_136
; %bb.141:                              ;   in Loop: Header=BB51_137 Depth=2
	ds_write_b64 v9, v[16:17] offset:3072
	s_branch .LBB51_136
.LBB51_142:                             ;   in Loop: Header=BB51_17 Depth=1
                                        ; implicit-def: $sgpr26_sgpr27
                                        ; implicit-def: $sgpr28_sgpr29
                                        ; implicit-def: $sgpr24_sgpr25
	s_branch .LBB51_156
.LBB51_143:                             ;   in Loop: Header=BB51_17 Depth=1
	s_mov_b64 s[26:27], -1
	s_mov_b64 s[18:19], 0
                                        ; implicit-def: $sgpr24_sgpr25
                                        ; implicit-def: $vgpr19
	s_mov_b64 s[28:29], s[26:27]
	s_cbranch_execnz .LBB51_146
	s_branch .LBB51_156
.LBB51_144:                             ;   in Loop: Header=BB51_17 Depth=1
	s_or_b64 exec, exec, s[26:27]
	s_and_b64 s[18:19], s[28:29], exec
.LBB51_145:                             ;   in Loop: Header=BB51_17 Depth=1
	s_or_b64 exec, exec, s[24:25]
	s_mov_b64 s[24:25], -1
	s_mov_b64 s[26:27], 0
	s_mov_b64 s[28:29], s[26:27]
	s_branch .LBB51_156
.LBB51_146:                             ;   in Loop: Header=BB51_17 Depth=1
	v_readlane_b32 s11, v50, 8
	s_add_i32 s11, s10, s11
	s_abs_i32 s13, s11
	v_readlane_b32 s14, v50, 37
	s_mul_hi_u32 s14, s13, s14
	s_mul_i32 s14, s14, s66
	s_sub_i32 s13, s13, s14
	s_ashr_i32 s12, s11, 31
	s_sub_i32 s14, s13, s66
	s_cmp_ge_u32 s13, s66
	s_cselect_b32 s13, s14, s13
	s_sub_i32 s14, s13, s66
	s_cmp_ge_u32 s13, s66
	s_cselect_b32 s13, s14, s13
	s_xor_b32 s13, s13, s12
	s_sub_i32 s12, s12, s13
	s_add_i32 s11, s11, s12
	v_cmp_gt_i32_e32 vcc, s11, v0
	s_mov_b64 s[18:19], 0
                                        ; implicit-def: $vgpr19
	s_and_saveexec_b64 s[24:25], vcc
	s_cbranch_execz .LBB51_155
; %bb.147:                              ;   in Loop: Header=BB51_17 Depth=1
	s_mov_b64 s[26:27], 0
	v_mov_b32_e32 v2, v24
	v_mov_b32_e32 v3, v0
                                        ; implicit-def: $sgpr28_sgpr29
	s_branch .LBB51_149
.LBB51_148:                             ;   in Loop: Header=BB51_149 Depth=2
	s_or_b64 exec, exec, s[18:19]
	s_waitcnt lgkmcnt(0)
	s_barrier
	ds_read_b64 v[18:19], v9 offset:3072
	v_add_u32_e32 v3, s66, v3
	v_cmp_le_i32_e64 s[18:19], s11, v3
	v_add_u32_e32 v2, s1, v2
	s_waitcnt lgkmcnt(0)
	v_cmp_neq_f32_e32 vcc, 0, v18
	s_or_b64 s[12:13], s[18:19], vcc
	s_and_b64 s[12:13], exec, s[12:13]
	s_or_b64 s[26:27], s[12:13], s[26:27]
	s_andn2_b64 s[12:13], s[28:29], exec
	s_and_b64 s[14:15], vcc, exec
	s_or_b64 s[28:29], s[12:13], s[14:15]
	s_barrier
	s_andn2_b64 exec, exec, s[26:27]
	s_cbranch_execz .LBB51_154
.LBB51_149:                             ;   Parent Loop BB51_17 Depth=1
                                        ; =>  This Inner Loop Header: Depth=2
	v_cmp_gt_i32_e32 vcc, s10, v3
	s_waitcnt vmcnt(0)
	v_mov_b32_e32 v17, 0
	s_and_saveexec_b64 s[18:19], vcc
	s_cbranch_execz .LBB51_151
; %bb.150:                              ;   in Loop: Header=BB51_149 Depth=2
	ds_read_b32 v17, v2
.LBB51_151:                             ;   in Loop: Header=BB51_149 Depth=2
	s_or_b64 exec, exec, s[18:19]
	s_and_saveexec_b64 s[18:19], vcc
	s_cbranch_execz .LBB51_148
; %bb.152:                              ;   in Loop: Header=BB51_149 Depth=2
	s_waitcnt lgkmcnt(0)
	v_cmp_lt_i32_e32 vcc, -1, v17
	v_cndmask_b32_e32 v4, -1, v36, vcc
	v_xor_b32_e32 v4, v4, v17
	v_cmp_o_f32_e32 vcc, v17, v17
	v_cndmask_b32_e32 v4, -1, v4, vcc
	v_and_b32_e32 v4, s6, v4
	v_cmp_eq_u32_e32 vcc, s7, v4
	s_and_b64 exec, exec, vcc
	s_cbranch_execz .LBB51_148
; %bb.153:                              ;   in Loop: Header=BB51_149 Depth=2
	ds_write_b64 v9, v[16:17] offset:3072
	s_branch .LBB51_148
.LBB51_154:                             ;   in Loop: Header=BB51_17 Depth=1
	s_or_b64 exec, exec, s[26:27]
	s_and_b64 s[18:19], s[28:29], exec
.LBB51_155:                             ;   in Loop: Header=BB51_17 Depth=1
	s_or_b64 exec, exec, s[24:25]
	s_mov_b64 s[28:29], -1
	s_mov_b64 s[26:27], 0
	s_mov_b64 s[24:25], 0
.LBB51_156:                             ;   in Loop: Header=BB51_17 Depth=1
	s_mov_b64 s[36:37], 0
                                        ; implicit-def: $sgpr57
	s_and_saveexec_b64 s[30:31], s[18:19]
	s_cbranch_execz .LBB51_252
; %bb.157:                              ;   in Loop: Header=BB51_17 Depth=1
	s_xor_b64 s[10:11], s[34:35], -1
	s_mov_b64 s[18:19], 0
	s_andn2_b64 vcc, exec, s[10:11]
	s_mov_b32 s49, 1
	s_cbranch_vccnz .LBB51_168
; %bb.158:                              ;   in Loop: Header=BB51_17 Depth=1
	s_cmp_gt_i32 s39, s38
	s_mov_b64 s[18:19], -1
                                        ; implicit-def: $sgpr57
                                        ; implicit-def: $sgpr10
                                        ; implicit-def: $sgpr11
	s_cbranch_scc1 .LBB51_164
; %bb.159:                              ;   in Loop: Header=BB51_17 Depth=1
	ds_read_b32 v2, v9 offset:4096
	s_waitcnt lgkmcnt(0)
	v_cmp_ne_u32_e32 vcc, 0, v2
	s_cbranch_vccnz .LBB51_163
; %bb.160:                              ;   in Loop: Header=BB51_17 Depth=1
	s_mov_b64 s[18:19], exec
	v_readlane_b32 s10, v50, 5
	v_readlane_b32 s11, v50, 6
	s_and_b64 s[10:11], s[18:19], s[10:11]
	s_mov_b64 exec, s[10:11]
	s_cbranch_execz .LBB51_162
; %bb.161:                              ;   in Loop: Header=BB51_17 Depth=1
	v_mov_b32_e32 v2, s38
	ds_write_b32 v9, v2 offset:4100
.LBB51_162:                             ;   in Loop: Header=BB51_17 Depth=1
	s_or_b64 exec, exec, s[18:19]
	s_waitcnt lgkmcnt(0)
	s_barrier
.LBB51_163:                             ;   in Loop: Header=BB51_17 Depth=1
	s_lshl_b32 s10, 1, s47
	s_and_b32 s11, s7, s48
	s_or_b32 s10, s11, s10
	s_or_b32 s11, s6, s55
	s_mov_b64 s[18:19], 0
	s_mov_b32 s57, 8
.LBB51_164:                             ;   in Loop: Header=BB51_17 Depth=1
	s_andn2_b64 vcc, exec, s[18:19]
	s_cbranch_vccnz .LBB51_166
; %bb.165:                              ;   in Loop: Header=BB51_17 Depth=1
	s_sub_i32 s39, s39, s38
	s_mov_b64 s[18:19], -1
	s_mov_b32 s57, 0
	s_mov_b32 s10, s7
	;; [unrolled: 1-line block ×3, first 2 shown]
.LBB51_166:                             ;   in Loop: Header=BB51_17 Depth=1
	s_mov_b32 s6, s11
	s_mov_b32 s7, s10
	;; [unrolled: 1-line block ×3, first 2 shown]
	s_andn2_b64 vcc, exec, s[18:19]
	s_mov_b64 s[44:45], -1
	s_cbranch_vccz .LBB51_169
.LBB51_167:                             ;   in Loop: Header=BB51_17 Depth=1
                                        ; implicit-def: $sgpr36_sgpr37
                                        ; implicit-def: $sgpr38_sgpr39
                                        ; implicit-def: $sgpr34_sgpr35
	s_branch .LBB51_251
.LBB51_168:                             ;   in Loop: Header=BB51_17 Depth=1
	s_mov_b32 s57, 1
	s_andn2_b64 vcc, exec, s[18:19]
	s_mov_b64 s[44:45], -1
	s_cbranch_vccnz .LBB51_167
.LBB51_169:                             ;   in Loop: Header=BB51_17 Depth=1
	s_cmp_eq_u32 s46, 1
	s_cselect_b64 s[10:11], -1, 0
	s_cmp_eq_u32 s49, 1
	s_cselect_b64 s[12:13], -1, 0
	s_and_b64 s[42:43], s[10:11], s[12:13]
	s_mov_b64 s[18:19], -1
	s_and_b64 vcc, exec, s[42:43]
	s_cbranch_vccz .LBB51_181
; %bb.170:                              ;   in Loop: Header=BB51_17 Depth=1
	ds_read_b32 v2, v9 offset:4096
	s_waitcnt lgkmcnt(0)
	s_barrier
	v_readfirstlane_b32 s10, v2
	s_and_saveexec_b64 s[18:19], s[4:5]
	s_cbranch_execz .LBB51_172
; %bb.171:                              ;   in Loop: Header=BB51_17 Depth=1
	ds_write_b32 v25, v9
.LBB51_172:                             ;   in Loop: Header=BB51_17 Depth=1
	s_or_b64 exec, exec, s[18:19]
	s_lshl_b32 s11, 2, s47
	s_and_b32 s7, s7, s48
	s_or_b32 s7, s7, s11
	s_or_b32 s6, s6, s55
	s_cmp_gt_i32 s10, 0
	s_waitcnt lgkmcnt(0)
	s_barrier
	s_cbranch_scc1 .LBB51_182
; %bb.173:                              ;   in Loop: Header=BB51_17 Depth=1
	s_mov_b64 s[18:19], 0
                                        ; implicit-def: $vgpr19
	s_mov_b64 s[34:35], exec
	v_readlane_b32 s12, v50, 38
	v_readlane_b32 s13, v50, 39
	s_and_b64 s[12:13], s[34:35], s[12:13]
	s_mov_b64 exec, s[12:13]
	s_cbranch_execz .LBB51_184
; %bb.174:                              ;   in Loop: Header=BB51_17 Depth=1
	v_mov_b32_e32 v2, v6
	v_mov_b32_e32 v4, v0
                                        ; implicit-def: $sgpr38_sgpr39
	s_branch .LBB51_176
.LBB51_175:                             ;   in Loop: Header=BB51_176 Depth=2
	s_or_b64 exec, exec, s[18:19]
	s_waitcnt lgkmcnt(0)
	s_barrier
	ds_read_b64 v[18:19], v9 offset:3072
	v_add_u32_e32 v4, s66, v4
	v_cmp_le_i32_e64 s[18:19], s17, v4
	v_add_u32_e32 v2, s0, v2
	s_waitcnt lgkmcnt(0)
	v_cmp_neq_f32_e32 vcc, 0, v18
	s_or_b64 s[12:13], s[18:19], vcc
	s_and_b64 s[12:13], exec, s[12:13]
	s_or_b64 s[36:37], s[12:13], s[36:37]
	s_andn2_b64 s[12:13], s[38:39], exec
	s_and_b64 s[14:15], vcc, exec
	s_or_b64 s[38:39], s[12:13], s[14:15]
	s_barrier
	s_andn2_b64 exec, exec, s[36:37]
	s_cbranch_execz .LBB51_183
.LBB51_176:                             ;   Parent Loop BB51_17 Depth=1
                                        ; =>  This Inner Loop Header: Depth=2
	v_cmp_gt_i32_e32 vcc, s60, v4
	s_waitcnt vmcnt(0)
	v_mov_b32_e32 v17, 0
	s_and_saveexec_b64 s[40:41], vcc
	s_cbranch_execz .LBB51_178
; %bb.177:                              ;   in Loop: Header=BB51_176 Depth=2
	v_ashrrev_i32_e32 v3, 31, v2
	v_lshlrev_b64 v[18:19], 2, v[2:3]
	v_mov_b32_e32 v3, s16
	v_add_co_u32_e64 v18, s[18:19], s64, v18
	v_addc_co_u32_e64 v19, s[18:19], v3, v19, s[18:19]
	global_load_dword v17, v[18:19], off
.LBB51_178:                             ;   in Loop: Header=BB51_176 Depth=2
	s_or_b64 exec, exec, s[40:41]
	s_and_saveexec_b64 s[18:19], vcc
	s_cbranch_execz .LBB51_175
; %bb.179:                              ;   in Loop: Header=BB51_176 Depth=2
	s_waitcnt vmcnt(0)
	v_cmp_lt_i32_e32 vcc, -1, v17
	v_cndmask_b32_e32 v3, -1, v36, vcc
	v_xor_b32_e32 v3, v3, v17
	v_cmp_o_f32_e32 vcc, v17, v17
	v_cndmask_b32_e32 v3, -1, v3, vcc
	v_and_b32_e32 v3, s6, v3
	v_cmp_eq_u32_e32 vcc, s7, v3
	s_and_b64 exec, exec, vcc
	s_cbranch_execz .LBB51_175
; %bb.180:                              ;   in Loop: Header=BB51_176 Depth=2
	ds_write_b64 v9, v[16:17] offset:3072
	s_branch .LBB51_175
.LBB51_181:                             ;   in Loop: Header=BB51_17 Depth=1
                                        ; implicit-def: $sgpr34_sgpr35
                                        ; implicit-def: $sgpr38_sgpr39
                                        ; implicit-def: $sgpr36_sgpr37
	s_branch .LBB51_195
.LBB51_182:                             ;   in Loop: Header=BB51_17 Depth=1
	s_mov_b64 s[34:35], -1
	s_mov_b64 s[18:19], 0
                                        ; implicit-def: $sgpr36_sgpr37
                                        ; implicit-def: $vgpr19
	s_mov_b64 s[38:39], s[34:35]
	s_cbranch_execnz .LBB51_185
	s_branch .LBB51_195
.LBB51_183:                             ;   in Loop: Header=BB51_17 Depth=1
	s_or_b64 exec, exec, s[36:37]
	s_and_b64 s[18:19], s[38:39], exec
.LBB51_184:                             ;   in Loop: Header=BB51_17 Depth=1
	s_or_b64 exec, exec, s[34:35]
	s_mov_b64 s[36:37], -1
	s_mov_b64 s[34:35], 0
	s_mov_b64 s[38:39], s[34:35]
	s_branch .LBB51_195
.LBB51_185:                             ;   in Loop: Header=BB51_17 Depth=1
	v_readlane_b32 s11, v50, 8
	s_add_i32 s11, s10, s11
	s_abs_i32 s13, s11
	v_readlane_b32 s14, v50, 37
	s_mul_hi_u32 s14, s13, s14
	s_mul_i32 s14, s14, s66
	s_sub_i32 s13, s13, s14
	s_ashr_i32 s12, s11, 31
	s_sub_i32 s14, s13, s66
	s_cmp_ge_u32 s13, s66
	s_cselect_b32 s13, s14, s13
	s_sub_i32 s14, s13, s66
	s_cmp_ge_u32 s13, s66
	s_cselect_b32 s13, s14, s13
	s_xor_b32 s13, s13, s12
	s_sub_i32 s12, s12, s13
	s_add_i32 s11, s11, s12
	v_cmp_gt_i32_e32 vcc, s11, v0
	s_mov_b64 s[18:19], 0
                                        ; implicit-def: $vgpr19
	s_and_saveexec_b64 s[34:35], vcc
	s_cbranch_execz .LBB51_194
; %bb.186:                              ;   in Loop: Header=BB51_17 Depth=1
	s_mov_b64 s[36:37], 0
	v_mov_b32_e32 v2, v24
	v_mov_b32_e32 v3, v0
                                        ; implicit-def: $sgpr38_sgpr39
	s_branch .LBB51_188
.LBB51_187:                             ;   in Loop: Header=BB51_188 Depth=2
	s_or_b64 exec, exec, s[18:19]
	s_waitcnt lgkmcnt(0)
	s_barrier
	ds_read_b64 v[18:19], v9 offset:3072
	v_add_u32_e32 v3, s66, v3
	v_cmp_le_i32_e64 s[18:19], s11, v3
	v_add_u32_e32 v2, s1, v2
	s_waitcnt lgkmcnt(0)
	v_cmp_neq_f32_e32 vcc, 0, v18
	s_or_b64 s[12:13], s[18:19], vcc
	s_and_b64 s[12:13], exec, s[12:13]
	s_or_b64 s[36:37], s[12:13], s[36:37]
	s_andn2_b64 s[12:13], s[38:39], exec
	s_and_b64 s[14:15], vcc, exec
	s_or_b64 s[38:39], s[12:13], s[14:15]
	s_barrier
	s_andn2_b64 exec, exec, s[36:37]
	s_cbranch_execz .LBB51_193
.LBB51_188:                             ;   Parent Loop BB51_17 Depth=1
                                        ; =>  This Inner Loop Header: Depth=2
	v_cmp_gt_i32_e32 vcc, s10, v3
	s_waitcnt vmcnt(0)
	v_mov_b32_e32 v17, 0
	s_and_saveexec_b64 s[18:19], vcc
	s_cbranch_execz .LBB51_190
; %bb.189:                              ;   in Loop: Header=BB51_188 Depth=2
	ds_read_b32 v17, v2
.LBB51_190:                             ;   in Loop: Header=BB51_188 Depth=2
	s_or_b64 exec, exec, s[18:19]
	s_and_saveexec_b64 s[18:19], vcc
	s_cbranch_execz .LBB51_187
; %bb.191:                              ;   in Loop: Header=BB51_188 Depth=2
	s_waitcnt lgkmcnt(0)
	v_cmp_lt_i32_e32 vcc, -1, v17
	v_cndmask_b32_e32 v4, -1, v36, vcc
	v_xor_b32_e32 v4, v4, v17
	v_cmp_o_f32_e32 vcc, v17, v17
	v_cndmask_b32_e32 v4, -1, v4, vcc
	v_and_b32_e32 v4, s6, v4
	v_cmp_eq_u32_e32 vcc, s7, v4
	s_and_b64 exec, exec, vcc
	s_cbranch_execz .LBB51_187
; %bb.192:                              ;   in Loop: Header=BB51_188 Depth=2
	ds_write_b64 v9, v[16:17] offset:3072
	s_branch .LBB51_187
.LBB51_193:                             ;   in Loop: Header=BB51_17 Depth=1
	s_or_b64 exec, exec, s[36:37]
	s_and_b64 s[18:19], s[38:39], exec
.LBB51_194:                             ;   in Loop: Header=BB51_17 Depth=1
	s_or_b64 exec, exec, s[34:35]
	s_mov_b64 s[38:39], -1
	s_mov_b64 s[34:35], 0
	s_mov_b64 s[36:37], 0
.LBB51_195:                             ;   in Loop: Header=BB51_17 Depth=1
	s_mov_b64 s[44:45], 0
                                        ; implicit-def: $sgpr57
	s_and_saveexec_b64 s[40:41], s[18:19]
	s_cbranch_execz .LBB51_250
; %bb.196:                              ;   in Loop: Header=BB51_17 Depth=1
	s_xor_b64 s[10:11], s[42:43], -1
	s_mov_b64 s[18:19], 0
	s_andn2_b64 vcc, exec, s[10:11]
	s_mov_b32 s56, 1
	s_cbranch_vccnz .LBB51_207
; %bb.197:                              ;   in Loop: Header=BB51_17 Depth=1
	s_cmp_gt_i32 s49, s46
	s_mov_b64 s[18:19], -1
                                        ; implicit-def: $sgpr57
                                        ; implicit-def: $sgpr10
                                        ; implicit-def: $sgpr11
	s_cbranch_scc1 .LBB51_203
; %bb.198:                              ;   in Loop: Header=BB51_17 Depth=1
	ds_read_b32 v2, v9 offset:4096
	s_waitcnt lgkmcnt(0)
	v_cmp_ne_u32_e32 vcc, 0, v2
	s_cbranch_vccnz .LBB51_202
; %bb.199:                              ;   in Loop: Header=BB51_17 Depth=1
	s_mov_b64 s[18:19], exec
	v_readlane_b32 s10, v50, 5
	v_readlane_b32 s11, v50, 6
	s_and_b64 s[10:11], s[18:19], s[10:11]
	s_mov_b64 exec, s[10:11]
	s_cbranch_execz .LBB51_201
; %bb.200:                              ;   in Loop: Header=BB51_17 Depth=1
	v_mov_b32_e32 v2, s46
	ds_write_b32 v9, v2 offset:4100
.LBB51_201:                             ;   in Loop: Header=BB51_17 Depth=1
	s_or_b64 exec, exec, s[18:19]
	s_waitcnt lgkmcnt(0)
	s_barrier
.LBB51_202:                             ;   in Loop: Header=BB51_17 Depth=1
	s_lshl_b32 s10, 2, s47
	s_and_b32 s11, s7, s48
	s_or_b32 s10, s11, s10
	s_or_b32 s11, s6, s55
	s_mov_b64 s[18:19], 0
	s_mov_b32 s57, 8
.LBB51_203:                             ;   in Loop: Header=BB51_17 Depth=1
	s_andn2_b64 vcc, exec, s[18:19]
	s_cbranch_vccnz .LBB51_205
; %bb.204:                              ;   in Loop: Header=BB51_17 Depth=1
	s_sub_i32 s49, s49, s46
	s_mov_b64 s[18:19], -1
	s_mov_b32 s57, 0
	s_mov_b32 s10, s7
	s_mov_b32 s11, s6
.LBB51_205:                             ;   in Loop: Header=BB51_17 Depth=1
	s_mov_b32 s6, s11
	s_mov_b32 s7, s10
	;; [unrolled: 1-line block ×3, first 2 shown]
	s_andn2_b64 vcc, exec, s[18:19]
	s_mov_b64 s[52:53], -1
	s_cbranch_vccz .LBB51_208
.LBB51_206:                             ;   in Loop: Header=BB51_17 Depth=1
                                        ; implicit-def: $sgpr18_sgpr19
                                        ; implicit-def: $sgpr46_sgpr47
                                        ; implicit-def: $sgpr44_sgpr45
	s_branch .LBB51_249
.LBB51_207:                             ;   in Loop: Header=BB51_17 Depth=1
	s_mov_b32 s57, 1
	s_andn2_b64 vcc, exec, s[18:19]
	s_mov_b64 s[52:53], -1
	s_cbranch_vccnz .LBB51_206
.LBB51_208:                             ;   in Loop: Header=BB51_17 Depth=1
	s_cmp_eq_u32 s54, 1
	s_cselect_b64 s[10:11], -1, 0
	s_cmp_eq_u32 s56, 1
	s_cselect_b64 s[12:13], -1, 0
	s_and_b64 s[42:43], s[10:11], s[12:13]
	s_mov_b64 s[48:49], -1
	s_and_b64 vcc, exec, s[42:43]
	s_cbranch_vccz .LBB51_220
; %bb.209:                              ;   in Loop: Header=BB51_17 Depth=1
	ds_read_b32 v2, v9 offset:4096
	s_waitcnt lgkmcnt(0)
	s_barrier
	v_readfirstlane_b32 s10, v2
	s_and_saveexec_b64 s[18:19], s[4:5]
	s_cbranch_execz .LBB51_211
; %bb.210:                              ;   in Loop: Header=BB51_17 Depth=1
	ds_write_b32 v25, v9
.LBB51_211:                             ;   in Loop: Header=BB51_17 Depth=1
	s_or_b64 exec, exec, s[18:19]
	s_or_b32 s7, s7, s55
	s_or_b32 s6, s6, s55
	s_cmp_gt_i32 s10, 0
	s_waitcnt lgkmcnt(0)
	s_barrier
	s_cbranch_scc1 .LBB51_221
; %bb.212:                              ;   in Loop: Header=BB51_17 Depth=1
	s_mov_b64 s[48:49], 0
                                        ; implicit-def: $vgpr19
	s_mov_b64 s[44:45], exec
	v_readlane_b32 s12, v50, 38
	v_readlane_b32 s13, v50, 39
	s_and_b64 s[12:13], s[44:45], s[12:13]
	s_mov_b64 exec, s[12:13]
	s_cbranch_execz .LBB51_223
; %bb.213:                              ;   in Loop: Header=BB51_17 Depth=1
	s_mov_b64 s[46:47], 0
	v_mov_b32_e32 v2, v6
	v_mov_b32_e32 v4, v0
                                        ; implicit-def: $sgpr48_sgpr49
	s_branch .LBB51_215
.LBB51_214:                             ;   in Loop: Header=BB51_215 Depth=2
	s_or_b64 exec, exec, s[18:19]
	s_waitcnt lgkmcnt(0)
	s_barrier
	ds_read_b64 v[18:19], v9 offset:3072
	v_add_u32_e32 v4, s66, v4
	v_cmp_le_i32_e64 s[18:19], s17, v4
	v_add_u32_e32 v2, s0, v2
	s_waitcnt lgkmcnt(0)
	v_cmp_neq_f32_e32 vcc, 0, v18
	s_or_b64 s[12:13], s[18:19], vcc
	s_and_b64 s[12:13], exec, s[12:13]
	s_or_b64 s[46:47], s[12:13], s[46:47]
	s_andn2_b64 s[12:13], s[48:49], exec
	s_and_b64 s[14:15], vcc, exec
	s_or_b64 s[48:49], s[12:13], s[14:15]
	s_barrier
	s_andn2_b64 exec, exec, s[46:47]
	s_cbranch_execz .LBB51_222
.LBB51_215:                             ;   Parent Loop BB51_17 Depth=1
                                        ; =>  This Inner Loop Header: Depth=2
	v_cmp_gt_i32_e32 vcc, s60, v4
	s_waitcnt vmcnt(0)
	v_mov_b32_e32 v17, 0
	s_and_saveexec_b64 s[50:51], vcc
	s_cbranch_execz .LBB51_217
; %bb.216:                              ;   in Loop: Header=BB51_215 Depth=2
	v_ashrrev_i32_e32 v3, 31, v2
	v_lshlrev_b64 v[18:19], 2, v[2:3]
	v_mov_b32_e32 v3, s16
	v_add_co_u32_e64 v18, s[18:19], s64, v18
	v_addc_co_u32_e64 v19, s[18:19], v3, v19, s[18:19]
	global_load_dword v17, v[18:19], off
.LBB51_217:                             ;   in Loop: Header=BB51_215 Depth=2
	s_or_b64 exec, exec, s[50:51]
	s_and_saveexec_b64 s[18:19], vcc
	s_cbranch_execz .LBB51_214
; %bb.218:                              ;   in Loop: Header=BB51_215 Depth=2
	s_waitcnt vmcnt(0)
	v_cmp_lt_i32_e32 vcc, -1, v17
	v_cndmask_b32_e32 v3, -1, v36, vcc
	v_xor_b32_e32 v3, v3, v17
	v_cmp_o_f32_e32 vcc, v17, v17
	v_cndmask_b32_e32 v3, -1, v3, vcc
	v_and_b32_e32 v3, s6, v3
	v_cmp_eq_u32_e32 vcc, s7, v3
	s_and_b64 exec, exec, vcc
	s_cbranch_execz .LBB51_214
; %bb.219:                              ;   in Loop: Header=BB51_215 Depth=2
	ds_write_b64 v9, v[16:17] offset:3072
	s_branch .LBB51_214
.LBB51_220:                             ;   in Loop: Header=BB51_17 Depth=1
                                        ; implicit-def: $sgpr18_sgpr19
                                        ; implicit-def: $sgpr46_sgpr47
                                        ; implicit-def: $sgpr44_sgpr45
	s_branch .LBB51_234
.LBB51_221:                             ;   in Loop: Header=BB51_17 Depth=1
	s_mov_b64 s[18:19], -1
	s_mov_b64 s[48:49], 0
                                        ; implicit-def: $sgpr44_sgpr45
                                        ; implicit-def: $vgpr19
	s_mov_b64 s[46:47], s[18:19]
	s_cbranch_execnz .LBB51_224
	s_branch .LBB51_234
.LBB51_222:                             ;   in Loop: Header=BB51_17 Depth=1
	s_or_b64 exec, exec, s[46:47]
	s_and_b64 s[48:49], s[48:49], exec
.LBB51_223:                             ;   in Loop: Header=BB51_17 Depth=1
	s_or_b64 exec, exec, s[44:45]
	s_mov_b64 s[44:45], -1
	s_mov_b64 s[18:19], 0
	s_mov_b64 s[46:47], s[18:19]
	s_branch .LBB51_234
.LBB51_224:                             ;   in Loop: Header=BB51_17 Depth=1
	v_readlane_b32 s11, v50, 8
	s_add_i32 s11, s10, s11
	s_abs_i32 s13, s11
	v_readlane_b32 s14, v50, 37
	s_mul_hi_u32 s14, s13, s14
	s_mul_i32 s14, s14, s66
	s_sub_i32 s13, s13, s14
	s_ashr_i32 s12, s11, 31
	s_sub_i32 s14, s13, s66
	s_cmp_ge_u32 s13, s66
	s_cselect_b32 s13, s14, s13
	s_sub_i32 s14, s13, s66
	s_cmp_ge_u32 s13, s66
	s_cselect_b32 s13, s14, s13
	s_xor_b32 s13, s13, s12
	s_sub_i32 s12, s12, s13
	s_add_i32 s11, s11, s12
	v_cmp_gt_i32_e32 vcc, s11, v0
	s_mov_b64 s[48:49], 0
                                        ; implicit-def: $vgpr19
	s_and_saveexec_b64 s[44:45], vcc
	s_cbranch_execz .LBB51_233
; %bb.225:                              ;   in Loop: Header=BB51_17 Depth=1
	s_mov_b64 s[46:47], 0
	v_mov_b32_e32 v2, v24
	v_mov_b32_e32 v3, v0
                                        ; implicit-def: $sgpr48_sgpr49
	s_branch .LBB51_227
.LBB51_226:                             ;   in Loop: Header=BB51_227 Depth=2
	s_or_b64 exec, exec, s[18:19]
	s_waitcnt lgkmcnt(0)
	s_barrier
	ds_read_b64 v[18:19], v9 offset:3072
	v_add_u32_e32 v3, s66, v3
	v_cmp_le_i32_e64 s[18:19], s11, v3
	v_add_u32_e32 v2, s1, v2
	s_waitcnt lgkmcnt(0)
	v_cmp_neq_f32_e32 vcc, 0, v18
	s_or_b64 s[12:13], s[18:19], vcc
	s_and_b64 s[12:13], exec, s[12:13]
	s_or_b64 s[46:47], s[12:13], s[46:47]
	s_andn2_b64 s[12:13], s[48:49], exec
	s_and_b64 s[14:15], vcc, exec
	s_or_b64 s[48:49], s[12:13], s[14:15]
	s_barrier
	s_andn2_b64 exec, exec, s[46:47]
	s_cbranch_execz .LBB51_232
.LBB51_227:                             ;   Parent Loop BB51_17 Depth=1
                                        ; =>  This Inner Loop Header: Depth=2
	v_cmp_gt_i32_e32 vcc, s10, v3
	s_waitcnt vmcnt(0)
	v_mov_b32_e32 v17, 0
	s_and_saveexec_b64 s[18:19], vcc
	s_cbranch_execz .LBB51_229
; %bb.228:                              ;   in Loop: Header=BB51_227 Depth=2
	ds_read_b32 v17, v2
.LBB51_229:                             ;   in Loop: Header=BB51_227 Depth=2
	s_or_b64 exec, exec, s[18:19]
	s_and_saveexec_b64 s[18:19], vcc
	s_cbranch_execz .LBB51_226
; %bb.230:                              ;   in Loop: Header=BB51_227 Depth=2
	s_waitcnt lgkmcnt(0)
	v_cmp_lt_i32_e32 vcc, -1, v17
	v_cndmask_b32_e32 v4, -1, v36, vcc
	v_xor_b32_e32 v4, v4, v17
	v_cmp_o_f32_e32 vcc, v17, v17
	v_cndmask_b32_e32 v4, -1, v4, vcc
	v_and_b32_e32 v4, s6, v4
	v_cmp_eq_u32_e32 vcc, s7, v4
	s_and_b64 exec, exec, vcc
	s_cbranch_execz .LBB51_226
; %bb.231:                              ;   in Loop: Header=BB51_227 Depth=2
	ds_write_b64 v9, v[16:17] offset:3072
	s_branch .LBB51_226
.LBB51_232:                             ;   in Loop: Header=BB51_17 Depth=1
	s_or_b64 exec, exec, s[46:47]
	s_and_b64 s[48:49], s[48:49], exec
.LBB51_233:                             ;   in Loop: Header=BB51_17 Depth=1
	s_or_b64 exec, exec, s[44:45]
	s_mov_b64 s[46:47], -1
	s_mov_b64 s[18:19], 0
	s_mov_b64 s[44:45], 0
.LBB51_234:                             ;   in Loop: Header=BB51_17 Depth=1
	s_mov_b64 s[52:53], 0
                                        ; implicit-def: $sgpr57
	s_and_saveexec_b64 s[50:51], s[48:49]
	s_cbranch_execz .LBB51_248
; %bb.235:                              ;   in Loop: Header=BB51_17 Depth=1
	s_xor_b64 s[10:11], s[42:43], -1
	s_andn2_b64 vcc, exec, s[10:11]
	s_mov_b32 s57, 1
	s_cbranch_vccnz .LBB51_242
; %bb.236:                              ;   in Loop: Header=BB51_17 Depth=1
	s_cmp_gt_i32 s56, s54
	s_cbranch_scc1 .LBB51_243
; %bb.237:                              ;   in Loop: Header=BB51_17 Depth=1
	ds_read_b32 v2, v9 offset:4096
	s_waitcnt lgkmcnt(0)
	v_cmp_ne_u32_e32 vcc, 0, v2
	s_cbranch_vccnz .LBB51_241
; %bb.238:                              ;   in Loop: Header=BB51_17 Depth=1
	s_mov_b64 s[42:43], exec
	v_readlane_b32 s10, v50, 5
	v_readlane_b32 s11, v50, 6
	s_and_b64 s[10:11], s[42:43], s[10:11]
	s_mov_b64 exec, s[10:11]
	s_cbranch_execz .LBB51_240
; %bb.239:                              ;   in Loop: Header=BB51_17 Depth=1
	v_mov_b32_e32 v2, s54
	ds_write_b32 v9, v2 offset:4100
.LBB51_240:                             ;   in Loop: Header=BB51_17 Depth=1
	s_or_b64 exec, exec, s[42:43]
	s_waitcnt lgkmcnt(0)
	s_barrier
.LBB51_241:                             ;   in Loop: Header=BB51_17 Depth=1
	s_or_b32 s10, s7, s55
	s_or_b32 s11, s6, s55
	s_mov_b64 s[42:43], 0
	s_mov_b32 s57, 8
	s_branch .LBB51_244
.LBB51_242:                             ;   in Loop: Header=BB51_17 Depth=1
	s_mov_b32 s56, 1
	s_branch .LBB51_247
.LBB51_243:                             ;   in Loop: Header=BB51_17 Depth=1
	s_mov_b64 s[42:43], -1
                                        ; implicit-def: $sgpr57
                                        ; implicit-def: $sgpr10
                                        ; implicit-def: $sgpr11
.LBB51_244:                             ;   in Loop: Header=BB51_17 Depth=1
	s_andn2_b64 vcc, exec, s[42:43]
	s_cbranch_vccnz .LBB51_246
; %bb.245:                              ;   in Loop: Header=BB51_17 Depth=1
	s_sub_i32 s56, s56, s54
	s_mov_b32 s57, 8
	s_mov_b32 s10, s7
	s_mov_b32 s11, s6
.LBB51_246:                             ;   in Loop: Header=BB51_17 Depth=1
	s_mov_b32 s7, s10
	s_mov_b32 s6, s11
.LBB51_247:                             ;   in Loop: Header=BB51_17 Depth=1
	s_mov_b64 s[52:53], exec
.LBB51_248:                             ;   in Loop: Header=BB51_17 Depth=1
	s_or_b64 exec, exec, s[50:51]
.LBB51_249:                             ;   in Loop: Header=BB51_17 Depth=1
	s_andn2_b64 s[10:11], s[34:35], exec
	s_and_b64 s[12:13], s[18:19], exec
	s_or_b64 s[34:35], s[10:11], s[12:13]
	s_andn2_b64 s[10:11], s[38:39], exec
	s_and_b64 s[12:13], s[46:47], exec
	s_or_b64 s[38:39], s[10:11], s[12:13]
	;; [unrolled: 3-line block ×3, first 2 shown]
	s_and_b64 s[44:45], s[52:53], exec
	s_mov_b32 s49, s56
.LBB51_250:                             ;   in Loop: Header=BB51_17 Depth=1
	s_or_b64 exec, exec, s[40:41]
.LBB51_251:                             ;   in Loop: Header=BB51_17 Depth=1
	s_andn2_b64 s[10:11], s[26:27], exec
	s_and_b64 s[12:13], s[34:35], exec
	s_or_b64 s[26:27], s[10:11], s[12:13]
	s_andn2_b64 s[10:11], s[28:29], exec
	s_and_b64 s[12:13], s[38:39], exec
	s_or_b64 s[28:29], s[10:11], s[12:13]
	;; [unrolled: 3-line block ×3, first 2 shown]
	s_and_b64 s[36:37], s[44:45], exec
	s_mov_b32 s39, s49
.LBB51_252:                             ;   in Loop: Header=BB51_17 Depth=1
	s_or_b64 exec, exec, s[30:31]
	s_and_saveexec_b64 s[10:11], s[36:37]
	s_xor_b64 s[18:19], exec, s[10:11]
	s_cbranch_execz .LBB51_15
.LBB51_253:                             ;   in Loop: Header=BB51_17 Depth=1
	s_and_b32 s10, s57, -9
	s_cmp_eq_u32 s10, 0
	s_cbranch_scc1 .LBB51_13
; %bb.254:                              ;   in Loop: Header=BB51_17 Depth=1
	s_mov_b64 s[22:23], -1
                                        ; implicit-def: $sgpr6
                                        ; implicit-def: $sgpr39
                                        ; implicit-def: $sgpr78
                                        ; implicit-def: $sgpr79
	s_mov_b64 s[30:31], -1
	s_branch .LBB51_14
.LBB51_255:
	s_or_b64 exec, exec, s[90:91]
	s_xor_b64 s[6:7], s[68:69], -1
	s_xor_b64 s[4:5], s[92:93], -1
	;; [unrolled: 1-line block ×3, first 2 shown]
	s_mov_b64 s[2:3], 0
	s_and_saveexec_b64 s[10:11], s[4:5]
	s_xor_b64 s[4:5], exec, s[10:11]
	s_cbranch_execnz .LBB51_260
; %bb.256:
	s_andn2_saveexec_b64 s[0:1], s[4:5]
	s_cbranch_execnz .LBB51_280
.LBB51_257:
	s_or_b64 exec, exec, s[0:1]
	s_and_saveexec_b64 s[0:1], s[2:3]
.LBB51_258:
	; divergent unreachable
.LBB51_259:
	s_endpgm
.LBB51_260:
	s_and_saveexec_b64 s[2:3], s[6:7]
	s_xor_b64 s[6:7], exec, s[2:3]
	s_cbranch_execz .LBB51_278
; %bb.261:
	s_and_saveexec_b64 s[2:3], s[8:9]
	s_xor_b64 s[2:3], exec, s[2:3]
; %bb.262:
	v_bfrev_b32_e32 v1, 1
	v_cmp_lt_i32_e32 vcc, -1, v2
	v_cndmask_b32_e64 v1, v1, -1, vcc
	v_xor_b32_e32 v19, v1, v2
; %bb.263:
	s_or_b64 exec, exec, s[2:3]
	s_mov_b64 s[2:3], exec
	v_readlane_b32 s8, v50, 5
	v_readlane_b32 s9, v50, 6
	s_and_b64 s[8:9], s[2:3], s[8:9]
	s_mov_b64 exec, s[8:9]
	s_cbranch_execz .LBB51_265
; %bb.264:
	v_mov_b32_e32 v1, 0
	v_mov_b32_e32 v2, s60
	ds_write_b32 v1, v2 offset:4108
.LBB51_265:
	s_or_b64 exec, exec, s[2:3]
	v_mov_b32_e32 v1, 0
	s_waitcnt lgkmcnt(0)
	s_barrier
	ds_read_b32 v1, v1 offset:4108
	s_waitcnt lgkmcnt(0)
	v_min_i32_e32 v1, s60, v1
	v_cmp_lt_i32_e32 vcc, v0, v1
	s_and_saveexec_b64 s[8:9], vcc
	s_cbranch_execz .LBB51_275
; %bb.266:
	v_cmp_u_f32_e32 vcc, v19, v19
	s_mov_b64 s[10:11], 0
	v_mov_b32_e32 v3, s16
	s_xor_b64 s[14:15], vcc, -1
                                        ; implicit-def: $sgpr12_sgpr13
                                        ; implicit-def: $sgpr18_sgpr19
                                        ; implicit-def: $sgpr16_sgpr17
	s_branch .LBB51_268
.LBB51_267:                             ;   in Loop: Header=BB51_268 Depth=1
	s_or_b64 exec, exec, s[2:3]
	s_and_b64 s[2:3], exec, s[18:19]
	s_or_b64 s[10:11], s[2:3], s[10:11]
	s_andn2_b64 s[2:3], s[12:13], exec
	s_and_b64 s[12:13], s[16:17], exec
	s_or_b64 s[12:13], s[2:3], s[12:13]
	s_andn2_b64 exec, exec, s[10:11]
	s_cbranch_execz .LBB51_270
.LBB51_268:                             ; =>This Inner Loop Header: Depth=1
	v_ashrrev_i32_e32 v7, 31, v6
	v_lshlrev_b64 v[4:5], 2, v[6:7]
	v_add_co_u32_e32 v4, vcc, s64, v4
	v_addc_co_u32_e32 v5, vcc, v3, v5, vcc
	global_load_dword v4, v[4:5], off
	v_mov_b32_e32 v2, v0
	s_or_b64 s[16:17], s[16:17], exec
	s_or_b64 s[18:19], s[18:19], exec
                                        ; implicit-def: $vgpr0
	s_waitcnt vmcnt(0)
	v_cmp_o_f32_e64 s[2:3], v4, v4
	v_cmp_neq_f32_e32 vcc, v4, v19
	s_or_b64 s[2:3], s[2:3], s[14:15]
	s_and_b64 s[20:21], vcc, s[2:3]
	s_and_saveexec_b64 s[2:3], s[20:21]
	s_cbranch_execz .LBB51_267
; %bb.269:                              ;   in Loop: Header=BB51_268 Depth=1
	v_add_u32_e32 v0, s66, v2
	v_cmp_ge_i32_e32 vcc, v0, v1
	s_andn2_b64 s[18:19], s[18:19], exec
	s_and_b64 s[20:21], vcc, exec
	v_add_u32_e32 v6, s0, v6
	s_andn2_b64 s[16:17], s[16:17], exec
	s_or_b64 s[18:19], s[18:19], s[20:21]
	s_branch .LBB51_267
.LBB51_270:
	s_or_b64 exec, exec, s[10:11]
	s_and_saveexec_b64 s[0:1], s[12:13]
	s_xor_b64 s[0:1], exec, s[0:1]
	s_cbranch_execz .LBB51_275
; %bb.271:
	s_mov_b64 s[2:3], exec
	s_brev_b32 s0, -2
.LBB51_272:                             ; =>This Inner Loop Header: Depth=1
	s_ff1_i32_b64 s1, s[2:3]
	v_readlane_b32 s12, v2, s1
	s_lshl_b64 s[10:11], 1, s1
	s_min_i32 s0, s0, s12
	s_andn2_b64 s[2:3], s[2:3], s[10:11]
	s_cmp_lg_u64 s[2:3], 0
	s_cbranch_scc1 .LBB51_272
; %bb.273:
	v_mbcnt_lo_u32_b32 v0, exec_lo, 0
	v_mbcnt_hi_u32_b32 v0, exec_hi, v0
	v_cmp_eq_u32_e32 vcc, 0, v0
	s_and_saveexec_b64 s[2:3], vcc
	s_xor_b64 s[2:3], exec, s[2:3]
	s_cbranch_execz .LBB51_275
; %bb.274:
	v_mov_b32_e32 v0, 0
	v_mov_b32_e32 v1, s0
	ds_min_i32 v0, v1 offset:4108
.LBB51_275:
	s_or_b64 exec, exec, s[8:9]
	s_waitcnt lgkmcnt(0)
	s_barrier
	s_mov_b64 s[2:3], exec
	v_readlane_b32 s0, v50, 5
	v_readlane_b32 s1, v50, 6
	s_and_b64 s[0:1], s[2:3], s[0:1]
	s_mov_b64 exec, s[0:1]
	s_cbranch_execz .LBB51_277
; %bb.276:
	v_readlane_b32 s0, v50, 0
	s_mul_i32 s0, s0, s62
	v_readlane_b32 s1, v50, 7
	s_add_i32 s0, s0, s65
	s_mul_i32 s1, s1, s33
	s_add_i32 s8, s1, s67
	s_ashr_i32 s1, s0, 31
	v_mov_b32_e32 v2, 0
	s_lshl_b64 s[0:1], s[0:1], 2
	v_readlane_b32 s10, v50, 1
	ds_read_b32 v0, v2 offset:4108
	v_readlane_b32 s11, v50, 2
	s_add_u32 s0, s10, s0
	s_addc_u32 s1, s11, s1
	s_ashr_i32 s9, s8, 31
	s_lshl_b64 s[8:9], s[8:9], 3
	v_readlane_b32 s10, v50, 3
	v_readlane_b32 s11, v50, 4
	s_add_u32 s8, s10, s8
	s_addc_u32 s9, s11, s9
	s_waitcnt lgkmcnt(0)
	v_ashrrev_i32_e32 v1, 31, v0
	global_store_dwordx2 v2, v[0:1], s[8:9]
	global_store_dword v2, v19, s[0:1]
.LBB51_277:
	s_or_b64 exec, exec, s[2:3]
.LBB51_278:
	s_or_saveexec_b64 s[0:1], s[6:7]
	s_mov_b64 s[2:3], 0
	s_xor_b64 exec, exec, s[0:1]
	s_cbranch_execnz .LBB51_281
.LBB51_279:
	s_or_b64 exec, exec, s[0:1]
	s_and_b64 s[2:3], s[2:3], exec
	s_andn2_saveexec_b64 s[0:1], s[4:5]
	s_cbranch_execz .LBB51_257
.LBB51_280:
	s_or_b64 s[2:3], s[2:3], exec
	s_trap 2
	s_or_b64 exec, exec, s[0:1]
	s_and_saveexec_b64 s[0:1], s[2:3]
	s_cbranch_execnz .LBB51_258
	s_branch .LBB51_259
.LBB51_281:
	s_mov_b64 s[2:3], exec
	s_trap 2
	s_branch .LBB51_279
	.section	.rodata,"a",@progbits
	.p2align	6, 0x0
	.amdhsa_kernel _ZN2at6native12_GLOBAL__N_114gatherKthValueIfiLin1EEEvNS_4cuda6detail10TensorInfoIKT_T0_EES8_S8_S8_S8_NS5_IS6_S8_EENS5_IlS8_EE
		.amdhsa_group_segment_fixed_size 4112
		.amdhsa_private_segment_fixed_size 0
		.amdhsa_kernarg_size 920
		.amdhsa_user_sgpr_count 6
		.amdhsa_user_sgpr_private_segment_buffer 1
		.amdhsa_user_sgpr_dispatch_ptr 0
		.amdhsa_user_sgpr_queue_ptr 0
		.amdhsa_user_sgpr_kernarg_segment_ptr 1
		.amdhsa_user_sgpr_dispatch_id 0
		.amdhsa_user_sgpr_flat_scratch_init 0
		.amdhsa_user_sgpr_kernarg_preload_length 0
		.amdhsa_user_sgpr_kernarg_preload_offset 0
		.amdhsa_user_sgpr_private_segment_size 0
		.amdhsa_uses_dynamic_stack 0
		.amdhsa_system_sgpr_private_segment_wavefront_offset 0
		.amdhsa_system_sgpr_workgroup_id_x 1
		.amdhsa_system_sgpr_workgroup_id_y 1
		.amdhsa_system_sgpr_workgroup_id_z 1
		.amdhsa_system_sgpr_workgroup_info 0
		.amdhsa_system_vgpr_workitem_id 0
		.amdhsa_next_free_vgpr 51
		.amdhsa_next_free_sgpr 96
		.amdhsa_accum_offset 52
		.amdhsa_reserve_vcc 1
		.amdhsa_reserve_flat_scratch 0
		.amdhsa_float_round_mode_32 0
		.amdhsa_float_round_mode_16_64 0
		.amdhsa_float_denorm_mode_32 3
		.amdhsa_float_denorm_mode_16_64 3
		.amdhsa_dx10_clamp 1
		.amdhsa_ieee_mode 1
		.amdhsa_fp16_overflow 0
		.amdhsa_tg_split 0
		.amdhsa_exception_fp_ieee_invalid_op 0
		.amdhsa_exception_fp_denorm_src 0
		.amdhsa_exception_fp_ieee_div_zero 0
		.amdhsa_exception_fp_ieee_overflow 0
		.amdhsa_exception_fp_ieee_underflow 0
		.amdhsa_exception_fp_ieee_inexact 0
		.amdhsa_exception_int_div_zero 0
	.end_amdhsa_kernel
	.section	.text._ZN2at6native12_GLOBAL__N_114gatherKthValueIfiLin1EEEvNS_4cuda6detail10TensorInfoIKT_T0_EES8_S8_S8_S8_NS5_IS6_S8_EENS5_IlS8_EE,"axG",@progbits,_ZN2at6native12_GLOBAL__N_114gatherKthValueIfiLin1EEEvNS_4cuda6detail10TensorInfoIKT_T0_EES8_S8_S8_S8_NS5_IS6_S8_EENS5_IlS8_EE,comdat
.Lfunc_end51:
	.size	_ZN2at6native12_GLOBAL__N_114gatherKthValueIfiLin1EEEvNS_4cuda6detail10TensorInfoIKT_T0_EES8_S8_S8_S8_NS5_IS6_S8_EENS5_IlS8_EE, .Lfunc_end51-_ZN2at6native12_GLOBAL__N_114gatherKthValueIfiLin1EEEvNS_4cuda6detail10TensorInfoIKT_T0_EES8_S8_S8_S8_NS5_IS6_S8_EENS5_IlS8_EE
                                        ; -- End function
	.section	.AMDGPU.csdata,"",@progbits
; Kernel info:
; codeLenInByte = 11008
; NumSgprs: 100
; NumVgprs: 51
; NumAgprs: 0
; TotalNumVgprs: 51
; ScratchSize: 0
; MemoryBound: 0
; FloatMode: 240
; IeeeMode: 1
; LDSByteSize: 4112 bytes/workgroup (compile time only)
; SGPRBlocks: 12
; VGPRBlocks: 6
; NumSGPRsForWavesPerEU: 100
; NumVGPRsForWavesPerEU: 51
; AccumOffset: 52
; Occupancy: 8
; WaveLimiterHint : 1
; COMPUTE_PGM_RSRC2:SCRATCH_EN: 0
; COMPUTE_PGM_RSRC2:USER_SGPR: 6
; COMPUTE_PGM_RSRC2:TRAP_HANDLER: 0
; COMPUTE_PGM_RSRC2:TGID_X_EN: 1
; COMPUTE_PGM_RSRC2:TGID_Y_EN: 1
; COMPUTE_PGM_RSRC2:TGID_Z_EN: 1
; COMPUTE_PGM_RSRC2:TIDIG_COMP_CNT: 0
; COMPUTE_PGM_RSRC3_GFX90A:ACCUM_OFFSET: 12
; COMPUTE_PGM_RSRC3_GFX90A:TG_SPLIT: 0
	.section	.text._ZN2at6native12_GLOBAL__N_114gatherKthValueIflLi1EEEvNS_4cuda6detail10TensorInfoIKT_T0_EES8_S8_S8_S8_NS5_IS6_S8_EENS5_IlS8_EE,"axG",@progbits,_ZN2at6native12_GLOBAL__N_114gatherKthValueIflLi1EEEvNS_4cuda6detail10TensorInfoIKT_T0_EES8_S8_S8_S8_NS5_IS6_S8_EENS5_IlS8_EE,comdat
	.globl	_ZN2at6native12_GLOBAL__N_114gatherKthValueIflLi1EEEvNS_4cuda6detail10TensorInfoIKT_T0_EES8_S8_S8_S8_NS5_IS6_S8_EENS5_IlS8_EE ; -- Begin function _ZN2at6native12_GLOBAL__N_114gatherKthValueIflLi1EEEvNS_4cuda6detail10TensorInfoIKT_T0_EES8_S8_S8_S8_NS5_IS6_S8_EENS5_IlS8_EE
	.p2align	8
	.type	_ZN2at6native12_GLOBAL__N_114gatherKthValueIflLi1EEEvNS_4cuda6detail10TensorInfoIKT_T0_EES8_S8_S8_S8_NS5_IS6_S8_EENS5_IlS8_EE,@function
_ZN2at6native12_GLOBAL__N_114gatherKthValueIflLi1EEEvNS_4cuda6detail10TensorInfoIKT_T0_EES8_S8_S8_S8_NS5_IS6_S8_EENS5_IlS8_EE: ; @_ZN2at6native12_GLOBAL__N_114gatherKthValueIflLi1EEEvNS_4cuda6detail10TensorInfoIKT_T0_EES8_S8_S8_S8_NS5_IS6_S8_EENS5_IlS8_EE
; %bb.0:
	s_load_dwordx8 s[56:63], s[4:5], 0x1a0
	s_load_dwordx2 s[12:13], s[4:5], 0x500
	s_add_u32 s10, s4, 0x500
	s_addc_u32 s11, s5, 0
	s_mov_b32 s15, 0
	s_waitcnt lgkmcnt(0)
	v_mov_b32_e32 v2, s60
	s_mul_i32 s0, s13, s8
	s_add_i32 s0, s0, s7
	s_mul_i32 s0, s0, s12
	v_mov_b32_e32 v3, s61
	s_add_i32 s14, s0, s6
	v_cmp_ge_i64_e32 vcc, s[14:15], v[2:3]
	s_cbranch_vccnz .LBB52_282
; %bb.1:
	s_load_dwordx2 s[0:1], s[4:5], 0x430
                                        ; implicit-def: $vgpr54 : SGPR spill to VGPR lane
	v_cmp_eq_u32_e64 s[8:9], 0, v0
	s_waitcnt lgkmcnt(0)
	v_writelane_b32 v54, s0, 0
	v_writelane_b32 v54, s1, 1
	s_load_dwordx2 s[0:1], s[4:5], 0x360
	s_waitcnt lgkmcnt(0)
	v_writelane_b32 v54, s0, 2
	v_writelane_b32 v54, s1, 3
	s_load_dwordx2 s[0:1], s[4:5], 0x290
	;; [unrolled: 4-line block ×4, first 2 shown]
	s_load_dwordx2 s[0:1], s[4:5], 0x0
	s_mov_b64 s[4:5], exec
	v_writelane_b32 v54, s8, 8
	v_writelane_b32 v54, s9, 9
	s_and_b64 s[8:9], s[4:5], s[8:9]
	s_mov_b64 exec, s[8:9]
	s_cbranch_execz .LBB52_3
; %bb.2:
	v_mov_b32_e32 v2, 0
	v_mov_b32_e32 v4, s56
	;; [unrolled: 1-line block ×4, first 2 shown]
	ds_write_b32 v2, v2 offset:5136
	ds_write_b128 v2, v[2:5] offset:5120
.LBB52_3:
	s_or_b64 exec, exec, s[4:5]
	s_waitcnt lgkmcnt(0)
	s_mul_i32 s3, s3, s14
	s_mul_hi_u32 s4, s2, s14
	s_add_i32 s3, s4, s3
	s_mul_i32 s2, s2, s14
	s_mov_b32 s4, s14
	s_lshl_b64 s[2:3], s[2:3], 2
	v_writelane_b32 v54, s4, 10
	s_add_u32 s8, s0, s2
	v_writelane_b32 v54, s5, 11
	s_addc_u32 s9, s1, s3
	v_cmp_gt_u32_e64 s[0:1], 2, v0
	v_mov_b32_e32 v2, 0x300
	v_writelane_b32 v54, s0, 12
	v_mov_b32_e32 v3, 0
	v_mov_b32_e32 v13, 0
	v_mbcnt_lo_u32_b32 v1, -1, 0
	v_writelane_b32 v54, s1, 13
	v_cmp_gt_i64_e64 s[0:1], s[56:57], v[2:3]
	v_mbcnt_hi_u32_b32 v36, -1, v1
	v_mov_b32_e32 v1, v13
	v_writelane_b32 v54, s0, 14
	v_writelane_b32 v54, s1, 15
	v_cmp_gt_u64_e64 s[0:1], s[56:57], v[0:1]
	v_writelane_b32 v54, s0, 16
	v_writelane_b32 v54, s1, 17
	v_mad_u64_u32 v[2:3], s[0:1], v0, s62, 0
	v_mov_b32_e32 v4, v3
	v_mad_u64_u32 v[4:5], s[0:1], v0, s63, v[4:5]
	v_mov_b32_e32 v6, s9
	v_writelane_b32 v54, s8, 18
	v_writelane_b32 v54, s9, 19
	v_cmp_gt_i64_e64 s[0:1], s[56:57], v[0:1]
	v_writelane_b32 v54, s0, 20
	s_barrier
	v_writelane_b32 v54, s1, 21
	s_load_dword s0, s[10:11], 0xc
	v_cmp_gt_u32_e32 vcc, 64, v0
	v_cmp_gt_i32_e64 s[2:3], 4, v36
	s_and_b64 s[48:49], vcc, s[2:3]
	v_mov_b32_e32 v3, v4
	s_waitcnt lgkmcnt(0)
	s_and_b32 s33, s0, 0xffff
	s_bfe_u32 s1, s0, 0xa0006
	v_cmp_gt_u16_e64 s[2:3], s0, 63
	v_writelane_b32 v54, s2, 22
	s_add_u32 s0, s33, -1
	v_writelane_b32 v54, s3, 23
	s_addc_u32 s2, 0, -1
	s_add_u32 s82, s0, s56
	s_addc_u32 s47, s2, s57
	s_cmp_lt_u32 s6, s12
	v_writelane_b32 v54, s0, 24
	s_cselect_b32 s0, 12, 18
	s_add_u32 s50, s10, s0
	s_addc_u32 s51, s11, 0
	s_add_i32 s0, s1, -1
	s_bfe_u32 s6, s33, 0x30006
	s_cmp_gt_u32 s0, 6
	v_writelane_b32 v54, s2, 25
	s_cselect_b64 s[2:3], -1, 0
	v_writelane_b32 v54, s2, 26
	s_and_b32 s91, s1, 0x3f8
	v_lshlrev_b64 v[4:5], 2, v[2:3]
	v_writelane_b32 v54, s3, 27
	s_cmp_lg_u32 s6, 0
	v_add_co_u32_e32 v10, vcc, s8, v4
	v_lshrrev_b32_e32 v4, 4, v0
	v_writelane_b32 v54, s6, 28
	s_cselect_b64 s[0:1], -1, 0
	v_and_b32_e32 v38, 60, v4
	v_lshlrev_b32_e32 v4, 2, v36
	v_writelane_b32 v54, s0, 29
	v_addc_co_u32_e32 v11, vcc, v6, v5, vcc
	v_and_b32_e32 v39, 0x100, v4
	v_lshlrev_b64 v[4:5], v36, -1
	v_writelane_b32 v54, s1, 30
	s_lshl_b64 s[0:1], s[62:63], 2
	v_lshlrev_b32_e32 v40, 4, v0
	v_not_b32_e32 v17, v5
	v_writelane_b32 v54, s0, 31
	v_or_b32_e32 v5, 12, v40
	v_writelane_b32 v54, s1, 32
	v_mad_u64_u32 v[18:19], s[0:1], s62, v5, 0
	v_not_b32_e32 v16, v4
	v_mov_b32_e32 v4, v19
	v_mad_u64_u32 v[4:5], s[0:1], s63, v5, v[4:5]
	s_lshl_b64 s[0:1], s[62:63], 4
	v_writelane_b32 v54, s0, 33
	v_or_b32_e32 v5, 8, v40
	v_writelane_b32 v54, s1, 34
	v_mad_u64_u32 v[20:21], s[0:1], s62, v5, 0
	v_mov_b32_e32 v19, v4
	v_mov_b32_e32 v4, v21
	v_mad_u64_u32 v[4:5], s[0:1], s63, v5, v[4:5]
	v_or_b32_e32 v5, 4, v40
	v_mad_u64_u32 v[22:23], s[0:1], s62, v5, 0
	v_mov_b32_e32 v21, v4
	v_mov_b32_e32 v4, v23
	v_mad_u64_u32 v[4:5], s[0:1], s63, v5, v[4:5]
	v_lshlrev_b64 v[24:25], 4, v[2:3]
	v_mov_b32_e32 v2, s57
	v_add_co_u32_e32 v41, vcc, s56, v0
	s_mul_i32 s0, s63, s33
	s_mul_hi_u32 s1, s62, s33
	v_writelane_b32 v54, s48, 35
	s_mov_b32 s75, 0
	v_lshlrev_b32_e32 v14, 2, v0
	v_addc_co_u32_e32 v42, vcc, 0, v2, vcc
	v_mov_b32_e32 v2, 0xc00
	s_add_i32 s1, s1, s0
	s_mul_i32 s0, s62, s33
	v_writelane_b32 v54, s49, 36
	v_cmp_eq_u32_e64 s[4:5], 0, v36
	v_add_u32_e32 v37, 0xc00, v14
	v_mov_b32_e32 v15, v13
	s_mov_b32 s90, s75
	v_mov_b32_e32 v23, v4
	v_lshl_or_b32 v43, v36, 3, v2
	s_lshl_b64 s[70:71], s[0:1], 2
	s_lshl_b32 s76, s33, 2
	s_mov_b32 s77, 30
	s_mov_b64 s[92:93], 0
	v_mov_b32_e32 v26, 1.0
	v_bfrev_b32_e32 v44, 1
	v_cvt_f32_ubyte0_e32 v45, 0
	v_mov_b32_e32 v29, 0
	s_mov_b32 s88, 0
	s_mov_b32 s0, 0
	;; [unrolled: 1-line block ×3, first 2 shown]
	v_writelane_b32 v54, s50, 37
                                        ; implicit-def: $sgpr54_sgpr55
                                        ; implicit-def: $sgpr66_sgpr67
                                        ; implicit-def: $sgpr64_sgpr65
                                        ; implicit-def: $sgpr68_sgpr69
                                        ; implicit-def: $sgpr94_sgpr95
                                        ; implicit-def: $sgpr10_sgpr11
	v_writelane_b32 v54, s51, 38
	s_branch .LBB52_8
.LBB52_4:                               ;   in Loop: Header=BB52_8 Depth=1
	s_xor_b32 s88, s88, 1
	s_add_i32 s1, s77, -2
	s_cmp_eq_u32 s77, 0
	s_mov_b64 s[6:7], 0
	s_cselect_b64 s[8:9], -1, 0
	s_mov_b32 s77, s1
.LBB52_5:                               ;   in Loop: Header=BB52_8 Depth=1
	s_andn2_b64 s[12:13], s[22:23], exec
	s_and_b64 s[6:7], s[6:7], exec
	s_or_b64 s[22:23], s[12:13], s[6:7]
	s_andn2_b64 s[24:25], s[24:25], exec
	s_andn2_b64 s[20:21], s[20:21], exec
	s_orn2_b64 s[16:17], s[8:9], exec
.LBB52_6:                               ;   in Loop: Header=BB52_8 Depth=1
	s_or_b64 exec, exec, s[2:3]
	s_andn2_b64 s[2:3], s[10:11], exec
	s_and_b64 s[6:7], s[22:23], exec
	s_or_b64 s[10:11], s[2:3], s[6:7]
	s_andn2_b64 s[2:3], s[94:95], exec
	s_and_b64 s[6:7], s[24:25], exec
	s_or_b64 s[94:95], s[2:3], s[6:7]
	;; [unrolled: 3-line block ×3, first 2 shown]
	s_orn2_b64 s[20:21], s[16:17], exec
.LBB52_7:                               ;   in Loop: Header=BB52_8 Depth=1
	s_or_b64 exec, exec, s[14:15]
	s_and_b64 s[2:3], exec, s[20:21]
	s_or_b64 s[92:93], s[2:3], s[92:93]
	s_andn2_b64 s[2:3], s[64:65], exec
	s_and_b64 s[6:7], s[10:11], exec
	s_or_b64 s[64:65], s[2:3], s[6:7]
	s_andn2_b64 s[2:3], s[66:67], exec
	s_and_b64 s[6:7], s[94:95], exec
	;; [unrolled: 3-line block ×3, first 2 shown]
	v_mov_b32_e32 v2, s0
	s_or_b64 s[54:55], s[2:3], s[6:7]
	s_andn2_b64 exec, exec, s[92:93]
	s_cbranch_execz .LBB52_278
.LBB52_8:                               ; =>This Loop Header: Depth=1
                                        ;     Child Loop BB52_16 Depth 2
                                        ;     Child Loop BB52_35 Depth 2
	;; [unrolled: 1-line block ×16, first 2 shown]
	ds_read_b128 v[2:5], v13 offset:5120
	s_waitcnt lgkmcnt(0)
	v_readfirstlane_b32 s85, v3
	v_readfirstlane_b32 s84, v2
	v_cmp_gt_i64_e64 s[2:3], s[84:85], 0
	s_and_b64 vcc, exec, s[2:3]
	s_cbranch_vccnz .LBB52_42
; %bb.9:                                ;   in Loop: Header=BB52_8 Depth=1
	v_readlane_b32 s2, v54, 14
	v_readlane_b32 s3, v54, 15
	s_and_b64 vcc, exec, s[2:3]
	s_cbranch_vccz .LBB52_24
; %bb.10:                               ;   in Loop: Header=BB52_8 Depth=1
	s_mov_b64 s[2:3], 0x301
	v_cmp_gt_i64_e32 vcc, s[2:3], v[4:5]
	s_mov_b64 s[2:3], 0
	s_mov_b64 s[6:7], 0
	s_cbranch_vccz .LBB52_29
; %bb.11:                               ;   in Loop: Header=BB52_8 Depth=1
	v_mov_b32_e32 v6, 0
	s_mov_b64 s[6:7], exec
	v_readlane_b32 s8, v54, 16
	v_readlane_b32 s9, v54, 17
	s_and_b64 s[8:9], s[6:7], s[8:9]
	s_mov_b64 exec, s[8:9]
	s_cbranch_execz .LBB52_13
; %bb.12:                               ;   in Loop: Header=BB52_8 Depth=1
	global_load_dword v6, v[10:11], off
.LBB52_13:                              ;   in Loop: Header=BB52_8 Depth=1
	s_or_b64 exec, exec, s[6:7]
	s_mov_b64 s[8:9], exec
	v_readlane_b32 s6, v54, 16
	v_readlane_b32 s7, v54, 17
	s_and_b64 s[6:7], s[8:9], s[6:7]
	s_mov_b64 exec, s[6:7]
	s_cbranch_execz .LBB52_25
; %bb.14:                               ;   in Loop: Header=BB52_8 Depth=1
	global_load_ushort v7, v13, s[50:51]
	v_readlane_b32 s6, v54, 18
	v_readlane_b32 s7, v54, 19
	v_pk_mov_b32 v[2:3], s[6:7], s[6:7] op_sel:[0,1]
	v_readlane_b32 s16, v54, 31
	v_readlane_b32 s17, v54, 32
	s_mov_b64 s[14:15], 0
	s_waitcnt vmcnt(0)
	v_readfirstlane_b32 s1, v7
	s_and_b32 s1, 0xffff, s1
	v_add_u32_e32 v5, s1, v0
	v_mad_u64_u32 v[2:3], s[6:7], s16, v5, v[2:3]
	v_mov_b32_e32 v4, v3
	s_mul_i32 s12, s17, s1
	s_mul_hi_u32 s13, s16, s1
	v_mad_u64_u32 v[4:5], s[6:7], s17, v5, v[4:5]
	s_mul_i32 s1, s16, s1
	s_add_i32 s22, s13, s12
	v_mov_b32_e32 v3, v4
	v_pk_mov_b32 v[4:5], v[0:1], v[0:1] op_sel:[0,1]
	s_branch .LBB52_16
.LBB52_15:                              ;   in Loop: Header=BB52_16 Depth=2
	s_or_b64 exec, exec, s[6:7]
	v_mov_b32_e32 v6, s22
	v_add_co_u32_e32 v2, vcc, s1, v2
	v_addc_co_u32_e32 v3, vcc, v3, v6, vcc
	s_waitcnt vmcnt(0)
	v_mov_b32_e32 v6, v8
	s_andn2_b64 exec, exec, s[14:15]
	s_cbranch_execz .LBB52_25
.LBB52_16:                              ;   Parent Loop BB52_8 Depth=1
                                        ; =>  This Inner Loop Header: Depth=2
	v_add_co_u32_sdwa v4, vcc, v4, v7 dst_sel:DWORD dst_unused:UNUSED_PAD src0_sel:DWORD src1_sel:WORD_0
	v_addc_co_u32_e32 v5, vcc, 0, v5, vcc
	v_cmp_gt_i64_e64 s[6:7], s[56:57], v[4:5]
	v_cmp_le_i64_e32 vcc, s[56:57], v[4:5]
	s_waitcnt lgkmcnt(0)
	v_mov_b32_e32 v9, 0
	v_mov_b32_e32 v8, 0
	s_and_saveexec_b64 s[12:13], s[6:7]
	s_cbranch_execz .LBB52_18
; %bb.17:                               ;   in Loop: Header=BB52_16 Depth=2
	global_load_dword v8, v[2:3], off
.LBB52_18:                              ;   in Loop: Header=BB52_16 Depth=2
	s_or_b64 exec, exec, s[12:13]
	v_cmp_lt_i32_e64 s[6:7], -1, v6
	v_cndmask_b32_e64 v12, -1, v44, s[6:7]
	v_xor_b32_e32 v12, v12, v6
	v_cmp_o_f32_e64 s[6:7], v6, v6
	v_cndmask_b32_e64 v12, -1, v12, s[6:7]
	v_and_b32_e32 v12, s83, v12
	v_cmp_eq_u32_e64 s[12:13], s0, v12
	s_cmp_lg_u64 s[12:13], 0
	s_cselect_b64 s[6:7], -1, 0
	s_and_b64 s[6:7], s[4:5], s[6:7]
	s_and_saveexec_b64 s[16:17], s[6:7]
	s_cbranch_execz .LBB52_22
; %bb.19:                               ;   in Loop: Header=BB52_16 Depth=2
	s_mov_b64 s[20:21], exec
	v_mbcnt_lo_u32_b32 v9, s20, 0
	v_mbcnt_hi_u32_b32 v9, s21, v9
	s_bcnt1_i32_b64 s23, s[12:13]
	v_cmp_eq_u32_e64 s[6:7], 0, v9
                                        ; implicit-def: $vgpr12
	s_and_saveexec_b64 s[18:19], s[6:7]
	s_cbranch_execz .LBB52_21
; %bb.20:                               ;   in Loop: Header=BB52_16 Depth=2
	s_bcnt1_i32_b64 s6, s[20:21]
	s_mul_i32 s6, s23, s6
	v_mov_b32_e32 v12, s6
	ds_add_rtn_u32 v12, v13, v12 offset:5136
.LBB52_21:                              ;   in Loop: Header=BB52_16 Depth=2
	s_or_b64 exec, exec, s[18:19]
	s_waitcnt lgkmcnt(0)
	v_readfirstlane_b32 s6, v12
	v_mov_b32_e32 v12, s6
	v_mad_u32_u24 v9, s23, v9, v12
.LBB52_22:                              ;   in Loop: Header=BB52_16 Depth=2
	s_or_b64 exec, exec, s[16:17]
	ds_bpermute_b32 v9, v39, v9
	s_and_b64 s[6:7], exec, vcc
	s_or_b64 s[14:15], s[6:7], s[14:15]
	s_and_saveexec_b64 s[6:7], s[12:13]
	s_cbranch_execz .LBB52_15
; %bb.23:                               ;   in Loop: Header=BB52_16 Depth=2
	v_and_b32_e32 v27, s12, v16
	v_and_b32_e32 v12, s13, v17
	v_bcnt_u32_b32 v27, v27, 0
	v_bcnt_u32_b32 v12, v12, v27
	v_lshlrev_b32_e32 v12, 2, v12
	s_waitcnt lgkmcnt(0)
	v_lshl_add_u32 v9, v9, 2, v12
	ds_write_b32 v9, v6
	s_branch .LBB52_15
.LBB52_24:                              ;   in Loop: Header=BB52_8 Depth=1
	s_mov_b64 s[2:3], -1
	s_mov_b64 s[6:7], 0
	s_branch .LBB52_28
.LBB52_25:                              ;   in Loop: Header=BB52_8 Depth=1
	s_or_b64 exec, exec, s[8:9]
	s_waitcnt lgkmcnt(0)
	s_barrier
	s_mov_b64 s[6:7], exec
	v_readlane_b32 s8, v54, 8
	v_readlane_b32 s9, v54, 9
	s_and_b64 s[8:9], s[6:7], s[8:9]
	s_mov_b64 exec, s[8:9]
	s_cbranch_execz .LBB52_27
; %bb.26:                               ;   in Loop: Header=BB52_8 Depth=1
	ds_read_b32 v2, v13 offset:5136
	s_waitcnt lgkmcnt(0)
	v_ashrrev_i32_e32 v3, 31, v2
	ds_write_b64 v13, v[2:3] offset:5120
.LBB52_27:                              ;   in Loop: Header=BB52_8 Depth=1
	s_or_b64 exec, exec, s[6:7]
	s_waitcnt lgkmcnt(0)
	s_barrier
	s_mov_b64 s[6:7], -1
.LBB52_28:                              ;   in Loop: Header=BB52_8 Depth=1
                                        ; implicit-def: $sgpr84_sgpr85
.LBB52_29:                              ;   in Loop: Header=BB52_8 Depth=1
	s_and_b64 vcc, exec, s[2:3]
	s_cbranch_vccz .LBB52_40
; %bb.30:                               ;   in Loop: Header=BB52_8 Depth=1
	s_waitcnt vmcnt(0)
	v_mov_b32_e32 v6, 0
	s_mov_b64 s[2:3], exec
	v_readlane_b32 s6, v54, 20
	v_readlane_b32 s7, v54, 21
	s_and_b64 s[6:7], s[2:3], s[6:7]
	s_mov_b64 exec, s[6:7]
	s_cbranch_execz .LBB52_32
; %bb.31:                               ;   in Loop: Header=BB52_8 Depth=1
	global_load_dword v6, v[10:11], off
.LBB52_32:                              ;   in Loop: Header=BB52_8 Depth=1
	s_or_b64 exec, exec, s[2:3]
	s_mov_b64 s[2:3], exec
	v_readlane_b32 s6, v54, 20
	v_readlane_b32 s7, v54, 21
	s_and_b64 s[6:7], s[2:3], s[6:7]
	s_mov_b64 exec, s[6:7]
	s_cbranch_execz .LBB52_37
; %bb.33:                               ;   in Loop: Header=BB52_8 Depth=1
	global_load_ushort v7, v13, s[50:51]
	v_readlane_b32 s6, v54, 18
	v_readlane_b32 s7, v54, 19
	v_pk_mov_b32 v[2:3], s[6:7], s[6:7] op_sel:[0,1]
	v_readlane_b32 s16, v54, 31
	v_readlane_b32 s17, v54, 32
	s_mov_b64 s[8:9], 0
	v_mov_b32_e32 v8, v14
	s_waitcnt vmcnt(0)
	v_readfirstlane_b32 s1, v7
	s_and_b32 s6, 0xffff, s1
	v_add_u32_e32 v5, s6, v0
	s_lshl_b32 s1, s6, 2
	s_mul_i32 s12, s17, s6
	s_mul_hi_u32 s13, s16, s6
	s_mul_i32 s14, s16, s6
	v_mad_u64_u32 v[2:3], s[6:7], s16, v5, v[2:3]
	v_mov_b32_e32 v4, v3
	v_mad_u64_u32 v[4:5], s[6:7], s17, v5, v[4:5]
	s_add_i32 s15, s13, s12
	v_mov_b32_e32 v3, v4
	v_pk_mov_b32 v[4:5], v[0:1], v[0:1] op_sel:[0,1]
	s_branch .LBB52_35
.LBB52_34:                              ;   in Loop: Header=BB52_35 Depth=2
	s_or_b64 exec, exec, s[12:13]
	s_and_b64 s[6:7], exec, vcc
	ds_write_b32 v8, v6
	v_mov_b32_e32 v6, s15
	v_add_co_u32_e32 v2, vcc, s14, v2
	s_or_b64 s[8:9], s[6:7], s[8:9]
	v_add_u32_e32 v8, s1, v8
	v_addc_co_u32_e32 v3, vcc, v3, v6, vcc
	s_waitcnt vmcnt(0)
	v_mov_b32_e32 v6, v9
	s_andn2_b64 exec, exec, s[8:9]
	s_cbranch_execz .LBB52_37
.LBB52_35:                              ;   Parent Loop BB52_8 Depth=1
                                        ; =>  This Inner Loop Header: Depth=2
	v_add_co_u32_sdwa v4, vcc, v4, v7 dst_sel:DWORD dst_unused:UNUSED_PAD src0_sel:DWORD src1_sel:WORD_0
	v_addc_co_u32_e32 v5, vcc, 0, v5, vcc
	v_cmp_gt_i64_e64 s[6:7], s[56:57], v[4:5]
	v_cmp_le_i64_e32 vcc, s[56:57], v[4:5]
	v_mov_b32_e32 v9, 0
	s_and_saveexec_b64 s[12:13], s[6:7]
	s_cbranch_execz .LBB52_34
; %bb.36:                               ;   in Loop: Header=BB52_35 Depth=2
	global_load_dword v9, v[2:3], off
	s_branch .LBB52_34
.LBB52_37:                              ;   in Loop: Header=BB52_8 Depth=1
	s_or_b64 exec, exec, s[2:3]
	s_waitcnt lgkmcnt(0)
	s_barrier
	s_mov_b64 s[2:3], exec
	v_readlane_b32 s6, v54, 8
	v_readlane_b32 s7, v54, 9
	s_and_b64 s[6:7], s[2:3], s[6:7]
	s_mov_b64 exec, s[6:7]
	s_cbranch_execz .LBB52_39
; %bb.38:                               ;   in Loop: Header=BB52_8 Depth=1
	v_pk_mov_b32 v[2:3], s[56:57], s[56:57] op_sel:[0,1]
	ds_write_b64 v13, v[2:3] offset:5120
.LBB52_39:                              ;   in Loop: Header=BB52_8 Depth=1
	s_or_b64 exec, exec, s[2:3]
	s_mov_b64 s[6:7], -1
	s_waitcnt lgkmcnt(0)
	s_barrier
                                        ; implicit-def: $sgpr84_sgpr85
.LBB52_40:                              ;   in Loop: Header=BB52_8 Depth=1
	s_and_b64 vcc, exec, s[6:7]
	s_cbranch_vccz .LBB52_42
; %bb.41:                               ;   in Loop: Header=BB52_8 Depth=1
	ds_read_b64 v[2:3], v13 offset:5120
	s_waitcnt lgkmcnt(0)
	v_readfirstlane_b32 s84, v2
.LBB52_42:                              ;   in Loop: Header=BB52_8 Depth=1
	s_cmp_lt_i32 s84, 1
	s_cbranch_scc0 .LBB52_57
; %bb.43:                               ;   in Loop: Header=BB52_8 Depth=1
	global_load_ushort v2, v13, s[50:51]
	s_mov_b32 s2, s75
	s_mov_b32 s3, s57
	s_waitcnt vmcnt(0)
	v_readfirstlane_b32 s1, v2
	s_and_b32 s1, s1, 0xffff
	s_lshl_b32 s74, s1, 2
	s_cmp_lg_u64 s[2:3], 0
	s_cbranch_scc0 .LBB52_77
; %bb.44:                               ;   in Loop: Header=BB52_8 Depth=1
	v_cvt_f32_u32_e32 v2, s74
	s_sub_u32 s2, 0, s74
	s_subb_u32 s3, 0, 0
	v_mac_f32_e32 v2, 0x4f800000, v45
	v_rcp_f32_e32 v2, v2
	v_mul_f32_e32 v2, 0x5f7ffffc, v2
	v_mul_f32_e32 v3, 0x2f800000, v2
	v_trunc_f32_e32 v3, v3
	v_mac_f32_e32 v2, 0xcf800000, v3
	v_cvt_u32_f32_e32 v3, v3
	v_cvt_u32_f32_e32 v2, v2
	v_readfirstlane_b32 s6, v3
	v_readfirstlane_b32 s7, v2
	s_mul_i32 s8, s2, s6
	s_mul_hi_u32 s12, s2, s7
	s_mul_i32 s9, s3, s7
	s_add_i32 s8, s12, s8
	s_mul_i32 s13, s2, s7
	s_add_i32 s8, s8, s9
	s_mul_hi_u32 s12, s7, s13
	s_mul_hi_u32 s9, s7, s8
	s_mul_i32 s7, s7, s8
	s_add_u32 s7, s12, s7
	s_addc_u32 s9, 0, s9
	s_mul_hi_u32 s14, s6, s13
	s_mul_i32 s13, s6, s13
	s_add_u32 s7, s7, s13
	s_mul_hi_u32 s12, s6, s8
	s_addc_u32 s7, s9, s14
	s_addc_u32 s9, s12, 0
	s_mul_i32 s8, s6, s8
	s_add_u32 s7, s7, s8
	s_addc_u32 s8, 0, s9
	v_add_co_u32_e32 v2, vcc, s7, v2
	s_cmp_lg_u64 vcc, 0
	s_addc_u32 s6, s6, s8
	v_readfirstlane_b32 s8, v2
	s_mul_i32 s7, s2, s6
	s_mul_hi_u32 s9, s2, s8
	s_add_i32 s7, s9, s7
	s_mul_i32 s3, s3, s8
	s_add_i32 s7, s7, s3
	s_mul_i32 s2, s2, s8
	s_mul_hi_u32 s9, s6, s2
	s_mul_i32 s12, s6, s2
	s_mul_i32 s14, s8, s7
	s_mul_hi_u32 s2, s8, s2
	s_mul_hi_u32 s13, s8, s7
	s_add_u32 s2, s2, s14
	s_addc_u32 s8, 0, s13
	s_add_u32 s2, s2, s12
	s_mul_hi_u32 s3, s6, s7
	s_addc_u32 s2, s8, s9
	s_addc_u32 s3, s3, 0
	s_mul_i32 s7, s6, s7
	s_add_u32 s2, s2, s7
	s_addc_u32 s3, 0, s3
	v_add_co_u32_e32 v2, vcc, s2, v2
	s_cmp_lg_u64 vcc, 0
	s_addc_u32 s8, s6, s3
	s_ashr_i32 s2, s57, 31
	s_add_u32 s6, s56, s2
	s_mov_b32 s3, s2
	s_addc_u32 s7, s57, s2
	s_xor_b64 s[6:7], s[6:7], s[2:3]
	v_readfirstlane_b32 s12, v2
	s_mul_i32 s9, s6, s8
	s_mul_hi_u32 s13, s6, s12
	s_mul_hi_u32 s3, s6, s8
	s_add_u32 s9, s13, s9
	s_addc_u32 s3, 0, s3
	s_mul_hi_u32 s14, s7, s12
	s_mul_i32 s12, s7, s12
	s_add_u32 s9, s9, s12
	s_mul_hi_u32 s13, s7, s8
	s_addc_u32 s3, s3, s14
	s_addc_u32 s9, s13, 0
	s_mul_i32 s8, s7, s8
	s_add_u32 s3, s3, s8
	s_addc_u32 s8, 0, s9
	s_mul_hi_u32 s9, s74, s3
	s_mul_i32 s3, s74, s3
	s_mul_i32 s8, s74, s8
	v_mov_b32_e32 v2, s3
	s_add_i32 s9, s9, s8
	v_sub_co_u32_e32 v2, vcc, s6, v2
	s_cmp_lg_u64 vcc, 0
	s_subb_u32 s3, s7, s9
	v_subrev_co_u32_e32 v3, vcc, s74, v2
	s_cmp_lg_u64 vcc, 0
	s_subb_u32 s6, s3, 0
	v_subrev_co_u32_e32 v4, vcc, s74, v3
	s_cmp_lg_u64 vcc, 0
	s_subb_u32 s7, s6, 0
	v_cmp_le_u32_e32 vcc, s74, v3
	s_cmp_eq_u32 s6, 0
	v_cndmask_b32_e64 v5, 0, -1, vcc
	s_cselect_b64 vcc, -1, 0
	v_cndmask_b32_e32 v5, -1, v5, vcc
	v_mov_b32_e32 v6, s6
	v_mov_b32_e32 v7, s7
	v_cmp_ne_u32_e32 vcc, 0, v5
	v_cndmask_b32_e32 v5, v6, v7, vcc
	v_cndmask_b32_e32 v3, v3, v4, vcc
	v_cmp_le_u32_e32 vcc, s74, v2
	s_cmp_eq_u32 s3, 0
	v_cndmask_b32_e64 v4, 0, -1, vcc
	s_cselect_b64 vcc, -1, 0
	v_cndmask_b32_e32 v4, -1, v4, vcc
	v_cmp_ne_u32_e32 vcc, 0, v4
	v_mov_b32_e32 v6, s3
	v_cndmask_b32_e32 v2, v2, v3, vcc
	v_cndmask_b32_e32 v4, v6, v5, vcc
	v_xor_b32_e32 v2, s2, v2
	v_xor_b32_e32 v3, s2, v4
	v_mov_b32_e32 v4, s2
	v_subrev_co_u32_e32 v30, vcc, s2, v2
	v_subb_co_u32_e32 v31, vcc, v3, v4, vcc
	s_cbranch_execnz .LBB52_46
.LBB52_45:                              ;   in Loop: Header=BB52_8 Depth=1
	v_cvt_f32_u32_e32 v2, s74
	s_sub_i32 s2, 0, s74
	v_rcp_iflag_f32_e32 v2, v2
	v_mul_f32_e32 v2, 0x4f7ffffe, v2
	v_cvt_u32_f32_e32 v2, v2
	v_mul_lo_u32 v3, s2, v2
	v_mul_hi_u32 v3, v2, v3
	v_add_u32_e32 v2, v2, v3
	v_mul_hi_u32 v2, s56, v2
	v_mul_lo_u32 v2, v2, s74
	v_sub_u32_e32 v2, s56, v2
	v_subrev_u32_e32 v3, s74, v2
	v_cmp_le_u32_e32 vcc, s74, v2
	v_cndmask_b32_e32 v2, v2, v3, vcc
	v_subrev_u32_e32 v3, s74, v2
	v_cmp_le_u32_e32 vcc, s74, v2
	v_cndmask_b32_e32 v12, v2, v3, vcc
	v_pk_mov_b32 v[30:31], v[12:13], v[12:13] op_sel:[0,1]
.LBB52_46:                              ;   in Loop: Header=BB52_8 Depth=1
	v_mov_b32_e32 v2, s57
	v_sub_co_u32_e32 v32, vcc, s56, v30
	v_subb_co_u32_e32 v33, vcc, v2, v31, vcc
	v_pk_mov_b32 v[2:3], 0, 0
	v_cmp_gt_i64_e32 vcc, v[32:33], v[14:15]
	s_mov_b64 s[60:61], 0
	v_pk_mov_b32 v[4:5], v[2:3], v[2:3] op_sel:[0,1]
	v_pk_mov_b32 v[6:7], v[2:3], v[2:3] op_sel:[0,1]
	v_pk_mov_b32 v[8:9], v[2:3], v[2:3] op_sel:[0,1]
	s_and_saveexec_b64 s[86:87], vcc
	s_cbranch_execz .LBB52_50
; %bb.47:                               ;   in Loop: Header=BB52_8 Depth=1
	v_readlane_b32 s6, v54, 33
	v_readlane_b32 s7, v54, 34
	s_mul_i32 s2, s7, s1
	s_mul_hi_u32 s3, s6, s1
	v_readlane_b32 s72, v54, 18
	s_mov_b32 s89, s47
	s_mov_b32 s81, s82
	s_and_b32 s80, s77, 0xfe
	s_add_i32 s85, s3, s2
	s_mul_i32 s82, s6, s1
	v_readlane_b32 s73, v54, 19
	s_mov_b64 s[8:9], 0
	s_mov_b64 s[78:79], 0
	;; [unrolled: 1-line block ×4, first 2 shown]
	v_pk_mov_b32 v[34:35], v[14:15], v[14:15] op_sel:[0,1]
.LBB52_48:                              ;   Parent Loop BB52_8 Depth=1
                                        ; =>  This Inner Loop Header: Depth=2
	v_add_co_u32_e64 v34, s[6:7], s74, v34
	v_addc_co_u32_e64 v35, s[6:7], 0, v35, s[6:7]
	v_mov_b32_e32 v7, s73
	v_add_co_u32_e32 v2, vcc, s72, v22
	v_add_co_u32_e64 v8, s[6:7], s72, v24
	v_add_co_u32_e64 v4, s[12:13], s72, v20
	;; [unrolled: 1-line block ×3, first 2 shown]
	v_addc_co_u32_e64 v9, s[6:7], v7, v25, s[6:7]
	v_addc_co_u32_e32 v3, vcc, v7, v23, vcc
	v_addc_co_u32_e64 v5, vcc, v7, v21, s[12:13]
	v_addc_co_u32_e64 v7, vcc, v7, v19, s[14:15]
	global_load_dword v8, v[8:9], off
	s_nop 0
	global_load_dword v2, v[2:3], off
	s_nop 0
	;; [unrolled: 2-line block ×3, first 2 shown]
	global_load_dword v4, v[6:7], off
	v_cmp_ge_i64_e32 vcc, v[34:35], v[32:33]
	s_waitcnt vmcnt(3)
	v_cmp_lt_i32_e64 s[6:7], -1, v8
	v_cndmask_b32_e64 v5, -1, v44, s[6:7]
	s_waitcnt vmcnt(2)
	v_cmp_lt_i32_e64 s[6:7], -1, v2
	v_cndmask_b32_e64 v6, -1, v44, s[6:7]
	;; [unrolled: 3-line block ×4, first 2 shown]
	v_xor_b32_e32 v6, v6, v2
	v_cmp_o_f32_e64 s[6:7], v2, v2
	v_xor_b32_e32 v2, v7, v3
	v_cmp_o_f32_e64 s[12:13], v3, v3
	;; [unrolled: 2-line block ×4, first 2 shown]
	v_cndmask_b32_e64 v4, -1, v4, s[16:17]
	v_cndmask_b32_e64 v5, -1, v6, s[6:7]
	v_and_b32_e32 v6, s83, v4
	v_bfe_u32 v4, v4, s80, 2
	v_cndmask_b32_e64 v2, -1, v2, s[12:13]
	v_and_b32_e32 v7, s83, v5
	v_bfe_u32 v5, v5, s80, 2
	v_cmp_eq_u32_e64 s[18:19], s0, v6
	v_cmp_eq_u32_e64 s[6:7], 0, v4
	v_cndmask_b32_e64 v3, -1, v3, s[14:15]
	v_and_b32_e32 v8, s83, v2
	v_bfe_u32 v2, v2, s80, 2
	v_cmp_eq_u32_e64 s[16:17], s0, v7
	v_cmp_eq_u32_e64 s[30:31], 0, v5
	s_and_b64 s[6:7], s[18:19], s[6:7]
	v_and_b32_e32 v9, s83, v3
	v_bfe_u32 v3, v3, s80, 2
	v_cmp_eq_u32_e64 s[14:15], s0, v8
	v_cmp_eq_u32_e64 s[34:35], 0, v2
	;; [unrolled: 1-line block ×5, first 2 shown]
	v_cndmask_b32_e64 v2, 0, 1, s[6:7]
	s_and_b64 s[6:7], s[16:17], s[30:31]
	v_cmp_eq_u32_e64 s[12:13], s0, v9
	v_cmp_eq_u32_e64 s[36:37], 0, v3
	;; [unrolled: 1-line block ×5, first 2 shown]
	v_cndmask_b32_e64 v3, 0, 1, s[6:7]
	s_and_b64 s[6:7], s[14:15], s[34:35]
	v_cmp_eq_u32_e64 s[38:39], 1, v4
	v_cmp_eq_u32_e64 s[46:47], 2, v4
	;; [unrolled: 1-line block ×3, first 2 shown]
	v_cndmask_b32_e64 v4, 0, 1, s[6:7]
	s_and_b64 s[6:7], s[12:13], s[36:37]
	v_cmp_eq_u32_e64 s[40:41], 1, v5
	v_cmp_eq_u32_e64 s[48:49], 2, v5
	v_cmp_eq_u32_e64 s[24:25], 3, v5
	v_cndmask_b32_e64 v5, 0, 1, s[6:7]
	v_cmp_ne_u32_e64 s[6:7], 0, v2
	v_cmp_ne_u32_e64 s[30:31], 0, v3
	v_cmp_ne_u32_e64 s[34:35], 0, v4
	v_cmp_ne_u32_e64 s[36:37], 0, v5
	s_bcnt1_i32_b64 s6, s[6:7]
	s_bcnt1_i32_b64 s7, s[30:31]
	s_bcnt1_i32_b64 s30, s[34:35]
	s_bcnt1_i32_b64 s31, s[36:37]
	s_add_u32 s6, s6, s28
	s_addc_u32 s28, 0, s29
	s_add_u32 s6, s6, s7
	s_addc_u32 s7, s28, 0
	s_add_u32 s6, s6, s30
	s_addc_u32 s7, s7, 0
	s_add_u32 s28, s6, s31
	s_addc_u32 s29, s7, 0
	s_and_b64 s[6:7], s[18:19], s[38:39]
	v_cndmask_b32_e64 v4, 0, 1, s[6:7]
	s_and_b64 s[6:7], s[16:17], s[40:41]
	v_cndmask_b32_e64 v5, 0, 1, s[6:7]
	s_and_b64 s[6:7], s[14:15], s[42:43]
	v_cndmask_b32_e64 v6, 0, 1, s[6:7]
	s_and_b64 s[6:7], s[12:13], s[44:45]
	v_cndmask_b32_e64 v7, 0, 1, s[6:7]
	v_cmp_ne_u32_e64 s[6:7], 0, v4
	v_cmp_ne_u32_e64 s[30:31], 0, v5
	v_cmp_ne_u32_e64 s[34:35], 0, v6
	v_cmp_ne_u32_e64 s[36:37], 0, v7
	s_bcnt1_i32_b64 s6, s[6:7]
	s_bcnt1_i32_b64 s7, s[30:31]
	s_bcnt1_i32_b64 s30, s[34:35]
	s_bcnt1_i32_b64 s31, s[36:37]
	s_add_u32 s2, s6, s2
	s_addc_u32 s3, 0, s3
	s_add_u32 s2, s2, s7
	s_addc_u32 s3, s3, 0
	s_add_u32 s2, s2, s30
	s_addc_u32 s3, s3, 0
	s_add_u32 s2, s2, s31
	s_addc_u32 s3, s3, 0
	s_and_b64 s[6:7], s[18:19], s[46:47]
	v_cndmask_b32_e64 v6, 0, 1, s[6:7]
	s_and_b64 s[6:7], s[16:17], s[48:49]
	v_cndmask_b32_e64 v7, 0, 1, s[6:7]
	s_and_b64 s[6:7], s[14:15], s[50:51]
	v_cndmask_b32_e64 v8, 0, 1, s[6:7]
	s_and_b64 s[6:7], s[12:13], s[52:53]
	;; [unrolled: 24-line block ×3, first 2 shown]
	v_cndmask_b32_e64 v27, 0, 1, s[6:7]
	v_cmp_ne_u32_e64 s[6:7], 0, v8
	v_cmp_ne_u32_e64 s[12:13], 0, v9
	v_cmp_ne_u32_e64 s[14:15], 0, v12
	v_cmp_ne_u32_e64 s[16:17], 0, v27
	s_bcnt1_i32_b64 s6, s[6:7]
	s_bcnt1_i32_b64 s7, s[12:13]
	;; [unrolled: 1-line block ×4, first 2 shown]
	s_add_u32 s6, s6, s8
	s_addc_u32 s8, 0, s9
	s_add_u32 s6, s6, s7
	s_addc_u32 s7, s8, 0
	;; [unrolled: 2-line block ×5, first 2 shown]
	v_pk_mov_b32 v[2:3], s[28:29], s[28:29] op_sel:[0,1]
	v_pk_mov_b32 v[4:5], s[2:3], s[2:3] op_sel:[0,1]
	;; [unrolled: 1-line block ×3, first 2 shown]
	s_or_b64 s[60:61], vcc, s[60:61]
	v_pk_mov_b32 v[8:9], s[8:9], s[8:9] op_sel:[0,1]
	s_andn2_b64 exec, exec, s[60:61]
	s_cbranch_execnz .LBB52_48
; %bb.49:                               ;   in Loop: Header=BB52_8 Depth=1
	s_or_b64 exec, exec, s[60:61]
	v_readlane_b32 s48, v54, 35
	v_readlane_b32 s50, v54, 37
	;; [unrolled: 1-line block ×3, first 2 shown]
	s_mov_b32 s82, s81
	s_mov_b32 s47, s89
	v_readlane_b32 s51, v54, 38
.LBB52_50:                              ;   in Loop: Header=BB52_8 Depth=1
	s_or_b64 exec, exec, s[86:87]
	v_add_co_u32_e32 v32, vcc, v32, v0
	v_addc_co_u32_e32 v33, vcc, 0, v33, vcc
	v_cmp_gt_i64_e32 vcc, s[56:57], v[32:33]
	v_mov_b32_e32 v12, 0
	s_and_saveexec_b64 s[2:3], vcc
	s_cbranch_execz .LBB52_52
; %bb.51:                               ;   in Loop: Header=BB52_8 Depth=1
	v_mul_lo_u32 v12, v33, s62
	v_mul_lo_u32 v27, v32, s63
	v_mad_u64_u32 v[34:35], s[6:7], v32, s62, 0
	v_add3_u32 v35, v35, v27, v12
	v_readlane_b32 s6, v54, 18
	v_lshlrev_b64 v[34:35], 2, v[34:35]
	v_readlane_b32 s7, v54, 19
	v_mov_b32_e32 v12, s7
	v_add_co_u32_e64 v34, s[6:7], s6, v34
	v_addc_co_u32_e64 v35, s[6:7], v12, v35, s[6:7]
	global_load_dword v12, v[34:35], off
.LBB52_52:                              ;   in Loop: Header=BB52_8 Depth=1
	s_or_b64 exec, exec, s[2:3]
	s_and_saveexec_b64 s[2:3], vcc
	s_cbranch_execz .LBB52_59
; %bb.53:                               ;   in Loop: Header=BB52_8 Depth=1
	v_mov_b32_e32 v27, s75
	v_add_co_u32_e32 v28, vcc, s1, v41
	v_addc_co_u32_e32 v27, vcc, v42, v27, vcc
	v_readlane_b32 s6, v54, 18
	v_sub_co_u32_e32 v28, vcc, v28, v30
	v_readlane_b32 s7, v54, 19
	v_subb_co_u32_e32 v27, vcc, v27, v31, vcc
	v_readlane_b32 s8, v54, 31
	v_pk_mov_b32 v[30:31], s[6:7], s[6:7] op_sel:[0,1]
	v_readlane_b32 s9, v54, 32
	v_mad_u64_u32 v[30:31], s[6:7], s8, v28, v[30:31]
	v_mul_lo_u32 v27, s8, v27
	v_mul_lo_u32 v34, s9, v28
	s_mul_i32 s6, s9, s1
	s_mul_hi_u32 s7, s8, s1
	s_and_b32 s14, s77, 0xfe
	v_add3_u32 v31, v34, v31, v27
	s_add_i32 s15, s7, s6
	s_mul_i32 s16, s8, s1
	s_mov_b64 s[8:9], 0
	s_branch .LBB52_55
.LBB52_54:                              ;   in Loop: Header=BB52_55 Depth=2
	s_or_b64 exec, exec, s[12:13]
	s_and_b64 s[6:7], exec, vcc
	s_waitcnt vmcnt(0)
	v_cmp_lt_i32_e32 vcc, -1, v12
	v_cndmask_b32_e32 v28, -1, v44, vcc
	v_xor_b32_e32 v28, v28, v12
	v_cmp_o_f32_e32 vcc, v12, v12
	v_cndmask_b32_e32 v12, -1, v28, vcc
	v_and_b32_e32 v28, s83, v12
	v_bfe_u32 v12, v12, s14, 2
	s_or_b64 s[8:9], s[6:7], s[8:9]
	v_cmp_eq_u32_e32 vcc, s0, v28
	v_cmp_eq_u32_e64 s[6:7], 0, v12
	s_and_b64 s[6:7], vcc, s[6:7]
	v_cndmask_b32_e64 v28, 0, 1, s[6:7]
	v_cmp_ne_u32_e64 s[6:7], 0, v28
	s_bcnt1_i32_b64 s6, s[6:7]
	v_add_co_u32_e64 v2, s[6:7], s6, v2
	v_addc_co_u32_e64 v3, s[6:7], 0, v3, s[6:7]
	v_cmp_eq_u32_e64 s[6:7], 1, v12
	s_and_b64 s[6:7], vcc, s[6:7]
	v_cndmask_b32_e64 v28, 0, 1, s[6:7]
	v_cmp_ne_u32_e64 s[6:7], 0, v28
	s_bcnt1_i32_b64 s6, s[6:7]
	v_add_co_u32_e64 v4, s[6:7], s6, v4
	v_addc_co_u32_e64 v5, s[6:7], 0, v5, s[6:7]
	;; [unrolled: 7-line block ×3, first 2 shown]
	v_cmp_eq_u32_e64 s[6:7], 3, v12
	s_and_b64 s[6:7], vcc, s[6:7]
	v_cndmask_b32_e64 v12, 0, 1, s[6:7]
	v_cmp_ne_u32_e32 vcc, 0, v12
	s_bcnt1_i32_b64 s6, vcc
	v_add_co_u32_e32 v8, vcc, s6, v8
	v_addc_co_u32_e32 v9, vcc, 0, v9, vcc
	v_mov_b32_e32 v12, s15
	v_add_co_u32_e32 v30, vcc, s16, v30
	v_addc_co_u32_e32 v31, vcc, v31, v12, vcc
	v_mov_b32_e32 v12, v27
	s_andn2_b64 exec, exec, s[8:9]
	s_cbranch_execz .LBB52_58
.LBB52_55:                              ;   Parent Loop BB52_8 Depth=1
                                        ; =>  This Inner Loop Header: Depth=2
	v_mov_b32_e32 v27, s75
	v_add_co_u32_e32 v32, vcc, s1, v32
	v_addc_co_u32_e32 v33, vcc, v33, v27, vcc
	v_cmp_gt_i64_e64 s[6:7], s[56:57], v[32:33]
	v_cmp_le_i64_e32 vcc, s[56:57], v[32:33]
	v_mov_b32_e32 v27, 0
	s_and_saveexec_b64 s[12:13], s[6:7]
	s_cbranch_execz .LBB52_54
; %bb.56:                               ;   in Loop: Header=BB52_55 Depth=2
	global_load_dword v27, v[30:31], off
	s_branch .LBB52_54
.LBB52_57:                              ;   in Loop: Header=BB52_8 Depth=1
                                        ; implicit-def: $vgpr8_vgpr9
                                        ; implicit-def: $vgpr4_vgpr5
	s_cbranch_execnz .LBB52_60
	s_branch .LBB52_69
.LBB52_58:                              ;   in Loop: Header=BB52_8 Depth=1
	s_or_b64 exec, exec, s[8:9]
.LBB52_59:                              ;   in Loop: Header=BB52_8 Depth=1
	s_or_b64 exec, exec, s[2:3]
	s_branch .LBB52_69
.LBB52_60:                              ;   in Loop: Header=BB52_8 Depth=1
	global_load_ushort v8, v13, s[50:51]
	s_mov_b64 s[60:61], 0
	s_waitcnt vmcnt(0)
	v_readfirstlane_b32 s1, v8
	s_and_b32 s1, 0xffff, s1
	s_lshl_b32 s1, s1, 2
	v_cvt_f32_u32_e32 v2, s1
	s_sub_i32 s2, 0, s1
	v_and_b32_e32 v27, 0xffff, v8
	v_rcp_iflag_f32_e32 v6, v2
	v_pk_mov_b32 v[2:3], 0, 0
	v_pk_mov_b32 v[4:5], v[2:3], v[2:3] op_sel:[0,1]
	v_mul_f32_e32 v6, 0x4f7ffffe, v6
	v_cvt_u32_f32_e32 v9, v6
	v_pk_mov_b32 v[6:7], v[2:3], v[2:3] op_sel:[0,1]
	v_readfirstlane_b32 s3, v9
	s_mul_i32 s2, s2, s3
	s_mul_hi_u32 s2, s3, s2
	s_add_i32 s3, s3, s2
	s_mul_hi_u32 s2, s84, s3
	s_mul_i32 s2, s2, s1
	s_sub_i32 s2, s84, s2
	s_sub_i32 s3, s2, s1
	s_cmp_ge_u32 s2, s1
	s_cselect_b32 s2, s3, s2
	s_sub_i32 s3, s2, s1
	s_cmp_ge_u32 s2, s1
	s_cselect_b32 s2, s3, s2
	s_sub_i32 s74, s84, s2
	v_cmp_gt_u32_e32 vcc, s74, v14
	v_pk_mov_b32 v[8:9], v[2:3], v[2:3] op_sel:[0,1]
	s_and_saveexec_b64 s[2:3], vcc
	s_cbranch_execz .LBB52_64
; %bb.61:                               ;   in Loop: Header=BB52_8 Depth=1
	s_mov_b32 s81, s47
	s_and_b32 s80, s77, 0xfe
	v_lshlrev_b32_e32 v12, 4, v27
	v_mov_b32_e32 v28, v40
	s_mov_b64 s[8:9], 0
	s_mov_b64 s[28:29], 0
	;; [unrolled: 1-line block ×4, first 2 shown]
	v_pk_mov_b32 v[30:31], v[14:15], v[14:15] op_sel:[0,1]
.LBB52_62:                              ;   Parent Loop BB52_8 Depth=1
                                        ; =>  This Inner Loop Header: Depth=2
	ds_read_b128 v[2:5], v28
	v_add_co_u32_e32 v30, vcc, s1, v30
	v_addc_co_u32_e32 v31, vcc, 0, v31, vcc
	s_waitcnt lgkmcnt(0)
	v_cmp_lt_i32_e64 s[6:7], -1, v2
	v_cndmask_b32_e64 v6, -1, v44, s[6:7]
	v_cmp_lt_i32_e64 s[6:7], -1, v3
	v_cndmask_b32_e64 v7, -1, v44, s[6:7]
	;; [unrolled: 2-line block ×4, first 2 shown]
	v_xor_b32_e32 v7, v7, v3
	v_cmp_o_f32_e64 s[6:7], v3, v3
	v_xor_b32_e32 v3, v8, v4
	v_cmp_o_f32_e64 s[12:13], v4, v4
	;; [unrolled: 2-line block ×4, first 2 shown]
	v_cndmask_b32_e64 v2, -1, v5, s[16:17]
	v_cndmask_b32_e64 v5, -1, v7, s[6:7]
	v_and_b32_e32 v6, s83, v2
	v_bfe_u32 v2, v2, s80, 2
	v_cndmask_b32_e64 v3, -1, v3, s[12:13]
	v_and_b32_e32 v7, s83, v5
	v_bfe_u32 v5, v5, s80, 2
	v_cmp_eq_u32_e64 s[18:19], s0, v6
	v_cmp_eq_u32_e64 s[6:7], 0, v2
	v_cndmask_b32_e64 v4, -1, v4, s[14:15]
	v_and_b32_e32 v8, s83, v3
	v_bfe_u32 v3, v3, s80, 2
	v_cmp_eq_u32_e64 s[16:17], s0, v7
	v_cmp_eq_u32_e64 s[30:31], 0, v5
	s_and_b64 s[6:7], s[18:19], s[6:7]
	v_and_b32_e32 v9, s83, v4
	v_bfe_u32 v4, v4, s80, 2
	v_cmp_eq_u32_e64 s[14:15], s0, v8
	v_cmp_eq_u32_e64 s[34:35], 0, v3
	;; [unrolled: 1-line block ×5, first 2 shown]
	v_cndmask_b32_e64 v2, 0, 1, s[6:7]
	s_and_b64 s[6:7], s[16:17], s[30:31]
	v_cmp_eq_u32_e64 s[12:13], s0, v9
	v_cmp_eq_u32_e64 s[36:37], 0, v4
	;; [unrolled: 1-line block ×5, first 2 shown]
	v_cndmask_b32_e64 v3, 0, 1, s[6:7]
	s_and_b64 s[6:7], s[14:15], s[34:35]
	v_cmp_eq_u32_e64 s[44:45], 1, v4
	v_cmp_eq_u32_e64 s[52:53], 2, v4
	;; [unrolled: 1-line block ×3, first 2 shown]
	v_cndmask_b32_e64 v4, 0, 1, s[6:7]
	s_and_b64 s[6:7], s[12:13], s[36:37]
	v_cmp_eq_u32_e64 s[40:41], 1, v5
	v_cmp_eq_u32_e64 s[48:49], 2, v5
	;; [unrolled: 1-line block ×3, first 2 shown]
	v_cndmask_b32_e64 v5, 0, 1, s[6:7]
	v_cmp_ne_u32_e64 s[6:7], 0, v2
	v_cmp_ne_u32_e64 s[30:31], 0, v3
	v_cmp_ne_u32_e64 s[34:35], 0, v4
	v_cmp_ne_u32_e64 s[36:37], 0, v5
	s_bcnt1_i32_b64 s6, s[6:7]
	s_bcnt1_i32_b64 s7, s[30:31]
	s_bcnt1_i32_b64 s30, s[34:35]
	s_bcnt1_i32_b64 s31, s[36:37]
	s_add_u32 s6, s6, s78
	s_addc_u32 s34, 0, s79
	s_add_u32 s6, s6, s7
	s_addc_u32 s7, s34, 0
	s_add_u32 s6, s6, s30
	s_addc_u32 s7, s7, 0
	s_add_u32 s78, s6, s31
	s_addc_u32 s79, s7, 0
	s_and_b64 s[6:7], s[18:19], s[38:39]
	v_cndmask_b32_e64 v4, 0, 1, s[6:7]
	s_and_b64 s[6:7], s[16:17], s[40:41]
	v_cndmask_b32_e64 v5, 0, 1, s[6:7]
	s_and_b64 s[6:7], s[14:15], s[42:43]
	v_cndmask_b32_e64 v6, 0, 1, s[6:7]
	s_and_b64 s[6:7], s[12:13], s[44:45]
	v_cndmask_b32_e64 v7, 0, 1, s[6:7]
	v_cmp_ne_u32_e64 s[6:7], 0, v4
	v_cmp_ne_u32_e64 s[30:31], 0, v5
	v_cmp_ne_u32_e64 s[34:35], 0, v6
	v_cmp_ne_u32_e64 s[36:37], 0, v7
	s_bcnt1_i32_b64 s6, s[6:7]
	s_bcnt1_i32_b64 s7, s[30:31]
	s_bcnt1_i32_b64 s30, s[34:35]
	s_bcnt1_i32_b64 s31, s[36:37]
	s_add_u32 s6, s6, s72
	s_addc_u32 s34, 0, s73
	s_add_u32 s6, s6, s7
	s_addc_u32 s7, s34, 0
	s_add_u32 s6, s6, s30
	s_addc_u32 s7, s7, 0
	s_add_u32 s72, s6, s31
	s_addc_u32 s73, s7, 0
	s_and_b64 s[6:7], s[18:19], s[46:47]
	v_cndmask_b32_e64 v6, 0, 1, s[6:7]
	s_and_b64 s[6:7], s[16:17], s[48:49]
	v_cndmask_b32_e64 v7, 0, 1, s[6:7]
	s_and_b64 s[6:7], s[14:15], s[50:51]
	v_cndmask_b32_e64 v8, 0, 1, s[6:7]
	s_and_b64 s[6:7], s[12:13], s[52:53]
	;; [unrolled: 24-line block ×3, first 2 shown]
	v_cndmask_b32_e64 v33, 0, 1, s[6:7]
	v_cmp_ne_u32_e64 s[6:7], 0, v8
	v_cmp_ne_u32_e64 s[12:13], 0, v9
	v_cmp_ne_u32_e64 s[14:15], 0, v32
	v_cmp_ne_u32_e64 s[16:17], 0, v33
	s_bcnt1_i32_b64 s6, s[6:7]
	s_bcnt1_i32_b64 s7, s[12:13]
	;; [unrolled: 1-line block ×4, first 2 shown]
	s_add_u32 s6, s6, s8
	s_addc_u32 s8, 0, s9
	s_add_u32 s6, s6, s7
	s_addc_u32 s7, s8, 0
	;; [unrolled: 2-line block ×3, first 2 shown]
	s_add_u32 s8, s6, s13
	v_cmp_le_u64_e32 vcc, s[74:75], v[30:31]
	s_addc_u32 s9, s7, 0
	v_add_u32_e32 v28, v28, v12
	v_pk_mov_b32 v[2:3], s[78:79], s[78:79] op_sel:[0,1]
	v_pk_mov_b32 v[4:5], s[72:73], s[72:73] op_sel:[0,1]
	;; [unrolled: 1-line block ×3, first 2 shown]
	s_or_b64 s[60:61], vcc, s[60:61]
	v_pk_mov_b32 v[8:9], s[8:9], s[8:9] op_sel:[0,1]
	s_andn2_b64 exec, exec, s[60:61]
	s_cbranch_execnz .LBB52_62
; %bb.63:                               ;   in Loop: Header=BB52_8 Depth=1
	s_or_b64 exec, exec, s[60:61]
	v_readlane_b32 s48, v54, 35
	v_readlane_b32 s50, v54, 37
	;; [unrolled: 1-line block ×3, first 2 shown]
	s_mov_b32 s47, s81
	v_readlane_b32 s51, v54, 38
.LBB52_64:                              ;   in Loop: Header=BB52_8 Depth=1
	s_or_b64 exec, exec, s[2:3]
	v_add_u32_e32 v12, s74, v0
	v_cmp_gt_u32_e32 vcc, s84, v12
	s_and_saveexec_b64 s[2:3], vcc
	s_cbranch_execz .LBB52_68
; %bb.65:                               ;   in Loop: Header=BB52_8 Depth=1
	s_and_b32 s74, s84, 0x7fffffff
	s_and_b32 s20, s77, 0xfe
	v_lshlrev_b32_e32 v28, 2, v12
	s_mov_b64 s[8:9], 0
	v_pk_mov_b32 v[30:31], v[12:13], v[12:13] op_sel:[0,1]
.LBB52_66:                              ;   Parent Loop BB52_8 Depth=1
                                        ; =>  This Inner Loop Header: Depth=2
	ds_read_b32 v12, v28
	v_add_co_u32_e32 v30, vcc, v30, v27
	v_addc_co_u32_e32 v31, vcc, 0, v31, vcc
	s_waitcnt lgkmcnt(0)
	v_cmp_lt_i32_e64 s[6:7], -1, v12
	v_cndmask_b32_e64 v32, -1, v44, s[6:7]
	v_xor_b32_e32 v32, v32, v12
	v_cmp_o_f32_e64 s[6:7], v12, v12
	v_cndmask_b32_e64 v12, -1, v32, s[6:7]
	v_and_b32_e32 v32, s83, v12
	v_bfe_u32 v12, v12, s20, 2
	v_cmp_eq_u32_e64 s[6:7], s0, v32
	v_cmp_eq_u32_e64 s[12:13], 0, v12
	;; [unrolled: 1-line block ×3, first 2 shown]
	s_and_b64 s[12:13], s[6:7], s[12:13]
	v_cmp_eq_u32_e64 s[16:17], 2, v12
	v_cmp_eq_u32_e64 s[18:19], 3, v12
	v_cndmask_b32_e64 v12, 0, 1, s[12:13]
	s_and_b64 s[12:13], s[6:7], s[14:15]
	v_cndmask_b32_e64 v32, 0, 1, s[12:13]
	s_and_b64 s[12:13], s[6:7], s[16:17]
	s_and_b64 s[6:7], s[6:7], s[18:19]
	v_cndmask_b32_e64 v34, 0, 1, s[6:7]
	v_cmp_ne_u32_e64 s[6:7], 0, v12
	s_bcnt1_i32_b64 s6, s[6:7]
	v_cndmask_b32_e64 v33, 0, 1, s[12:13]
	v_cmp_ne_u32_e64 s[12:13], 0, v32
	v_add_co_u32_e64 v2, s[6:7], s6, v2
	s_bcnt1_i32_b64 s12, s[12:13]
	v_addc_co_u32_e64 v3, s[6:7], 0, v3, s[6:7]
	v_cmp_ne_u32_e64 s[14:15], 0, v33
	v_cmp_ne_u32_e64 s[16:17], 0, v34
	v_add_co_u32_e64 v4, s[6:7], s12, v4
	v_cmp_le_u64_e32 vcc, s[74:75], v[30:31]
	s_bcnt1_i32_b64 s13, s[14:15]
	s_bcnt1_i32_b64 s14, s[16:17]
	v_addc_co_u32_e64 v5, s[6:7], 0, v5, s[6:7]
	v_add_co_u32_e64 v6, s[6:7], s13, v6
	s_or_b64 s[8:9], vcc, s[8:9]
	v_add_co_u32_e32 v8, vcc, s14, v8
	v_add_u32_e32 v28, s1, v28
	v_addc_co_u32_e64 v7, s[6:7], 0, v7, s[6:7]
	v_addc_co_u32_e32 v9, vcc, 0, v9, vcc
	s_andn2_b64 exec, exec, s[8:9]
	s_cbranch_execnz .LBB52_66
; %bb.67:                               ;   in Loop: Header=BB52_8 Depth=1
	s_or_b64 exec, exec, s[8:9]
.LBB52_68:                              ;   in Loop: Header=BB52_8 Depth=1
	s_or_b64 exec, exec, s[2:3]
.LBB52_69:                              ;   in Loop: Header=BB52_8 Depth=1
	s_lshl_b32 s1, s88, 6
	s_and_saveexec_b64 s[2:3], s[4:5]
	s_cbranch_execz .LBB52_71
; %bb.70:                               ;   in Loop: Header=BB52_8 Depth=1
	s_waitcnt vmcnt(0)
	v_or_b32_e32 v12, s1, v38
	v_lshlrev_b32_e32 v12, 3, v12
	ds_write_b128 v12, v[2:5] offset:3072
	ds_write_b128 v12, v[6:9] offset:3088
.LBB52_71:                              ;   in Loop: Header=BB52_8 Depth=1
	s_or_b64 exec, exec, s[2:3]
	s_waitcnt lgkmcnt(0)
	s_barrier
	s_and_saveexec_b64 s[2:3], s[48:49]
	s_cbranch_execz .LBB52_83
; %bb.72:                               ;   in Loop: Header=BB52_8 Depth=1
	v_readlane_b32 s6, v54, 22
	v_readlane_b32 s7, v54, 23
	s_andn2_b64 vcc, exec, s[6:7]
	v_pk_mov_b32 v[2:3], 0, 0
	s_cbranch_vccnz .LBB52_82
; %bb.73:                               ;   in Loop: Header=BB52_8 Depth=1
	v_readlane_b32 s6, v54, 26
	v_readlane_b32 s7, v54, 27
	s_andn2_b64 vcc, exec, s[6:7]
	s_cbranch_vccnz .LBB52_78
; %bb.74:                               ;   in Loop: Header=BB52_8 Depth=1
	v_lshl_add_u32 v4, s88, 9, v43
	s_mov_b32 s6, 0
	v_pk_mov_b32 v[2:3], 0, 0
.LBB52_75:                              ;   Parent Loop BB52_8 Depth=1
                                        ; =>  This Inner Loop Header: Depth=2
	s_waitcnt vmcnt(0)
	ds_read2_b64 v[6:9], v4 offset1:4
	ds_read2_b64 v[30:33], v4 offset0:8 offset1:12
	ds_read2_b64 v[46:49], v4 offset0:16 offset1:20
	;; [unrolled: 1-line block ×3, first 2 shown]
	s_add_i32 s6, s6, 8
	s_waitcnt lgkmcnt(3)
	v_add_co_u32_e32 v2, vcc, v6, v2
	v_addc_co_u32_e32 v3, vcc, v7, v3, vcc
	v_add_co_u32_e32 v2, vcc, v8, v2
	v_addc_co_u32_e32 v3, vcc, v9, v3, vcc
	s_waitcnt lgkmcnt(2)
	v_add_co_u32_e32 v2, vcc, v30, v2
	v_addc_co_u32_e32 v3, vcc, v31, v3, vcc
	v_add_co_u32_e32 v2, vcc, v32, v2
	v_addc_co_u32_e32 v3, vcc, v33, v3, vcc
	;; [unrolled: 5-line block ×3, first 2 shown]
	s_waitcnt lgkmcnt(0)
	v_add_co_u32_e32 v2, vcc, v50, v2
	v_addc_co_u32_e32 v3, vcc, v51, v3, vcc
	v_add_co_u32_e32 v2, vcc, v52, v2
	v_add_u32_e32 v4, 0x100, v4
	s_cmp_eq_u32 s91, s6
	v_addc_co_u32_e32 v3, vcc, v53, v3, vcc
	s_cbranch_scc0 .LBB52_75
; %bb.76:                               ;   in Loop: Header=BB52_8 Depth=1
	s_mov_b32 s6, s91
	s_branch .LBB52_79
.LBB52_77:                              ;   in Loop: Header=BB52_8 Depth=1
                                        ; implicit-def: $vgpr30_vgpr31
	s_branch .LBB52_45
.LBB52_78:                              ;   in Loop: Header=BB52_8 Depth=1
	s_mov_b32 s6, 0
	v_pk_mov_b32 v[2:3], 0, 0
.LBB52_79:                              ;   in Loop: Header=BB52_8 Depth=1
	v_readlane_b32 s8, v54, 29
	v_readlane_b32 s9, v54, 30
	s_andn2_b64 vcc, exec, s[8:9]
	s_cbranch_vccnz .LBB52_82
; %bb.80:                               ;   in Loop: Header=BB52_8 Depth=1
	s_lshl_b32 s7, s88, 9
	s_lshl_b32 s6, s6, 5
	s_add_i32 s7, s7, s6
	v_add_u32_e32 v4, s7, v43
	v_readlane_b32 s6, v54, 28
.LBB52_81:                              ;   Parent Loop BB52_8 Depth=1
                                        ; =>  This Inner Loop Header: Depth=2
	s_waitcnt vmcnt(0)
	ds_read_b64 v[6:7], v4
	s_add_i32 s6, s6, -1
	v_add_u32_e32 v4, 32, v4
	s_cmp_lg_u32 s6, 0
	s_waitcnt lgkmcnt(0)
	v_add_co_u32_e32 v2, vcc, v6, v2
	v_addc_co_u32_e32 v3, vcc, v7, v3, vcc
	s_cbranch_scc1 .LBB52_81
.LBB52_82:                              ;   in Loop: Header=BB52_8 Depth=1
	v_add_lshl_u32 v4, s1, v36, 3
	ds_write_b64 v4, v[2:3] offset:3072
.LBB52_83:                              ;   in Loop: Header=BB52_8 Depth=1
	s_or_b64 exec, exec, s[2:3]
	s_lshl_b32 s1, s1, 3
	s_waitcnt vmcnt(0)
	v_mov_b32_e32 v6, s1
	s_waitcnt lgkmcnt(0)
	s_barrier
	ds_read_b128 v[2:5], v6 offset:3072
	ds_read_b128 v[6:9], v6 offset:3088
	s_and_b32 s42, s77, 0xfe
	s_lshl_b32 s1, 3, s42
	s_not_b32 s43, s1
	s_waitcnt lgkmcnt(1)
	v_readfirstlane_b32 s17, v3
	v_readfirstlane_b32 s16, v2
	s_cmp_eq_u64 s[16:17], 1
	s_cselect_b64 s[2:3], -1, 0
	s_cmp_eq_u64 s[58:59], 1
	s_cselect_b64 s[6:7], -1, 0
	s_and_b64 s[22:23], s[2:3], s[6:7]
	v_readfirstlane_b32 s30, v4
	v_readfirstlane_b32 s31, v5
	s_waitcnt lgkmcnt(0)
	v_readfirstlane_b32 s18, v6
	v_readfirstlane_b32 s19, v7
	;; [unrolled: 1-line block ×4, first 2 shown]
	s_mov_b64 s[20:21], -1
	s_and_b64 vcc, exec, s[22:23]
	s_cbranch_vccz .LBB52_98
; %bb.84:                               ;   in Loop: Header=BB52_8 Depth=1
	ds_read_b64 v[2:3], v13 offset:5120
	s_waitcnt lgkmcnt(0)
	s_barrier
	v_readfirstlane_b32 s14, v2
	v_readfirstlane_b32 s15, v3
	s_mov_b64 s[2:3], exec
	v_readlane_b32 s6, v54, 12
	v_readlane_b32 s7, v54, 13
	s_and_b64 s[6:7], s[2:3], s[6:7]
	s_mov_b64 exec, s[6:7]
	s_cbranch_execz .LBB52_86
; %bb.85:                               ;   in Loop: Header=BB52_8 Depth=1
	ds_write_b32 v37, v13
.LBB52_86:                              ;   in Loop: Header=BB52_8 Depth=1
	s_or_b64 exec, exec, s[2:3]
	v_cmp_lt_i64_e64 s[2:3], s[14:15], 1
	s_and_b32 s0, s0, s43
	s_or_b32 s83, s83, s1
	s_and_b64 vcc, exec, s[2:3]
	s_waitcnt lgkmcnt(0)
	s_barrier
	s_cbranch_vccz .LBB52_99
; %bb.87:                               ;   in Loop: Header=BB52_8 Depth=1
	s_mov_b32 s46, s75
	s_cmp_lg_u64 s[46:47], 0
	s_cbranch_scc0 .LBB52_144
; %bb.88:                               ;   in Loop: Header=BB52_8 Depth=1
	v_cvt_f32_u32_e32 v2, s33
	s_sub_u32 s2, 0, s33
	s_subb_u32 s3, 0, 0
	v_mac_f32_e32 v2, 0x4f800000, v45
	v_rcp_f32_e32 v2, v2
	v_mul_f32_e32 v2, 0x5f7ffffc, v2
	v_mul_f32_e32 v3, 0x2f800000, v2
	v_trunc_f32_e32 v3, v3
	v_mac_f32_e32 v2, 0xcf800000, v3
	v_cvt_u32_f32_e32 v3, v3
	v_cvt_u32_f32_e32 v2, v2
	v_readfirstlane_b32 s6, v3
	v_readfirstlane_b32 s7, v2
	s_mul_i32 s8, s2, s6
	s_mul_hi_u32 s24, s2, s7
	s_mul_i32 s9, s3, s7
	s_add_i32 s8, s24, s8
	s_mul_i32 s25, s2, s7
	s_add_i32 s8, s8, s9
	s_mul_hi_u32 s24, s7, s25
	s_mul_hi_u32 s9, s7, s8
	s_mul_i32 s7, s7, s8
	s_add_u32 s7, s24, s7
	s_addc_u32 s9, 0, s9
	s_mul_hi_u32 s26, s6, s25
	s_mul_i32 s25, s6, s25
	s_add_u32 s7, s7, s25
	s_mul_hi_u32 s24, s6, s8
	s_addc_u32 s7, s9, s26
	s_addc_u32 s9, s24, 0
	s_mul_i32 s8, s6, s8
	s_add_u32 s7, s7, s8
	s_addc_u32 s8, 0, s9
	v_add_co_u32_e32 v2, vcc, s7, v2
	s_cmp_lg_u64 vcc, 0
	s_addc_u32 s6, s6, s8
	v_readfirstlane_b32 s8, v2
	s_mul_i32 s7, s2, s6
	s_mul_hi_u32 s9, s2, s8
	s_add_i32 s7, s9, s7
	s_mul_i32 s3, s3, s8
	s_add_i32 s7, s7, s3
	s_mul_i32 s2, s2, s8
	s_mul_hi_u32 s9, s6, s2
	s_mul_i32 s24, s6, s2
	s_mul_i32 s26, s8, s7
	s_mul_hi_u32 s2, s8, s2
	s_mul_hi_u32 s25, s8, s7
	s_add_u32 s2, s2, s26
	s_addc_u32 s8, 0, s25
	s_add_u32 s2, s2, s24
	s_mul_hi_u32 s3, s6, s7
	s_addc_u32 s2, s8, s9
	s_addc_u32 s3, s3, 0
	s_mul_i32 s7, s6, s7
	s_add_u32 s2, s2, s7
	s_addc_u32 s3, 0, s3
	v_add_co_u32_e32 v2, vcc, s2, v2
	s_cmp_lg_u64 vcc, 0
	s_addc_u32 s8, s6, s3
	s_ashr_i32 s2, s47, 31
	s_add_u32 s6, s82, s2
	s_mov_b32 s3, s2
	s_addc_u32 s7, s47, s2
	s_xor_b64 s[6:7], s[6:7], s[2:3]
	v_readfirstlane_b32 s24, v2
	s_mul_i32 s9, s6, s8
	s_mul_hi_u32 s25, s6, s24
	s_mul_hi_u32 s3, s6, s8
	s_add_u32 s9, s25, s9
	s_addc_u32 s3, 0, s3
	s_mul_hi_u32 s26, s7, s24
	s_mul_i32 s24, s7, s24
	s_add_u32 s9, s9, s24
	s_mul_hi_u32 s25, s7, s8
	s_addc_u32 s3, s3, s26
	s_addc_u32 s9, s25, 0
	s_mul_i32 s8, s7, s8
	s_add_u32 s3, s3, s8
	s_addc_u32 s8, 0, s9
	s_mul_hi_u32 s9, s33, s3
	s_mul_i32 s3, s33, s3
	s_mul_i32 s8, s33, s8
	v_mov_b32_e32 v2, s3
	s_add_i32 s9, s9, s8
	v_sub_co_u32_e32 v2, vcc, s6, v2
	s_cmp_lg_u64 vcc, 0
	s_subb_u32 s3, s7, s9
	v_subrev_co_u32_e32 v3, vcc, s33, v2
	s_cmp_lg_u64 vcc, 0
	s_subb_u32 s6, s3, 0
	v_subrev_co_u32_e32 v4, vcc, s33, v3
	s_cmp_lg_u64 vcc, 0
	s_subb_u32 s7, s6, 0
	v_cmp_le_u32_e32 vcc, s33, v3
	s_cmp_eq_u32 s6, 0
	v_cndmask_b32_e64 v5, 0, -1, vcc
	s_cselect_b64 vcc, -1, 0
	v_cndmask_b32_e32 v5, -1, v5, vcc
	v_mov_b32_e32 v6, s6
	v_mov_b32_e32 v7, s7
	v_cmp_ne_u32_e32 vcc, 0, v5
	v_cndmask_b32_e32 v5, v6, v7, vcc
	v_cndmask_b32_e32 v3, v3, v4, vcc
	v_cmp_le_u32_e32 vcc, s33, v2
	s_cmp_eq_u32 s3, 0
	v_cndmask_b32_e64 v4, 0, -1, vcc
	s_cselect_b64 vcc, -1, 0
	v_cndmask_b32_e32 v4, -1, v4, vcc
	v_cmp_ne_u32_e32 vcc, 0, v4
	v_mov_b32_e32 v6, s3
	v_cndmask_b32_e32 v2, v2, v3, vcc
	v_cndmask_b32_e32 v4, v6, v5, vcc
	v_xor_b32_e32 v2, s2, v2
	v_xor_b32_e32 v3, s2, v4
	v_mov_b32_e32 v4, s2
	v_subrev_co_u32_e32 v2, vcc, s2, v2
	v_subb_co_u32_e32 v3, vcc, v3, v4, vcc
	s_cbranch_execnz .LBB52_90
.LBB52_89:                              ;   in Loop: Header=BB52_8 Depth=1
	v_cvt_f32_u32_e32 v2, s33
	s_sub_i32 s2, 0, s33
	v_rcp_iflag_f32_e32 v2, v2
	v_mul_f32_e32 v2, 0x4f7ffffe, v2
	v_cvt_u32_f32_e32 v2, v2
	v_mul_lo_u32 v3, s2, v2
	v_mul_hi_u32 v3, v2, v3
	v_add_u32_e32 v2, v2, v3
	v_mul_hi_u32 v2, s82, v2
	v_mul_lo_u32 v2, v2, s33
	v_sub_u32_e32 v2, s82, v2
	v_subrev_u32_e32 v3, s33, v2
	v_cmp_le_u32_e32 vcc, s33, v2
	v_cndmask_b32_e32 v2, v2, v3, vcc
	v_subrev_u32_e32 v3, s33, v2
	v_cmp_le_u32_e32 vcc, s33, v2
	v_cndmask_b32_e32 v12, v2, v3, vcc
	v_pk_mov_b32 v[2:3], v[12:13], v[12:13] op_sel:[0,1]
.LBB52_90:                              ;   in Loop: Header=BB52_8 Depth=1
	v_mov_b32_e32 v4, s47
	v_sub_co_u32_e32 v2, vcc, s82, v2
	v_subb_co_u32_e32 v3, vcc, v4, v3, vcc
	v_cmp_gt_i64_e32 vcc, v[2:3], v[0:1]
	s_mov_b64 s[2:3], 0
                                        ; implicit-def: $vgpr29
	s_and_saveexec_b64 s[8:9], vcc
	s_cbranch_execz .LBB52_101
; %bb.91:                               ;   in Loop: Header=BB52_8 Depth=1
	v_pk_mov_b32 v[4:5], v[10:11], v[10:11] op_sel:[0,1]
	v_pk_mov_b32 v[6:7], v[0:1], v[0:1] op_sel:[0,1]
                                        ; implicit-def: $sgpr24_sgpr25
	s_branch .LBB52_93
.LBB52_92:                              ;   in Loop: Header=BB52_93 Depth=2
	s_or_b64 exec, exec, s[6:7]
	s_waitcnt lgkmcnt(0)
	s_barrier
	ds_read_b64 v[28:29], v13 offset:3072
	v_mov_b32_e32 v8, s90
	v_add_co_u32_e64 v6, s[6:7], s33, v6
	v_addc_co_u32_e64 v7, s[6:7], v7, v8, s[6:7]
	s_waitcnt lgkmcnt(0)
	v_cmp_neq_f32_e32 vcc, 0, v28
	v_cmp_ge_i64_e64 s[6:7], v[6:7], v[2:3]
	s_or_b64 s[26:27], vcc, s[6:7]
	v_mov_b32_e32 v8, s71
	v_add_co_u32_e64 v4, s[6:7], s70, v4
	v_addc_co_u32_e64 v5, s[6:7], v5, v8, s[6:7]
	s_and_b64 s[6:7], exec, s[26:27]
	s_or_b64 s[2:3], s[6:7], s[2:3]
	s_andn2_b64 s[6:7], s[24:25], exec
	s_and_b64 s[24:25], vcc, exec
	s_or_b64 s[24:25], s[6:7], s[24:25]
	s_barrier
	s_andn2_b64 exec, exec, s[2:3]
	s_cbranch_execz .LBB52_100
.LBB52_93:                              ;   Parent Loop BB52_8 Depth=1
                                        ; =>  This Inner Loop Header: Depth=2
	v_cmp_gt_i64_e32 vcc, s[56:57], v[6:7]
	s_waitcnt vmcnt(0)
	v_mov_b32_e32 v27, 0
	s_and_saveexec_b64 s[6:7], vcc
	s_cbranch_execz .LBB52_95
; %bb.94:                               ;   in Loop: Header=BB52_93 Depth=2
	global_load_dword v27, v[4:5], off
.LBB52_95:                              ;   in Loop: Header=BB52_93 Depth=2
	s_or_b64 exec, exec, s[6:7]
	s_and_saveexec_b64 s[6:7], vcc
	s_cbranch_execz .LBB52_92
; %bb.96:                               ;   in Loop: Header=BB52_93 Depth=2
	s_waitcnt vmcnt(0)
	v_cmp_lt_i32_e32 vcc, -1, v27
	v_cndmask_b32_e32 v8, -1, v44, vcc
	v_xor_b32_e32 v8, v8, v27
	v_cmp_o_f32_e32 vcc, v27, v27
	v_cndmask_b32_e32 v8, -1, v8, vcc
	v_and_b32_e32 v8, s83, v8
	v_cmp_eq_u32_e32 vcc, s0, v8
	s_and_b64 exec, exec, vcc
	s_cbranch_execz .LBB52_92
; %bb.97:                               ;   in Loop: Header=BB52_93 Depth=2
	ds_write_b64 v13, v[26:27] offset:3072
	s_branch .LBB52_92
.LBB52_98:                              ;   in Loop: Header=BB52_8 Depth=1
	s_mov_b64 s[2:3], -1
                                        ; implicit-def: $sgpr6_sgpr7
                                        ; implicit-def: $sgpr24_sgpr25
                                        ; implicit-def: $sgpr8_sgpr9
	s_branch .LBB52_115
.LBB52_99:                              ;   in Loop: Header=BB52_8 Depth=1
	s_mov_b64 s[6:7], -1
	s_mov_b64 s[2:3], 0
                                        ; implicit-def: $sgpr8_sgpr9
                                        ; implicit-def: $vgpr29
	s_mov_b64 s[24:25], s[6:7]
	s_cbranch_execnz .LBB52_102
	s_branch .LBB52_115
.LBB52_100:                             ;   in Loop: Header=BB52_8 Depth=1
	s_or_b64 exec, exec, s[2:3]
	s_and_b64 s[2:3], s[24:25], exec
.LBB52_101:                             ;   in Loop: Header=BB52_8 Depth=1
	s_or_b64 exec, exec, s[8:9]
	s_mov_b64 s[8:9], -1
	s_mov_b64 s[6:7], 0
	s_mov_b64 s[24:25], s[6:7]
	s_branch .LBB52_115
.LBB52_102:                             ;   in Loop: Header=BB52_8 Depth=1
	v_readlane_b32 s2, v54, 24
	s_add_u32 s8, s2, s14
	v_readlane_b32 s2, v54, 25
	s_addc_u32 s3, s2, s15
	s_mov_b32 s2, s75
	s_cmp_lg_u64 s[2:3], 0
	s_cbranch_scc0 .LBB52_145
; %bb.103:                              ;   in Loop: Header=BB52_8 Depth=1
	v_cvt_f32_u32_e32 v2, s33
	s_sub_u32 s2, 0, s33
	s_subb_u32 s6, 0, 0
	v_mac_f32_e32 v2, 0x4f800000, v45
	v_rcp_f32_e32 v2, v2
	v_mul_f32_e32 v2, 0x5f7ffffc, v2
	v_mul_f32_e32 v3, 0x2f800000, v2
	v_trunc_f32_e32 v3, v3
	v_mac_f32_e32 v2, 0xcf800000, v3
	v_cvt_u32_f32_e32 v3, v3
	v_cvt_u32_f32_e32 v2, v2
	v_readfirstlane_b32 s7, v3
	v_readfirstlane_b32 s9, v2
	s_mul_i32 s24, s2, s7
	s_mul_hi_u32 s26, s2, s9
	s_mul_i32 s25, s6, s9
	s_add_i32 s24, s26, s24
	s_mul_i32 s27, s2, s9
	s_add_i32 s24, s24, s25
	s_mul_hi_u32 s26, s9, s27
	s_mul_hi_u32 s25, s9, s24
	s_mul_i32 s9, s9, s24
	s_add_u32 s9, s26, s9
	s_addc_u32 s25, 0, s25
	s_mul_hi_u32 s28, s7, s27
	s_mul_i32 s27, s7, s27
	s_add_u32 s9, s9, s27
	s_mul_hi_u32 s26, s7, s24
	s_addc_u32 s9, s25, s28
	s_addc_u32 s25, s26, 0
	s_mul_i32 s24, s7, s24
	s_add_u32 s9, s9, s24
	s_addc_u32 s24, 0, s25
	v_add_co_u32_e32 v2, vcc, s9, v2
	s_cmp_lg_u64 vcc, 0
	s_addc_u32 s7, s7, s24
	v_readfirstlane_b32 s24, v2
	s_mul_i32 s9, s2, s7
	s_mul_hi_u32 s25, s2, s24
	s_add_i32 s9, s25, s9
	s_mul_i32 s6, s6, s24
	s_add_i32 s9, s9, s6
	s_mul_i32 s2, s2, s24
	s_mul_hi_u32 s25, s7, s2
	s_mul_i32 s26, s7, s2
	s_mul_i32 s28, s24, s9
	s_mul_hi_u32 s2, s24, s2
	s_mul_hi_u32 s27, s24, s9
	s_add_u32 s2, s2, s28
	s_addc_u32 s24, 0, s27
	s_add_u32 s2, s2, s26
	s_mul_hi_u32 s6, s7, s9
	s_addc_u32 s2, s24, s25
	s_addc_u32 s6, s6, 0
	s_mul_i32 s9, s7, s9
	s_add_u32 s2, s2, s9
	s_addc_u32 s6, 0, s6
	v_add_co_u32_e32 v2, vcc, s2, v2
	s_cmp_lg_u64 vcc, 0
	s_addc_u32 s2, s7, s6
	s_ashr_i32 s6, s3, 31
	s_add_u32 s24, s8, s6
	s_mov_b32 s7, s6
	s_addc_u32 s25, s3, s6
	s_xor_b64 s[24:25], s[24:25], s[6:7]
	v_readfirstlane_b32 s26, v2
	s_mul_i32 s9, s24, s2
	s_mul_hi_u32 s27, s24, s26
	s_mul_hi_u32 s7, s24, s2
	s_add_u32 s9, s27, s9
	s_addc_u32 s7, 0, s7
	s_mul_hi_u32 s28, s25, s26
	s_mul_i32 s26, s25, s26
	s_add_u32 s9, s9, s26
	s_mul_hi_u32 s27, s25, s2
	s_addc_u32 s7, s7, s28
	s_addc_u32 s9, s27, 0
	s_mul_i32 s2, s25, s2
	s_add_u32 s2, s7, s2
	s_addc_u32 s7, 0, s9
	s_mul_hi_u32 s9, s33, s2
	s_mul_i32 s2, s33, s2
	s_mul_i32 s7, s33, s7
	v_mov_b32_e32 v2, s2
	s_add_i32 s9, s9, s7
	v_sub_co_u32_e32 v2, vcc, s24, v2
	s_cmp_lg_u64 vcc, 0
	s_subb_u32 s2, s25, s9
	v_subrev_co_u32_e32 v3, vcc, s33, v2
	s_cmp_lg_u64 vcc, 0
	s_subb_u32 s7, s2, 0
	v_subrev_co_u32_e32 v4, vcc, s33, v3
	s_cmp_lg_u64 vcc, 0
	s_subb_u32 s9, s7, 0
	v_cmp_le_u32_e32 vcc, s33, v3
	s_cmp_eq_u32 s7, 0
	v_cndmask_b32_e64 v5, 0, -1, vcc
	s_cselect_b64 vcc, -1, 0
	v_cndmask_b32_e32 v5, -1, v5, vcc
	v_mov_b32_e32 v6, s7
	v_mov_b32_e32 v7, s9
	v_cmp_ne_u32_e32 vcc, 0, v5
	v_cndmask_b32_e32 v5, v6, v7, vcc
	v_cndmask_b32_e32 v3, v3, v4, vcc
	v_cmp_le_u32_e32 vcc, s33, v2
	s_cmp_eq_u32 s2, 0
	v_cndmask_b32_e64 v4, 0, -1, vcc
	s_cselect_b64 vcc, -1, 0
	v_cndmask_b32_e32 v4, -1, v4, vcc
	v_cmp_ne_u32_e32 vcc, 0, v4
	v_mov_b32_e32 v6, s2
	v_cndmask_b32_e32 v2, v2, v3, vcc
	v_cndmask_b32_e32 v4, v6, v5, vcc
	v_xor_b32_e32 v2, s6, v2
	v_xor_b32_e32 v3, s6, v4
	v_mov_b32_e32 v4, s6
	v_subrev_co_u32_e32 v2, vcc, s6, v2
	v_subb_co_u32_e32 v3, vcc, v3, v4, vcc
	s_cbranch_execnz .LBB52_105
.LBB52_104:                             ;   in Loop: Header=BB52_8 Depth=1
	v_cvt_f32_u32_e32 v2, s33
	s_sub_i32 s2, 0, s33
	v_rcp_iflag_f32_e32 v2, v2
	v_mul_f32_e32 v2, 0x4f7ffffe, v2
	v_cvt_u32_f32_e32 v2, v2
	v_mul_lo_u32 v3, s2, v2
	v_mul_hi_u32 v3, v2, v3
	v_add_u32_e32 v2, v2, v3
	v_mul_hi_u32 v2, s8, v2
	v_mul_lo_u32 v2, v2, s33
	v_sub_u32_e32 v2, s8, v2
	v_subrev_u32_e32 v3, s33, v2
	v_cmp_le_u32_e32 vcc, s33, v2
	v_cndmask_b32_e32 v2, v2, v3, vcc
	v_subrev_u32_e32 v3, s33, v2
	v_cmp_le_u32_e32 vcc, s33, v2
	v_cndmask_b32_e32 v12, v2, v3, vcc
	v_pk_mov_b32 v[2:3], v[12:13], v[12:13] op_sel:[0,1]
.LBB52_105:                             ;   in Loop: Header=BB52_8 Depth=1
	v_mov_b32_e32 v4, s3
	v_sub_co_u32_e32 v2, vcc, s8, v2
	v_subb_co_u32_e32 v3, vcc, v4, v3, vcc
	v_cmp_gt_i64_e32 vcc, v[2:3], v[0:1]
	s_mov_b64 s[2:3], 0
                                        ; implicit-def: $vgpr29
	s_and_saveexec_b64 s[8:9], vcc
	s_cbranch_execz .LBB52_114
; %bb.106:                              ;   in Loop: Header=BB52_8 Depth=1
	v_mov_b32_e32 v6, v14
	v_pk_mov_b32 v[4:5], v[0:1], v[0:1] op_sel:[0,1]
                                        ; implicit-def: $sgpr24_sgpr25
	s_branch .LBB52_108
.LBB52_107:                             ;   in Loop: Header=BB52_108 Depth=2
	s_or_b64 exec, exec, s[6:7]
	s_waitcnt lgkmcnt(0)
	s_barrier
	ds_read_b64 v[28:29], v13 offset:3072
	v_mov_b32_e32 v7, s90
	v_add_co_u32_e64 v4, s[6:7], s33, v4
	v_addc_co_u32_e64 v5, s[6:7], v5, v7, s[6:7]
	s_waitcnt lgkmcnt(0)
	v_cmp_neq_f32_e32 vcc, 0, v28
	v_cmp_ge_i64_e64 s[6:7], v[4:5], v[2:3]
	s_or_b64 s[6:7], vcc, s[6:7]
	s_and_b64 s[6:7], exec, s[6:7]
	s_or_b64 s[2:3], s[6:7], s[2:3]
	s_andn2_b64 s[6:7], s[24:25], exec
	s_and_b64 s[24:25], vcc, exec
	v_add_u32_e32 v6, s76, v6
	s_or_b64 s[24:25], s[6:7], s[24:25]
	s_barrier
	s_andn2_b64 exec, exec, s[2:3]
	s_cbranch_execz .LBB52_113
.LBB52_108:                             ;   Parent Loop BB52_8 Depth=1
                                        ; =>  This Inner Loop Header: Depth=2
	v_cmp_gt_i64_e32 vcc, s[14:15], v[4:5]
	s_waitcnt vmcnt(0)
	v_mov_b32_e32 v27, 0
	s_and_saveexec_b64 s[6:7], vcc
	s_cbranch_execz .LBB52_110
; %bb.109:                              ;   in Loop: Header=BB52_108 Depth=2
	ds_read_b32 v27, v6
.LBB52_110:                             ;   in Loop: Header=BB52_108 Depth=2
	s_or_b64 exec, exec, s[6:7]
	s_and_saveexec_b64 s[6:7], vcc
	s_cbranch_execz .LBB52_107
; %bb.111:                              ;   in Loop: Header=BB52_108 Depth=2
	s_waitcnt lgkmcnt(0)
	v_cmp_lt_i32_e32 vcc, -1, v27
	v_cndmask_b32_e32 v7, -1, v44, vcc
	v_xor_b32_e32 v7, v7, v27
	v_cmp_o_f32_e32 vcc, v27, v27
	v_cndmask_b32_e32 v7, -1, v7, vcc
	v_and_b32_e32 v7, s83, v7
	v_cmp_eq_u32_e32 vcc, s0, v7
	s_and_b64 exec, exec, vcc
	s_cbranch_execz .LBB52_107
; %bb.112:                              ;   in Loop: Header=BB52_108 Depth=2
	ds_write_b64 v13, v[26:27] offset:3072
	s_branch .LBB52_107
.LBB52_113:                             ;   in Loop: Header=BB52_8 Depth=1
	s_or_b64 exec, exec, s[2:3]
	s_and_b64 s[2:3], s[24:25], exec
.LBB52_114:                             ;   in Loop: Header=BB52_8 Depth=1
	s_or_b64 exec, exec, s[8:9]
	s_mov_b64 s[24:25], -1
	s_mov_b64 s[6:7], 0
	s_mov_b64 s[8:9], 0
.LBB52_115:                             ;   in Loop: Header=BB52_8 Depth=1
	s_andn2_b64 s[10:11], s[10:11], exec
	s_and_b64 s[6:7], s[6:7], exec
	s_or_b64 s[10:11], s[10:11], s[6:7]
	s_andn2_b64 s[6:7], s[94:95], exec
	s_and_b64 s[14:15], s[24:25], exec
	s_or_b64 s[94:95], s[6:7], s[14:15]
	;; [unrolled: 3-line block ×3, first 2 shown]
	s_and_saveexec_b64 s[14:15], s[2:3]
	s_cbranch_execz .LBB52_7
; %bb.116:                              ;   in Loop: Header=BB52_8 Depth=1
	s_xor_b64 s[2:3], s[22:23], -1
	s_andn2_b64 vcc, exec, s[2:3]
	s_mov_b32 s46, 1
	s_cbranch_vccnz .LBB52_127
; %bb.117:                              ;   in Loop: Header=BB52_8 Depth=1
	v_pk_mov_b32 v[2:3], s[16:17], s[16:17] op_sel:[0,1]
	v_cmp_gt_i64_e32 vcc, s[58:59], v[2:3]
	s_mov_b64 s[2:3], -1
                                        ; implicit-def: $sgpr46
                                        ; implicit-def: $sgpr6
                                        ; implicit-def: $sgpr7
	s_cbranch_vccnz .LBB52_123
; %bb.118:                              ;   in Loop: Header=BB52_8 Depth=1
	ds_read_b64 v[2:3], v13 offset:5120
	s_waitcnt lgkmcnt(0)
	v_cmp_ne_u64_e32 vcc, 0, v[2:3]
	s_cbranch_vccnz .LBB52_122
; %bb.119:                              ;   in Loop: Header=BB52_8 Depth=1
	s_mov_b64 s[2:3], exec
	v_readlane_b32 s6, v54, 8
	v_readlane_b32 s7, v54, 9
	s_and_b64 s[6:7], s[2:3], s[6:7]
	s_mov_b64 exec, s[6:7]
	s_cbranch_execz .LBB52_121
; %bb.120:                              ;   in Loop: Header=BB52_8 Depth=1
	v_pk_mov_b32 v[2:3], s[16:17], s[16:17] op_sel:[0,1]
	ds_write_b64 v13, v[2:3] offset:5128
.LBB52_121:                             ;   in Loop: Header=BB52_8 Depth=1
	s_or_b64 exec, exec, s[2:3]
	s_waitcnt lgkmcnt(0)
	s_barrier
.LBB52_122:                             ;   in Loop: Header=BB52_8 Depth=1
	s_and_b32 s6, s0, s43
	s_or_b32 s7, s83, s1
	s_mov_b64 s[2:3], 0
	s_mov_b32 s46, 8
.LBB52_123:                             ;   in Loop: Header=BB52_8 Depth=1
	s_andn2_b64 vcc, exec, s[2:3]
	s_cbranch_vccnz .LBB52_125
; %bb.124:                              ;   in Loop: Header=BB52_8 Depth=1
	s_sub_u32 s58, s58, s16
	s_subb_u32 s59, s59, s17
	s_mov_b64 s[2:3], -1
	s_mov_b32 s46, 0
	s_mov_b32 s6, s0
	;; [unrolled: 1-line block ×3, first 2 shown]
.LBB52_125:                             ;   in Loop: Header=BB52_8 Depth=1
	s_mov_b32 s83, s7
	s_mov_b32 s0, s6
	s_mov_b64 s[16:17], -1
	s_and_b64 vcc, exec, s[2:3]
	s_cbranch_vccnz .LBB52_128
.LBB52_126:                             ;   in Loop: Header=BB52_8 Depth=1
	s_mov_b64 s[6:7], -1
                                        ; implicit-def: $sgpr20_sgpr21
                                        ; implicit-def: $sgpr24_sgpr25
                                        ; implicit-def: $sgpr22_sgpr23
	s_and_saveexec_b64 s[2:3], s[6:7]
	s_xor_b64 s[2:3], exec, s[2:3]
	s_cbranch_execz .LBB52_6
	s_branch .LBB52_274
.LBB52_127:                             ;   in Loop: Header=BB52_8 Depth=1
	s_mov_b64 s[58:59], 1
	s_mov_b64 s[16:17], -1
	s_branch .LBB52_126
.LBB52_128:                             ;   in Loop: Header=BB52_8 Depth=1
	s_cmp_eq_u64 s[30:31], 1
	s_cselect_b64 s[2:3], -1, 0
	s_cmp_eq_u64 s[58:59], 1
	s_cselect_b64 s[6:7], -1, 0
	s_and_b64 s[34:35], s[2:3], s[6:7]
	s_mov_b64 s[2:3], -1
	s_and_b64 vcc, exec, s[34:35]
	s_cbranch_vccz .LBB52_143
; %bb.129:                              ;   in Loop: Header=BB52_8 Depth=1
	ds_read_b64 v[2:3], v13 offset:5120
	s_waitcnt lgkmcnt(0)
	s_barrier
	v_readfirstlane_b32 s26, v2
	v_readfirstlane_b32 s27, v3
	s_mov_b64 s[2:3], exec
	v_readlane_b32 s6, v54, 12
	v_readlane_b32 s7, v54, 13
	s_and_b64 s[6:7], s[2:3], s[6:7]
	s_mov_b64 exec, s[6:7]
	s_cbranch_execz .LBB52_131
; %bb.130:                              ;   in Loop: Header=BB52_8 Depth=1
	ds_write_b32 v37, v13
.LBB52_131:                             ;   in Loop: Header=BB52_8 Depth=1
	s_or_b64 exec, exec, s[2:3]
	s_lshl_b32 s2, 1, s42
	s_and_b32 s0, s0, s43
	s_or_b32 s0, s0, s2
	v_cmp_gt_i64_e64 s[2:3], s[26:27], 0
	s_or_b32 s83, s83, s1
	s_and_b64 vcc, exec, s[2:3]
	s_waitcnt lgkmcnt(0)
	s_barrier
	s_cbranch_vccnz .LBB52_146
; %bb.132:                              ;   in Loop: Header=BB52_8 Depth=1
	s_mov_b32 s46, s75
	s_cmp_lg_u64 s[46:47], 0
	s_cbranch_scc0 .LBB52_191
; %bb.133:                              ;   in Loop: Header=BB52_8 Depth=1
	v_cvt_f32_u32_e32 v2, s33
	s_sub_u32 s2, 0, s33
	s_subb_u32 s3, 0, 0
	v_mac_f32_e32 v2, 0x4f800000, v45
	v_rcp_f32_e32 v2, v2
	v_mul_f32_e32 v2, 0x5f7ffffc, v2
	v_mul_f32_e32 v3, 0x2f800000, v2
	v_trunc_f32_e32 v3, v3
	v_mac_f32_e32 v2, 0xcf800000, v3
	v_cvt_u32_f32_e32 v3, v3
	v_cvt_u32_f32_e32 v2, v2
	v_readfirstlane_b32 s6, v3
	v_readfirstlane_b32 s7, v2
	s_mul_i32 s8, s2, s6
	s_mul_hi_u32 s20, s2, s7
	s_mul_i32 s9, s3, s7
	s_add_i32 s8, s20, s8
	s_mul_i32 s21, s2, s7
	s_add_i32 s8, s8, s9
	s_mul_hi_u32 s20, s7, s21
	s_mul_hi_u32 s9, s7, s8
	s_mul_i32 s7, s7, s8
	s_add_u32 s7, s20, s7
	s_addc_u32 s9, 0, s9
	s_mul_hi_u32 s22, s6, s21
	s_mul_i32 s21, s6, s21
	s_add_u32 s7, s7, s21
	s_mul_hi_u32 s20, s6, s8
	s_addc_u32 s7, s9, s22
	s_addc_u32 s9, s20, 0
	s_mul_i32 s8, s6, s8
	s_add_u32 s7, s7, s8
	s_addc_u32 s8, 0, s9
	v_add_co_u32_e32 v2, vcc, s7, v2
	s_cmp_lg_u64 vcc, 0
	s_addc_u32 s6, s6, s8
	v_readfirstlane_b32 s8, v2
	s_mul_i32 s7, s2, s6
	s_mul_hi_u32 s9, s2, s8
	s_add_i32 s7, s9, s7
	s_mul_i32 s3, s3, s8
	s_add_i32 s7, s7, s3
	s_mul_i32 s2, s2, s8
	s_mul_hi_u32 s9, s6, s2
	s_mul_i32 s20, s6, s2
	s_mul_i32 s22, s8, s7
	s_mul_hi_u32 s2, s8, s2
	s_mul_hi_u32 s21, s8, s7
	s_add_u32 s2, s2, s22
	s_addc_u32 s8, 0, s21
	s_add_u32 s2, s2, s20
	s_mul_hi_u32 s3, s6, s7
	s_addc_u32 s2, s8, s9
	s_addc_u32 s3, s3, 0
	s_mul_i32 s7, s6, s7
	s_add_u32 s2, s2, s7
	s_addc_u32 s3, 0, s3
	v_add_co_u32_e32 v2, vcc, s2, v2
	s_cmp_lg_u64 vcc, 0
	s_addc_u32 s8, s6, s3
	s_ashr_i32 s2, s47, 31
	s_add_u32 s6, s82, s2
	s_mov_b32 s3, s2
	s_addc_u32 s7, s47, s2
	s_xor_b64 s[6:7], s[6:7], s[2:3]
	v_readfirstlane_b32 s20, v2
	s_mul_i32 s9, s6, s8
	s_mul_hi_u32 s21, s6, s20
	s_mul_hi_u32 s3, s6, s8
	s_add_u32 s9, s21, s9
	s_addc_u32 s3, 0, s3
	s_mul_hi_u32 s22, s7, s20
	s_mul_i32 s20, s7, s20
	s_add_u32 s9, s9, s20
	s_mul_hi_u32 s21, s7, s8
	s_addc_u32 s3, s3, s22
	s_addc_u32 s9, s21, 0
	s_mul_i32 s8, s7, s8
	s_add_u32 s3, s3, s8
	s_addc_u32 s8, 0, s9
	s_mul_hi_u32 s9, s33, s3
	s_mul_i32 s3, s33, s3
	s_mul_i32 s8, s33, s8
	v_mov_b32_e32 v2, s3
	s_add_i32 s9, s9, s8
	v_sub_co_u32_e32 v2, vcc, s6, v2
	s_cmp_lg_u64 vcc, 0
	s_subb_u32 s3, s7, s9
	v_subrev_co_u32_e32 v3, vcc, s33, v2
	s_cmp_lg_u64 vcc, 0
	s_subb_u32 s6, s3, 0
	v_subrev_co_u32_e32 v4, vcc, s33, v3
	s_cmp_lg_u64 vcc, 0
	s_subb_u32 s7, s6, 0
	v_cmp_le_u32_e32 vcc, s33, v3
	s_cmp_eq_u32 s6, 0
	v_cndmask_b32_e64 v5, 0, -1, vcc
	s_cselect_b64 vcc, -1, 0
	v_cndmask_b32_e32 v5, -1, v5, vcc
	v_mov_b32_e32 v6, s6
	v_mov_b32_e32 v7, s7
	v_cmp_ne_u32_e32 vcc, 0, v5
	v_cndmask_b32_e32 v5, v6, v7, vcc
	v_cndmask_b32_e32 v3, v3, v4, vcc
	v_cmp_le_u32_e32 vcc, s33, v2
	s_cmp_eq_u32 s3, 0
	v_cndmask_b32_e64 v4, 0, -1, vcc
	s_cselect_b64 vcc, -1, 0
	v_cndmask_b32_e32 v4, -1, v4, vcc
	v_cmp_ne_u32_e32 vcc, 0, v4
	v_mov_b32_e32 v6, s3
	v_cndmask_b32_e32 v2, v2, v3, vcc
	v_cndmask_b32_e32 v4, v6, v5, vcc
	v_xor_b32_e32 v2, s2, v2
	v_xor_b32_e32 v3, s2, v4
	v_mov_b32_e32 v4, s2
	v_subrev_co_u32_e32 v2, vcc, s2, v2
	v_subb_co_u32_e32 v3, vcc, v3, v4, vcc
	s_cbranch_execnz .LBB52_135
.LBB52_134:                             ;   in Loop: Header=BB52_8 Depth=1
	v_cvt_f32_u32_e32 v2, s33
	s_sub_i32 s2, 0, s33
	v_rcp_iflag_f32_e32 v2, v2
	v_mul_f32_e32 v2, 0x4f7ffffe, v2
	v_cvt_u32_f32_e32 v2, v2
	v_mul_lo_u32 v3, s2, v2
	v_mul_hi_u32 v3, v2, v3
	v_add_u32_e32 v2, v2, v3
	v_mul_hi_u32 v2, s82, v2
	v_mul_lo_u32 v2, v2, s33
	v_sub_u32_e32 v2, s82, v2
	v_subrev_u32_e32 v3, s33, v2
	v_cmp_le_u32_e32 vcc, s33, v2
	v_cndmask_b32_e32 v2, v2, v3, vcc
	v_subrev_u32_e32 v3, s33, v2
	v_cmp_le_u32_e32 vcc, s33, v2
	v_cndmask_b32_e32 v12, v2, v3, vcc
	v_pk_mov_b32 v[2:3], v[12:13], v[12:13] op_sel:[0,1]
.LBB52_135:                             ;   in Loop: Header=BB52_8 Depth=1
	v_mov_b32_e32 v4, s47
	v_sub_co_u32_e32 v2, vcc, s82, v2
	v_subb_co_u32_e32 v3, vcc, v4, v3, vcc
	v_cmp_gt_i64_e32 vcc, v[2:3], v[0:1]
	s_mov_b64 s[2:3], 0
                                        ; implicit-def: $vgpr29
	s_and_saveexec_b64 s[8:9], vcc
	s_cbranch_execz .LBB52_148
; %bb.136:                              ;   in Loop: Header=BB52_8 Depth=1
	v_pk_mov_b32 v[4:5], v[10:11], v[10:11] op_sel:[0,1]
	v_pk_mov_b32 v[6:7], v[0:1], v[0:1] op_sel:[0,1]
                                        ; implicit-def: $sgpr20_sgpr21
	s_branch .LBB52_138
.LBB52_137:                             ;   in Loop: Header=BB52_138 Depth=2
	s_or_b64 exec, exec, s[6:7]
	s_waitcnt lgkmcnt(0)
	s_barrier
	ds_read_b64 v[28:29], v13 offset:3072
	v_mov_b32_e32 v8, s90
	v_add_co_u32_e64 v6, s[6:7], s33, v6
	v_addc_co_u32_e64 v7, s[6:7], v7, v8, s[6:7]
	s_waitcnt lgkmcnt(0)
	v_cmp_neq_f32_e32 vcc, 0, v28
	v_cmp_ge_i64_e64 s[6:7], v[6:7], v[2:3]
	s_or_b64 s[22:23], vcc, s[6:7]
	v_mov_b32_e32 v8, s71
	v_add_co_u32_e64 v4, s[6:7], s70, v4
	v_addc_co_u32_e64 v5, s[6:7], v5, v8, s[6:7]
	s_and_b64 s[6:7], exec, s[22:23]
	s_or_b64 s[2:3], s[6:7], s[2:3]
	s_andn2_b64 s[6:7], s[20:21], exec
	s_and_b64 s[20:21], vcc, exec
	s_or_b64 s[20:21], s[6:7], s[20:21]
	s_barrier
	s_andn2_b64 exec, exec, s[2:3]
	s_cbranch_execz .LBB52_147
.LBB52_138:                             ;   Parent Loop BB52_8 Depth=1
                                        ; =>  This Inner Loop Header: Depth=2
	v_cmp_gt_i64_e32 vcc, s[56:57], v[6:7]
	s_waitcnt vmcnt(0)
	v_mov_b32_e32 v27, 0
	s_and_saveexec_b64 s[6:7], vcc
	s_cbranch_execz .LBB52_140
; %bb.139:                              ;   in Loop: Header=BB52_138 Depth=2
	global_load_dword v27, v[4:5], off
.LBB52_140:                             ;   in Loop: Header=BB52_138 Depth=2
	s_or_b64 exec, exec, s[6:7]
	s_and_saveexec_b64 s[6:7], vcc
	s_cbranch_execz .LBB52_137
; %bb.141:                              ;   in Loop: Header=BB52_138 Depth=2
	s_waitcnt vmcnt(0)
	v_cmp_lt_i32_e32 vcc, -1, v27
	v_cndmask_b32_e32 v8, -1, v44, vcc
	v_xor_b32_e32 v8, v8, v27
	v_cmp_o_f32_e32 vcc, v27, v27
	v_cndmask_b32_e32 v8, -1, v8, vcc
	v_and_b32_e32 v8, s83, v8
	v_cmp_eq_u32_e32 vcc, s0, v8
	s_and_b64 exec, exec, vcc
	s_cbranch_execz .LBB52_137
; %bb.142:                              ;   in Loop: Header=BB52_138 Depth=2
	ds_write_b64 v13, v[26:27] offset:3072
	s_branch .LBB52_137
.LBB52_143:                             ;   in Loop: Header=BB52_8 Depth=1
                                        ; implicit-def: $sgpr22_sgpr23
                                        ; implicit-def: $sgpr24_sgpr25
                                        ; implicit-def: $sgpr20_sgpr21
	s_branch .LBB52_162
.LBB52_144:                             ;   in Loop: Header=BB52_8 Depth=1
                                        ; implicit-def: $vgpr2_vgpr3
	s_branch .LBB52_89
.LBB52_145:                             ;   in Loop: Header=BB52_8 Depth=1
                                        ; implicit-def: $vgpr2_vgpr3
	s_branch .LBB52_104
.LBB52_146:                             ;   in Loop: Header=BB52_8 Depth=1
	s_mov_b64 s[22:23], -1
	s_mov_b64 s[2:3], 0
                                        ; implicit-def: $sgpr20_sgpr21
                                        ; implicit-def: $vgpr29
	s_mov_b64 s[24:25], s[22:23]
	s_cbranch_execnz .LBB52_149
	s_branch .LBB52_162
.LBB52_147:                             ;   in Loop: Header=BB52_8 Depth=1
	s_or_b64 exec, exec, s[2:3]
	s_and_b64 s[2:3], s[20:21], exec
.LBB52_148:                             ;   in Loop: Header=BB52_8 Depth=1
	s_or_b64 exec, exec, s[8:9]
	s_mov_b64 s[20:21], -1
	s_mov_b64 s[22:23], 0
	s_mov_b64 s[24:25], s[22:23]
	s_branch .LBB52_162
.LBB52_149:                             ;   in Loop: Header=BB52_8 Depth=1
	v_readlane_b32 s2, v54, 24
	s_add_u32 s8, s2, s26
	v_readlane_b32 s2, v54, 25
	s_addc_u32 s3, s2, s27
	s_mov_b32 s2, s75
	s_cmp_lg_u64 s[2:3], 0
	s_cbranch_scc0 .LBB52_192
; %bb.150:                              ;   in Loop: Header=BB52_8 Depth=1
	v_cvt_f32_u32_e32 v2, s33
	s_sub_u32 s2, 0, s33
	s_subb_u32 s6, 0, 0
	v_mac_f32_e32 v2, 0x4f800000, v45
	v_rcp_f32_e32 v2, v2
	v_mul_f32_e32 v2, 0x5f7ffffc, v2
	v_mul_f32_e32 v3, 0x2f800000, v2
	v_trunc_f32_e32 v3, v3
	v_mac_f32_e32 v2, 0xcf800000, v3
	v_cvt_u32_f32_e32 v3, v3
	v_cvt_u32_f32_e32 v2, v2
	v_readfirstlane_b32 s7, v3
	v_readfirstlane_b32 s9, v2
	s_mul_i32 s20, s2, s7
	s_mul_hi_u32 s22, s2, s9
	s_mul_i32 s21, s6, s9
	s_add_i32 s20, s22, s20
	s_mul_i32 s23, s2, s9
	s_add_i32 s20, s20, s21
	s_mul_hi_u32 s22, s9, s23
	s_mul_hi_u32 s21, s9, s20
	s_mul_i32 s9, s9, s20
	s_add_u32 s9, s22, s9
	s_addc_u32 s21, 0, s21
	s_mul_hi_u32 s24, s7, s23
	s_mul_i32 s23, s7, s23
	s_add_u32 s9, s9, s23
	s_mul_hi_u32 s22, s7, s20
	s_addc_u32 s9, s21, s24
	s_addc_u32 s21, s22, 0
	s_mul_i32 s20, s7, s20
	s_add_u32 s9, s9, s20
	s_addc_u32 s20, 0, s21
	v_add_co_u32_e32 v2, vcc, s9, v2
	s_cmp_lg_u64 vcc, 0
	s_addc_u32 s7, s7, s20
	v_readfirstlane_b32 s20, v2
	s_mul_i32 s9, s2, s7
	s_mul_hi_u32 s21, s2, s20
	s_add_i32 s9, s21, s9
	s_mul_i32 s6, s6, s20
	s_add_i32 s9, s9, s6
	s_mul_i32 s2, s2, s20
	s_mul_hi_u32 s21, s7, s2
	s_mul_i32 s22, s7, s2
	s_mul_i32 s24, s20, s9
	s_mul_hi_u32 s2, s20, s2
	s_mul_hi_u32 s23, s20, s9
	s_add_u32 s2, s2, s24
	s_addc_u32 s20, 0, s23
	s_add_u32 s2, s2, s22
	s_mul_hi_u32 s6, s7, s9
	s_addc_u32 s2, s20, s21
	s_addc_u32 s6, s6, 0
	s_mul_i32 s9, s7, s9
	s_add_u32 s2, s2, s9
	s_addc_u32 s6, 0, s6
	v_add_co_u32_e32 v2, vcc, s2, v2
	s_cmp_lg_u64 vcc, 0
	s_addc_u32 s2, s7, s6
	s_ashr_i32 s6, s3, 31
	s_add_u32 s20, s8, s6
	s_mov_b32 s7, s6
	s_addc_u32 s21, s3, s6
	s_xor_b64 s[20:21], s[20:21], s[6:7]
	v_readfirstlane_b32 s22, v2
	s_mul_i32 s9, s20, s2
	s_mul_hi_u32 s23, s20, s22
	s_mul_hi_u32 s7, s20, s2
	s_add_u32 s9, s23, s9
	s_addc_u32 s7, 0, s7
	s_mul_hi_u32 s24, s21, s22
	s_mul_i32 s22, s21, s22
	s_add_u32 s9, s9, s22
	s_mul_hi_u32 s23, s21, s2
	s_addc_u32 s7, s7, s24
	s_addc_u32 s9, s23, 0
	s_mul_i32 s2, s21, s2
	s_add_u32 s2, s7, s2
	s_addc_u32 s7, 0, s9
	s_mul_hi_u32 s9, s33, s2
	s_mul_i32 s2, s33, s2
	s_mul_i32 s7, s33, s7
	v_mov_b32_e32 v2, s2
	s_add_i32 s9, s9, s7
	v_sub_co_u32_e32 v2, vcc, s20, v2
	s_cmp_lg_u64 vcc, 0
	s_subb_u32 s2, s21, s9
	v_subrev_co_u32_e32 v3, vcc, s33, v2
	s_cmp_lg_u64 vcc, 0
	s_subb_u32 s7, s2, 0
	v_subrev_co_u32_e32 v4, vcc, s33, v3
	s_cmp_lg_u64 vcc, 0
	s_subb_u32 s9, s7, 0
	v_cmp_le_u32_e32 vcc, s33, v3
	s_cmp_eq_u32 s7, 0
	v_cndmask_b32_e64 v5, 0, -1, vcc
	s_cselect_b64 vcc, -1, 0
	v_cndmask_b32_e32 v5, -1, v5, vcc
	v_mov_b32_e32 v6, s7
	v_mov_b32_e32 v7, s9
	v_cmp_ne_u32_e32 vcc, 0, v5
	v_cndmask_b32_e32 v5, v6, v7, vcc
	v_cndmask_b32_e32 v3, v3, v4, vcc
	v_cmp_le_u32_e32 vcc, s33, v2
	s_cmp_eq_u32 s2, 0
	v_cndmask_b32_e64 v4, 0, -1, vcc
	s_cselect_b64 vcc, -1, 0
	v_cndmask_b32_e32 v4, -1, v4, vcc
	v_cmp_ne_u32_e32 vcc, 0, v4
	v_mov_b32_e32 v6, s2
	v_cndmask_b32_e32 v2, v2, v3, vcc
	v_cndmask_b32_e32 v4, v6, v5, vcc
	v_xor_b32_e32 v2, s6, v2
	v_xor_b32_e32 v3, s6, v4
	v_mov_b32_e32 v4, s6
	v_subrev_co_u32_e32 v2, vcc, s6, v2
	v_subb_co_u32_e32 v3, vcc, v3, v4, vcc
	s_cbranch_execnz .LBB52_152
.LBB52_151:                             ;   in Loop: Header=BB52_8 Depth=1
	v_cvt_f32_u32_e32 v2, s33
	s_sub_i32 s2, 0, s33
	v_rcp_iflag_f32_e32 v2, v2
	v_mul_f32_e32 v2, 0x4f7ffffe, v2
	v_cvt_u32_f32_e32 v2, v2
	v_mul_lo_u32 v3, s2, v2
	v_mul_hi_u32 v3, v2, v3
	v_add_u32_e32 v2, v2, v3
	v_mul_hi_u32 v2, s8, v2
	v_mul_lo_u32 v2, v2, s33
	v_sub_u32_e32 v2, s8, v2
	v_subrev_u32_e32 v3, s33, v2
	v_cmp_le_u32_e32 vcc, s33, v2
	v_cndmask_b32_e32 v2, v2, v3, vcc
	v_subrev_u32_e32 v3, s33, v2
	v_cmp_le_u32_e32 vcc, s33, v2
	v_cndmask_b32_e32 v12, v2, v3, vcc
	v_pk_mov_b32 v[2:3], v[12:13], v[12:13] op_sel:[0,1]
.LBB52_152:                             ;   in Loop: Header=BB52_8 Depth=1
	v_mov_b32_e32 v4, s3
	v_sub_co_u32_e32 v2, vcc, s8, v2
	v_subb_co_u32_e32 v3, vcc, v4, v3, vcc
	v_cmp_gt_i64_e32 vcc, v[2:3], v[0:1]
	s_mov_b64 s[2:3], 0
                                        ; implicit-def: $vgpr29
	s_and_saveexec_b64 s[8:9], vcc
	s_cbranch_execz .LBB52_161
; %bb.153:                              ;   in Loop: Header=BB52_8 Depth=1
	v_mov_b32_e32 v6, v14
	v_pk_mov_b32 v[4:5], v[0:1], v[0:1] op_sel:[0,1]
                                        ; implicit-def: $sgpr20_sgpr21
	s_branch .LBB52_155
.LBB52_154:                             ;   in Loop: Header=BB52_155 Depth=2
	s_or_b64 exec, exec, s[6:7]
	s_waitcnt lgkmcnt(0)
	s_barrier
	ds_read_b64 v[28:29], v13 offset:3072
	v_mov_b32_e32 v7, s90
	v_add_co_u32_e64 v4, s[6:7], s33, v4
	v_addc_co_u32_e64 v5, s[6:7], v5, v7, s[6:7]
	s_waitcnt lgkmcnt(0)
	v_cmp_neq_f32_e32 vcc, 0, v28
	v_cmp_ge_i64_e64 s[6:7], v[4:5], v[2:3]
	s_or_b64 s[6:7], vcc, s[6:7]
	s_and_b64 s[6:7], exec, s[6:7]
	s_or_b64 s[2:3], s[6:7], s[2:3]
	s_andn2_b64 s[6:7], s[20:21], exec
	s_and_b64 s[20:21], vcc, exec
	v_add_u32_e32 v6, s76, v6
	s_or_b64 s[20:21], s[6:7], s[20:21]
	s_barrier
	s_andn2_b64 exec, exec, s[2:3]
	s_cbranch_execz .LBB52_160
.LBB52_155:                             ;   Parent Loop BB52_8 Depth=1
                                        ; =>  This Inner Loop Header: Depth=2
	v_cmp_gt_i64_e32 vcc, s[26:27], v[4:5]
	s_waitcnt vmcnt(0)
	v_mov_b32_e32 v27, 0
	s_and_saveexec_b64 s[6:7], vcc
	s_cbranch_execz .LBB52_157
; %bb.156:                              ;   in Loop: Header=BB52_155 Depth=2
	ds_read_b32 v27, v6
.LBB52_157:                             ;   in Loop: Header=BB52_155 Depth=2
	s_or_b64 exec, exec, s[6:7]
	s_and_saveexec_b64 s[6:7], vcc
	s_cbranch_execz .LBB52_154
; %bb.158:                              ;   in Loop: Header=BB52_155 Depth=2
	s_waitcnt lgkmcnt(0)
	v_cmp_lt_i32_e32 vcc, -1, v27
	v_cndmask_b32_e32 v7, -1, v44, vcc
	v_xor_b32_e32 v7, v7, v27
	v_cmp_o_f32_e32 vcc, v27, v27
	v_cndmask_b32_e32 v7, -1, v7, vcc
	v_and_b32_e32 v7, s83, v7
	v_cmp_eq_u32_e32 vcc, s0, v7
	s_and_b64 exec, exec, vcc
	s_cbranch_execz .LBB52_154
; %bb.159:                              ;   in Loop: Header=BB52_155 Depth=2
	ds_write_b64 v13, v[26:27] offset:3072
	s_branch .LBB52_154
.LBB52_160:                             ;   in Loop: Header=BB52_8 Depth=1
	s_or_b64 exec, exec, s[2:3]
	s_and_b64 s[2:3], s[20:21], exec
.LBB52_161:                             ;   in Loop: Header=BB52_8 Depth=1
	s_or_b64 exec, exec, s[8:9]
	s_mov_b64 s[24:25], -1
	s_mov_b64 s[22:23], 0
	s_mov_b64 s[20:21], 0
.LBB52_162:                             ;   in Loop: Header=BB52_8 Depth=1
	s_mov_b64 s[6:7], 0
                                        ; implicit-def: $sgpr46
	s_and_saveexec_b64 s[26:27], s[2:3]
	s_cbranch_execz .LBB52_273
; %bb.163:                              ;   in Loop: Header=BB52_8 Depth=1
	s_xor_b64 s[2:3], s[34:35], -1
	s_andn2_b64 vcc, exec, s[2:3]
	s_mov_b32 s46, 1
	s_cbranch_vccnz .LBB52_174
; %bb.164:                              ;   in Loop: Header=BB52_8 Depth=1
	v_pk_mov_b32 v[2:3], s[30:31], s[30:31] op_sel:[0,1]
	v_cmp_gt_i64_e32 vcc, s[58:59], v[2:3]
	s_mov_b64 s[2:3], -1
                                        ; implicit-def: $sgpr46
                                        ; implicit-def: $sgpr6
                                        ; implicit-def: $sgpr7
	s_cbranch_vccnz .LBB52_170
; %bb.165:                              ;   in Loop: Header=BB52_8 Depth=1
	ds_read_b64 v[2:3], v13 offset:5120
	s_waitcnt lgkmcnt(0)
	v_cmp_ne_u64_e32 vcc, 0, v[2:3]
	s_cbranch_vccnz .LBB52_169
; %bb.166:                              ;   in Loop: Header=BB52_8 Depth=1
	s_mov_b64 s[2:3], exec
	v_readlane_b32 s6, v54, 8
	v_readlane_b32 s7, v54, 9
	s_and_b64 s[6:7], s[2:3], s[6:7]
	s_mov_b64 exec, s[6:7]
	s_cbranch_execz .LBB52_168
; %bb.167:                              ;   in Loop: Header=BB52_8 Depth=1
	v_pk_mov_b32 v[2:3], s[30:31], s[30:31] op_sel:[0,1]
	ds_write_b64 v13, v[2:3] offset:5128
.LBB52_168:                             ;   in Loop: Header=BB52_8 Depth=1
	s_or_b64 exec, exec, s[2:3]
	s_waitcnt lgkmcnt(0)
	s_barrier
.LBB52_169:                             ;   in Loop: Header=BB52_8 Depth=1
	s_lshl_b32 s2, 1, s42
	s_and_b32 s3, s0, s43
	s_or_b32 s6, s3, s2
	s_or_b32 s7, s83, s1
	s_mov_b64 s[2:3], 0
	s_mov_b32 s46, 8
.LBB52_170:                             ;   in Loop: Header=BB52_8 Depth=1
	s_andn2_b64 vcc, exec, s[2:3]
	s_cbranch_vccnz .LBB52_172
; %bb.171:                              ;   in Loop: Header=BB52_8 Depth=1
	s_sub_u32 s58, s58, s30
	s_subb_u32 s59, s59, s31
	s_mov_b64 s[2:3], -1
	s_mov_b32 s46, 0
	s_mov_b32 s6, s0
	;; [unrolled: 1-line block ×3, first 2 shown]
.LBB52_172:                             ;   in Loop: Header=BB52_8 Depth=1
	s_mov_b32 s83, s7
	s_mov_b32 s0, s6
	s_andn2_b64 vcc, exec, s[2:3]
	s_mov_b64 s[6:7], -1
	s_cbranch_vccz .LBB52_175
.LBB52_173:                             ;   in Loop: Header=BB52_8 Depth=1
                                        ; implicit-def: $sgpr34_sgpr35
                                        ; implicit-def: $sgpr36_sgpr37
                                        ; implicit-def: $sgpr30_sgpr31
	s_branch .LBB52_272
.LBB52_174:                             ;   in Loop: Header=BB52_8 Depth=1
	s_mov_b64 s[58:59], 1
	s_mov_b64 s[6:7], -1
	s_cbranch_execnz .LBB52_173
.LBB52_175:                             ;   in Loop: Header=BB52_8 Depth=1
	s_cmp_eq_u64 s[18:19], 1
	s_cselect_b64 s[2:3], -1, 0
	s_cmp_eq_u64 s[58:59], 1
	s_cselect_b64 s[6:7], -1, 0
	s_and_b64 s[40:41], s[2:3], s[6:7]
	s_mov_b64 s[2:3], -1
	s_and_b64 vcc, exec, s[40:41]
	s_cbranch_vccz .LBB52_190
; %bb.176:                              ;   in Loop: Header=BB52_8 Depth=1
	ds_read_b64 v[2:3], v13 offset:5120
	s_waitcnt lgkmcnt(0)
	s_barrier
	v_readfirstlane_b32 s38, v2
	v_readfirstlane_b32 s39, v3
	s_mov_b64 s[2:3], exec
	v_readlane_b32 s6, v54, 12
	v_readlane_b32 s7, v54, 13
	s_and_b64 s[6:7], s[2:3], s[6:7]
	s_mov_b64 exec, s[6:7]
	s_cbranch_execz .LBB52_178
; %bb.177:                              ;   in Loop: Header=BB52_8 Depth=1
	ds_write_b32 v37, v13
.LBB52_178:                             ;   in Loop: Header=BB52_8 Depth=1
	s_or_b64 exec, exec, s[2:3]
	s_lshl_b32 s2, 2, s42
	s_and_b32 s0, s0, s43
	s_or_b32 s0, s0, s2
	v_cmp_gt_i64_e64 s[2:3], s[38:39], 0
	s_or_b32 s83, s83, s1
	s_and_b64 vcc, exec, s[2:3]
	s_waitcnt lgkmcnt(0)
	s_barrier
	s_cbranch_vccnz .LBB52_193
; %bb.179:                              ;   in Loop: Header=BB52_8 Depth=1
	s_mov_b32 s46, s75
	s_cmp_lg_u64 s[46:47], 0
	s_cbranch_scc0 .LBB52_238
; %bb.180:                              ;   in Loop: Header=BB52_8 Depth=1
	v_cvt_f32_u32_e32 v2, s33
	s_sub_u32 s2, 0, s33
	s_subb_u32 s3, 0, 0
	v_mac_f32_e32 v2, 0x4f800000, v45
	v_rcp_f32_e32 v2, v2
	v_mul_f32_e32 v2, 0x5f7ffffc, v2
	v_mul_f32_e32 v3, 0x2f800000, v2
	v_trunc_f32_e32 v3, v3
	v_mac_f32_e32 v2, 0xcf800000, v3
	v_cvt_u32_f32_e32 v3, v3
	v_cvt_u32_f32_e32 v2, v2
	v_readfirstlane_b32 s6, v3
	v_readfirstlane_b32 s7, v2
	s_mul_i32 s8, s2, s6
	s_mul_hi_u32 s28, s2, s7
	s_mul_i32 s9, s3, s7
	s_add_i32 s8, s28, s8
	s_mul_i32 s29, s2, s7
	s_add_i32 s8, s8, s9
	s_mul_hi_u32 s28, s7, s29
	s_mul_hi_u32 s9, s7, s8
	s_mul_i32 s7, s7, s8
	s_add_u32 s7, s28, s7
	s_addc_u32 s9, 0, s9
	s_mul_hi_u32 s30, s6, s29
	s_mul_i32 s29, s6, s29
	s_add_u32 s7, s7, s29
	s_mul_hi_u32 s28, s6, s8
	s_addc_u32 s7, s9, s30
	s_addc_u32 s9, s28, 0
	s_mul_i32 s8, s6, s8
	s_add_u32 s7, s7, s8
	s_addc_u32 s8, 0, s9
	v_add_co_u32_e32 v2, vcc, s7, v2
	s_cmp_lg_u64 vcc, 0
	s_addc_u32 s6, s6, s8
	v_readfirstlane_b32 s8, v2
	s_mul_i32 s7, s2, s6
	s_mul_hi_u32 s9, s2, s8
	s_add_i32 s7, s9, s7
	s_mul_i32 s3, s3, s8
	s_add_i32 s7, s7, s3
	s_mul_i32 s2, s2, s8
	s_mul_hi_u32 s9, s6, s2
	s_mul_i32 s28, s6, s2
	s_mul_i32 s30, s8, s7
	s_mul_hi_u32 s2, s8, s2
	s_mul_hi_u32 s29, s8, s7
	s_add_u32 s2, s2, s30
	s_addc_u32 s8, 0, s29
	s_add_u32 s2, s2, s28
	s_mul_hi_u32 s3, s6, s7
	s_addc_u32 s2, s8, s9
	s_addc_u32 s3, s3, 0
	s_mul_i32 s7, s6, s7
	s_add_u32 s2, s2, s7
	s_addc_u32 s3, 0, s3
	v_add_co_u32_e32 v2, vcc, s2, v2
	s_cmp_lg_u64 vcc, 0
	s_addc_u32 s8, s6, s3
	s_ashr_i32 s2, s47, 31
	s_add_u32 s6, s82, s2
	s_mov_b32 s3, s2
	s_addc_u32 s7, s47, s2
	s_xor_b64 s[6:7], s[6:7], s[2:3]
	v_readfirstlane_b32 s28, v2
	s_mul_i32 s9, s6, s8
	s_mul_hi_u32 s29, s6, s28
	s_mul_hi_u32 s3, s6, s8
	s_add_u32 s9, s29, s9
	s_addc_u32 s3, 0, s3
	s_mul_hi_u32 s30, s7, s28
	s_mul_i32 s28, s7, s28
	s_add_u32 s9, s9, s28
	s_mul_hi_u32 s29, s7, s8
	s_addc_u32 s3, s3, s30
	s_addc_u32 s9, s29, 0
	s_mul_i32 s8, s7, s8
	s_add_u32 s3, s3, s8
	s_addc_u32 s8, 0, s9
	s_mul_hi_u32 s9, s33, s3
	s_mul_i32 s3, s33, s3
	s_mul_i32 s8, s33, s8
	v_mov_b32_e32 v2, s3
	s_add_i32 s9, s9, s8
	v_sub_co_u32_e32 v2, vcc, s6, v2
	s_cmp_lg_u64 vcc, 0
	s_subb_u32 s3, s7, s9
	v_subrev_co_u32_e32 v3, vcc, s33, v2
	s_cmp_lg_u64 vcc, 0
	s_subb_u32 s6, s3, 0
	v_subrev_co_u32_e32 v4, vcc, s33, v3
	s_cmp_lg_u64 vcc, 0
	s_subb_u32 s7, s6, 0
	v_cmp_le_u32_e32 vcc, s33, v3
	s_cmp_eq_u32 s6, 0
	v_cndmask_b32_e64 v5, 0, -1, vcc
	s_cselect_b64 vcc, -1, 0
	v_cndmask_b32_e32 v5, -1, v5, vcc
	v_mov_b32_e32 v6, s6
	v_mov_b32_e32 v7, s7
	v_cmp_ne_u32_e32 vcc, 0, v5
	v_cndmask_b32_e32 v5, v6, v7, vcc
	v_cndmask_b32_e32 v3, v3, v4, vcc
	v_cmp_le_u32_e32 vcc, s33, v2
	s_cmp_eq_u32 s3, 0
	v_cndmask_b32_e64 v4, 0, -1, vcc
	s_cselect_b64 vcc, -1, 0
	v_cndmask_b32_e32 v4, -1, v4, vcc
	v_cmp_ne_u32_e32 vcc, 0, v4
	v_mov_b32_e32 v6, s3
	v_cndmask_b32_e32 v2, v2, v3, vcc
	v_cndmask_b32_e32 v4, v6, v5, vcc
	v_xor_b32_e32 v2, s2, v2
	v_xor_b32_e32 v3, s2, v4
	v_mov_b32_e32 v4, s2
	v_subrev_co_u32_e32 v2, vcc, s2, v2
	v_subb_co_u32_e32 v3, vcc, v3, v4, vcc
	s_cbranch_execnz .LBB52_182
.LBB52_181:                             ;   in Loop: Header=BB52_8 Depth=1
	v_cvt_f32_u32_e32 v2, s33
	s_sub_i32 s2, 0, s33
	v_rcp_iflag_f32_e32 v2, v2
	v_mul_f32_e32 v2, 0x4f7ffffe, v2
	v_cvt_u32_f32_e32 v2, v2
	v_mul_lo_u32 v3, s2, v2
	v_mul_hi_u32 v3, v2, v3
	v_add_u32_e32 v2, v2, v3
	v_mul_hi_u32 v2, s82, v2
	v_mul_lo_u32 v2, v2, s33
	v_sub_u32_e32 v2, s82, v2
	v_subrev_u32_e32 v3, s33, v2
	v_cmp_le_u32_e32 vcc, s33, v2
	v_cndmask_b32_e32 v2, v2, v3, vcc
	v_subrev_u32_e32 v3, s33, v2
	v_cmp_le_u32_e32 vcc, s33, v2
	v_cndmask_b32_e32 v12, v2, v3, vcc
	v_pk_mov_b32 v[2:3], v[12:13], v[12:13] op_sel:[0,1]
.LBB52_182:                             ;   in Loop: Header=BB52_8 Depth=1
	v_mov_b32_e32 v4, s47
	v_sub_co_u32_e32 v2, vcc, s82, v2
	v_subb_co_u32_e32 v3, vcc, v4, v3, vcc
	v_cmp_gt_i64_e32 vcc, v[2:3], v[0:1]
	s_mov_b64 s[2:3], 0
                                        ; implicit-def: $vgpr29
	s_and_saveexec_b64 s[8:9], vcc
	s_cbranch_execz .LBB52_195
; %bb.183:                              ;   in Loop: Header=BB52_8 Depth=1
	v_pk_mov_b32 v[4:5], v[10:11], v[10:11] op_sel:[0,1]
	v_pk_mov_b32 v[6:7], v[0:1], v[0:1] op_sel:[0,1]
                                        ; implicit-def: $sgpr28_sgpr29
	s_branch .LBB52_185
.LBB52_184:                             ;   in Loop: Header=BB52_185 Depth=2
	s_or_b64 exec, exec, s[6:7]
	s_waitcnt lgkmcnt(0)
	s_barrier
	ds_read_b64 v[28:29], v13 offset:3072
	v_mov_b32_e32 v8, s90
	v_add_co_u32_e64 v6, s[6:7], s33, v6
	v_addc_co_u32_e64 v7, s[6:7], v7, v8, s[6:7]
	s_waitcnt lgkmcnt(0)
	v_cmp_neq_f32_e32 vcc, 0, v28
	v_cmp_ge_i64_e64 s[6:7], v[6:7], v[2:3]
	s_or_b64 s[30:31], vcc, s[6:7]
	v_mov_b32_e32 v8, s71
	v_add_co_u32_e64 v4, s[6:7], s70, v4
	v_addc_co_u32_e64 v5, s[6:7], v5, v8, s[6:7]
	s_and_b64 s[6:7], exec, s[30:31]
	s_or_b64 s[2:3], s[6:7], s[2:3]
	s_andn2_b64 s[6:7], s[28:29], exec
	s_and_b64 s[28:29], vcc, exec
	s_or_b64 s[28:29], s[6:7], s[28:29]
	s_barrier
	s_andn2_b64 exec, exec, s[2:3]
	s_cbranch_execz .LBB52_194
.LBB52_185:                             ;   Parent Loop BB52_8 Depth=1
                                        ; =>  This Inner Loop Header: Depth=2
	v_cmp_gt_i64_e32 vcc, s[56:57], v[6:7]
	s_waitcnt vmcnt(0)
	v_mov_b32_e32 v27, 0
	s_and_saveexec_b64 s[6:7], vcc
	s_cbranch_execz .LBB52_187
; %bb.186:                              ;   in Loop: Header=BB52_185 Depth=2
	global_load_dword v27, v[4:5], off
.LBB52_187:                             ;   in Loop: Header=BB52_185 Depth=2
	s_or_b64 exec, exec, s[6:7]
	s_and_saveexec_b64 s[6:7], vcc
	s_cbranch_execz .LBB52_184
; %bb.188:                              ;   in Loop: Header=BB52_185 Depth=2
	s_waitcnt vmcnt(0)
	v_cmp_lt_i32_e32 vcc, -1, v27
	v_cndmask_b32_e32 v8, -1, v44, vcc
	v_xor_b32_e32 v8, v8, v27
	v_cmp_o_f32_e32 vcc, v27, v27
	v_cndmask_b32_e32 v8, -1, v8, vcc
	v_and_b32_e32 v8, s83, v8
	v_cmp_eq_u32_e32 vcc, s0, v8
	s_and_b64 exec, exec, vcc
	s_cbranch_execz .LBB52_184
; %bb.189:                              ;   in Loop: Header=BB52_185 Depth=2
	ds_write_b64 v13, v[26:27] offset:3072
	s_branch .LBB52_184
.LBB52_190:                             ;   in Loop: Header=BB52_8 Depth=1
                                        ; implicit-def: $sgpr30_sgpr31
                                        ; implicit-def: $sgpr36_sgpr37
                                        ; implicit-def: $sgpr34_sgpr35
	s_branch .LBB52_209
.LBB52_191:                             ;   in Loop: Header=BB52_8 Depth=1
                                        ; implicit-def: $vgpr2_vgpr3
	s_branch .LBB52_134
.LBB52_192:                             ;   in Loop: Header=BB52_8 Depth=1
                                        ; implicit-def: $vgpr2_vgpr3
	s_branch .LBB52_151
.LBB52_193:                             ;   in Loop: Header=BB52_8 Depth=1
	s_mov_b64 s[30:31], -1
	s_mov_b64 s[2:3], 0
                                        ; implicit-def: $sgpr34_sgpr35
                                        ; implicit-def: $vgpr29
	s_mov_b64 s[36:37], s[30:31]
	s_cbranch_execnz .LBB52_196
	s_branch .LBB52_209
.LBB52_194:                             ;   in Loop: Header=BB52_8 Depth=1
	s_or_b64 exec, exec, s[2:3]
	s_and_b64 s[2:3], s[28:29], exec
.LBB52_195:                             ;   in Loop: Header=BB52_8 Depth=1
	s_or_b64 exec, exec, s[8:9]
	s_mov_b64 s[34:35], -1
	s_mov_b64 s[30:31], 0
	s_mov_b64 s[36:37], s[30:31]
	s_branch .LBB52_209
.LBB52_196:                             ;   in Loop: Header=BB52_8 Depth=1
	v_readlane_b32 s2, v54, 24
	s_add_u32 s8, s2, s38
	v_readlane_b32 s2, v54, 25
	s_addc_u32 s3, s2, s39
	s_mov_b32 s2, s75
	s_cmp_lg_u64 s[2:3], 0
	s_cbranch_scc0 .LBB52_239
; %bb.197:                              ;   in Loop: Header=BB52_8 Depth=1
	v_cvt_f32_u32_e32 v2, s33
	s_sub_u32 s2, 0, s33
	s_subb_u32 s6, 0, 0
	v_mac_f32_e32 v2, 0x4f800000, v45
	v_rcp_f32_e32 v2, v2
	v_mul_f32_e32 v2, 0x5f7ffffc, v2
	v_mul_f32_e32 v3, 0x2f800000, v2
	v_trunc_f32_e32 v3, v3
	v_mac_f32_e32 v2, 0xcf800000, v3
	v_cvt_u32_f32_e32 v3, v3
	v_cvt_u32_f32_e32 v2, v2
	v_readfirstlane_b32 s7, v3
	v_readfirstlane_b32 s9, v2
	s_mul_i32 s28, s2, s7
	s_mul_hi_u32 s30, s2, s9
	s_mul_i32 s29, s6, s9
	s_add_i32 s28, s30, s28
	s_mul_i32 s31, s2, s9
	s_add_i32 s28, s28, s29
	s_mul_hi_u32 s30, s9, s31
	s_mul_hi_u32 s29, s9, s28
	s_mul_i32 s9, s9, s28
	s_add_u32 s9, s30, s9
	s_addc_u32 s29, 0, s29
	s_mul_hi_u32 s34, s7, s31
	s_mul_i32 s31, s7, s31
	s_add_u32 s9, s9, s31
	s_mul_hi_u32 s30, s7, s28
	s_addc_u32 s9, s29, s34
	s_addc_u32 s29, s30, 0
	s_mul_i32 s28, s7, s28
	s_add_u32 s9, s9, s28
	s_addc_u32 s28, 0, s29
	v_add_co_u32_e32 v2, vcc, s9, v2
	s_cmp_lg_u64 vcc, 0
	s_addc_u32 s7, s7, s28
	v_readfirstlane_b32 s28, v2
	s_mul_i32 s9, s2, s7
	s_mul_hi_u32 s29, s2, s28
	s_add_i32 s9, s29, s9
	s_mul_i32 s6, s6, s28
	s_add_i32 s9, s9, s6
	s_mul_i32 s2, s2, s28
	s_mul_hi_u32 s29, s7, s2
	s_mul_i32 s30, s7, s2
	s_mul_i32 s34, s28, s9
	s_mul_hi_u32 s2, s28, s2
	s_mul_hi_u32 s31, s28, s9
	s_add_u32 s2, s2, s34
	s_addc_u32 s28, 0, s31
	s_add_u32 s2, s2, s30
	s_mul_hi_u32 s6, s7, s9
	s_addc_u32 s2, s28, s29
	s_addc_u32 s6, s6, 0
	s_mul_i32 s9, s7, s9
	s_add_u32 s2, s2, s9
	s_addc_u32 s6, 0, s6
	v_add_co_u32_e32 v2, vcc, s2, v2
	s_cmp_lg_u64 vcc, 0
	s_addc_u32 s2, s7, s6
	s_ashr_i32 s6, s3, 31
	s_add_u32 s28, s8, s6
	s_mov_b32 s7, s6
	s_addc_u32 s29, s3, s6
	s_xor_b64 s[28:29], s[28:29], s[6:7]
	v_readfirstlane_b32 s30, v2
	s_mul_i32 s9, s28, s2
	s_mul_hi_u32 s31, s28, s30
	s_mul_hi_u32 s7, s28, s2
	s_add_u32 s9, s31, s9
	s_addc_u32 s7, 0, s7
	s_mul_hi_u32 s34, s29, s30
	s_mul_i32 s30, s29, s30
	s_add_u32 s9, s9, s30
	s_mul_hi_u32 s31, s29, s2
	s_addc_u32 s7, s7, s34
	s_addc_u32 s9, s31, 0
	s_mul_i32 s2, s29, s2
	s_add_u32 s2, s7, s2
	s_addc_u32 s7, 0, s9
	s_mul_hi_u32 s9, s33, s2
	s_mul_i32 s2, s33, s2
	s_mul_i32 s7, s33, s7
	v_mov_b32_e32 v2, s2
	s_add_i32 s9, s9, s7
	v_sub_co_u32_e32 v2, vcc, s28, v2
	s_cmp_lg_u64 vcc, 0
	s_subb_u32 s2, s29, s9
	v_subrev_co_u32_e32 v3, vcc, s33, v2
	s_cmp_lg_u64 vcc, 0
	s_subb_u32 s7, s2, 0
	v_subrev_co_u32_e32 v4, vcc, s33, v3
	s_cmp_lg_u64 vcc, 0
	s_subb_u32 s9, s7, 0
	v_cmp_le_u32_e32 vcc, s33, v3
	s_cmp_eq_u32 s7, 0
	v_cndmask_b32_e64 v5, 0, -1, vcc
	s_cselect_b64 vcc, -1, 0
	v_cndmask_b32_e32 v5, -1, v5, vcc
	v_mov_b32_e32 v6, s7
	v_mov_b32_e32 v7, s9
	v_cmp_ne_u32_e32 vcc, 0, v5
	v_cndmask_b32_e32 v5, v6, v7, vcc
	v_cndmask_b32_e32 v3, v3, v4, vcc
	v_cmp_le_u32_e32 vcc, s33, v2
	s_cmp_eq_u32 s2, 0
	v_cndmask_b32_e64 v4, 0, -1, vcc
	s_cselect_b64 vcc, -1, 0
	v_cndmask_b32_e32 v4, -1, v4, vcc
	v_cmp_ne_u32_e32 vcc, 0, v4
	v_mov_b32_e32 v6, s2
	v_cndmask_b32_e32 v2, v2, v3, vcc
	v_cndmask_b32_e32 v4, v6, v5, vcc
	v_xor_b32_e32 v2, s6, v2
	v_xor_b32_e32 v3, s6, v4
	v_mov_b32_e32 v4, s6
	v_subrev_co_u32_e32 v2, vcc, s6, v2
	v_subb_co_u32_e32 v3, vcc, v3, v4, vcc
	s_cbranch_execnz .LBB52_199
.LBB52_198:                             ;   in Loop: Header=BB52_8 Depth=1
	v_cvt_f32_u32_e32 v2, s33
	s_sub_i32 s2, 0, s33
	v_rcp_iflag_f32_e32 v2, v2
	v_mul_f32_e32 v2, 0x4f7ffffe, v2
	v_cvt_u32_f32_e32 v2, v2
	v_mul_lo_u32 v3, s2, v2
	v_mul_hi_u32 v3, v2, v3
	v_add_u32_e32 v2, v2, v3
	v_mul_hi_u32 v2, s8, v2
	v_mul_lo_u32 v2, v2, s33
	v_sub_u32_e32 v2, s8, v2
	v_subrev_u32_e32 v3, s33, v2
	v_cmp_le_u32_e32 vcc, s33, v2
	v_cndmask_b32_e32 v2, v2, v3, vcc
	v_subrev_u32_e32 v3, s33, v2
	v_cmp_le_u32_e32 vcc, s33, v2
	v_cndmask_b32_e32 v12, v2, v3, vcc
	v_pk_mov_b32 v[2:3], v[12:13], v[12:13] op_sel:[0,1]
.LBB52_199:                             ;   in Loop: Header=BB52_8 Depth=1
	v_mov_b32_e32 v4, s3
	v_sub_co_u32_e32 v2, vcc, s8, v2
	v_subb_co_u32_e32 v3, vcc, v4, v3, vcc
	v_cmp_gt_i64_e32 vcc, v[2:3], v[0:1]
	s_mov_b64 s[2:3], 0
                                        ; implicit-def: $vgpr29
	s_and_saveexec_b64 s[8:9], vcc
	s_cbranch_execz .LBB52_208
; %bb.200:                              ;   in Loop: Header=BB52_8 Depth=1
	v_mov_b32_e32 v6, v14
	v_pk_mov_b32 v[4:5], v[0:1], v[0:1] op_sel:[0,1]
                                        ; implicit-def: $sgpr28_sgpr29
	s_branch .LBB52_202
.LBB52_201:                             ;   in Loop: Header=BB52_202 Depth=2
	s_or_b64 exec, exec, s[6:7]
	s_waitcnt lgkmcnt(0)
	s_barrier
	ds_read_b64 v[28:29], v13 offset:3072
	v_mov_b32_e32 v7, s90
	v_add_co_u32_e64 v4, s[6:7], s33, v4
	v_addc_co_u32_e64 v5, s[6:7], v5, v7, s[6:7]
	s_waitcnt lgkmcnt(0)
	v_cmp_neq_f32_e32 vcc, 0, v28
	v_cmp_ge_i64_e64 s[6:7], v[4:5], v[2:3]
	s_or_b64 s[6:7], vcc, s[6:7]
	s_and_b64 s[6:7], exec, s[6:7]
	s_or_b64 s[2:3], s[6:7], s[2:3]
	s_andn2_b64 s[6:7], s[28:29], exec
	s_and_b64 s[28:29], vcc, exec
	v_add_u32_e32 v6, s76, v6
	s_or_b64 s[28:29], s[6:7], s[28:29]
	s_barrier
	s_andn2_b64 exec, exec, s[2:3]
	s_cbranch_execz .LBB52_207
.LBB52_202:                             ;   Parent Loop BB52_8 Depth=1
                                        ; =>  This Inner Loop Header: Depth=2
	v_cmp_gt_i64_e32 vcc, s[38:39], v[4:5]
	s_waitcnt vmcnt(0)
	v_mov_b32_e32 v27, 0
	s_and_saveexec_b64 s[6:7], vcc
	s_cbranch_execz .LBB52_204
; %bb.203:                              ;   in Loop: Header=BB52_202 Depth=2
	ds_read_b32 v27, v6
.LBB52_204:                             ;   in Loop: Header=BB52_202 Depth=2
	s_or_b64 exec, exec, s[6:7]
	s_and_saveexec_b64 s[6:7], vcc
	s_cbranch_execz .LBB52_201
; %bb.205:                              ;   in Loop: Header=BB52_202 Depth=2
	s_waitcnt lgkmcnt(0)
	v_cmp_lt_i32_e32 vcc, -1, v27
	v_cndmask_b32_e32 v7, -1, v44, vcc
	v_xor_b32_e32 v7, v7, v27
	v_cmp_o_f32_e32 vcc, v27, v27
	v_cndmask_b32_e32 v7, -1, v7, vcc
	v_and_b32_e32 v7, s83, v7
	v_cmp_eq_u32_e32 vcc, s0, v7
	s_and_b64 exec, exec, vcc
	s_cbranch_execz .LBB52_201
; %bb.206:                              ;   in Loop: Header=BB52_202 Depth=2
	ds_write_b64 v13, v[26:27] offset:3072
	s_branch .LBB52_201
.LBB52_207:                             ;   in Loop: Header=BB52_8 Depth=1
	s_or_b64 exec, exec, s[2:3]
	s_and_b64 s[2:3], s[28:29], exec
.LBB52_208:                             ;   in Loop: Header=BB52_8 Depth=1
	s_or_b64 exec, exec, s[8:9]
	s_mov_b64 s[36:37], -1
	s_mov_b64 s[30:31], 0
	s_mov_b64 s[34:35], 0
.LBB52_209:                             ;   in Loop: Header=BB52_8 Depth=1
	s_mov_b64 s[6:7], 0
                                        ; implicit-def: $sgpr46
	s_and_saveexec_b64 s[38:39], s[2:3]
	s_cbranch_execz .LBB52_271
; %bb.210:                              ;   in Loop: Header=BB52_8 Depth=1
	s_xor_b64 s[2:3], s[40:41], -1
	s_andn2_b64 vcc, exec, s[2:3]
	s_mov_b32 s46, 1
	s_cbranch_vccnz .LBB52_221
; %bb.211:                              ;   in Loop: Header=BB52_8 Depth=1
	v_pk_mov_b32 v[2:3], s[18:19], s[18:19] op_sel:[0,1]
	v_cmp_gt_i64_e32 vcc, s[58:59], v[2:3]
	s_mov_b64 s[2:3], -1
                                        ; implicit-def: $sgpr46
                                        ; implicit-def: $sgpr6
                                        ; implicit-def: $sgpr7
	s_cbranch_vccnz .LBB52_217
; %bb.212:                              ;   in Loop: Header=BB52_8 Depth=1
	ds_read_b64 v[2:3], v13 offset:5120
	s_waitcnt lgkmcnt(0)
	v_cmp_ne_u64_e32 vcc, 0, v[2:3]
	s_cbranch_vccnz .LBB52_216
; %bb.213:                              ;   in Loop: Header=BB52_8 Depth=1
	s_mov_b64 s[2:3], exec
	v_readlane_b32 s6, v54, 8
	v_readlane_b32 s7, v54, 9
	s_and_b64 s[6:7], s[2:3], s[6:7]
	s_mov_b64 exec, s[6:7]
	s_cbranch_execz .LBB52_215
; %bb.214:                              ;   in Loop: Header=BB52_8 Depth=1
	v_pk_mov_b32 v[2:3], s[18:19], s[18:19] op_sel:[0,1]
	ds_write_b64 v13, v[2:3] offset:5128
.LBB52_215:                             ;   in Loop: Header=BB52_8 Depth=1
	s_or_b64 exec, exec, s[2:3]
	s_waitcnt lgkmcnt(0)
	s_barrier
.LBB52_216:                             ;   in Loop: Header=BB52_8 Depth=1
	s_lshl_b32 s2, 2, s42
	s_and_b32 s3, s0, s43
	s_or_b32 s6, s3, s2
	s_or_b32 s7, s83, s1
	s_mov_b64 s[2:3], 0
	s_mov_b32 s46, 8
.LBB52_217:                             ;   in Loop: Header=BB52_8 Depth=1
	s_andn2_b64 vcc, exec, s[2:3]
	s_cbranch_vccnz .LBB52_219
; %bb.218:                              ;   in Loop: Header=BB52_8 Depth=1
	s_sub_u32 s58, s58, s18
	s_subb_u32 s59, s59, s19
	s_mov_b64 s[2:3], -1
	s_mov_b32 s46, 0
	s_mov_b32 s6, s0
	;; [unrolled: 1-line block ×3, first 2 shown]
.LBB52_219:                             ;   in Loop: Header=BB52_8 Depth=1
	s_mov_b32 s83, s7
	s_mov_b32 s0, s6
	s_andn2_b64 vcc, exec, s[2:3]
	s_mov_b64 s[42:43], -1
	s_cbranch_vccz .LBB52_222
.LBB52_220:                             ;   in Loop: Header=BB52_8 Depth=1
                                        ; implicit-def: $sgpr2_sgpr3
                                        ; implicit-def: $sgpr8_sgpr9
                                        ; implicit-def: $sgpr6_sgpr7
	s_branch .LBB52_270
.LBB52_221:                             ;   in Loop: Header=BB52_8 Depth=1
	s_mov_b64 s[58:59], 1
	s_mov_b64 s[42:43], -1
	s_cbranch_execnz .LBB52_220
.LBB52_222:                             ;   in Loop: Header=BB52_8 Depth=1
	s_cmp_eq_u64 s[12:13], 1
	s_cselect_b64 s[2:3], -1, 0
	s_cmp_eq_u64 s[58:59], 1
	s_cselect_b64 s[6:7], -1, 0
	s_and_b64 s[18:19], s[2:3], s[6:7]
	s_mov_b64 s[28:29], -1
	s_and_b64 vcc, exec, s[18:19]
	s_cbranch_vccz .LBB52_237
; %bb.223:                              ;   in Loop: Header=BB52_8 Depth=1
	ds_read_b64 v[2:3], v13 offset:5120
	s_waitcnt lgkmcnt(0)
	s_barrier
	v_readfirstlane_b32 s40, v2
	v_readfirstlane_b32 s41, v3
	s_mov_b64 s[2:3], exec
	v_readlane_b32 s6, v54, 12
	v_readlane_b32 s7, v54, 13
	s_and_b64 s[6:7], s[2:3], s[6:7]
	s_mov_b64 exec, s[6:7]
	s_cbranch_execz .LBB52_225
; %bb.224:                              ;   in Loop: Header=BB52_8 Depth=1
	ds_write_b32 v37, v13
.LBB52_225:                             ;   in Loop: Header=BB52_8 Depth=1
	s_or_b64 exec, exec, s[2:3]
	v_cmp_gt_i64_e64 s[2:3], s[40:41], 0
	s_or_b32 s0, s0, s1
	s_or_b32 s83, s83, s1
	s_and_b64 vcc, exec, s[2:3]
	s_waitcnt lgkmcnt(0)
	s_barrier
	s_cbranch_vccnz .LBB52_240
; %bb.226:                              ;   in Loop: Header=BB52_8 Depth=1
	s_mov_b32 s46, s75
	s_cmp_lg_u64 s[46:47], 0
	s_cbranch_scc0 .LBB52_276
; %bb.227:                              ;   in Loop: Header=BB52_8 Depth=1
	v_cvt_f32_u32_e32 v2, s33
	s_sub_u32 s2, 0, s33
	s_subb_u32 s3, 0, 0
	v_mac_f32_e32 v2, 0x4f800000, v45
	v_rcp_f32_e32 v2, v2
	v_mul_f32_e32 v2, 0x5f7ffffc, v2
	v_mul_f32_e32 v3, 0x2f800000, v2
	v_trunc_f32_e32 v3, v3
	v_mac_f32_e32 v2, 0xcf800000, v3
	v_cvt_u32_f32_e32 v3, v3
	v_cvt_u32_f32_e32 v2, v2
	v_readfirstlane_b32 s6, v3
	v_readfirstlane_b32 s7, v2
	s_mul_i32 s8, s2, s6
	s_mul_hi_u32 s28, s2, s7
	s_mul_i32 s9, s3, s7
	s_add_i32 s8, s28, s8
	s_mul_i32 s29, s2, s7
	s_add_i32 s8, s8, s9
	s_mul_hi_u32 s28, s7, s29
	s_mul_hi_u32 s9, s7, s8
	s_mul_i32 s7, s7, s8
	s_add_u32 s7, s28, s7
	s_addc_u32 s9, 0, s9
	s_mul_hi_u32 s42, s6, s29
	s_mul_i32 s29, s6, s29
	s_add_u32 s7, s7, s29
	s_mul_hi_u32 s28, s6, s8
	s_addc_u32 s7, s9, s42
	s_addc_u32 s9, s28, 0
	s_mul_i32 s8, s6, s8
	s_add_u32 s7, s7, s8
	s_addc_u32 s8, 0, s9
	v_add_co_u32_e32 v2, vcc, s7, v2
	s_cmp_lg_u64 vcc, 0
	s_addc_u32 s6, s6, s8
	v_readfirstlane_b32 s8, v2
	s_mul_i32 s7, s2, s6
	s_mul_hi_u32 s9, s2, s8
	s_add_i32 s7, s9, s7
	s_mul_i32 s3, s3, s8
	s_add_i32 s7, s7, s3
	s_mul_i32 s2, s2, s8
	s_mul_hi_u32 s9, s6, s2
	s_mul_i32 s28, s6, s2
	s_mul_i32 s42, s8, s7
	s_mul_hi_u32 s2, s8, s2
	s_mul_hi_u32 s29, s8, s7
	s_add_u32 s2, s2, s42
	s_addc_u32 s8, 0, s29
	s_add_u32 s2, s2, s28
	s_mul_hi_u32 s3, s6, s7
	s_addc_u32 s2, s8, s9
	s_addc_u32 s3, s3, 0
	s_mul_i32 s7, s6, s7
	s_add_u32 s2, s2, s7
	s_addc_u32 s3, 0, s3
	v_add_co_u32_e32 v2, vcc, s2, v2
	s_cmp_lg_u64 vcc, 0
	s_addc_u32 s8, s6, s3
	s_ashr_i32 s2, s47, 31
	s_add_u32 s6, s82, s2
	s_mov_b32 s3, s2
	s_addc_u32 s7, s47, s2
	s_xor_b64 s[6:7], s[6:7], s[2:3]
	v_readfirstlane_b32 s28, v2
	s_mul_i32 s9, s6, s8
	s_mul_hi_u32 s29, s6, s28
	s_mul_hi_u32 s3, s6, s8
	s_add_u32 s9, s29, s9
	s_addc_u32 s3, 0, s3
	s_mul_hi_u32 s42, s7, s28
	s_mul_i32 s28, s7, s28
	s_add_u32 s9, s9, s28
	s_mul_hi_u32 s29, s7, s8
	s_addc_u32 s3, s3, s42
	s_addc_u32 s9, s29, 0
	s_mul_i32 s8, s7, s8
	s_add_u32 s3, s3, s8
	s_addc_u32 s8, 0, s9
	s_mul_hi_u32 s9, s33, s3
	s_mul_i32 s3, s33, s3
	s_mul_i32 s8, s33, s8
	v_mov_b32_e32 v2, s3
	s_add_i32 s9, s9, s8
	v_sub_co_u32_e32 v2, vcc, s6, v2
	s_cmp_lg_u64 vcc, 0
	s_subb_u32 s3, s7, s9
	v_subrev_co_u32_e32 v3, vcc, s33, v2
	s_cmp_lg_u64 vcc, 0
	s_subb_u32 s6, s3, 0
	v_subrev_co_u32_e32 v4, vcc, s33, v3
	s_cmp_lg_u64 vcc, 0
	s_subb_u32 s7, s6, 0
	v_cmp_le_u32_e32 vcc, s33, v3
	s_cmp_eq_u32 s6, 0
	v_cndmask_b32_e64 v5, 0, -1, vcc
	s_cselect_b64 vcc, -1, 0
	v_cndmask_b32_e32 v5, -1, v5, vcc
	v_mov_b32_e32 v6, s6
	v_mov_b32_e32 v7, s7
	v_cmp_ne_u32_e32 vcc, 0, v5
	v_cndmask_b32_e32 v5, v6, v7, vcc
	v_cndmask_b32_e32 v3, v3, v4, vcc
	v_cmp_le_u32_e32 vcc, s33, v2
	s_cmp_eq_u32 s3, 0
	v_cndmask_b32_e64 v4, 0, -1, vcc
	s_cselect_b64 vcc, -1, 0
	v_cndmask_b32_e32 v4, -1, v4, vcc
	v_cmp_ne_u32_e32 vcc, 0, v4
	v_mov_b32_e32 v6, s3
	v_cndmask_b32_e32 v2, v2, v3, vcc
	v_cndmask_b32_e32 v4, v6, v5, vcc
	v_xor_b32_e32 v2, s2, v2
	v_xor_b32_e32 v3, s2, v4
	v_mov_b32_e32 v4, s2
	v_subrev_co_u32_e32 v2, vcc, s2, v2
	v_subb_co_u32_e32 v3, vcc, v3, v4, vcc
	s_cbranch_execnz .LBB52_229
.LBB52_228:                             ;   in Loop: Header=BB52_8 Depth=1
	v_cvt_f32_u32_e32 v2, s33
	s_sub_i32 s2, 0, s33
	v_rcp_iflag_f32_e32 v2, v2
	v_mul_f32_e32 v2, 0x4f7ffffe, v2
	v_cvt_u32_f32_e32 v2, v2
	v_mul_lo_u32 v3, s2, v2
	v_mul_hi_u32 v3, v2, v3
	v_add_u32_e32 v2, v2, v3
	v_mul_hi_u32 v2, s82, v2
	v_mul_lo_u32 v2, v2, s33
	v_sub_u32_e32 v2, s82, v2
	v_subrev_u32_e32 v3, s33, v2
	v_cmp_le_u32_e32 vcc, s33, v2
	v_cndmask_b32_e32 v2, v2, v3, vcc
	v_subrev_u32_e32 v3, s33, v2
	v_cmp_le_u32_e32 vcc, s33, v2
	v_cndmask_b32_e32 v12, v2, v3, vcc
	v_pk_mov_b32 v[2:3], v[12:13], v[12:13] op_sel:[0,1]
.LBB52_229:                             ;   in Loop: Header=BB52_8 Depth=1
	v_mov_b32_e32 v4, s47
	v_sub_co_u32_e32 v2, vcc, s82, v2
	v_subb_co_u32_e32 v3, vcc, v4, v3, vcc
	v_cmp_gt_i64_e32 vcc, v[2:3], v[0:1]
	s_mov_b64 s[28:29], 0
                                        ; implicit-def: $vgpr29
	s_and_saveexec_b64 s[2:3], vcc
	s_cbranch_execz .LBB52_242
; %bb.230:                              ;   in Loop: Header=BB52_8 Depth=1
	s_mov_b64 s[8:9], 0
	v_pk_mov_b32 v[4:5], v[10:11], v[10:11] op_sel:[0,1]
	v_pk_mov_b32 v[6:7], v[0:1], v[0:1] op_sel:[0,1]
                                        ; implicit-def: $sgpr28_sgpr29
	s_branch .LBB52_232
.LBB52_231:                             ;   in Loop: Header=BB52_232 Depth=2
	s_or_b64 exec, exec, s[6:7]
	s_waitcnt lgkmcnt(0)
	s_barrier
	ds_read_b64 v[28:29], v13 offset:3072
	v_mov_b32_e32 v8, s90
	v_add_co_u32_e64 v6, s[6:7], s33, v6
	v_addc_co_u32_e64 v7, s[6:7], v7, v8, s[6:7]
	s_waitcnt lgkmcnt(0)
	v_cmp_neq_f32_e32 vcc, 0, v28
	v_cmp_ge_i64_e64 s[6:7], v[6:7], v[2:3]
	s_or_b64 s[42:43], vcc, s[6:7]
	v_mov_b32_e32 v8, s71
	v_add_co_u32_e64 v4, s[6:7], s70, v4
	v_addc_co_u32_e64 v5, s[6:7], v5, v8, s[6:7]
	s_and_b64 s[6:7], exec, s[42:43]
	s_or_b64 s[8:9], s[6:7], s[8:9]
	s_andn2_b64 s[6:7], s[28:29], exec
	s_and_b64 s[28:29], vcc, exec
	s_or_b64 s[28:29], s[6:7], s[28:29]
	s_barrier
	s_andn2_b64 exec, exec, s[8:9]
	s_cbranch_execz .LBB52_241
.LBB52_232:                             ;   Parent Loop BB52_8 Depth=1
                                        ; =>  This Inner Loop Header: Depth=2
	v_cmp_gt_i64_e32 vcc, s[56:57], v[6:7]
	s_waitcnt vmcnt(0)
	v_mov_b32_e32 v27, 0
	s_and_saveexec_b64 s[6:7], vcc
	s_cbranch_execz .LBB52_234
; %bb.233:                              ;   in Loop: Header=BB52_232 Depth=2
	global_load_dword v27, v[4:5], off
.LBB52_234:                             ;   in Loop: Header=BB52_232 Depth=2
	s_or_b64 exec, exec, s[6:7]
	s_and_saveexec_b64 s[6:7], vcc
	s_cbranch_execz .LBB52_231
; %bb.235:                              ;   in Loop: Header=BB52_232 Depth=2
	s_waitcnt vmcnt(0)
	v_cmp_lt_i32_e32 vcc, -1, v27
	v_cndmask_b32_e32 v8, -1, v44, vcc
	v_xor_b32_e32 v8, v8, v27
	v_cmp_o_f32_e32 vcc, v27, v27
	v_cndmask_b32_e32 v8, -1, v8, vcc
	v_and_b32_e32 v8, s83, v8
	v_cmp_eq_u32_e32 vcc, s0, v8
	s_and_b64 exec, exec, vcc
	s_cbranch_execz .LBB52_231
; %bb.236:                              ;   in Loop: Header=BB52_232 Depth=2
	ds_write_b64 v13, v[26:27] offset:3072
	s_branch .LBB52_231
.LBB52_237:                             ;   in Loop: Header=BB52_8 Depth=1
                                        ; implicit-def: $sgpr2_sgpr3
                                        ; implicit-def: $sgpr8_sgpr9
                                        ; implicit-def: $sgpr6_sgpr7
	s_branch .LBB52_256
.LBB52_238:                             ;   in Loop: Header=BB52_8 Depth=1
                                        ; implicit-def: $vgpr2_vgpr3
	s_branch .LBB52_181
.LBB52_239:                             ;   in Loop: Header=BB52_8 Depth=1
                                        ; implicit-def: $vgpr2_vgpr3
	s_branch .LBB52_198
.LBB52_240:                             ;   in Loop: Header=BB52_8 Depth=1
	s_mov_b64 s[2:3], -1
	s_mov_b64 s[28:29], 0
                                        ; implicit-def: $sgpr6_sgpr7
                                        ; implicit-def: $vgpr29
	s_mov_b64 s[8:9], s[2:3]
	s_cbranch_execnz .LBB52_243
	s_branch .LBB52_256
.LBB52_241:                             ;   in Loop: Header=BB52_8 Depth=1
	s_or_b64 exec, exec, s[8:9]
	s_and_b64 s[28:29], s[28:29], exec
.LBB52_242:                             ;   in Loop: Header=BB52_8 Depth=1
	s_or_b64 exec, exec, s[2:3]
	s_mov_b64 s[6:7], -1
	s_mov_b64 s[2:3], 0
	s_mov_b64 s[8:9], s[2:3]
	s_branch .LBB52_256
.LBB52_243:                             ;   in Loop: Header=BB52_8 Depth=1
	v_readlane_b32 s2, v54, 24
	s_add_u32 s8, s2, s40
	v_readlane_b32 s2, v54, 25
	s_addc_u32 s3, s2, s41
	s_mov_b32 s2, s75
	s_cmp_lg_u64 s[2:3], 0
	s_cbranch_scc0 .LBB52_277
; %bb.244:                              ;   in Loop: Header=BB52_8 Depth=1
	v_cvt_f32_u32_e32 v2, s33
	s_sub_u32 s2, 0, s33
	s_subb_u32 s6, 0, 0
	v_mac_f32_e32 v2, 0x4f800000, v45
	v_rcp_f32_e32 v2, v2
	v_mul_f32_e32 v2, 0x5f7ffffc, v2
	v_mul_f32_e32 v3, 0x2f800000, v2
	v_trunc_f32_e32 v3, v3
	v_mac_f32_e32 v2, 0xcf800000, v3
	v_cvt_u32_f32_e32 v3, v3
	v_cvt_u32_f32_e32 v2, v2
	v_readfirstlane_b32 s7, v3
	v_readfirstlane_b32 s9, v2
	s_mul_i32 s28, s2, s7
	s_mul_hi_u32 s42, s2, s9
	s_mul_i32 s29, s6, s9
	s_add_i32 s28, s42, s28
	s_mul_i32 s43, s2, s9
	s_add_i32 s28, s28, s29
	s_mul_hi_u32 s42, s9, s43
	s_mul_hi_u32 s29, s9, s28
	s_mul_i32 s9, s9, s28
	s_add_u32 s9, s42, s9
	s_addc_u32 s29, 0, s29
	s_mul_hi_u32 s44, s7, s43
	s_mul_i32 s43, s7, s43
	s_add_u32 s9, s9, s43
	s_mul_hi_u32 s42, s7, s28
	s_addc_u32 s9, s29, s44
	s_addc_u32 s29, s42, 0
	s_mul_i32 s28, s7, s28
	s_add_u32 s9, s9, s28
	s_addc_u32 s28, 0, s29
	v_add_co_u32_e32 v2, vcc, s9, v2
	s_cmp_lg_u64 vcc, 0
	s_addc_u32 s7, s7, s28
	v_readfirstlane_b32 s28, v2
	s_mul_i32 s9, s2, s7
	s_mul_hi_u32 s29, s2, s28
	s_add_i32 s9, s29, s9
	s_mul_i32 s6, s6, s28
	s_add_i32 s9, s9, s6
	s_mul_i32 s2, s2, s28
	s_mul_hi_u32 s29, s7, s2
	s_mul_i32 s42, s7, s2
	s_mul_i32 s44, s28, s9
	s_mul_hi_u32 s2, s28, s2
	s_mul_hi_u32 s43, s28, s9
	s_add_u32 s2, s2, s44
	s_addc_u32 s28, 0, s43
	s_add_u32 s2, s2, s42
	s_mul_hi_u32 s6, s7, s9
	s_addc_u32 s2, s28, s29
	s_addc_u32 s6, s6, 0
	s_mul_i32 s9, s7, s9
	s_add_u32 s2, s2, s9
	s_addc_u32 s6, 0, s6
	v_add_co_u32_e32 v2, vcc, s2, v2
	s_cmp_lg_u64 vcc, 0
	s_addc_u32 s2, s7, s6
	s_ashr_i32 s6, s3, 31
	s_add_u32 s28, s8, s6
	s_mov_b32 s7, s6
	s_addc_u32 s29, s3, s6
	s_xor_b64 s[28:29], s[28:29], s[6:7]
	v_readfirstlane_b32 s42, v2
	s_mul_i32 s9, s28, s2
	s_mul_hi_u32 s43, s28, s42
	s_mul_hi_u32 s7, s28, s2
	s_add_u32 s9, s43, s9
	s_addc_u32 s7, 0, s7
	s_mul_hi_u32 s44, s29, s42
	s_mul_i32 s42, s29, s42
	s_add_u32 s9, s9, s42
	s_mul_hi_u32 s43, s29, s2
	s_addc_u32 s7, s7, s44
	s_addc_u32 s9, s43, 0
	s_mul_i32 s2, s29, s2
	s_add_u32 s2, s7, s2
	s_addc_u32 s7, 0, s9
	s_mul_hi_u32 s9, s33, s2
	s_mul_i32 s2, s33, s2
	s_mul_i32 s7, s33, s7
	v_mov_b32_e32 v2, s2
	s_add_i32 s9, s9, s7
	v_sub_co_u32_e32 v2, vcc, s28, v2
	s_cmp_lg_u64 vcc, 0
	s_subb_u32 s2, s29, s9
	v_subrev_co_u32_e32 v3, vcc, s33, v2
	s_cmp_lg_u64 vcc, 0
	s_subb_u32 s7, s2, 0
	v_subrev_co_u32_e32 v4, vcc, s33, v3
	s_cmp_lg_u64 vcc, 0
	s_subb_u32 s9, s7, 0
	v_cmp_le_u32_e32 vcc, s33, v3
	s_cmp_eq_u32 s7, 0
	v_cndmask_b32_e64 v5, 0, -1, vcc
	s_cselect_b64 vcc, -1, 0
	v_cndmask_b32_e32 v5, -1, v5, vcc
	v_mov_b32_e32 v6, s7
	v_mov_b32_e32 v7, s9
	v_cmp_ne_u32_e32 vcc, 0, v5
	v_cndmask_b32_e32 v5, v6, v7, vcc
	v_cndmask_b32_e32 v3, v3, v4, vcc
	v_cmp_le_u32_e32 vcc, s33, v2
	s_cmp_eq_u32 s2, 0
	v_cndmask_b32_e64 v4, 0, -1, vcc
	s_cselect_b64 vcc, -1, 0
	v_cndmask_b32_e32 v4, -1, v4, vcc
	v_cmp_ne_u32_e32 vcc, 0, v4
	v_mov_b32_e32 v6, s2
	v_cndmask_b32_e32 v2, v2, v3, vcc
	v_cndmask_b32_e32 v4, v6, v5, vcc
	v_xor_b32_e32 v2, s6, v2
	v_xor_b32_e32 v3, s6, v4
	v_mov_b32_e32 v4, s6
	v_subrev_co_u32_e32 v2, vcc, s6, v2
	v_subb_co_u32_e32 v3, vcc, v3, v4, vcc
	s_cbranch_execnz .LBB52_246
.LBB52_245:                             ;   in Loop: Header=BB52_8 Depth=1
	v_cvt_f32_u32_e32 v2, s33
	s_sub_i32 s2, 0, s33
	v_rcp_iflag_f32_e32 v2, v2
	v_mul_f32_e32 v2, 0x4f7ffffe, v2
	v_cvt_u32_f32_e32 v2, v2
	v_mul_lo_u32 v3, s2, v2
	v_mul_hi_u32 v3, v2, v3
	v_add_u32_e32 v2, v2, v3
	v_mul_hi_u32 v2, s8, v2
	v_mul_lo_u32 v2, v2, s33
	v_sub_u32_e32 v2, s8, v2
	v_subrev_u32_e32 v3, s33, v2
	v_cmp_le_u32_e32 vcc, s33, v2
	v_cndmask_b32_e32 v2, v2, v3, vcc
	v_subrev_u32_e32 v3, s33, v2
	v_cmp_le_u32_e32 vcc, s33, v2
	v_cndmask_b32_e32 v12, v2, v3, vcc
	v_pk_mov_b32 v[2:3], v[12:13], v[12:13] op_sel:[0,1]
.LBB52_246:                             ;   in Loop: Header=BB52_8 Depth=1
	v_mov_b32_e32 v4, s3
	v_sub_co_u32_e32 v2, vcc, s8, v2
	v_subb_co_u32_e32 v3, vcc, v4, v3, vcc
	v_cmp_gt_i64_e32 vcc, v[2:3], v[0:1]
	s_mov_b64 s[28:29], 0
                                        ; implicit-def: $vgpr29
	s_and_saveexec_b64 s[2:3], vcc
	s_cbranch_execz .LBB52_255
; %bb.247:                              ;   in Loop: Header=BB52_8 Depth=1
	s_mov_b64 s[8:9], 0
	v_mov_b32_e32 v6, v14
	v_pk_mov_b32 v[4:5], v[0:1], v[0:1] op_sel:[0,1]
                                        ; implicit-def: $sgpr28_sgpr29
	s_branch .LBB52_249
.LBB52_248:                             ;   in Loop: Header=BB52_249 Depth=2
	s_or_b64 exec, exec, s[6:7]
	s_waitcnt lgkmcnt(0)
	s_barrier
	ds_read_b64 v[28:29], v13 offset:3072
	v_mov_b32_e32 v7, s90
	v_add_co_u32_e64 v4, s[6:7], s33, v4
	v_addc_co_u32_e64 v5, s[6:7], v5, v7, s[6:7]
	s_waitcnt lgkmcnt(0)
	v_cmp_neq_f32_e32 vcc, 0, v28
	v_cmp_ge_i64_e64 s[6:7], v[4:5], v[2:3]
	s_or_b64 s[6:7], vcc, s[6:7]
	s_and_b64 s[6:7], exec, s[6:7]
	s_or_b64 s[8:9], s[6:7], s[8:9]
	s_andn2_b64 s[6:7], s[28:29], exec
	s_and_b64 s[28:29], vcc, exec
	v_add_u32_e32 v6, s76, v6
	s_or_b64 s[28:29], s[6:7], s[28:29]
	s_barrier
	s_andn2_b64 exec, exec, s[8:9]
	s_cbranch_execz .LBB52_254
.LBB52_249:                             ;   Parent Loop BB52_8 Depth=1
                                        ; =>  This Inner Loop Header: Depth=2
	v_cmp_gt_i64_e32 vcc, s[40:41], v[4:5]
	s_waitcnt vmcnt(0)
	v_mov_b32_e32 v27, 0
	s_and_saveexec_b64 s[6:7], vcc
	s_cbranch_execz .LBB52_251
; %bb.250:                              ;   in Loop: Header=BB52_249 Depth=2
	ds_read_b32 v27, v6
.LBB52_251:                             ;   in Loop: Header=BB52_249 Depth=2
	s_or_b64 exec, exec, s[6:7]
	s_and_saveexec_b64 s[6:7], vcc
	s_cbranch_execz .LBB52_248
; %bb.252:                              ;   in Loop: Header=BB52_249 Depth=2
	s_waitcnt lgkmcnt(0)
	v_cmp_lt_i32_e32 vcc, -1, v27
	v_cndmask_b32_e32 v7, -1, v44, vcc
	v_xor_b32_e32 v7, v7, v27
	v_cmp_o_f32_e32 vcc, v27, v27
	v_cndmask_b32_e32 v7, -1, v7, vcc
	v_and_b32_e32 v7, s83, v7
	v_cmp_eq_u32_e32 vcc, s0, v7
	s_and_b64 exec, exec, vcc
	s_cbranch_execz .LBB52_248
; %bb.253:                              ;   in Loop: Header=BB52_249 Depth=2
	ds_write_b64 v13, v[26:27] offset:3072
	s_branch .LBB52_248
.LBB52_254:                             ;   in Loop: Header=BB52_8 Depth=1
	s_or_b64 exec, exec, s[8:9]
	s_and_b64 s[28:29], s[28:29], exec
.LBB52_255:                             ;   in Loop: Header=BB52_8 Depth=1
	s_or_b64 exec, exec, s[2:3]
	s_mov_b64 s[8:9], -1
	s_mov_b64 s[2:3], 0
	s_mov_b64 s[6:7], 0
.LBB52_256:                             ;   in Loop: Header=BB52_8 Depth=1
	s_mov_b64 s[42:43], 0
                                        ; implicit-def: $sgpr46
                                        ; implicit-def: $sgpr44_sgpr45
	s_and_saveexec_b64 s[40:41], s[28:29]
	s_cbranch_execz .LBB52_269
; %bb.257:                              ;   in Loop: Header=BB52_8 Depth=1
	s_xor_b64 s[18:19], s[18:19], -1
	s_mov_b64 s[44:45], 1
	s_andn2_b64 vcc, exec, s[18:19]
	s_mov_b32 s46, 1
	s_cbranch_vccnz .LBB52_268
; %bb.258:                              ;   in Loop: Header=BB52_8 Depth=1
	v_pk_mov_b32 v[2:3], s[12:13], s[12:13] op_sel:[0,1]
	v_cmp_gt_i64_e32 vcc, s[58:59], v[2:3]
	s_cbranch_vccnz .LBB52_264
; %bb.259:                              ;   in Loop: Header=BB52_8 Depth=1
	ds_read_b64 v[2:3], v13 offset:5120
	s_waitcnt lgkmcnt(0)
	v_cmp_ne_u64_e32 vcc, 0, v[2:3]
	s_cbranch_vccnz .LBB52_263
; %bb.260:                              ;   in Loop: Header=BB52_8 Depth=1
	s_mov_b64 s[18:19], exec
	v_readlane_b32 s28, v54, 8
	v_readlane_b32 s29, v54, 9
	s_and_b64 s[28:29], s[18:19], s[28:29]
	s_mov_b64 exec, s[28:29]
	s_cbranch_execz .LBB52_262
; %bb.261:                              ;   in Loop: Header=BB52_8 Depth=1
	v_pk_mov_b32 v[2:3], s[12:13], s[12:13] op_sel:[0,1]
	ds_write_b64 v13, v[2:3] offset:5128
.LBB52_262:                             ;   in Loop: Header=BB52_8 Depth=1
	s_or_b64 exec, exec, s[18:19]
	s_waitcnt lgkmcnt(0)
	s_barrier
.LBB52_263:                             ;   in Loop: Header=BB52_8 Depth=1
	s_or_b32 s28, s0, s1
	s_or_b32 s1, s83, s1
	s_mov_b64 s[18:19], 0
	s_mov_b32 s46, 8
	s_branch .LBB52_265
.LBB52_264:                             ;   in Loop: Header=BB52_8 Depth=1
	s_mov_b64 s[18:19], -1
                                        ; implicit-def: $sgpr46
                                        ; implicit-def: $sgpr28
                                        ; implicit-def: $sgpr1
.LBB52_265:                             ;   in Loop: Header=BB52_8 Depth=1
	s_andn2_b64 vcc, exec, s[18:19]
	s_cbranch_vccnz .LBB52_267
; %bb.266:                              ;   in Loop: Header=BB52_8 Depth=1
	s_sub_u32 s58, s58, s12
	s_subb_u32 s59, s59, s13
	s_mov_b32 s46, 8
	s_mov_b32 s28, s0
	;; [unrolled: 1-line block ×3, first 2 shown]
.LBB52_267:                             ;   in Loop: Header=BB52_8 Depth=1
	s_mov_b64 s[44:45], s[58:59]
	s_mov_b32 s0, s28
	s_mov_b32 s83, s1
.LBB52_268:                             ;   in Loop: Header=BB52_8 Depth=1
	s_mov_b64 s[42:43], exec
.LBB52_269:                             ;   in Loop: Header=BB52_8 Depth=1
	s_or_b64 exec, exec, s[40:41]
	s_mov_b64 s[58:59], s[44:45]
.LBB52_270:                             ;   in Loop: Header=BB52_8 Depth=1
	s_andn2_b64 s[12:13], s[30:31], exec
	s_and_b64 s[2:3], s[2:3], exec
	s_or_b64 s[30:31], s[12:13], s[2:3]
	s_andn2_b64 s[2:3], s[36:37], exec
	s_and_b64 s[8:9], s[8:9], exec
	s_or_b64 s[36:37], s[2:3], s[8:9]
	;; [unrolled: 3-line block ×3, first 2 shown]
	s_and_b64 s[6:7], s[42:43], exec
.LBB52_271:                             ;   in Loop: Header=BB52_8 Depth=1
	s_or_b64 exec, exec, s[38:39]
.LBB52_272:                             ;   in Loop: Header=BB52_8 Depth=1
	s_andn2_b64 s[2:3], s[22:23], exec
	s_and_b64 s[8:9], s[30:31], exec
	s_or_b64 s[22:23], s[2:3], s[8:9]
	s_andn2_b64 s[2:3], s[24:25], exec
	s_and_b64 s[8:9], s[36:37], exec
	s_or_b64 s[24:25], s[2:3], s[8:9]
	;; [unrolled: 3-line block ×3, first 2 shown]
	s_and_b64 s[6:7], s[6:7], exec
.LBB52_273:                             ;   in Loop: Header=BB52_8 Depth=1
	s_or_b64 exec, exec, s[26:27]
	s_and_saveexec_b64 s[2:3], s[6:7]
	s_xor_b64 s[2:3], exec, s[2:3]
	s_cbranch_execz .LBB52_6
.LBB52_274:                             ;   in Loop: Header=BB52_8 Depth=1
	s_and_b32 s1, s46, -9
	s_cmp_eq_u32 s1, 0
	s_cbranch_scc1 .LBB52_4
; %bb.275:                              ;   in Loop: Header=BB52_8 Depth=1
	s_mov_b64 s[6:7], -1
                                        ; implicit-def: $sgpr83
                                        ; implicit-def: $sgpr77
                                        ; implicit-def: $sgpr88
	s_mov_b64 s[8:9], -1
	s_branch .LBB52_5
.LBB52_276:                             ;   in Loop: Header=BB52_8 Depth=1
                                        ; implicit-def: $vgpr2_vgpr3
	s_branch .LBB52_228
.LBB52_277:                             ;   in Loop: Header=BB52_8 Depth=1
                                        ; implicit-def: $vgpr2_vgpr3
	s_branch .LBB52_245
.LBB52_278:
	s_or_b64 exec, exec, s[92:93]
	s_xor_b64 s[4:5], s[66:67], -1
	s_xor_b64 s[0:1], s[54:55], -1
	;; [unrolled: 1-line block ×3, first 2 shown]
	s_mov_b64 s[2:3], 0
	s_and_saveexec_b64 s[8:9], s[0:1]
	s_xor_b64 s[0:1], exec, s[8:9]
	s_cbranch_execnz .LBB52_283
; %bb.279:
	s_andn2_saveexec_b64 s[0:1], s[0:1]
	s_cbranch_execnz .LBB52_305
.LBB52_280:
	s_or_b64 exec, exec, s[0:1]
	s_and_saveexec_b64 s[0:1], s[2:3]
.LBB52_281:
	; divergent unreachable
.LBB52_282:
	s_endpgm
.LBB52_283:
	s_and_saveexec_b64 s[2:3], s[4:5]
	s_xor_b64 s[4:5], exec, s[2:3]
	s_cbranch_execz .LBB52_303
; %bb.284:
	s_and_saveexec_b64 s[2:3], s[6:7]
	s_xor_b64 s[2:3], exec, s[2:3]
; %bb.285:
	v_bfrev_b32_e32 v3, 1
	v_cmp_lt_i32_e32 vcc, -1, v2
	v_cndmask_b32_e64 v3, v3, -1, vcc
	v_xor_b32_e32 v29, v3, v2
; %bb.286:
	s_or_b64 exec, exec, s[2:3]
	s_mov_b64 s[2:3], exec
	v_readlane_b32 s6, v54, 8
	v_readlane_b32 s7, v54, 9
	s_and_b64 s[6:7], s[2:3], s[6:7]
	v_readlane_b32 s26, v54, 10
	v_readlane_b32 s27, v54, 11
	s_mov_b64 exec, s[6:7]
	s_cbranch_execz .LBB52_288
; %bb.287:
	v_mov_b32_e32 v2, 0
	v_mov_b32_e32 v3, s56
	ds_write_b32 v2, v3 offset:5140
.LBB52_288:
	s_or_b64 exec, exec, s[2:3]
	s_waitcnt lgkmcnt(0)
	s_barrier
	s_mov_b64 s[6:7], exec
	v_readlane_b32 s2, v54, 20
	v_readlane_b32 s3, v54, 21
	s_and_b64 s[2:3], s[6:7], s[2:3]
	s_mov_b64 exec, s[2:3]
	s_cbranch_execz .LBB52_300
; %bb.289:
	v_mov_b32_e32 v2, 0
	ds_read_b32 v4, v2 offset:5140
	v_cmp_u_f32_e32 vcc, v29, v29
	s_mov_b64 s[8:9], 0
	s_xor_b64 s[10:11], vcc, -1
                                        ; implicit-def: $sgpr12_sgpr13
                                        ; implicit-def: $sgpr14_sgpr15
                                        ; implicit-def: $sgpr16_sgpr17
	s_waitcnt lgkmcnt(0)
	v_ashrrev_i32_e32 v5, 31, v4
	s_branch .LBB52_292
.LBB52_290:                             ;   in Loop: Header=BB52_292 Depth=1
	s_or_b64 exec, exec, s[22:23]
	s_andn2_b64 s[16:17], s[16:17], exec
	s_and_b64 s[2:3], s[2:3], exec
	s_or_b64 s[16:17], s[16:17], s[2:3]
	s_andn2_b64 s[2:3], s[14:15], exec
	s_and_b64 s[14:15], s[20:21], exec
	s_or_b64 s[14:15], s[2:3], s[14:15]
.LBB52_291:                             ;   in Loop: Header=BB52_292 Depth=1
	s_or_b64 exec, exec, s[18:19]
	s_and_b64 s[2:3], exec, s[14:15]
	s_or_b64 s[8:9], s[2:3], s[8:9]
	s_andn2_b64 s[2:3], s[12:13], exec
	s_and_b64 s[12:13], s[16:17], exec
	s_or_b64 s[12:13], s[2:3], s[12:13]
	s_andn2_b64 exec, exec, s[8:9]
	s_cbranch_execz .LBB52_295
.LBB52_292:                             ; =>This Inner Loop Header: Depth=1
	v_pk_mov_b32 v[2:3], v[0:1], v[0:1] op_sel:[0,1]
	v_cmp_lt_i64_e32 vcc, v[2:3], v[4:5]
	s_or_b64 s[16:17], s[16:17], exec
	s_or_b64 s[14:15], s[14:15], exec
                                        ; implicit-def: $vgpr0_vgpr1
	s_and_saveexec_b64 s[18:19], vcc
	s_cbranch_execz .LBB52_291
; %bb.293:                              ;   in Loop: Header=BB52_292 Depth=1
	global_load_dword v0, v[10:11], off
	s_mov_b64 s[20:21], -1
	s_waitcnt vmcnt(0)
	v_cmp_o_f32_e64 s[2:3], v0, v0
	v_cmp_neq_f32_e32 vcc, v0, v29
	s_or_b64 s[2:3], s[2:3], s[10:11]
	s_and_b64 s[24:25], vcc, s[2:3]
	s_mov_b64 s[2:3], 0
                                        ; implicit-def: $vgpr0_vgpr1
	s_and_saveexec_b64 s[22:23], s[24:25]
	s_cbranch_execz .LBB52_290
; %bb.294:                              ;   in Loop: Header=BB52_292 Depth=1
	v_mov_b32_e32 v1, s90
	v_add_co_u32_e32 v0, vcc, s33, v2
	v_addc_co_u32_e32 v1, vcc, v3, v1, vcc
	v_mov_b32_e32 v3, s71
	v_add_co_u32_e32 v10, vcc, s70, v10
	v_addc_co_u32_e32 v11, vcc, v11, v3, vcc
	v_cmp_le_i64_e32 vcc, s[56:57], v[0:1]
	s_mov_b64 s[2:3], exec
	s_orn2_b64 s[20:21], vcc, exec
	s_branch .LBB52_290
.LBB52_295:
	s_or_b64 exec, exec, s[8:9]
	s_xor_b64 s[2:3], s[12:13], -1
	s_and_saveexec_b64 s[8:9], s[2:3]
	s_xor_b64 s[8:9], exec, s[8:9]
	s_cbranch_execz .LBB52_300
; %bb.296:
	s_mov_b64 s[2:3], exec
	s_brev_b32 s8, -2
.LBB52_297:                             ; =>This Inner Loop Header: Depth=1
	s_ff1_i32_b64 s9, s[2:3]
	v_readlane_b32 s12, v2, s9
	s_lshl_b64 s[10:11], 1, s9
	s_min_i32 s8, s8, s12
	s_andn2_b64 s[2:3], s[2:3], s[10:11]
	s_cmp_lg_u64 s[2:3], 0
	s_cbranch_scc1 .LBB52_297
; %bb.298:
	v_mbcnt_lo_u32_b32 v0, exec_lo, 0
	v_mbcnt_hi_u32_b32 v0, exec_hi, v0
	v_cmp_eq_u32_e32 vcc, 0, v0
	s_and_saveexec_b64 s[2:3], vcc
	s_xor_b64 s[2:3], exec, s[2:3]
	s_cbranch_execz .LBB52_300
; %bb.299:
	v_mov_b32_e32 v0, 0
	v_mov_b32_e32 v1, s8
	ds_min_i32 v0, v1 offset:5140
.LBB52_300:
	s_or_b64 exec, exec, s[6:7]
	s_waitcnt lgkmcnt(0)
	s_barrier
	s_mov_b64 s[2:3], exec
	v_readlane_b32 s6, v54, 8
	v_readlane_b32 s7, v54, 9
	s_and_b64 s[6:7], s[2:3], s[6:7]
	s_mov_b64 exec, s[6:7]
	s_cbranch_execz .LBB52_302
; %bb.301:
	v_readlane_b32 s8, v54, 4
	v_readlane_b32 s9, v54, 5
	;; [unrolled: 1-line block ×3, first 2 shown]
	s_mul_i32 s6, s9, s26
	s_mul_hi_u32 s7, s8, s26
	v_readlane_b32 s11, v54, 1
	v_mov_b32_e32 v2, 0
	s_add_i32 s7, s7, s6
	s_mul_i32 s6, s8, s26
	s_mul_i32 s8, s11, s26
	s_mul_hi_u32 s9, s10, s26
	ds_read_b32 v0, v2 offset:5140
	s_add_i32 s9, s9, s8
	s_mul_i32 s8, s10, s26
	s_lshl_b64 s[6:7], s[6:7], 2
	v_readlane_b32 s10, v54, 6
	v_readlane_b32 s11, v54, 7
	s_add_u32 s6, s10, s6
	s_addc_u32 s7, s11, s7
	s_lshl_b64 s[8:9], s[8:9], 3
	v_readlane_b32 s10, v54, 2
	v_readlane_b32 s11, v54, 3
	s_add_u32 s8, s10, s8
	s_addc_u32 s9, s11, s9
	s_waitcnt lgkmcnt(0)
	v_ashrrev_i32_e32 v1, 31, v0
	global_store_dwordx2 v2, v[0:1], s[8:9]
	global_store_dword v2, v29, s[6:7]
.LBB52_302:
	s_or_b64 exec, exec, s[2:3]
.LBB52_303:
	s_or_saveexec_b64 s[2:3], s[4:5]
	s_mov_b64 s[4:5], 0
	s_xor_b64 exec, exec, s[2:3]
	s_cbranch_execnz .LBB52_306
.LBB52_304:
	s_or_b64 exec, exec, s[2:3]
	s_and_b64 s[2:3], s[4:5], exec
	s_andn2_saveexec_b64 s[0:1], s[0:1]
	s_cbranch_execz .LBB52_280
.LBB52_305:
	s_or_b64 s[2:3], s[2:3], exec
	s_trap 2
	s_or_b64 exec, exec, s[0:1]
	s_and_saveexec_b64 s[0:1], s[2:3]
	s_cbranch_execnz .LBB52_281
	s_branch .LBB52_282
.LBB52_306:
	s_mov_b64 s[4:5], exec
	s_trap 2
	s_branch .LBB52_304
	.section	.rodata,"a",@progbits
	.p2align	6, 0x0
	.amdhsa_kernel _ZN2at6native12_GLOBAL__N_114gatherKthValueIflLi1EEEvNS_4cuda6detail10TensorInfoIKT_T0_EES8_S8_S8_S8_NS5_IS6_S8_EENS5_IlS8_EE
		.amdhsa_group_segment_fixed_size 5144
		.amdhsa_private_segment_fixed_size 0
		.amdhsa_kernarg_size 1536
		.amdhsa_user_sgpr_count 6
		.amdhsa_user_sgpr_private_segment_buffer 1
		.amdhsa_user_sgpr_dispatch_ptr 0
		.amdhsa_user_sgpr_queue_ptr 0
		.amdhsa_user_sgpr_kernarg_segment_ptr 1
		.amdhsa_user_sgpr_dispatch_id 0
		.amdhsa_user_sgpr_flat_scratch_init 0
		.amdhsa_user_sgpr_kernarg_preload_length 0
		.amdhsa_user_sgpr_kernarg_preload_offset 0
		.amdhsa_user_sgpr_private_segment_size 0
		.amdhsa_uses_dynamic_stack 0
		.amdhsa_system_sgpr_private_segment_wavefront_offset 0
		.amdhsa_system_sgpr_workgroup_id_x 1
		.amdhsa_system_sgpr_workgroup_id_y 1
		.amdhsa_system_sgpr_workgroup_id_z 1
		.amdhsa_system_sgpr_workgroup_info 0
		.amdhsa_system_vgpr_workitem_id 0
		.amdhsa_next_free_vgpr 55
		.amdhsa_next_free_sgpr 96
		.amdhsa_accum_offset 56
		.amdhsa_reserve_vcc 1
		.amdhsa_reserve_flat_scratch 0
		.amdhsa_float_round_mode_32 0
		.amdhsa_float_round_mode_16_64 0
		.amdhsa_float_denorm_mode_32 3
		.amdhsa_float_denorm_mode_16_64 3
		.amdhsa_dx10_clamp 1
		.amdhsa_ieee_mode 1
		.amdhsa_fp16_overflow 0
		.amdhsa_tg_split 0
		.amdhsa_exception_fp_ieee_invalid_op 0
		.amdhsa_exception_fp_denorm_src 0
		.amdhsa_exception_fp_ieee_div_zero 0
		.amdhsa_exception_fp_ieee_overflow 0
		.amdhsa_exception_fp_ieee_underflow 0
		.amdhsa_exception_fp_ieee_inexact 0
		.amdhsa_exception_int_div_zero 0
	.end_amdhsa_kernel
	.section	.text._ZN2at6native12_GLOBAL__N_114gatherKthValueIflLi1EEEvNS_4cuda6detail10TensorInfoIKT_T0_EES8_S8_S8_S8_NS5_IS6_S8_EENS5_IlS8_EE,"axG",@progbits,_ZN2at6native12_GLOBAL__N_114gatherKthValueIflLi1EEEvNS_4cuda6detail10TensorInfoIKT_T0_EES8_S8_S8_S8_NS5_IS6_S8_EENS5_IlS8_EE,comdat
.Lfunc_end52:
	.size	_ZN2at6native12_GLOBAL__N_114gatherKthValueIflLi1EEEvNS_4cuda6detail10TensorInfoIKT_T0_EES8_S8_S8_S8_NS5_IS6_S8_EENS5_IlS8_EE, .Lfunc_end52-_ZN2at6native12_GLOBAL__N_114gatherKthValueIflLi1EEEvNS_4cuda6detail10TensorInfoIKT_T0_EES8_S8_S8_S8_NS5_IS6_S8_EENS5_IlS8_EE
                                        ; -- End function
	.section	.AMDGPU.csdata,"",@progbits
; Kernel info:
; codeLenInByte = 16420
; NumSgprs: 100
; NumVgprs: 55
; NumAgprs: 0
; TotalNumVgprs: 55
; ScratchSize: 0
; MemoryBound: 0
; FloatMode: 240
; IeeeMode: 1
; LDSByteSize: 5144 bytes/workgroup (compile time only)
; SGPRBlocks: 12
; VGPRBlocks: 6
; NumSGPRsForWavesPerEU: 100
; NumVGPRsForWavesPerEU: 55
; AccumOffset: 56
; Occupancy: 8
; WaveLimiterHint : 1
; COMPUTE_PGM_RSRC2:SCRATCH_EN: 0
; COMPUTE_PGM_RSRC2:USER_SGPR: 6
; COMPUTE_PGM_RSRC2:TRAP_HANDLER: 0
; COMPUTE_PGM_RSRC2:TGID_X_EN: 1
; COMPUTE_PGM_RSRC2:TGID_Y_EN: 1
; COMPUTE_PGM_RSRC2:TGID_Z_EN: 1
; COMPUTE_PGM_RSRC2:TIDIG_COMP_CNT: 0
; COMPUTE_PGM_RSRC3_GFX90A:ACCUM_OFFSET: 13
; COMPUTE_PGM_RSRC3_GFX90A:TG_SPLIT: 0
	.section	.text._ZN2at6native12_GLOBAL__N_114gatherKthValueIflLi2EEEvNS_4cuda6detail10TensorInfoIKT_T0_EES8_S8_S8_S8_NS5_IS6_S8_EENS5_IlS8_EE,"axG",@progbits,_ZN2at6native12_GLOBAL__N_114gatherKthValueIflLi2EEEvNS_4cuda6detail10TensorInfoIKT_T0_EES8_S8_S8_S8_NS5_IS6_S8_EENS5_IlS8_EE,comdat
	.globl	_ZN2at6native12_GLOBAL__N_114gatherKthValueIflLi2EEEvNS_4cuda6detail10TensorInfoIKT_T0_EES8_S8_S8_S8_NS5_IS6_S8_EENS5_IlS8_EE ; -- Begin function _ZN2at6native12_GLOBAL__N_114gatherKthValueIflLi2EEEvNS_4cuda6detail10TensorInfoIKT_T0_EES8_S8_S8_S8_NS5_IS6_S8_EENS5_IlS8_EE
	.p2align	8
	.type	_ZN2at6native12_GLOBAL__N_114gatherKthValueIflLi2EEEvNS_4cuda6detail10TensorInfoIKT_T0_EES8_S8_S8_S8_NS5_IS6_S8_EENS5_IlS8_EE,@function
_ZN2at6native12_GLOBAL__N_114gatherKthValueIflLi2EEEvNS_4cuda6detail10TensorInfoIKT_T0_EES8_S8_S8_S8_NS5_IS6_S8_EENS5_IlS8_EE: ; @_ZN2at6native12_GLOBAL__N_114gatherKthValueIflLi2EEEvNS_4cuda6detail10TensorInfoIKT_T0_EES8_S8_S8_S8_NS5_IS6_S8_EENS5_IlS8_EE
; %bb.0:
	s_load_dwordx8 s[56:63], s[4:5], 0x1a0
	s_load_dwordx2 s[14:15], s[4:5], 0x500
	s_add_u32 s12, s4, 0x500
	s_addc_u32 s13, s5, 0
	s_mov_b32 s29, 0
	s_waitcnt lgkmcnt(0)
	v_mov_b32_e32 v2, s60
	s_mul_i32 s0, s15, s8
	s_add_i32 s0, s0, s7
	s_mul_i32 s0, s0, s14
	v_mov_b32_e32 v3, s61
	s_add_i32 s28, s0, s6
	v_cmp_ge_i64_e32 vcc, s[28:29], v[2:3]
	s_cbranch_vccnz .LBB53_291
; %bb.1:
	s_load_dwordx2 s[2:3], s[4:5], 0x10
	s_load_dwordx2 s[26:27], s[4:5], 0x1d0
	s_mov_b32 s0, s29
	s_waitcnt lgkmcnt(0)
	s_mov_b32 s1, s3
	s_cmp_lg_u64 s[0:1], 0
	s_cbranch_scc0 .LBB53_304
; %bb.2:
	s_ashr_i32 s8, s3, 31
	s_add_u32 s0, s2, s8
	s_mov_b32 s9, s8
	s_addc_u32 s1, s3, s8
	s_xor_b64 s[16:17], s[0:1], s[8:9]
	v_cvt_f32_u32_e32 v1, s16
	v_cvt_f32_u32_e32 v2, s17
	s_sub_u32 s0, 0, s16
	s_subb_u32 s1, 0, s17
	v_madmk_f32 v1, v2, 0x4f800000, v1
	v_rcp_f32_e32 v1, v1
	v_mul_f32_e32 v1, 0x5f7ffffc, v1
	v_mul_f32_e32 v2, 0x2f800000, v1
	v_trunc_f32_e32 v2, v2
	v_madmk_f32 v1, v2, 0xcf800000, v1
	v_cvt_u32_f32_e32 v2, v2
	v_cvt_u32_f32_e32 v1, v1
	v_readfirstlane_b32 s7, v2
	v_readfirstlane_b32 s15, v1
	s_mul_i32 s18, s0, s7
	s_mul_hi_u32 s20, s0, s15
	s_mul_i32 s19, s1, s15
	s_add_i32 s18, s20, s18
	s_add_i32 s18, s18, s19
	s_mul_i32 s21, s0, s15
	s_mul_hi_u32 s19, s15, s18
	s_mul_i32 s20, s15, s18
	s_mul_hi_u32 s15, s15, s21
	s_add_u32 s15, s15, s20
	s_addc_u32 s19, 0, s19
	s_mul_hi_u32 s22, s7, s21
	s_mul_i32 s21, s7, s21
	s_add_u32 s15, s15, s21
	s_mul_hi_u32 s20, s7, s18
	s_addc_u32 s15, s19, s22
	s_addc_u32 s19, s20, 0
	s_mul_i32 s18, s7, s18
	s_add_u32 s15, s15, s18
	s_addc_u32 s18, 0, s19
	v_add_co_u32_e32 v1, vcc, s15, v1
	s_cmp_lg_u64 vcc, 0
	s_addc_u32 s7, s7, s18
	v_readfirstlane_b32 s18, v1
	s_mul_i32 s15, s0, s7
	s_mul_hi_u32 s19, s0, s18
	s_add_i32 s15, s19, s15
	s_mul_i32 s1, s1, s18
	s_add_i32 s15, s15, s1
	s_mul_i32 s0, s0, s18
	s_mul_hi_u32 s19, s7, s0
	s_mul_i32 s20, s7, s0
	s_mul_i32 s22, s18, s15
	s_mul_hi_u32 s0, s18, s0
	s_mul_hi_u32 s21, s18, s15
	s_add_u32 s0, s0, s22
	s_addc_u32 s18, 0, s21
	s_add_u32 s0, s0, s20
	s_mul_hi_u32 s1, s7, s15
	s_addc_u32 s0, s18, s19
	s_addc_u32 s1, s1, 0
	s_mul_i32 s15, s7, s15
	s_add_u32 s0, s0, s15
	s_addc_u32 s1, 0, s1
	v_add_co_u32_e32 v1, vcc, s0, v1
	s_cmp_lg_u64 vcc, 0
	s_addc_u32 s7, s7, s1
	s_ashr_i32 s18, 0, 31
	s_add_u32 s0, s28, s18
	s_mov_b32 s19, s18
	s_addc_u32 s1, 0, s18
	s_xor_b64 s[20:21], s[0:1], s[18:19]
	v_readfirstlane_b32 s15, v1
	s_mul_i32 s1, s20, s7
	s_mul_hi_u32 s22, s20, s15
	s_mul_hi_u32 s0, s20, s7
	s_add_u32 s1, s22, s1
	s_addc_u32 s0, 0, s0
	s_mul_hi_u32 s23, s21, s15
	s_mul_i32 s15, s21, s15
	s_add_u32 s1, s1, s15
	s_mul_hi_u32 s22, s21, s7
	s_addc_u32 s0, s0, s23
	s_addc_u32 s1, s22, 0
	s_mul_i32 s7, s21, s7
	s_add_u32 s7, s0, s7
	s_addc_u32 s15, 0, s1
	s_mul_i32 s0, s16, s15
	s_mul_hi_u32 s1, s16, s7
	s_add_i32 s0, s1, s0
	s_mul_i32 s1, s17, s7
	s_add_i32 s22, s0, s1
	s_mul_i32 s1, s16, s7
	v_mov_b32_e32 v1, s1
	s_sub_i32 s0, s21, s22
	v_sub_co_u32_e32 v1, vcc, s20, v1
	s_cmp_lg_u64 vcc, 0
	s_subb_u32 s20, s0, s17
	v_subrev_co_u32_e64 v2, s[0:1], s16, v1
	s_cmp_lg_u64 s[0:1], 0
	s_subb_u32 s0, s20, 0
	s_cmp_ge_u32 s0, s17
	v_readfirstlane_b32 s20, v2
	s_cselect_b32 s1, -1, 0
	s_cmp_ge_u32 s20, s16
	s_cselect_b32 s20, -1, 0
	s_cmp_eq_u32 s0, s17
	s_cselect_b32 s0, s20, s1
	s_add_u32 s1, s7, 1
	s_addc_u32 s20, s15, 0
	s_add_u32 s23, s7, 2
	s_addc_u32 s24, s15, 0
	s_cmp_lg_u32 s0, 0
	s_cselect_b32 s0, s23, s1
	s_cselect_b32 s1, s24, s20
	s_cmp_lg_u64 vcc, 0
	s_subb_u32 s20, s21, s22
	s_cmp_ge_u32 s20, s17
	v_readfirstlane_b32 s22, v1
	s_cselect_b32 s21, -1, 0
	s_cmp_ge_u32 s22, s16
	s_cselect_b32 s16, -1, 0
	s_cmp_eq_u32 s20, s17
	s_cselect_b32 s16, s16, s21
	s_cmp_lg_u32 s16, 0
	s_cselect_b32 s1, s1, s15
	s_cselect_b32 s0, s0, s7
	s_xor_b64 s[8:9], s[18:19], s[8:9]
	s_xor_b64 s[0:1], s[0:1], s[8:9]
	s_sub_u32 s16, s0, s8
	s_subb_u32 s17, s1, s9
	s_cbranch_execnz .LBB53_4
.LBB53_3:
	v_cvt_f32_u32_e32 v1, s2
	s_sub_i32 s0, 0, s2
	s_mov_b32 s17, 0
	v_rcp_iflag_f32_e32 v1, v1
	v_mul_f32_e32 v1, 0x4f7ffffe, v1
	v_cvt_u32_f32_e32 v1, v1
	v_readfirstlane_b32 s1, v1
	s_mul_i32 s0, s0, s1
	s_mul_hi_u32 s0, s1, s0
	s_add_i32 s1, s1, s0
	s_mul_hi_u32 s0, s28, s1
	s_mul_i32 s7, s0, s2
	s_sub_i32 s7, s28, s7
	s_add_i32 s1, s0, 1
	s_sub_i32 s8, s7, s2
	s_cmp_ge_u32 s7, s2
	s_cselect_b32 s0, s1, s0
	s_cselect_b32 s7, s8, s7
	s_add_i32 s1, s0, 1
	s_cmp_ge_u32 s7, s2
	s_cselect_b32 s16, s1, s0
.LBB53_4:
	s_load_dwordx2 s[30:31], s[4:5], 0x370
	s_mov_b32 s0, 0
	s_mov_b32 s1, s27
                                        ; implicit-def: $vgpr52 : SGPR spill to VGPR lane
	s_cmp_lg_u64 s[0:1], 0
	v_writelane_b32 v52, s26, 0
	v_writelane_b32 v52, s27, 1
	s_cbranch_scc0 .LBB53_305
; %bb.5:
	s_ashr_i32 s8, s27, 31
	s_add_u32 s0, s26, s8
	s_mov_b32 s9, s8
	s_addc_u32 s1, s27, s8
	s_xor_b64 s[18:19], s[0:1], s[8:9]
	v_cvt_f32_u32_e32 v1, s18
	v_cvt_f32_u32_e32 v2, s19
	s_sub_u32 s0, 0, s18
	s_subb_u32 s1, 0, s19
	v_madmk_f32 v1, v2, 0x4f800000, v1
	v_rcp_f32_e32 v1, v1
	v_mul_f32_e32 v1, 0x5f7ffffc, v1
	v_mul_f32_e32 v2, 0x2f800000, v1
	v_trunc_f32_e32 v2, v2
	v_madmk_f32 v1, v2, 0xcf800000, v1
	v_cvt_u32_f32_e32 v2, v2
	v_cvt_u32_f32_e32 v1, v1
	v_readfirstlane_b32 s7, v2
	v_readfirstlane_b32 s15, v1
	s_mul_i32 s20, s0, s7
	s_mul_hi_u32 s22, s0, s15
	s_mul_i32 s21, s1, s15
	s_add_i32 s20, s22, s20
	s_add_i32 s20, s20, s21
	s_mul_i32 s23, s0, s15
	s_mul_hi_u32 s21, s15, s20
	s_mul_i32 s22, s15, s20
	s_mul_hi_u32 s15, s15, s23
	s_add_u32 s15, s15, s22
	s_addc_u32 s21, 0, s21
	s_mul_hi_u32 s24, s7, s23
	s_mul_i32 s23, s7, s23
	s_add_u32 s15, s15, s23
	s_mul_hi_u32 s22, s7, s20
	s_addc_u32 s15, s21, s24
	s_addc_u32 s21, s22, 0
	s_mul_i32 s20, s7, s20
	s_add_u32 s15, s15, s20
	s_addc_u32 s20, 0, s21
	v_add_co_u32_e32 v1, vcc, s15, v1
	s_cmp_lg_u64 vcc, 0
	s_addc_u32 s7, s7, s20
	v_readfirstlane_b32 s20, v1
	s_mul_i32 s15, s0, s7
	s_mul_hi_u32 s21, s0, s20
	s_add_i32 s15, s21, s15
	s_mul_i32 s1, s1, s20
	s_add_i32 s15, s15, s1
	s_mul_i32 s0, s0, s20
	s_mul_hi_u32 s21, s7, s0
	s_mul_i32 s22, s7, s0
	s_mul_i32 s24, s20, s15
	s_mul_hi_u32 s0, s20, s0
	s_mul_hi_u32 s23, s20, s15
	s_add_u32 s0, s0, s24
	s_addc_u32 s20, 0, s23
	s_add_u32 s0, s0, s22
	s_mul_hi_u32 s1, s7, s15
	s_addc_u32 s0, s20, s21
	s_addc_u32 s1, s1, 0
	s_mul_i32 s15, s7, s15
	s_add_u32 s0, s0, s15
	s_addc_u32 s1, 0, s1
	v_add_co_u32_e32 v1, vcc, s0, v1
	s_cmp_lg_u64 vcc, 0
	s_addc_u32 s7, s7, s1
	s_ashr_i32 s20, 0, 31
	s_add_u32 s0, s28, s20
	s_mov_b32 s21, s20
	s_addc_u32 s1, 0, s20
	s_xor_b64 s[22:23], s[0:1], s[20:21]
	v_readfirstlane_b32 s15, v1
	s_mul_i32 s1, s22, s7
	s_mul_hi_u32 s24, s22, s15
	s_mul_hi_u32 s0, s22, s7
	s_add_u32 s1, s24, s1
	s_addc_u32 s0, 0, s0
	s_mul_hi_u32 s25, s23, s15
	s_mul_i32 s15, s23, s15
	s_add_u32 s1, s1, s15
	s_mul_hi_u32 s24, s23, s7
	s_addc_u32 s0, s0, s25
	s_addc_u32 s1, s24, 0
	s_mul_i32 s7, s23, s7
	s_add_u32 s7, s0, s7
	s_addc_u32 s15, 0, s1
	s_mul_i32 s0, s18, s15
	s_mul_hi_u32 s1, s18, s7
	s_add_i32 s0, s1, s0
	s_mul_i32 s1, s19, s7
	s_add_i32 s24, s0, s1
	s_mul_i32 s1, s18, s7
	v_mov_b32_e32 v1, s1
	s_sub_i32 s0, s23, s24
	v_sub_co_u32_e32 v1, vcc, s22, v1
	s_cmp_lg_u64 vcc, 0
	s_subb_u32 s22, s0, s19
	v_subrev_co_u32_e64 v2, s[0:1], s18, v1
	s_cmp_lg_u64 s[0:1], 0
	s_subb_u32 s0, s22, 0
	s_cmp_ge_u32 s0, s19
	v_readfirstlane_b32 s22, v2
	s_cselect_b32 s1, -1, 0
	s_cmp_ge_u32 s22, s18
	s_cselect_b32 s22, -1, 0
	s_cmp_eq_u32 s0, s19
	s_cselect_b32 s0, s22, s1
	s_add_u32 s1, s7, 1
	s_addc_u32 s22, s15, 0
	s_add_u32 s25, s7, 2
	s_addc_u32 s26, s15, 0
	s_cmp_lg_u32 s0, 0
	s_cselect_b32 s0, s25, s1
	s_cselect_b32 s1, s26, s22
	s_cmp_lg_u64 vcc, 0
	s_subb_u32 s22, s23, s24
	s_cmp_ge_u32 s22, s19
	v_readfirstlane_b32 s24, v1
	s_cselect_b32 s23, -1, 0
	s_cmp_ge_u32 s24, s18
	s_cselect_b32 s18, -1, 0
	s_cmp_eq_u32 s22, s19
	s_cselect_b32 s18, s18, s23
	s_cmp_lg_u32 s18, 0
	s_cselect_b32 s1, s1, s15
	s_cselect_b32 s0, s0, s7
	s_xor_b64 s[8:9], s[20:21], s[8:9]
	s_load_dwordx2 s[26:27], s[4:5], 0x1d0
	s_xor_b64 s[0:1], s[0:1], s[8:9]
	s_sub_u32 s0, s0, s8
	s_subb_u32 s1, s1, s9
	v_writelane_b32 v52, s0, 2
	v_writelane_b32 v52, s1, 3
	s_cbranch_execnz .LBB53_7
.LBB53_6:
	s_waitcnt lgkmcnt(0)
	v_cvt_f32_u32_e32 v1, s26
	s_sub_i32 s0, 0, s26
	s_mov_b32 s9, 0
	v_rcp_iflag_f32_e32 v1, v1
	v_mul_f32_e32 v1, 0x4f7ffffe, v1
	v_cvt_u32_f32_e32 v1, v1
	v_readfirstlane_b32 s1, v1
	s_mul_i32 s0, s0, s1
	s_mul_hi_u32 s0, s1, s0
	s_add_i32 s1, s1, s0
	s_mul_hi_u32 s0, s28, s1
	s_mul_i32 s7, s0, s26
	s_sub_i32 s7, s28, s7
	s_add_i32 s1, s0, 1
	s_sub_i32 s8, s7, s26
	s_cmp_ge_u32 s7, s26
	s_cselect_b32 s0, s1, s0
	s_cselect_b32 s7, s8, s7
	s_add_i32 s1, s0, 1
	s_cmp_ge_u32 s7, s26
	s_cselect_b32 s8, s1, s0
	v_writelane_b32 v52, s8, 2
	v_writelane_b32 v52, s9, 3
.LBB53_7:
	s_mov_b32 s0, 0
	s_waitcnt lgkmcnt(0)
	s_mov_b32 s1, s31
	s_cmp_lg_u64 s[0:1], 0
	s_cbranch_scc0 .LBB53_306
; %bb.8:
	s_ashr_i32 s10, s31, 31
	s_add_u32 s0, s30, s10
	s_mov_b32 s11, s10
	s_addc_u32 s1, s31, s10
	s_xor_b64 s[18:19], s[0:1], s[10:11]
	v_cvt_f32_u32_e32 v1, s18
	v_cvt_f32_u32_e32 v2, s19
	s_sub_u32 s0, 0, s18
	s_subb_u32 s1, 0, s19
	v_madmk_f32 v1, v2, 0x4f800000, v1
	v_rcp_f32_e32 v1, v1
	v_mul_f32_e32 v1, 0x5f7ffffc, v1
	v_mul_f32_e32 v2, 0x2f800000, v1
	v_trunc_f32_e32 v2, v2
	v_madmk_f32 v1, v2, 0xcf800000, v1
	v_cvt_u32_f32_e32 v2, v2
	v_cvt_u32_f32_e32 v1, v1
	v_readfirstlane_b32 s7, v2
	v_readfirstlane_b32 s15, v1
	s_mul_i32 s20, s0, s7
	s_mul_hi_u32 s22, s0, s15
	s_mul_i32 s21, s1, s15
	s_add_i32 s20, s22, s20
	s_add_i32 s20, s20, s21
	s_mul_i32 s23, s0, s15
	s_mul_hi_u32 s21, s15, s20
	s_mul_i32 s22, s15, s20
	s_mul_hi_u32 s15, s15, s23
	s_add_u32 s15, s15, s22
	s_addc_u32 s21, 0, s21
	s_mul_hi_u32 s24, s7, s23
	s_mul_i32 s23, s7, s23
	s_add_u32 s15, s15, s23
	s_mul_hi_u32 s22, s7, s20
	s_addc_u32 s15, s21, s24
	s_addc_u32 s21, s22, 0
	s_mul_i32 s20, s7, s20
	s_add_u32 s15, s15, s20
	s_addc_u32 s20, 0, s21
	v_add_co_u32_e32 v1, vcc, s15, v1
	s_cmp_lg_u64 vcc, 0
	s_addc_u32 s7, s7, s20
	v_readfirstlane_b32 s20, v1
	s_mul_i32 s15, s0, s7
	s_mul_hi_u32 s21, s0, s20
	s_add_i32 s15, s21, s15
	s_mul_i32 s1, s1, s20
	s_add_i32 s15, s15, s1
	s_mul_i32 s0, s0, s20
	s_mul_hi_u32 s21, s7, s0
	s_mul_i32 s22, s7, s0
	s_mul_i32 s24, s20, s15
	s_mul_hi_u32 s0, s20, s0
	s_mul_hi_u32 s23, s20, s15
	s_add_u32 s0, s0, s24
	s_addc_u32 s20, 0, s23
	s_add_u32 s0, s0, s22
	s_mul_hi_u32 s1, s7, s15
	s_addc_u32 s0, s20, s21
	s_addc_u32 s1, s1, 0
	s_mul_i32 s15, s7, s15
	s_add_u32 s0, s0, s15
	s_addc_u32 s1, 0, s1
	v_add_co_u32_e32 v1, vcc, s0, v1
	s_cmp_lg_u64 vcc, 0
	s_addc_u32 s7, s7, s1
	s_ashr_i32 s20, 0, 31
	s_add_u32 s0, s28, s20
	s_mov_b32 s21, s20
	s_addc_u32 s1, 0, s20
	s_xor_b64 s[22:23], s[0:1], s[20:21]
	v_readfirstlane_b32 s15, v1
	s_mul_i32 s1, s22, s7
	s_mul_hi_u32 s24, s22, s15
	s_mul_hi_u32 s0, s22, s7
	s_add_u32 s1, s24, s1
	s_addc_u32 s0, 0, s0
	s_mul_hi_u32 s25, s23, s15
	s_mul_i32 s15, s23, s15
	s_add_u32 s1, s1, s15
	s_mul_hi_u32 s24, s23, s7
	s_addc_u32 s0, s0, s25
	s_addc_u32 s1, s24, 0
	s_mul_i32 s7, s23, s7
	s_add_u32 s7, s0, s7
	s_addc_u32 s15, 0, s1
	s_mul_i32 s0, s18, s15
	s_mul_hi_u32 s1, s18, s7
	s_add_i32 s0, s1, s0
	s_mul_i32 s1, s19, s7
	s_add_i32 s24, s0, s1
	s_mul_i32 s1, s18, s7
	v_mov_b32_e32 v1, s1
	s_sub_i32 s0, s23, s24
	v_sub_co_u32_e32 v1, vcc, s22, v1
	s_cmp_lg_u64 vcc, 0
	s_subb_u32 s22, s0, s19
	v_subrev_co_u32_e64 v2, s[0:1], s18, v1
	s_cmp_lg_u64 s[0:1], 0
	s_subb_u32 s0, s22, 0
	s_cmp_ge_u32 s0, s19
	v_readfirstlane_b32 s22, v2
	s_cselect_b32 s1, -1, 0
	s_cmp_ge_u32 s22, s18
	s_cselect_b32 s22, -1, 0
	s_cmp_eq_u32 s0, s19
	s_cselect_b32 s0, s22, s1
	s_add_u32 s1, s7, 1
	s_addc_u32 s22, s15, 0
	s_add_u32 s25, s7, 2
	s_addc_u32 s26, s15, 0
	s_cmp_lg_u32 s0, 0
	s_cselect_b32 s0, s25, s1
	s_cselect_b32 s1, s26, s22
	s_cmp_lg_u64 vcc, 0
	s_subb_u32 s22, s23, s24
	s_cmp_ge_u32 s22, s19
	v_readfirstlane_b32 s24, v1
	s_cselect_b32 s23, -1, 0
	s_cmp_ge_u32 s24, s18
	s_cselect_b32 s18, -1, 0
	s_cmp_eq_u32 s22, s19
	s_cselect_b32 s18, s18, s23
	s_cmp_lg_u32 s18, 0
	s_cselect_b32 s1, s1, s15
	s_cselect_b32 s0, s0, s7
	s_xor_b64 s[10:11], s[20:21], s[10:11]
	s_xor_b64 s[0:1], s[0:1], s[10:11]
	s_sub_u32 s0, s0, s10
	s_subb_u32 s1, s1, s11
	v_writelane_b32 v52, s0, 4
	v_writelane_b32 v52, s1, 5
	s_load_dwordx2 s[0:1], s[4:5], 0x0
	s_cbranch_execnz .LBB53_10
.LBB53_9:
	v_cvt_f32_u32_e32 v1, s30
	s_sub_i32 s7, 0, s30
	s_mov_b32 s11, 0
	v_rcp_iflag_f32_e32 v1, v1
	v_mul_f32_e32 v1, 0x4f7ffffe, v1
	v_cvt_u32_f32_e32 v1, v1
	v_readfirstlane_b32 s8, v1
	s_mul_i32 s7, s7, s8
	s_mul_hi_u32 s7, s8, s7
	s_add_i32 s8, s8, s7
	s_mul_hi_u32 s7, s28, s8
	s_mul_i32 s9, s7, s30
	s_sub_i32 s9, s28, s9
	s_add_i32 s8, s7, 1
	s_sub_i32 s10, s9, s30
	s_cmp_ge_u32 s9, s30
	s_cselect_b32 s7, s8, s7
	s_cselect_b32 s9, s10, s9
	s_add_i32 s8, s7, 1
	s_cmp_ge_u32 s9, s30
	s_cselect_b32 s10, s8, s7
	v_writelane_b32 v52, s10, 4
	v_writelane_b32 v52, s11, 5
.LBB53_10:
	s_load_dwordx2 s[8:9], s[4:5], 0x360
	v_writelane_b32 v52, s30, 6
	v_writelane_b32 v52, s31, 7
	s_mov_b32 s85, 0
	v_cmp_eq_u32_e64 s[20:21], 0, v0
	s_waitcnt lgkmcnt(0)
	v_writelane_b32 v52, s8, 8
	v_writelane_b32 v52, s9, 9
	s_load_dwordx2 s[8:9], s[4:5], 0x1c0
	s_waitcnt lgkmcnt(0)
	v_writelane_b32 v52, s8, 10
	v_writelane_b32 v52, s9, 11
	s_load_dwordx4 s[8:11], s[4:5], 0xd0
	s_mov_b64 s[18:19], exec
	v_writelane_b32 v52, s20, 12
	v_writelane_b32 v52, s21, 13
	s_and_b64 s[20:21], s[18:19], s[20:21]
	s_mov_b64 exec, s[20:21]
	s_cbranch_execz .LBB53_12
; %bb.11:
	v_mov_b32_e32 v2, 0
	v_mov_b32_e32 v4, s56
	;; [unrolled: 1-line block ×4, first 2 shown]
	ds_write_b32 v2, v2 offset:5136
	ds_write_b128 v2, v[2:5] offset:5120
.LBB53_12:
	s_or_b64 exec, exec, s[18:19]
	s_load_dwordx4 s[20:23], s[4:5], 0x430
                                        ; kill: killed $sgpr4 killed $sgpr5
	s_mul_i32 s3, s16, s3
	v_mov_b32_e32 v2, 0x300
	v_mov_b32_e32 v3, 0
	;; [unrolled: 1-line block ×3, first 2 shown]
	s_waitcnt lgkmcnt(0)
	v_writelane_b32 v52, s20, 14
	v_writelane_b32 v52, s21, 15
	;; [unrolled: 1-line block ×4, first 2 shown]
	s_load_dwordx4 s[20:23], s[4:5], 0x290
	s_mul_hi_u32 s4, s16, s2
	s_add_i32 s3, s4, s3
	s_mul_i32 s4, s17, s2
	s_add_i32 s3, s3, s4
	s_waitcnt lgkmcnt(0)
	v_writelane_b32 v52, s20, 18
	v_writelane_b32 v52, s21, 19
	;; [unrolled: 1-line block ×4, first 2 shown]
	s_mul_i32 s2, s16, s2
	s_mov_b32 s4, s28
	v_writelane_b32 v52, s4, 22
	s_sub_u32 s2, s28, s2
	v_writelane_b32 v52, s5, 23
	s_subb_u32 s3, 0, s3
	s_mul_i32 s4, s2, s11
	s_mul_hi_u32 s5, s2, s10
	s_add_i32 s4, s5, s4
	s_mul_i32 s3, s3, s10
	s_add_i32 s3, s4, s3
	s_mul_i32 s4, s16, s9
	s_mul_hi_u32 s5, s16, s8
	s_add_i32 s4, s5, s4
	s_mul_i32 s5, s17, s8
	s_mul_i32 s2, s2, s10
	s_add_i32 s5, s4, s5
	s_mul_i32 s4, s16, s8
	s_lshl_b64 s[4:5], s[4:5], 2
	s_lshl_b64 s[2:3], s[2:3], 2
	s_add_u32 s2, s4, s2
	s_addc_u32 s3, s5, s3
	s_add_u32 s86, s0, s2
	s_addc_u32 s87, s1, s3
	v_cmp_gt_u32_e64 s[0:1], 2, v0
	v_writelane_b32 v52, s0, 24
	v_mbcnt_lo_u32_b32 v1, -1, 0
	v_writelane_b32 v52, s1, 25
	v_cmp_gt_i64_e64 s[0:1], s[56:57], v[2:3]
	v_mbcnt_hi_u32_b32 v38, -1, v1
	v_mov_b32_e32 v1, v13
	v_writelane_b32 v52, s0, 26
	v_writelane_b32 v52, s1, 27
	v_cmp_gt_u64_e64 s[0:1], s[56:57], v[0:1]
	v_writelane_b32 v52, s0, 28
	v_writelane_b32 v52, s1, 29
	v_mad_u64_u32 v[2:3], s[0:1], v0, s62, 0
	v_mov_b32_e32 v4, v3
	v_mad_u64_u32 v[4:5], s[0:1], v0, s63, v[4:5]
	v_cmp_gt_i64_e64 s[0:1], s[56:57], v[0:1]
	v_writelane_b32 v52, s0, 30
	s_barrier
	v_writelane_b32 v52, s1, 31
	s_load_dword s0, s[12:13], 0xc
	v_cmp_gt_u32_e32 vcc, 64, v0
	v_cmp_gt_i32_e64 s[2:3], 4, v38
	s_and_b64 s[48:49], vcc, s[2:3]
	v_mov_b32_e32 v3, v4
	s_waitcnt lgkmcnt(0)
	v_cmp_gt_u16_e64 s[2:3], s0, 63
	s_and_b32 s33, s0, 0xffff
	s_bfe_u32 s1, s0, 0xa0006
	v_writelane_b32 v52, s2, 32
	v_writelane_b32 v52, s3, 33
	s_add_u32 s2, s33, -1
	s_addc_u32 s0, 0, -1
	s_add_u32 s95, s2, s56
	s_addc_u32 s93, s0, s57
	v_writelane_b32 v52, s2, 34
	s_cmp_lt_u32 s6, s14
	v_writelane_b32 v52, s0, 35
	s_cselect_b32 s0, 12, 18
	s_add_u32 s50, s12, s0
	s_addc_u32 s51, s13, 0
	s_add_i32 s0, s1, -1
	s_bfe_u32 s2, s33, 0x30006
	s_cmp_gt_u32 s0, 6
	v_lshlrev_b64 v[4:5], 2, v[2:3]
	s_cselect_b64 s[6:7], -1, 0
	v_add_co_u32_e32 v10, vcc, s86, v4
	v_lshrrev_b32_e32 v4, 4, v0
	v_writelane_b32 v52, s6, 36
	s_and_b32 s66, s1, 0x3f8
	v_mov_b32_e32 v6, s87
	v_and_b32_e32 v40, 60, v4
	v_lshlrev_b32_e32 v4, 2, v38
	v_writelane_b32 v52, s7, 37
	s_cmp_lg_u32 s2, 0
	v_addc_co_u32_e32 v11, vcc, v6, v5, vcc
	v_and_b32_e32 v41, 0x100, v4
	v_lshlrev_b64 v[4:5], v38, -1
	v_writelane_b32 v52, s2, 38
	s_cselect_b64 s[0:1], -1, 0
	v_lshlrev_b32_e32 v42, 4, v0
	v_not_b32_e32 v17, v5
	v_writelane_b32 v52, s0, 39
	v_or_b32_e32 v5, 12, v42
	v_writelane_b32 v52, s1, 40
	v_mad_u64_u32 v[18:19], s[0:1], s62, v5, 0
	v_not_b32_e32 v16, v4
	v_mov_b32_e32 v4, v19
	v_mad_u64_u32 v[4:5], s[0:1], s63, v5, v[4:5]
	s_lshl_b64 s[0:1], s[62:63], 4
	v_writelane_b32 v52, s0, 41
	v_or_b32_e32 v5, 8, v42
	v_writelane_b32 v52, s1, 42
	v_mad_u64_u32 v[20:21], s[0:1], s62, v5, 0
	v_mov_b32_e32 v19, v4
	v_mov_b32_e32 v4, v21
	v_mad_u64_u32 v[4:5], s[0:1], s63, v5, v[4:5]
	v_or_b32_e32 v5, 4, v42
	v_mad_u64_u32 v[22:23], s[0:1], s62, v5, 0
	v_mov_b32_e32 v21, v4
	v_mov_b32_e32 v4, v23
	v_mad_u64_u32 v[4:5], s[0:1], s63, v5, v[4:5]
	v_lshlrev_b64 v[24:25], 4, v[2:3]
	v_mov_b32_e32 v2, s57
	v_add_co_u32_e32 v43, vcc, s56, v0
	s_mul_i32 s0, s63, s33
	s_mul_hi_u32 s1, s62, s33
	v_writelane_b32 v52, s48, 43
	v_lshlrev_b32_e32 v14, 2, v0
	v_addc_co_u32_e32 v44, vcc, 0, v2, vcc
	v_mov_b32_e32 v2, 0xc00
	s_add_i32 s1, s1, s0
	s_mul_i32 s0, s62, s33
	v_writelane_b32 v52, s49, 44
	v_cmp_eq_u32_e64 s[4:5], 0, v38
	v_add_u32_e32 v39, 0xc00, v14
	v_mov_b32_e32 v15, v13
	s_mov_b32 s28, s85
	s_lshl_b64 s[64:65], s[62:63], 2
	v_mov_b32_e32 v23, v4
	v_lshl_or_b32 v45, v38, 3, v2
	s_lshl_b64 s[82:83], s[0:1], 2
	s_lshl_b32 s67, s33, 2
	s_mov_b32 s29, 30
	s_mov_b64 s[68:69], 0
	v_mov_b32_e32 v26, 1.0
	v_bfrev_b32_e32 v46, 1
	v_cvt_f32_ubyte0_e32 v47, 0
	v_mov_b32_e32 v29, 0
	s_mov_b32 s88, 0
	s_mov_b32 s94, 0
	;; [unrolled: 1-line block ×3, first 2 shown]
	v_writelane_b32 v52, s50, 45
                                        ; implicit-def: $sgpr60_sgpr61
                                        ; implicit-def: $sgpr74_sgpr75
                                        ; implicit-def: $sgpr72_sgpr73
                                        ; implicit-def: $sgpr76_sgpr77
                                        ; implicit-def: $sgpr70_sgpr71
                                        ; implicit-def: $sgpr10_sgpr11
	v_writelane_b32 v52, s51, 46
	s_branch .LBB53_17
.LBB53_13:                              ;   in Loop: Header=BB53_17 Depth=1
	s_xor_b32 s88, s88, 1
	s_add_i32 s8, s29, -2
	s_cmp_eq_u32 s29, 0
	s_mov_b64 s[2:3], 0
	s_cselect_b64 s[6:7], -1, 0
	s_mov_b32 s29, s8
.LBB53_14:                              ;   in Loop: Header=BB53_17 Depth=1
	s_andn2_b64 s[8:9], s[22:23], exec
	s_and_b64 s[2:3], s[2:3], exec
	s_or_b64 s[22:23], s[8:9], s[2:3]
	s_andn2_b64 s[24:25], s[24:25], exec
	s_andn2_b64 s[20:21], s[20:21], exec
	s_orn2_b64 s[16:17], s[6:7], exec
.LBB53_15:                              ;   in Loop: Header=BB53_17 Depth=1
	s_or_b64 exec, exec, s[0:1]
	s_andn2_b64 s[0:1], s[10:11], exec
	s_and_b64 s[2:3], s[22:23], exec
	s_or_b64 s[10:11], s[0:1], s[2:3]
	s_andn2_b64 s[0:1], s[70:71], exec
	s_and_b64 s[2:3], s[24:25], exec
	s_or_b64 s[70:71], s[0:1], s[2:3]
	;; [unrolled: 3-line block ×3, first 2 shown]
	s_orn2_b64 s[20:21], s[16:17], exec
.LBB53_16:                              ;   in Loop: Header=BB53_17 Depth=1
	s_or_b64 exec, exec, s[14:15]
	s_and_b64 s[0:1], exec, s[20:21]
	s_or_b64 s[68:69], s[0:1], s[68:69]
	s_andn2_b64 s[0:1], s[72:73], exec
	s_and_b64 s[2:3], s[10:11], exec
	s_or_b64 s[72:73], s[0:1], s[2:3]
	s_andn2_b64 s[0:1], s[74:75], exec
	s_and_b64 s[2:3], s[70:71], exec
	;; [unrolled: 3-line block ×3, first 2 shown]
	v_mov_b32_e32 v2, s94
	s_or_b64 s[60:61], s[0:1], s[2:3]
	s_andn2_b64 exec, exec, s[68:69]
	s_cbranch_execz .LBB53_287
.LBB53_17:                              ; =>This Loop Header: Depth=1
                                        ;     Child Loop BB53_25 Depth 2
                                        ;     Child Loop BB53_44 Depth 2
	;; [unrolled: 1-line block ×16, first 2 shown]
	ds_read_b128 v[2:5], v13 offset:5120
	s_waitcnt lgkmcnt(0)
	v_readfirstlane_b32 s79, v3
	v_readfirstlane_b32 s78, v2
	v_cmp_gt_i64_e64 s[0:1], s[78:79], 0
	s_and_b64 vcc, exec, s[0:1]
	s_cbranch_vccnz .LBB53_51
; %bb.18:                               ;   in Loop: Header=BB53_17 Depth=1
	v_readlane_b32 s0, v52, 26
	v_readlane_b32 s1, v52, 27
	s_and_b64 vcc, exec, s[0:1]
	s_cbranch_vccz .LBB53_33
; %bb.19:                               ;   in Loop: Header=BB53_17 Depth=1
	s_mov_b64 s[0:1], 0x301
	v_cmp_gt_i64_e32 vcc, s[0:1], v[4:5]
	s_mov_b64 s[0:1], 0
	s_mov_b64 s[2:3], 0
	s_cbranch_vccz .LBB53_38
; %bb.20:                               ;   in Loop: Header=BB53_17 Depth=1
	v_mov_b32_e32 v6, 0
	s_mov_b64 s[2:3], exec
	v_readlane_b32 s6, v52, 28
	v_readlane_b32 s7, v52, 29
	s_and_b64 s[6:7], s[2:3], s[6:7]
	s_mov_b64 exec, s[6:7]
	s_cbranch_execz .LBB53_22
; %bb.21:                               ;   in Loop: Header=BB53_17 Depth=1
	global_load_dword v6, v[10:11], off
.LBB53_22:                              ;   in Loop: Header=BB53_17 Depth=1
	s_or_b64 exec, exec, s[2:3]
	s_mov_b64 s[2:3], exec
	v_readlane_b32 s6, v52, 28
	v_readlane_b32 s7, v52, 29
	s_and_b64 s[6:7], s[2:3], s[6:7]
	s_mov_b64 exec, s[6:7]
	s_cbranch_execz .LBB53_34
; %bb.23:                               ;   in Loop: Header=BB53_17 Depth=1
	global_load_ushort v7, v13, s[50:51]
	v_pk_mov_b32 v[2:3], s[86:87], s[86:87] op_sel:[0,1]
	s_mov_b64 s[8:9], 0
	s_waitcnt vmcnt(0)
	v_readfirstlane_b32 s6, v7
	s_and_b32 s6, 0xffff, s6
	v_add_u32_e32 v5, s6, v0
	s_mul_i32 s12, s65, s6
	s_mul_hi_u32 s13, s64, s6
	s_mul_i32 s20, s64, s6
	v_mad_u64_u32 v[2:3], s[6:7], s64, v5, v[2:3]
	v_mov_b32_e32 v4, v3
	v_mad_u64_u32 v[4:5], s[6:7], s65, v5, v[4:5]
	s_add_i32 s21, s13, s12
	v_mov_b32_e32 v3, v4
	v_pk_mov_b32 v[4:5], v[0:1], v[0:1] op_sel:[0,1]
	s_branch .LBB53_25
.LBB53_24:                              ;   in Loop: Header=BB53_25 Depth=2
	s_or_b64 exec, exec, s[6:7]
	v_mov_b32_e32 v6, s21
	v_add_co_u32_e32 v2, vcc, s20, v2
	v_addc_co_u32_e32 v3, vcc, v3, v6, vcc
	s_waitcnt vmcnt(0)
	v_mov_b32_e32 v6, v8
	s_andn2_b64 exec, exec, s[8:9]
	s_cbranch_execz .LBB53_34
.LBB53_25:                              ;   Parent Loop BB53_17 Depth=1
                                        ; =>  This Inner Loop Header: Depth=2
	v_add_co_u32_sdwa v4, vcc, v4, v7 dst_sel:DWORD dst_unused:UNUSED_PAD src0_sel:DWORD src1_sel:WORD_0
	v_addc_co_u32_e32 v5, vcc, 0, v5, vcc
	v_cmp_gt_i64_e64 s[6:7], s[56:57], v[4:5]
	v_cmp_le_i64_e32 vcc, s[56:57], v[4:5]
	s_waitcnt lgkmcnt(0)
	v_mov_b32_e32 v9, 0
	v_mov_b32_e32 v8, 0
	s_and_saveexec_b64 s[12:13], s[6:7]
	s_cbranch_execz .LBB53_27
; %bb.26:                               ;   in Loop: Header=BB53_25 Depth=2
	global_load_dword v8, v[2:3], off
.LBB53_27:                              ;   in Loop: Header=BB53_25 Depth=2
	s_or_b64 exec, exec, s[12:13]
	v_cmp_lt_i32_e64 s[6:7], -1, v6
	v_cndmask_b32_e64 v12, -1, v46, s[6:7]
	v_xor_b32_e32 v12, v12, v6
	v_cmp_o_f32_e64 s[6:7], v6, v6
	v_cndmask_b32_e64 v12, -1, v12, s[6:7]
	v_and_b32_e32 v12, s89, v12
	v_cmp_eq_u32_e64 s[12:13], s94, v12
	s_cmp_lg_u64 s[12:13], 0
	s_cselect_b64 s[6:7], -1, 0
	s_and_b64 s[6:7], s[4:5], s[6:7]
	s_and_saveexec_b64 s[14:15], s[6:7]
	s_cbranch_execz .LBB53_31
; %bb.28:                               ;   in Loop: Header=BB53_25 Depth=2
	s_mov_b64 s[18:19], exec
	v_mbcnt_lo_u32_b32 v9, s18, 0
	v_mbcnt_hi_u32_b32 v9, s19, v9
	s_bcnt1_i32_b64 s22, s[12:13]
	v_cmp_eq_u32_e64 s[6:7], 0, v9
                                        ; implicit-def: $vgpr12
	s_and_saveexec_b64 s[16:17], s[6:7]
	s_cbranch_execz .LBB53_30
; %bb.29:                               ;   in Loop: Header=BB53_25 Depth=2
	s_bcnt1_i32_b64 s6, s[18:19]
	s_mul_i32 s6, s22, s6
	v_mov_b32_e32 v12, s6
	ds_add_rtn_u32 v12, v13, v12 offset:5136
.LBB53_30:                              ;   in Loop: Header=BB53_25 Depth=2
	s_or_b64 exec, exec, s[16:17]
	s_waitcnt lgkmcnt(0)
	v_readfirstlane_b32 s6, v12
	v_mov_b32_e32 v12, s6
	v_mad_u32_u24 v9, s22, v9, v12
.LBB53_31:                              ;   in Loop: Header=BB53_25 Depth=2
	s_or_b64 exec, exec, s[14:15]
	ds_bpermute_b32 v9, v41, v9
	s_and_b64 s[6:7], exec, vcc
	s_or_b64 s[8:9], s[6:7], s[8:9]
	s_and_saveexec_b64 s[6:7], s[12:13]
	s_cbranch_execz .LBB53_24
; %bb.32:                               ;   in Loop: Header=BB53_25 Depth=2
	v_and_b32_e32 v27, s12, v16
	v_and_b32_e32 v12, s13, v17
	v_bcnt_u32_b32 v27, v27, 0
	v_bcnt_u32_b32 v12, v12, v27
	v_lshlrev_b32_e32 v12, 2, v12
	s_waitcnt lgkmcnt(0)
	v_lshl_add_u32 v9, v9, 2, v12
	ds_write_b32 v9, v6
	s_branch .LBB53_24
.LBB53_33:                              ;   in Loop: Header=BB53_17 Depth=1
	s_mov_b64 s[0:1], -1
	s_mov_b64 s[2:3], 0
	s_branch .LBB53_37
.LBB53_34:                              ;   in Loop: Header=BB53_17 Depth=1
	s_or_b64 exec, exec, s[2:3]
	s_waitcnt lgkmcnt(0)
	s_barrier
	s_mov_b64 s[2:3], exec
	v_readlane_b32 s6, v52, 12
	v_readlane_b32 s7, v52, 13
	s_and_b64 s[6:7], s[2:3], s[6:7]
	s_mov_b64 exec, s[6:7]
	s_cbranch_execz .LBB53_36
; %bb.35:                               ;   in Loop: Header=BB53_17 Depth=1
	ds_read_b32 v2, v13 offset:5136
	s_waitcnt lgkmcnt(0)
	v_ashrrev_i32_e32 v3, 31, v2
	ds_write_b64 v13, v[2:3] offset:5120
.LBB53_36:                              ;   in Loop: Header=BB53_17 Depth=1
	s_or_b64 exec, exec, s[2:3]
	s_waitcnt lgkmcnt(0)
	s_barrier
	s_mov_b64 s[2:3], -1
.LBB53_37:                              ;   in Loop: Header=BB53_17 Depth=1
                                        ; implicit-def: $sgpr78_sgpr79
.LBB53_38:                              ;   in Loop: Header=BB53_17 Depth=1
	s_and_b64 vcc, exec, s[0:1]
	s_cbranch_vccz .LBB53_49
; %bb.39:                               ;   in Loop: Header=BB53_17 Depth=1
	s_waitcnt vmcnt(0)
	v_mov_b32_e32 v6, 0
	s_mov_b64 s[0:1], exec
	v_readlane_b32 s2, v52, 30
	v_readlane_b32 s3, v52, 31
	s_and_b64 s[2:3], s[0:1], s[2:3]
	s_mov_b64 exec, s[2:3]
	s_cbranch_execz .LBB53_41
; %bb.40:                               ;   in Loop: Header=BB53_17 Depth=1
	global_load_dword v6, v[10:11], off
.LBB53_41:                              ;   in Loop: Header=BB53_17 Depth=1
	s_or_b64 exec, exec, s[0:1]
	s_mov_b64 s[0:1], exec
	v_readlane_b32 s2, v52, 30
	v_readlane_b32 s3, v52, 31
	s_and_b64 s[2:3], s[0:1], s[2:3]
	s_mov_b64 exec, s[2:3]
	s_cbranch_execz .LBB53_46
; %bb.42:                               ;   in Loop: Header=BB53_17 Depth=1
	global_load_ushort v7, v13, s[50:51]
	v_pk_mov_b32 v[2:3], s[86:87], s[86:87] op_sel:[0,1]
	s_mov_b64 s[2:3], 0
	v_mov_b32_e32 v8, v14
	s_waitcnt vmcnt(0)
	v_readfirstlane_b32 s6, v7
	s_and_b32 s6, 0xffff, s6
	v_add_u32_e32 v5, s6, v0
	s_lshl_b32 s12, s6, 2
	s_mul_i32 s8, s65, s6
	s_mul_hi_u32 s9, s64, s6
	s_mul_i32 s13, s64, s6
	v_mad_u64_u32 v[2:3], s[6:7], s64, v5, v[2:3]
	v_mov_b32_e32 v4, v3
	v_mad_u64_u32 v[4:5], s[6:7], s65, v5, v[4:5]
	s_add_i32 s14, s9, s8
	v_mov_b32_e32 v3, v4
	v_pk_mov_b32 v[4:5], v[0:1], v[0:1] op_sel:[0,1]
	s_branch .LBB53_44
.LBB53_43:                              ;   in Loop: Header=BB53_44 Depth=2
	s_or_b64 exec, exec, s[8:9]
	s_and_b64 s[6:7], exec, vcc
	ds_write_b32 v8, v6
	v_mov_b32_e32 v6, s14
	v_add_co_u32_e32 v2, vcc, s13, v2
	s_or_b64 s[2:3], s[6:7], s[2:3]
	v_add_u32_e32 v8, s12, v8
	v_addc_co_u32_e32 v3, vcc, v3, v6, vcc
	s_waitcnt vmcnt(0)
	v_mov_b32_e32 v6, v9
	s_andn2_b64 exec, exec, s[2:3]
	s_cbranch_execz .LBB53_46
.LBB53_44:                              ;   Parent Loop BB53_17 Depth=1
                                        ; =>  This Inner Loop Header: Depth=2
	v_add_co_u32_sdwa v4, vcc, v4, v7 dst_sel:DWORD dst_unused:UNUSED_PAD src0_sel:DWORD src1_sel:WORD_0
	v_addc_co_u32_e32 v5, vcc, 0, v5, vcc
	v_cmp_gt_i64_e64 s[6:7], s[56:57], v[4:5]
	v_cmp_le_i64_e32 vcc, s[56:57], v[4:5]
	v_mov_b32_e32 v9, 0
	s_and_saveexec_b64 s[8:9], s[6:7]
	s_cbranch_execz .LBB53_43
; %bb.45:                               ;   in Loop: Header=BB53_44 Depth=2
	global_load_dword v9, v[2:3], off
	s_branch .LBB53_43
.LBB53_46:                              ;   in Loop: Header=BB53_17 Depth=1
	s_or_b64 exec, exec, s[0:1]
	s_waitcnt lgkmcnt(0)
	s_barrier
	s_mov_b64 s[0:1], exec
	v_readlane_b32 s2, v52, 12
	v_readlane_b32 s3, v52, 13
	s_and_b64 s[2:3], s[0:1], s[2:3]
	s_mov_b64 exec, s[2:3]
	s_cbranch_execz .LBB53_48
; %bb.47:                               ;   in Loop: Header=BB53_17 Depth=1
	v_pk_mov_b32 v[2:3], s[56:57], s[56:57] op_sel:[0,1]
	ds_write_b64 v13, v[2:3] offset:5120
.LBB53_48:                              ;   in Loop: Header=BB53_17 Depth=1
	s_or_b64 exec, exec, s[0:1]
	s_mov_b64 s[2:3], -1
	s_waitcnt lgkmcnt(0)
	s_barrier
                                        ; implicit-def: $sgpr78_sgpr79
.LBB53_49:                              ;   in Loop: Header=BB53_17 Depth=1
	s_and_b64 vcc, exec, s[2:3]
	s_cbranch_vccz .LBB53_51
; %bb.50:                               ;   in Loop: Header=BB53_17 Depth=1
	ds_read_b64 v[2:3], v13 offset:5120
	s_waitcnt lgkmcnt(0)
	v_readfirstlane_b32 s78, v2
.LBB53_51:                              ;   in Loop: Header=BB53_17 Depth=1
	s_cmp_lt_i32 s78, 1
	s_cbranch_scc0 .LBB53_66
; %bb.52:                               ;   in Loop: Header=BB53_17 Depth=1
	global_load_ushort v2, v13, s[50:51]
	s_mov_b32 s0, s85
	s_waitcnt vmcnt(0)
	v_readfirstlane_b32 s1, v2
	s_and_b32 s1, 0xffff, s1
	s_lshl_b32 s79, s1, 2
	s_mov_b32 s1, s57
	s_cmp_lg_u64 s[0:1], 0
	s_cbranch_scc0 .LBB53_86
; %bb.53:                               ;   in Loop: Header=BB53_17 Depth=1
	v_cvt_f32_u32_e32 v3, s79
	s_sub_u32 s0, 0, s79
	s_subb_u32 s1, 0, 0
	v_mac_f32_e32 v3, 0x4f800000, v47
	v_rcp_f32_e32 v3, v3
	v_mul_f32_e32 v3, 0x5f7ffffc, v3
	v_mul_f32_e32 v4, 0x2f800000, v3
	v_trunc_f32_e32 v4, v4
	v_mac_f32_e32 v3, 0xcf800000, v4
	v_cvt_u32_f32_e32 v4, v4
	v_cvt_u32_f32_e32 v3, v3
	v_readfirstlane_b32 s2, v4
	v_readfirstlane_b32 s3, v3
	s_mul_i32 s6, s0, s2
	s_mul_hi_u32 s8, s0, s3
	s_mul_i32 s7, s1, s3
	s_add_i32 s6, s8, s6
	s_mul_i32 s9, s0, s3
	s_add_i32 s6, s6, s7
	s_mul_hi_u32 s8, s3, s9
	s_mul_hi_u32 s7, s3, s6
	s_mul_i32 s3, s3, s6
	s_add_u32 s3, s8, s3
	s_addc_u32 s7, 0, s7
	s_mul_hi_u32 s12, s2, s9
	s_mul_i32 s9, s2, s9
	s_add_u32 s3, s3, s9
	s_mul_hi_u32 s8, s2, s6
	s_addc_u32 s3, s7, s12
	s_addc_u32 s7, s8, 0
	s_mul_i32 s6, s2, s6
	s_add_u32 s3, s3, s6
	s_addc_u32 s6, 0, s7
	v_add_co_u32_e32 v3, vcc, s3, v3
	s_cmp_lg_u64 vcc, 0
	s_addc_u32 s2, s2, s6
	v_readfirstlane_b32 s6, v3
	s_mul_i32 s3, s0, s2
	s_mul_hi_u32 s7, s0, s6
	s_add_i32 s3, s7, s3
	s_mul_i32 s1, s1, s6
	s_add_i32 s3, s3, s1
	s_mul_i32 s0, s0, s6
	s_mul_hi_u32 s7, s2, s0
	s_mul_i32 s8, s2, s0
	s_mul_i32 s12, s6, s3
	s_mul_hi_u32 s0, s6, s0
	s_mul_hi_u32 s9, s6, s3
	s_add_u32 s0, s0, s12
	s_addc_u32 s6, 0, s9
	s_add_u32 s0, s0, s8
	s_mul_hi_u32 s1, s2, s3
	s_addc_u32 s0, s6, s7
	s_addc_u32 s1, s1, 0
	s_mul_i32 s3, s2, s3
	s_add_u32 s0, s0, s3
	s_addc_u32 s1, 0, s1
	v_add_co_u32_e32 v3, vcc, s0, v3
	s_cmp_lg_u64 vcc, 0
	s_addc_u32 s6, s2, s1
	s_ashr_i32 s0, s57, 31
	s_add_u32 s2, s56, s0
	s_mov_b32 s1, s0
	s_addc_u32 s3, s57, s0
	s_xor_b64 s[2:3], s[2:3], s[0:1]
	v_readfirstlane_b32 s8, v3
	s_mul_i32 s7, s2, s6
	s_mul_hi_u32 s9, s2, s8
	s_mul_hi_u32 s1, s2, s6
	s_add_u32 s7, s9, s7
	s_addc_u32 s1, 0, s1
	s_mul_hi_u32 s12, s3, s8
	s_mul_i32 s8, s3, s8
	s_add_u32 s7, s7, s8
	s_mul_hi_u32 s9, s3, s6
	s_addc_u32 s1, s1, s12
	s_addc_u32 s7, s9, 0
	s_mul_i32 s6, s3, s6
	s_add_u32 s1, s1, s6
	s_addc_u32 s6, 0, s7
	s_mul_hi_u32 s7, s79, s1
	s_mul_i32 s1, s79, s1
	s_mul_i32 s6, s79, s6
	v_mov_b32_e32 v3, s1
	s_add_i32 s7, s7, s6
	v_sub_co_u32_e32 v3, vcc, s2, v3
	s_cmp_lg_u64 vcc, 0
	s_subb_u32 s1, s3, s7
	v_subrev_co_u32_e32 v4, vcc, s79, v3
	s_cmp_lg_u64 vcc, 0
	s_subb_u32 s2, s1, 0
	v_subrev_co_u32_e32 v5, vcc, s79, v4
	s_cmp_lg_u64 vcc, 0
	s_subb_u32 s3, s2, 0
	v_cmp_le_u32_e32 vcc, s79, v4
	s_cmp_eq_u32 s2, 0
	v_cndmask_b32_e64 v6, 0, -1, vcc
	s_cselect_b64 vcc, -1, 0
	v_cndmask_b32_e32 v6, -1, v6, vcc
	v_mov_b32_e32 v7, s2
	v_mov_b32_e32 v8, s3
	v_cmp_ne_u32_e32 vcc, 0, v6
	v_cndmask_b32_e32 v6, v7, v8, vcc
	v_cndmask_b32_e32 v4, v4, v5, vcc
	v_cmp_le_u32_e32 vcc, s79, v3
	s_cmp_eq_u32 s1, 0
	v_cndmask_b32_e64 v5, 0, -1, vcc
	s_cselect_b64 vcc, -1, 0
	v_cndmask_b32_e32 v5, -1, v5, vcc
	v_cmp_ne_u32_e32 vcc, 0, v5
	v_mov_b32_e32 v7, s1
	v_cndmask_b32_e32 v3, v3, v4, vcc
	v_cndmask_b32_e32 v5, v7, v6, vcc
	v_xor_b32_e32 v3, s0, v3
	v_xor_b32_e32 v4, s0, v5
	v_mov_b32_e32 v5, s0
	v_subrev_co_u32_e32 v30, vcc, s0, v3
	v_subb_co_u32_e32 v31, vcc, v4, v5, vcc
	s_cbranch_execnz .LBB53_55
.LBB53_54:                              ;   in Loop: Header=BB53_17 Depth=1
	v_cvt_f32_u32_e32 v3, s79
	s_sub_i32 s0, 0, s79
	v_rcp_iflag_f32_e32 v3, v3
	v_mul_f32_e32 v3, 0x4f7ffffe, v3
	v_cvt_u32_f32_e32 v3, v3
	v_mul_lo_u32 v4, s0, v3
	v_mul_hi_u32 v4, v3, v4
	v_add_u32_e32 v3, v3, v4
	v_mul_hi_u32 v3, s56, v3
	v_mul_lo_u32 v3, v3, s79
	v_sub_u32_e32 v3, s56, v3
	v_subrev_u32_e32 v4, s79, v3
	v_cmp_le_u32_e32 vcc, s79, v3
	v_cndmask_b32_e32 v3, v3, v4, vcc
	v_subrev_u32_e32 v4, s79, v3
	v_cmp_le_u32_e32 vcc, s79, v3
	v_cndmask_b32_e32 v12, v3, v4, vcc
	v_pk_mov_b32 v[30:31], v[12:13], v[12:13] op_sel:[0,1]
.LBB53_55:                              ;   in Loop: Header=BB53_17 Depth=1
	v_and_b32_e32 v12, 0xffff, v2
	v_mov_b32_e32 v2, s57
	v_sub_co_u32_e32 v32, vcc, s56, v30
	v_subb_co_u32_e32 v33, vcc, v2, v31, vcc
	v_pk_mov_b32 v[2:3], 0, 0
	v_cmp_gt_i64_e32 vcc, v[32:33], v[14:15]
	s_mov_b64 s[54:55], 0
	v_pk_mov_b32 v[4:5], v[2:3], v[2:3] op_sel:[0,1]
	v_pk_mov_b32 v[6:7], v[2:3], v[2:3] op_sel:[0,1]
	;; [unrolled: 1-line block ×3, first 2 shown]
	s_and_saveexec_b64 s[80:81], vcc
	s_cbranch_execz .LBB53_59
; %bb.56:                               ;   in Loop: Header=BB53_17 Depth=1
	v_readlane_b32 s0, v52, 41
	v_readlane_b32 s1, v52, 42
	v_mul_lo_u32 v2, s1, v12
	v_mul_hi_u32 v3, s0, v12
	s_and_b32 s84, s29, 0xfe
	v_add_u32_e32 v27, v3, v2
	v_mul_lo_u32 v28, s0, v12
	v_pk_mov_b32 v[34:35], s[86:87], s[86:87] op_sel:[0,1]
	s_mov_b64 s[0:1], 0
	s_mov_b64 s[8:9], 0
	;; [unrolled: 1-line block ×4, first 2 shown]
	v_pk_mov_b32 v[36:37], v[14:15], v[14:15] op_sel:[0,1]
.LBB53_57:                              ;   Parent Loop BB53_17 Depth=1
                                        ; =>  This Inner Loop Header: Depth=2
	v_add_co_u32_e32 v2, vcc, v34, v24
	v_addc_co_u32_e32 v3, vcc, v35, v25, vcc
	v_add_co_u32_e32 v4, vcc, v34, v22
	v_addc_co_u32_e32 v5, vcc, v35, v23, vcc
	;; [unrolled: 2-line block ×4, first 2 shown]
	global_load_dword v2, v[2:3], off
	s_nop 0
	global_load_dword v3, v[4:5], off
	s_nop 0
	global_load_dword v4, v[6:7], off
	global_load_dword v5, v[8:9], off
	v_add_co_u32_e32 v36, vcc, s79, v36
	v_addc_co_u32_e32 v37, vcc, 0, v37, vcc
	v_add_co_u32_e32 v34, vcc, v34, v28
	v_addc_co_u32_e32 v35, vcc, v35, v27, vcc
	v_cmp_ge_i64_e32 vcc, v[36:37], v[32:33]
	s_waitcnt vmcnt(3)
	v_cmp_lt_i32_e64 s[6:7], -1, v2
	v_cndmask_b32_e64 v6, -1, v46, s[6:7]
	s_waitcnt vmcnt(2)
	v_cmp_lt_i32_e64 s[6:7], -1, v3
	v_cndmask_b32_e64 v7, -1, v46, s[6:7]
	;; [unrolled: 3-line block ×4, first 2 shown]
	v_xor_b32_e32 v7, v7, v3
	v_cmp_o_f32_e64 s[6:7], v3, v3
	v_xor_b32_e32 v3, v8, v4
	v_cmp_o_f32_e64 s[12:13], v4, v4
	;; [unrolled: 2-line block ×4, first 2 shown]
	v_cndmask_b32_e64 v2, -1, v5, s[16:17]
	v_cndmask_b32_e64 v5, -1, v7, s[6:7]
	v_and_b32_e32 v6, s89, v2
	v_bfe_u32 v2, v2, s84, 2
	v_cndmask_b32_e64 v3, -1, v3, s[12:13]
	v_and_b32_e32 v7, s89, v5
	v_bfe_u32 v5, v5, s84, 2
	v_cmp_eq_u32_e64 s[18:19], s94, v6
	v_cmp_eq_u32_e64 s[6:7], 0, v2
	v_cndmask_b32_e64 v4, -1, v4, s[14:15]
	v_and_b32_e32 v8, s89, v3
	v_bfe_u32 v3, v3, s84, 2
	v_cmp_eq_u32_e64 s[16:17], s94, v7
	v_cmp_eq_u32_e64 s[30:31], 0, v5
	s_and_b64 s[6:7], s[18:19], s[6:7]
	v_and_b32_e32 v9, s89, v4
	v_bfe_u32 v4, v4, s84, 2
	v_cmp_eq_u32_e64 s[14:15], s94, v8
	v_cmp_eq_u32_e64 s[34:35], 0, v3
	;; [unrolled: 1-line block ×5, first 2 shown]
	v_cndmask_b32_e64 v2, 0, 1, s[6:7]
	s_and_b64 s[6:7], s[16:17], s[30:31]
	v_cmp_eq_u32_e64 s[12:13], s94, v9
	v_cmp_eq_u32_e64 s[36:37], 0, v4
	;; [unrolled: 1-line block ×5, first 2 shown]
	v_cndmask_b32_e64 v3, 0, 1, s[6:7]
	s_and_b64 s[6:7], s[14:15], s[34:35]
	v_cmp_eq_u32_e64 s[44:45], 1, v4
	v_cmp_eq_u32_e64 s[52:53], 2, v4
	;; [unrolled: 1-line block ×3, first 2 shown]
	v_cndmask_b32_e64 v4, 0, 1, s[6:7]
	s_and_b64 s[6:7], s[12:13], s[36:37]
	v_cmp_eq_u32_e64 s[40:41], 1, v5
	v_cmp_eq_u32_e64 s[48:49], 2, v5
	;; [unrolled: 1-line block ×3, first 2 shown]
	v_cndmask_b32_e64 v5, 0, 1, s[6:7]
	v_cmp_ne_u32_e64 s[6:7], 0, v2
	v_cmp_ne_u32_e64 s[30:31], 0, v3
	v_cmp_ne_u32_e64 s[34:35], 0, v4
	v_cmp_ne_u32_e64 s[36:37], 0, v5
	s_bcnt1_i32_b64 s6, s[6:7]
	s_bcnt1_i32_b64 s7, s[30:31]
	s_bcnt1_i32_b64 s30, s[34:35]
	s_bcnt1_i32_b64 s31, s[36:37]
	s_add_u32 s2, s6, s2
	s_addc_u32 s3, 0, s3
	s_add_u32 s2, s2, s7
	s_addc_u32 s3, s3, 0
	s_add_u32 s2, s2, s30
	s_addc_u32 s3, s3, 0
	s_add_u32 s2, s2, s31
	s_addc_u32 s3, s3, 0
	s_and_b64 s[6:7], s[18:19], s[38:39]
	v_cndmask_b32_e64 v4, 0, 1, s[6:7]
	s_and_b64 s[6:7], s[16:17], s[40:41]
	v_cndmask_b32_e64 v5, 0, 1, s[6:7]
	s_and_b64 s[6:7], s[14:15], s[42:43]
	v_cndmask_b32_e64 v6, 0, 1, s[6:7]
	s_and_b64 s[6:7], s[12:13], s[44:45]
	v_cndmask_b32_e64 v7, 0, 1, s[6:7]
	v_cmp_ne_u32_e64 s[6:7], 0, v4
	v_cmp_ne_u32_e64 s[30:31], 0, v5
	v_cmp_ne_u32_e64 s[34:35], 0, v6
	v_cmp_ne_u32_e64 s[36:37], 0, v7
	s_bcnt1_i32_b64 s6, s[6:7]
	s_bcnt1_i32_b64 s7, s[30:31]
	s_bcnt1_i32_b64 s30, s[34:35]
	s_bcnt1_i32_b64 s31, s[36:37]
	s_add_u32 s6, s6, s90
	s_addc_u32 s34, 0, s91
	s_add_u32 s6, s6, s7
	s_addc_u32 s7, s34, 0
	s_add_u32 s6, s6, s30
	s_addc_u32 s7, s7, 0
	s_add_u32 s90, s6, s31
	s_addc_u32 s91, s7, 0
	s_and_b64 s[6:7], s[18:19], s[46:47]
	v_cndmask_b32_e64 v6, 0, 1, s[6:7]
	s_and_b64 s[6:7], s[16:17], s[48:49]
	v_cndmask_b32_e64 v7, 0, 1, s[6:7]
	s_and_b64 s[6:7], s[14:15], s[50:51]
	v_cndmask_b32_e64 v8, 0, 1, s[6:7]
	s_and_b64 s[6:7], s[12:13], s[52:53]
	;; [unrolled: 24-line block ×3, first 2 shown]
	v_cndmask_b32_e64 v49, 0, 1, s[6:7]
	v_cmp_ne_u32_e64 s[6:7], 0, v8
	v_cmp_ne_u32_e64 s[12:13], 0, v9
	;; [unrolled: 1-line block ×4, first 2 shown]
	s_bcnt1_i32_b64 s6, s[6:7]
	s_bcnt1_i32_b64 s7, s[12:13]
	;; [unrolled: 1-line block ×4, first 2 shown]
	s_add_u32 s0, s6, s0
	s_addc_u32 s1, 0, s1
	s_add_u32 s0, s0, s7
	s_addc_u32 s1, s1, 0
	s_add_u32 s0, s0, s12
	s_addc_u32 s1, s1, 0
	s_add_u32 s0, s0, s13
	s_addc_u32 s1, s1, 0
	v_pk_mov_b32 v[2:3], s[2:3], s[2:3] op_sel:[0,1]
	v_pk_mov_b32 v[4:5], s[90:91], s[90:91] op_sel:[0,1]
	;; [unrolled: 1-line block ×3, first 2 shown]
	s_or_b64 s[54:55], vcc, s[54:55]
	v_pk_mov_b32 v[8:9], s[0:1], s[0:1] op_sel:[0,1]
	s_andn2_b64 exec, exec, s[54:55]
	s_cbranch_execnz .LBB53_57
; %bb.58:                               ;   in Loop: Header=BB53_17 Depth=1
	s_or_b64 exec, exec, s[54:55]
	v_readlane_b32 s48, v52, 43
	v_readlane_b32 s50, v52, 45
	;; [unrolled: 1-line block ×4, first 2 shown]
.LBB53_59:                              ;   in Loop: Header=BB53_17 Depth=1
	s_or_b64 exec, exec, s[80:81]
	v_add_co_u32_e32 v32, vcc, v32, v0
	v_addc_co_u32_e32 v33, vcc, 0, v33, vcc
	v_cmp_gt_i64_e32 vcc, s[56:57], v[32:33]
	v_mov_b32_e32 v34, 0
	s_and_saveexec_b64 s[0:1], vcc
	s_cbranch_execz .LBB53_61
; %bb.60:                               ;   in Loop: Header=BB53_17 Depth=1
	v_mul_lo_u32 v27, v33, s62
	v_mul_lo_u32 v28, v32, s63
	v_mad_u64_u32 v[34:35], s[2:3], v32, s62, 0
	v_add3_u32 v35, v35, v28, v27
	v_lshlrev_b64 v[34:35], 2, v[34:35]
	v_mov_b32_e32 v27, s87
	v_add_co_u32_e64 v34, s[6:7], s86, v34
	v_addc_co_u32_e64 v35, s[6:7], v27, v35, s[6:7]
	global_load_dword v34, v[34:35], off
.LBB53_61:                              ;   in Loop: Header=BB53_17 Depth=1
	s_or_b64 exec, exec, s[0:1]
	s_and_saveexec_b64 s[0:1], vcc
	s_cbranch_execz .LBB53_68
; %bb.62:                               ;   in Loop: Header=BB53_17 Depth=1
	v_add_co_u32_e32 v27, vcc, v43, v12
	v_addc_co_u32_e32 v28, vcc, 0, v44, vcc
	v_sub_co_u32_e32 v27, vcc, v27, v30
	v_subb_co_u32_e32 v28, vcc, v28, v31, vcc
	v_pk_mov_b32 v[30:31], s[86:87], s[86:87] op_sel:[0,1]
	v_mul_lo_u32 v28, s64, v28
	v_mul_lo_u32 v35, s65, v27
	v_mad_u64_u32 v[30:31], s[2:3], s64, v27, v[30:31]
	v_add3_u32 v31, v35, v31, v28
	v_mul_lo_u32 v27, s65, v12
	v_mul_hi_u32 v28, s64, v12
	s_and_b32 s12, s29, 0xfe
	v_add_u32_e32 v27, v28, v27
	v_mul_lo_u32 v28, s64, v12
	s_mov_b64 s[2:3], 0
	s_branch .LBB53_64
.LBB53_63:                              ;   in Loop: Header=BB53_64 Depth=2
	s_or_b64 exec, exec, s[8:9]
	s_and_b64 s[6:7], exec, vcc
	s_waitcnt vmcnt(0)
	v_cmp_lt_i32_e32 vcc, -1, v34
	v_cndmask_b32_e32 v36, -1, v46, vcc
	v_xor_b32_e32 v36, v36, v34
	v_cmp_o_f32_e32 vcc, v34, v34
	v_cndmask_b32_e32 v34, -1, v36, vcc
	v_and_b32_e32 v36, s89, v34
	v_bfe_u32 v34, v34, s12, 2
	s_or_b64 s[2:3], s[6:7], s[2:3]
	v_cmp_eq_u32_e32 vcc, s94, v36
	v_cmp_eq_u32_e64 s[6:7], 0, v34
	s_and_b64 s[6:7], vcc, s[6:7]
	v_cndmask_b32_e64 v36, 0, 1, s[6:7]
	v_cmp_ne_u32_e64 s[6:7], 0, v36
	s_bcnt1_i32_b64 s6, s[6:7]
	v_add_co_u32_e64 v2, s[6:7], s6, v2
	v_addc_co_u32_e64 v3, s[6:7], 0, v3, s[6:7]
	v_cmp_eq_u32_e64 s[6:7], 1, v34
	s_and_b64 s[6:7], vcc, s[6:7]
	v_cndmask_b32_e64 v36, 0, 1, s[6:7]
	v_cmp_ne_u32_e64 s[6:7], 0, v36
	s_bcnt1_i32_b64 s6, s[6:7]
	v_add_co_u32_e64 v4, s[6:7], s6, v4
	v_addc_co_u32_e64 v5, s[6:7], 0, v5, s[6:7]
	;; [unrolled: 7-line block ×3, first 2 shown]
	v_cmp_eq_u32_e64 s[6:7], 3, v34
	s_and_b64 s[6:7], vcc, s[6:7]
	v_cndmask_b32_e64 v34, 0, 1, s[6:7]
	v_cmp_ne_u32_e32 vcc, 0, v34
	s_bcnt1_i32_b64 s6, vcc
	v_add_co_u32_e32 v8, vcc, s6, v8
	v_addc_co_u32_e32 v9, vcc, 0, v9, vcc
	v_add_co_u32_e32 v30, vcc, v30, v28
	v_addc_co_u32_e32 v31, vcc, v31, v27, vcc
	v_mov_b32_e32 v34, v35
	s_andn2_b64 exec, exec, s[2:3]
	s_cbranch_execz .LBB53_67
.LBB53_64:                              ;   Parent Loop BB53_17 Depth=1
                                        ; =>  This Inner Loop Header: Depth=2
	v_add_co_u32_e32 v32, vcc, v32, v12
	v_addc_co_u32_e32 v33, vcc, 0, v33, vcc
	v_cmp_gt_i64_e64 s[6:7], s[56:57], v[32:33]
	v_cmp_le_i64_e32 vcc, s[56:57], v[32:33]
	v_mov_b32_e32 v35, 0
	s_and_saveexec_b64 s[8:9], s[6:7]
	s_cbranch_execz .LBB53_63
; %bb.65:                               ;   in Loop: Header=BB53_64 Depth=2
	global_load_dword v35, v[30:31], off
	s_branch .LBB53_63
.LBB53_66:                              ;   in Loop: Header=BB53_17 Depth=1
                                        ; implicit-def: $vgpr8_vgpr9
                                        ; implicit-def: $vgpr4_vgpr5
	s_cbranch_execnz .LBB53_69
	s_branch .LBB53_78
.LBB53_67:                              ;   in Loop: Header=BB53_17 Depth=1
	s_or_b64 exec, exec, s[2:3]
.LBB53_68:                              ;   in Loop: Header=BB53_17 Depth=1
	s_or_b64 exec, exec, s[0:1]
	s_branch .LBB53_78
.LBB53_69:                              ;   in Loop: Header=BB53_17 Depth=1
	global_load_ushort v8, v13, s[50:51]
	s_mov_b64 s[54:55], 0
	s_waitcnt vmcnt(0)
	v_readfirstlane_b32 s0, v8
	s_and_b32 s0, 0xffff, s0
	s_lshl_b32 s79, s0, 2
	v_cvt_f32_u32_e32 v2, s79
	s_sub_i32 s0, 0, s79
	v_and_b32_e32 v27, 0xffff, v8
	v_rcp_iflag_f32_e32 v6, v2
	v_pk_mov_b32 v[2:3], 0, 0
	v_pk_mov_b32 v[4:5], v[2:3], v[2:3] op_sel:[0,1]
	v_mul_f32_e32 v6, 0x4f7ffffe, v6
	v_cvt_u32_f32_e32 v9, v6
	v_pk_mov_b32 v[6:7], v[2:3], v[2:3] op_sel:[0,1]
	v_readfirstlane_b32 s1, v9
	s_mul_i32 s0, s0, s1
	s_mul_hi_u32 s0, s1, s0
	s_add_i32 s1, s1, s0
	s_mul_hi_u32 s0, s78, s1
	s_mul_i32 s0, s0, s79
	s_sub_i32 s0, s78, s0
	s_sub_i32 s1, s0, s79
	s_cmp_ge_u32 s0, s79
	s_cselect_b32 s0, s1, s0
	s_sub_i32 s1, s0, s79
	s_cmp_ge_u32 s0, s79
	s_cselect_b32 s0, s1, s0
	s_sub_i32 s84, s78, s0
	v_cmp_gt_u32_e32 vcc, s84, v14
	v_pk_mov_b32 v[8:9], v[2:3], v[2:3] op_sel:[0,1]
	s_and_saveexec_b64 s[0:1], vcc
	s_cbranch_execz .LBB53_73
; %bb.70:                               ;   in Loop: Header=BB53_17 Depth=1
	s_and_b32 s92, s29, 0xfe
	v_lshlrev_b32_e32 v12, 4, v27
	v_mov_b32_e32 v28, v42
	s_mov_b64 s[2:3], 0
	s_mov_b64 s[8:9], 0
	;; [unrolled: 1-line block ×4, first 2 shown]
	v_pk_mov_b32 v[30:31], v[14:15], v[14:15] op_sel:[0,1]
.LBB53_71:                              ;   Parent Loop BB53_17 Depth=1
                                        ; =>  This Inner Loop Header: Depth=2
	ds_read_b128 v[2:5], v28
	v_add_co_u32_e32 v30, vcc, s79, v30
	v_addc_co_u32_e32 v31, vcc, 0, v31, vcc
	s_waitcnt lgkmcnt(0)
	v_cmp_lt_i32_e64 s[6:7], -1, v2
	v_cndmask_b32_e64 v6, -1, v46, s[6:7]
	v_cmp_lt_i32_e64 s[6:7], -1, v3
	v_cndmask_b32_e64 v7, -1, v46, s[6:7]
	;; [unrolled: 2-line block ×4, first 2 shown]
	v_xor_b32_e32 v7, v7, v3
	v_cmp_o_f32_e64 s[6:7], v3, v3
	v_xor_b32_e32 v3, v8, v4
	v_cmp_o_f32_e64 s[12:13], v4, v4
	;; [unrolled: 2-line block ×4, first 2 shown]
	v_cndmask_b32_e64 v2, -1, v5, s[16:17]
	v_cndmask_b32_e64 v5, -1, v7, s[6:7]
	v_and_b32_e32 v6, s89, v2
	v_bfe_u32 v2, v2, s92, 2
	v_cndmask_b32_e64 v3, -1, v3, s[12:13]
	v_and_b32_e32 v7, s89, v5
	v_bfe_u32 v5, v5, s92, 2
	v_cmp_eq_u32_e64 s[18:19], s94, v6
	v_cmp_eq_u32_e64 s[6:7], 0, v2
	v_cndmask_b32_e64 v4, -1, v4, s[14:15]
	v_and_b32_e32 v8, s89, v3
	v_bfe_u32 v3, v3, s92, 2
	v_cmp_eq_u32_e64 s[16:17], s94, v7
	v_cmp_eq_u32_e64 s[30:31], 0, v5
	s_and_b64 s[6:7], s[18:19], s[6:7]
	v_and_b32_e32 v9, s89, v4
	v_bfe_u32 v4, v4, s92, 2
	v_cmp_eq_u32_e64 s[14:15], s94, v8
	v_cmp_eq_u32_e64 s[34:35], 0, v3
	;; [unrolled: 1-line block ×5, first 2 shown]
	v_cndmask_b32_e64 v2, 0, 1, s[6:7]
	s_and_b64 s[6:7], s[16:17], s[30:31]
	v_cmp_eq_u32_e64 s[12:13], s94, v9
	v_cmp_eq_u32_e64 s[36:37], 0, v4
	v_cmp_eq_u32_e64 s[42:43], 1, v3
	v_cmp_eq_u32_e64 s[50:51], 2, v3
	v_cmp_eq_u32_e64 s[22:23], 3, v3
	v_cndmask_b32_e64 v3, 0, 1, s[6:7]
	s_and_b64 s[6:7], s[14:15], s[34:35]
	v_cmp_eq_u32_e64 s[44:45], 1, v4
	v_cmp_eq_u32_e64 s[52:53], 2, v4
	;; [unrolled: 1-line block ×3, first 2 shown]
	v_cndmask_b32_e64 v4, 0, 1, s[6:7]
	s_and_b64 s[6:7], s[12:13], s[36:37]
	v_cmp_eq_u32_e64 s[40:41], 1, v5
	v_cmp_eq_u32_e64 s[48:49], 2, v5
	;; [unrolled: 1-line block ×3, first 2 shown]
	v_cndmask_b32_e64 v5, 0, 1, s[6:7]
	v_cmp_ne_u32_e64 s[6:7], 0, v2
	v_cmp_ne_u32_e64 s[30:31], 0, v3
	v_cmp_ne_u32_e64 s[34:35], 0, v4
	v_cmp_ne_u32_e64 s[36:37], 0, v5
	s_bcnt1_i32_b64 s6, s[6:7]
	s_bcnt1_i32_b64 s7, s[30:31]
	s_bcnt1_i32_b64 s30, s[34:35]
	s_bcnt1_i32_b64 s31, s[36:37]
	s_add_u32 s6, s6, s90
	s_addc_u32 s34, 0, s91
	s_add_u32 s6, s6, s7
	s_addc_u32 s7, s34, 0
	s_add_u32 s6, s6, s30
	s_addc_u32 s7, s7, 0
	s_add_u32 s90, s6, s31
	s_addc_u32 s91, s7, 0
	s_and_b64 s[6:7], s[18:19], s[38:39]
	v_cndmask_b32_e64 v4, 0, 1, s[6:7]
	s_and_b64 s[6:7], s[16:17], s[40:41]
	v_cndmask_b32_e64 v5, 0, 1, s[6:7]
	s_and_b64 s[6:7], s[14:15], s[42:43]
	v_cndmask_b32_e64 v6, 0, 1, s[6:7]
	s_and_b64 s[6:7], s[12:13], s[44:45]
	v_cndmask_b32_e64 v7, 0, 1, s[6:7]
	v_cmp_ne_u32_e64 s[6:7], 0, v4
	v_cmp_ne_u32_e64 s[30:31], 0, v5
	v_cmp_ne_u32_e64 s[34:35], 0, v6
	v_cmp_ne_u32_e64 s[36:37], 0, v7
	s_bcnt1_i32_b64 s6, s[6:7]
	s_bcnt1_i32_b64 s7, s[30:31]
	s_bcnt1_i32_b64 s30, s[34:35]
	s_bcnt1_i32_b64 s31, s[36:37]
	s_add_u32 s6, s6, s80
	s_addc_u32 s34, 0, s81
	s_add_u32 s6, s6, s7
	s_addc_u32 s7, s34, 0
	s_add_u32 s6, s6, s30
	s_addc_u32 s7, s7, 0
	s_add_u32 s80, s6, s31
	s_addc_u32 s81, s7, 0
	s_and_b64 s[6:7], s[18:19], s[46:47]
	v_cndmask_b32_e64 v6, 0, 1, s[6:7]
	s_and_b64 s[6:7], s[16:17], s[48:49]
	v_cndmask_b32_e64 v7, 0, 1, s[6:7]
	s_and_b64 s[6:7], s[14:15], s[50:51]
	v_cndmask_b32_e64 v8, 0, 1, s[6:7]
	s_and_b64 s[6:7], s[12:13], s[52:53]
	v_cndmask_b32_e64 v9, 0, 1, s[6:7]
	v_cmp_ne_u32_e64 s[6:7], 0, v6
	v_cmp_ne_u32_e64 s[30:31], 0, v7
	v_cmp_ne_u32_e64 s[34:35], 0, v8
	v_cmp_ne_u32_e64 s[36:37], 0, v9
	s_bcnt1_i32_b64 s6, s[6:7]
	s_bcnt1_i32_b64 s7, s[30:31]
	s_bcnt1_i32_b64 s30, s[34:35]
	s_bcnt1_i32_b64 s31, s[36:37]
	s_add_u32 s6, s6, s8
	s_addc_u32 s8, 0, s9
	s_add_u32 s6, s6, s7
	s_addc_u32 s7, s8, 0
	s_add_u32 s6, s6, s30
	s_addc_u32 s7, s7, 0
	s_add_u32 s8, s6, s31
	s_addc_u32 s9, s7, 0
	s_and_b64 s[6:7], s[18:19], s[26:27]
	v_cndmask_b32_e64 v8, 0, 1, s[6:7]
	s_and_b64 s[6:7], s[16:17], s[24:25]
	v_cndmask_b32_e64 v9, 0, 1, s[6:7]
	s_and_b64 s[6:7], s[14:15], s[22:23]
	v_cndmask_b32_e64 v32, 0, 1, s[6:7]
	s_and_b64 s[6:7], s[12:13], s[20:21]
	v_cndmask_b32_e64 v33, 0, 1, s[6:7]
	v_cmp_ne_u32_e64 s[6:7], 0, v8
	v_cmp_ne_u32_e64 s[12:13], 0, v9
	;; [unrolled: 1-line block ×4, first 2 shown]
	s_bcnt1_i32_b64 s6, s[6:7]
	s_bcnt1_i32_b64 s7, s[12:13]
	;; [unrolled: 1-line block ×4, first 2 shown]
	s_add_u32 s2, s6, s2
	s_addc_u32 s3, 0, s3
	s_add_u32 s2, s2, s7
	s_addc_u32 s3, s3, 0
	;; [unrolled: 2-line block ×3, first 2 shown]
	s_add_u32 s2, s2, s13
	v_cmp_le_u64_e32 vcc, s[84:85], v[30:31]
	s_addc_u32 s3, s3, 0
	v_add_u32_e32 v28, v28, v12
	v_pk_mov_b32 v[2:3], s[90:91], s[90:91] op_sel:[0,1]
	v_pk_mov_b32 v[4:5], s[80:81], s[80:81] op_sel:[0,1]
	;; [unrolled: 1-line block ×3, first 2 shown]
	s_or_b64 s[54:55], vcc, s[54:55]
	v_pk_mov_b32 v[8:9], s[2:3], s[2:3] op_sel:[0,1]
	s_andn2_b64 exec, exec, s[54:55]
	s_cbranch_execnz .LBB53_71
; %bb.72:                               ;   in Loop: Header=BB53_17 Depth=1
	s_or_b64 exec, exec, s[54:55]
	v_readlane_b32 s48, v52, 43
	v_readlane_b32 s50, v52, 45
	;; [unrolled: 1-line block ×4, first 2 shown]
.LBB53_73:                              ;   in Loop: Header=BB53_17 Depth=1
	s_or_b64 exec, exec, s[0:1]
	v_add_u32_e32 v12, s84, v0
	v_cmp_gt_u32_e32 vcc, s78, v12
	s_and_saveexec_b64 s[0:1], vcc
	s_cbranch_execz .LBB53_77
; %bb.74:                               ;   in Loop: Header=BB53_17 Depth=1
	s_and_b32 s84, s78, 0x7fffffff
	s_and_b32 s8, s29, 0xfe
	v_lshlrev_b32_e32 v28, 2, v12
	s_mov_b64 s[2:3], 0
	v_pk_mov_b32 v[30:31], v[12:13], v[12:13] op_sel:[0,1]
.LBB53_75:                              ;   Parent Loop BB53_17 Depth=1
                                        ; =>  This Inner Loop Header: Depth=2
	ds_read_b32 v12, v28
	v_add_co_u32_e32 v30, vcc, v30, v27
	v_addc_co_u32_e32 v31, vcc, 0, v31, vcc
	s_waitcnt lgkmcnt(0)
	v_cmp_lt_i32_e64 s[6:7], -1, v12
	v_cndmask_b32_e64 v32, -1, v46, s[6:7]
	v_xor_b32_e32 v32, v32, v12
	v_cmp_o_f32_e64 s[6:7], v12, v12
	v_cndmask_b32_e64 v12, -1, v32, s[6:7]
	v_and_b32_e32 v32, s89, v12
	v_bfe_u32 v12, v12, s8, 2
	v_cmp_eq_u32_e64 s[6:7], s94, v32
	v_cmp_eq_u32_e64 s[12:13], 0, v12
	;; [unrolled: 1-line block ×3, first 2 shown]
	s_and_b64 s[12:13], s[6:7], s[12:13]
	v_cmp_eq_u32_e64 s[16:17], 2, v12
	v_cmp_eq_u32_e64 s[18:19], 3, v12
	v_cndmask_b32_e64 v12, 0, 1, s[12:13]
	s_and_b64 s[12:13], s[6:7], s[14:15]
	v_cndmask_b32_e64 v32, 0, 1, s[12:13]
	s_and_b64 s[12:13], s[6:7], s[16:17]
	s_and_b64 s[6:7], s[6:7], s[18:19]
	v_cndmask_b32_e64 v33, 0, 1, s[12:13]
	v_cndmask_b32_e64 v34, 0, 1, s[6:7]
	v_cmp_ne_u32_e64 s[6:7], 0, v12
	v_cmp_ne_u32_e64 s[12:13], 0, v32
	;; [unrolled: 1-line block ×4, first 2 shown]
	v_cmp_le_u64_e32 vcc, s[84:85], v[30:31]
	s_bcnt1_i32_b64 s6, s[6:7]
	s_bcnt1_i32_b64 s7, s[12:13]
	s_bcnt1_i32_b64 s9, s[14:15]
	s_bcnt1_i32_b64 s12, s[16:17]
	s_or_b64 s[2:3], vcc, s[2:3]
	v_add_co_u32_e32 v2, vcc, s6, v2
	v_addc_co_u32_e32 v3, vcc, 0, v3, vcc
	v_add_co_u32_e32 v4, vcc, s7, v4
	v_addc_co_u32_e32 v5, vcc, 0, v5, vcc
	;; [unrolled: 2-line block ×3, first 2 shown]
	v_add_co_u32_e32 v8, vcc, s12, v8
	v_add_u32_e32 v28, s79, v28
	v_addc_co_u32_e32 v9, vcc, 0, v9, vcc
	s_andn2_b64 exec, exec, s[2:3]
	s_cbranch_execnz .LBB53_75
; %bb.76:                               ;   in Loop: Header=BB53_17 Depth=1
	s_or_b64 exec, exec, s[2:3]
.LBB53_77:                              ;   in Loop: Header=BB53_17 Depth=1
	s_or_b64 exec, exec, s[0:1]
.LBB53_78:                              ;   in Loop: Header=BB53_17 Depth=1
	s_lshl_b32 s2, s88, 6
	s_and_saveexec_b64 s[0:1], s[4:5]
	s_cbranch_execz .LBB53_80
; %bb.79:                               ;   in Loop: Header=BB53_17 Depth=1
	v_or_b32_e32 v12, s2, v40
	v_lshlrev_b32_e32 v12, 3, v12
	ds_write_b128 v12, v[2:5] offset:3072
	s_waitcnt vmcnt(0)
	ds_write_b128 v12, v[6:9] offset:3088
.LBB53_80:                              ;   in Loop: Header=BB53_17 Depth=1
	s_or_b64 exec, exec, s[0:1]
	s_waitcnt lgkmcnt(0)
	s_barrier
	s_and_saveexec_b64 s[0:1], s[48:49]
	s_cbranch_execz .LBB53_92
; %bb.81:                               ;   in Loop: Header=BB53_17 Depth=1
	v_readlane_b32 s6, v52, 32
	v_readlane_b32 s7, v52, 33
	s_andn2_b64 vcc, exec, s[6:7]
	v_pk_mov_b32 v[2:3], 0, 0
	s_cbranch_vccnz .LBB53_91
; %bb.82:                               ;   in Loop: Header=BB53_17 Depth=1
	v_readlane_b32 s6, v52, 36
	v_readlane_b32 s7, v52, 37
	s_andn2_b64 vcc, exec, s[6:7]
	s_cbranch_vccnz .LBB53_87
; %bb.83:                               ;   in Loop: Header=BB53_17 Depth=1
	v_lshl_add_u32 v4, s88, 9, v45
	s_mov_b32 s3, 0
	v_pk_mov_b32 v[2:3], 0, 0
.LBB53_84:                              ;   Parent Loop BB53_17 Depth=1
                                        ; =>  This Inner Loop Header: Depth=2
	s_waitcnt vmcnt(0)
	ds_read2_b64 v[6:9], v4 offset1:4
	ds_read2_b64 v[30:33], v4 offset0:8 offset1:12
	ds_read2_b64 v[34:37], v4 offset0:16 offset1:20
	;; [unrolled: 1-line block ×3, first 2 shown]
	s_add_i32 s3, s3, 8
	s_waitcnt lgkmcnt(3)
	v_add_co_u32_e32 v2, vcc, v6, v2
	v_addc_co_u32_e32 v3, vcc, v7, v3, vcc
	v_add_co_u32_e32 v2, vcc, v8, v2
	v_addc_co_u32_e32 v3, vcc, v9, v3, vcc
	s_waitcnt lgkmcnt(2)
	v_add_co_u32_e32 v2, vcc, v30, v2
	v_addc_co_u32_e32 v3, vcc, v31, v3, vcc
	v_add_co_u32_e32 v2, vcc, v32, v2
	v_addc_co_u32_e32 v3, vcc, v33, v3, vcc
	;; [unrolled: 5-line block ×3, first 2 shown]
	s_waitcnt lgkmcnt(0)
	v_add_co_u32_e32 v2, vcc, v48, v2
	v_addc_co_u32_e32 v3, vcc, v49, v3, vcc
	v_add_co_u32_e32 v2, vcc, v50, v2
	v_add_u32_e32 v4, 0x100, v4
	s_cmp_eq_u32 s66, s3
	v_addc_co_u32_e32 v3, vcc, v51, v3, vcc
	s_cbranch_scc0 .LBB53_84
; %bb.85:                               ;   in Loop: Header=BB53_17 Depth=1
	s_mov_b32 s3, s66
	s_branch .LBB53_88
.LBB53_86:                              ;   in Loop: Header=BB53_17 Depth=1
                                        ; implicit-def: $vgpr30_vgpr31
	s_branch .LBB53_54
.LBB53_87:                              ;   in Loop: Header=BB53_17 Depth=1
	s_mov_b32 s3, 0
	v_pk_mov_b32 v[2:3], 0, 0
.LBB53_88:                              ;   in Loop: Header=BB53_17 Depth=1
	v_readlane_b32 s6, v52, 39
	v_readlane_b32 s7, v52, 40
	s_andn2_b64 vcc, exec, s[6:7]
	s_cbranch_vccnz .LBB53_91
; %bb.89:                               ;   in Loop: Header=BB53_17 Depth=1
	s_lshl_b32 s6, s88, 9
	s_lshl_b32 s3, s3, 5
	s_add_i32 s6, s6, s3
	v_add_u32_e32 v4, s6, v45
	v_readlane_b32 s3, v52, 38
.LBB53_90:                              ;   Parent Loop BB53_17 Depth=1
                                        ; =>  This Inner Loop Header: Depth=2
	s_waitcnt vmcnt(0)
	ds_read_b64 v[6:7], v4
	s_add_i32 s3, s3, -1
	v_add_u32_e32 v4, 32, v4
	s_cmp_lg_u32 s3, 0
	s_waitcnt lgkmcnt(0)
	v_add_co_u32_e32 v2, vcc, v6, v2
	v_addc_co_u32_e32 v3, vcc, v7, v3, vcc
	s_cbranch_scc1 .LBB53_90
.LBB53_91:                              ;   in Loop: Header=BB53_17 Depth=1
	v_add_lshl_u32 v4, s2, v38, 3
	ds_write_b64 v4, v[2:3] offset:3072
.LBB53_92:                              ;   in Loop: Header=BB53_17 Depth=1
	s_or_b64 exec, exec, s[0:1]
	s_lshl_b32 s0, s2, 3
	s_waitcnt vmcnt(0)
	v_mov_b32_e32 v6, s0
	s_waitcnt lgkmcnt(0)
	s_barrier
	ds_read_b128 v[2:5], v6 offset:3072
	ds_read_b128 v[6:9], v6 offset:3088
	s_and_b32 s42, s29, 0xfe
	s_lshl_b32 s46, 3, s42
	s_not_b32 s43, s46
	s_waitcnt lgkmcnt(1)
	v_readfirstlane_b32 s17, v3
	v_readfirstlane_b32 s16, v2
	s_cmp_eq_u64 s[16:17], 1
	s_cselect_b64 s[0:1], -1, 0
	s_cmp_eq_u64 s[58:59], 1
	s_cselect_b64 s[2:3], -1, 0
	s_and_b64 s[22:23], s[0:1], s[2:3]
	v_readfirstlane_b32 s30, v4
	v_readfirstlane_b32 s31, v5
	s_waitcnt lgkmcnt(0)
	v_readfirstlane_b32 s18, v6
	v_readfirstlane_b32 s19, v7
	;; [unrolled: 1-line block ×4, first 2 shown]
	s_mov_b64 s[20:21], -1
	s_and_b64 vcc, exec, s[22:23]
	s_cbranch_vccz .LBB53_107
; %bb.93:                               ;   in Loop: Header=BB53_17 Depth=1
	ds_read_b64 v[2:3], v13 offset:5120
	s_waitcnt lgkmcnt(0)
	s_barrier
	v_readfirstlane_b32 s14, v2
	v_readfirstlane_b32 s15, v3
	s_mov_b64 s[0:1], exec
	v_readlane_b32 s2, v52, 24
	v_readlane_b32 s3, v52, 25
	s_and_b64 s[2:3], s[0:1], s[2:3]
	s_mov_b64 exec, s[2:3]
	s_cbranch_execz .LBB53_95
; %bb.94:                               ;   in Loop: Header=BB53_17 Depth=1
	ds_write_b32 v39, v13
.LBB53_95:                              ;   in Loop: Header=BB53_17 Depth=1
	s_or_b64 exec, exec, s[0:1]
	v_cmp_lt_i64_e64 s[0:1], s[14:15], 1
	s_and_b32 s94, s94, s43
	s_or_b32 s89, s89, s46
	s_and_b64 vcc, exec, s[0:1]
	s_waitcnt lgkmcnt(0)
	s_barrier
	s_cbranch_vccz .LBB53_108
; %bb.96:                               ;   in Loop: Header=BB53_17 Depth=1
	s_mov_b32 s92, s85
	s_cmp_lg_u64 s[92:93], 0
	s_cbranch_scc0 .LBB53_153
; %bb.97:                               ;   in Loop: Header=BB53_17 Depth=1
	v_cvt_f32_u32_e32 v2, s33
	s_sub_u32 s0, 0, s33
	s_subb_u32 s1, 0, 0
	v_mac_f32_e32 v2, 0x4f800000, v47
	v_rcp_f32_e32 v2, v2
	v_mul_f32_e32 v2, 0x5f7ffffc, v2
	v_mul_f32_e32 v3, 0x2f800000, v2
	v_trunc_f32_e32 v3, v3
	v_mac_f32_e32 v2, 0xcf800000, v3
	v_cvt_u32_f32_e32 v3, v3
	v_cvt_u32_f32_e32 v2, v2
	v_readfirstlane_b32 s2, v3
	v_readfirstlane_b32 s3, v2
	s_mul_i32 s6, s0, s2
	s_mul_hi_u32 s8, s0, s3
	s_mul_i32 s7, s1, s3
	s_add_i32 s6, s8, s6
	s_mul_i32 s9, s0, s3
	s_add_i32 s6, s6, s7
	s_mul_hi_u32 s8, s3, s9
	s_mul_hi_u32 s7, s3, s6
	s_mul_i32 s3, s3, s6
	s_add_u32 s3, s8, s3
	s_addc_u32 s7, 0, s7
	s_mul_hi_u32 s24, s2, s9
	s_mul_i32 s9, s2, s9
	s_add_u32 s3, s3, s9
	s_mul_hi_u32 s8, s2, s6
	s_addc_u32 s3, s7, s24
	s_addc_u32 s7, s8, 0
	s_mul_i32 s6, s2, s6
	s_add_u32 s3, s3, s6
	s_addc_u32 s6, 0, s7
	v_add_co_u32_e32 v2, vcc, s3, v2
	s_cmp_lg_u64 vcc, 0
	s_addc_u32 s2, s2, s6
	v_readfirstlane_b32 s6, v2
	s_mul_i32 s3, s0, s2
	s_mul_hi_u32 s7, s0, s6
	s_add_i32 s3, s7, s3
	s_mul_i32 s1, s1, s6
	s_add_i32 s3, s3, s1
	s_mul_i32 s0, s0, s6
	s_mul_hi_u32 s7, s2, s0
	s_mul_i32 s8, s2, s0
	s_mul_i32 s24, s6, s3
	s_mul_hi_u32 s0, s6, s0
	s_mul_hi_u32 s9, s6, s3
	s_add_u32 s0, s0, s24
	s_addc_u32 s6, 0, s9
	s_add_u32 s0, s0, s8
	s_mul_hi_u32 s1, s2, s3
	s_addc_u32 s0, s6, s7
	s_addc_u32 s1, s1, 0
	s_mul_i32 s3, s2, s3
	s_add_u32 s0, s0, s3
	s_addc_u32 s1, 0, s1
	v_add_co_u32_e32 v2, vcc, s0, v2
	s_cmp_lg_u64 vcc, 0
	s_addc_u32 s6, s2, s1
	s_ashr_i32 s0, s93, 31
	s_add_u32 s2, s95, s0
	s_mov_b32 s1, s0
	s_addc_u32 s3, s93, s0
	s_xor_b64 s[2:3], s[2:3], s[0:1]
	v_readfirstlane_b32 s8, v2
	s_mul_i32 s7, s2, s6
	s_mul_hi_u32 s9, s2, s8
	s_mul_hi_u32 s1, s2, s6
	s_add_u32 s7, s9, s7
	s_addc_u32 s1, 0, s1
	s_mul_hi_u32 s24, s3, s8
	s_mul_i32 s8, s3, s8
	s_add_u32 s7, s7, s8
	s_mul_hi_u32 s9, s3, s6
	s_addc_u32 s1, s1, s24
	s_addc_u32 s7, s9, 0
	s_mul_i32 s6, s3, s6
	s_add_u32 s1, s1, s6
	s_addc_u32 s6, 0, s7
	s_mul_hi_u32 s7, s33, s1
	s_mul_i32 s1, s33, s1
	s_mul_i32 s6, s33, s6
	v_mov_b32_e32 v2, s1
	s_add_i32 s7, s7, s6
	v_sub_co_u32_e32 v2, vcc, s2, v2
	s_cmp_lg_u64 vcc, 0
	s_subb_u32 s1, s3, s7
	v_subrev_co_u32_e32 v3, vcc, s33, v2
	s_cmp_lg_u64 vcc, 0
	s_subb_u32 s2, s1, 0
	v_subrev_co_u32_e32 v4, vcc, s33, v3
	s_cmp_lg_u64 vcc, 0
	s_subb_u32 s3, s2, 0
	v_cmp_le_u32_e32 vcc, s33, v3
	s_cmp_eq_u32 s2, 0
	v_cndmask_b32_e64 v5, 0, -1, vcc
	s_cselect_b64 vcc, -1, 0
	v_cndmask_b32_e32 v5, -1, v5, vcc
	v_mov_b32_e32 v6, s2
	v_mov_b32_e32 v7, s3
	v_cmp_ne_u32_e32 vcc, 0, v5
	v_cndmask_b32_e32 v5, v6, v7, vcc
	v_cndmask_b32_e32 v3, v3, v4, vcc
	v_cmp_le_u32_e32 vcc, s33, v2
	s_cmp_eq_u32 s1, 0
	v_cndmask_b32_e64 v4, 0, -1, vcc
	s_cselect_b64 vcc, -1, 0
	v_cndmask_b32_e32 v4, -1, v4, vcc
	v_cmp_ne_u32_e32 vcc, 0, v4
	v_mov_b32_e32 v6, s1
	v_cndmask_b32_e32 v2, v2, v3, vcc
	v_cndmask_b32_e32 v4, v6, v5, vcc
	v_xor_b32_e32 v2, s0, v2
	v_xor_b32_e32 v3, s0, v4
	v_mov_b32_e32 v4, s0
	v_subrev_co_u32_e32 v2, vcc, s0, v2
	v_subb_co_u32_e32 v3, vcc, v3, v4, vcc
	s_cbranch_execnz .LBB53_99
.LBB53_98:                              ;   in Loop: Header=BB53_17 Depth=1
	v_cvt_f32_u32_e32 v2, s33
	s_sub_i32 s0, 0, s33
	v_rcp_iflag_f32_e32 v2, v2
	v_mul_f32_e32 v2, 0x4f7ffffe, v2
	v_cvt_u32_f32_e32 v2, v2
	v_mul_lo_u32 v3, s0, v2
	v_mul_hi_u32 v3, v2, v3
	v_add_u32_e32 v2, v2, v3
	s_mov_b32 s0, s95
	v_mul_hi_u32 v2, s0, v2
	v_mul_lo_u32 v2, v2, s33
	v_sub_u32_e32 v2, s0, v2
	v_subrev_u32_e32 v3, s33, v2
	v_cmp_le_u32_e32 vcc, s33, v2
	v_cndmask_b32_e32 v2, v2, v3, vcc
	v_subrev_u32_e32 v3, s33, v2
	v_cmp_le_u32_e32 vcc, s33, v2
	v_cndmask_b32_e32 v12, v2, v3, vcc
	v_pk_mov_b32 v[2:3], v[12:13], v[12:13] op_sel:[0,1]
.LBB53_99:                              ;   in Loop: Header=BB53_17 Depth=1
	v_mov_b32_e32 v4, s93
	v_sub_co_u32_e32 v2, vcc, s95, v2
	v_subb_co_u32_e32 v3, vcc, v4, v3, vcc
	v_cmp_gt_i64_e32 vcc, v[2:3], v[0:1]
	s_mov_b64 s[0:1], 0
                                        ; implicit-def: $vgpr29
	s_and_saveexec_b64 s[2:3], vcc
	s_cbranch_execz .LBB53_110
; %bb.100:                              ;   in Loop: Header=BB53_17 Depth=1
	v_pk_mov_b32 v[4:5], v[10:11], v[10:11] op_sel:[0,1]
	v_pk_mov_b32 v[6:7], v[0:1], v[0:1] op_sel:[0,1]
                                        ; implicit-def: $sgpr8_sgpr9
	s_branch .LBB53_102
.LBB53_101:                             ;   in Loop: Header=BB53_102 Depth=2
	s_or_b64 exec, exec, s[6:7]
	s_waitcnt lgkmcnt(0)
	s_barrier
	ds_read_b64 v[28:29], v13 offset:3072
	v_mov_b32_e32 v8, s28
	v_add_co_u32_e64 v6, s[6:7], s33, v6
	v_addc_co_u32_e64 v7, s[6:7], v7, v8, s[6:7]
	s_waitcnt lgkmcnt(0)
	v_cmp_neq_f32_e32 vcc, 0, v28
	v_cmp_ge_i64_e64 s[6:7], v[6:7], v[2:3]
	s_or_b64 s[24:25], vcc, s[6:7]
	v_mov_b32_e32 v8, s83
	v_add_co_u32_e64 v4, s[6:7], s82, v4
	v_addc_co_u32_e64 v5, s[6:7], v5, v8, s[6:7]
	s_and_b64 s[6:7], exec, s[24:25]
	s_or_b64 s[0:1], s[6:7], s[0:1]
	s_andn2_b64 s[6:7], s[8:9], exec
	s_and_b64 s[8:9], vcc, exec
	s_or_b64 s[8:9], s[6:7], s[8:9]
	s_barrier
	s_andn2_b64 exec, exec, s[0:1]
	s_cbranch_execz .LBB53_109
.LBB53_102:                             ;   Parent Loop BB53_17 Depth=1
                                        ; =>  This Inner Loop Header: Depth=2
	v_cmp_gt_i64_e32 vcc, s[56:57], v[6:7]
	s_waitcnt vmcnt(0)
	v_mov_b32_e32 v27, 0
	s_and_saveexec_b64 s[6:7], vcc
	s_cbranch_execz .LBB53_104
; %bb.103:                              ;   in Loop: Header=BB53_102 Depth=2
	global_load_dword v27, v[4:5], off
.LBB53_104:                             ;   in Loop: Header=BB53_102 Depth=2
	s_or_b64 exec, exec, s[6:7]
	s_and_saveexec_b64 s[6:7], vcc
	s_cbranch_execz .LBB53_101
; %bb.105:                              ;   in Loop: Header=BB53_102 Depth=2
	s_waitcnt vmcnt(0)
	v_cmp_lt_i32_e32 vcc, -1, v27
	v_cndmask_b32_e32 v8, -1, v46, vcc
	v_xor_b32_e32 v8, v8, v27
	v_cmp_o_f32_e32 vcc, v27, v27
	v_cndmask_b32_e32 v8, -1, v8, vcc
	v_and_b32_e32 v8, s89, v8
	v_cmp_eq_u32_e32 vcc, s94, v8
	s_and_b64 exec, exec, vcc
	s_cbranch_execz .LBB53_101
; %bb.106:                              ;   in Loop: Header=BB53_102 Depth=2
	ds_write_b64 v13, v[26:27] offset:3072
	s_branch .LBB53_101
.LBB53_107:                             ;   in Loop: Header=BB53_17 Depth=1
	s_mov_b64 s[0:1], -1
                                        ; implicit-def: $sgpr2_sgpr3
                                        ; implicit-def: $sgpr8_sgpr9
                                        ; implicit-def: $sgpr6_sgpr7
	s_branch .LBB53_124
.LBB53_108:                             ;   in Loop: Header=BB53_17 Depth=1
	s_mov_b64 s[2:3], -1
	s_mov_b64 s[0:1], 0
                                        ; implicit-def: $sgpr6_sgpr7
                                        ; implicit-def: $vgpr29
	s_mov_b64 s[8:9], s[2:3]
	s_cbranch_execnz .LBB53_111
	s_branch .LBB53_124
.LBB53_109:                             ;   in Loop: Header=BB53_17 Depth=1
	s_or_b64 exec, exec, s[0:1]
	s_and_b64 s[0:1], s[8:9], exec
.LBB53_110:                             ;   in Loop: Header=BB53_17 Depth=1
	s_or_b64 exec, exec, s[2:3]
	s_mov_b64 s[6:7], -1
	s_mov_b64 s[2:3], 0
	s_mov_b64 s[8:9], s[2:3]
	s_branch .LBB53_124
.LBB53_111:                             ;   in Loop: Header=BB53_17 Depth=1
	v_readlane_b32 s0, v52, 34
	s_add_u32 s6, s0, s14
	v_readlane_b32 s0, v52, 35
	s_addc_u32 s1, s0, s15
	s_mov_b32 s0, s85
	s_cmp_lg_u64 s[0:1], 0
	s_cbranch_scc0 .LBB53_154
; %bb.112:                              ;   in Loop: Header=BB53_17 Depth=1
	v_cvt_f32_u32_e32 v2, s33
	s_sub_u32 s0, 0, s33
	s_subb_u32 s2, 0, 0
	v_mac_f32_e32 v2, 0x4f800000, v47
	v_rcp_f32_e32 v2, v2
	v_mul_f32_e32 v2, 0x5f7ffffc, v2
	v_mul_f32_e32 v3, 0x2f800000, v2
	v_trunc_f32_e32 v3, v3
	v_mac_f32_e32 v2, 0xcf800000, v3
	v_cvt_u32_f32_e32 v3, v3
	v_cvt_u32_f32_e32 v2, v2
	v_readfirstlane_b32 s3, v3
	v_readfirstlane_b32 s7, v2
	s_mul_i32 s8, s0, s3
	s_mul_hi_u32 s24, s0, s7
	s_mul_i32 s9, s2, s7
	s_add_i32 s8, s24, s8
	s_mul_i32 s25, s0, s7
	s_add_i32 s8, s8, s9
	s_mul_hi_u32 s24, s7, s25
	s_mul_hi_u32 s9, s7, s8
	s_mul_i32 s7, s7, s8
	s_add_u32 s7, s24, s7
	s_addc_u32 s9, 0, s9
	s_mul_hi_u32 s26, s3, s25
	s_mul_i32 s25, s3, s25
	s_add_u32 s7, s7, s25
	s_mul_hi_u32 s24, s3, s8
	s_addc_u32 s7, s9, s26
	s_addc_u32 s9, s24, 0
	s_mul_i32 s8, s3, s8
	s_add_u32 s7, s7, s8
	s_addc_u32 s8, 0, s9
	v_add_co_u32_e32 v2, vcc, s7, v2
	s_cmp_lg_u64 vcc, 0
	s_addc_u32 s3, s3, s8
	v_readfirstlane_b32 s8, v2
	s_mul_i32 s7, s0, s3
	s_mul_hi_u32 s9, s0, s8
	s_add_i32 s7, s9, s7
	s_mul_i32 s2, s2, s8
	s_add_i32 s7, s7, s2
	s_mul_i32 s0, s0, s8
	s_mul_hi_u32 s9, s3, s0
	s_mul_i32 s24, s3, s0
	s_mul_i32 s26, s8, s7
	s_mul_hi_u32 s0, s8, s0
	s_mul_hi_u32 s25, s8, s7
	s_add_u32 s0, s0, s26
	s_addc_u32 s8, 0, s25
	s_add_u32 s0, s0, s24
	s_mul_hi_u32 s2, s3, s7
	s_addc_u32 s0, s8, s9
	s_addc_u32 s2, s2, 0
	s_mul_i32 s7, s3, s7
	s_add_u32 s0, s0, s7
	s_addc_u32 s2, 0, s2
	v_add_co_u32_e32 v2, vcc, s0, v2
	s_cmp_lg_u64 vcc, 0
	s_addc_u32 s0, s3, s2
	s_ashr_i32 s2, s1, 31
	s_add_u32 s8, s6, s2
	s_mov_b32 s3, s2
	s_addc_u32 s9, s1, s2
	s_xor_b64 s[8:9], s[8:9], s[2:3]
	v_readfirstlane_b32 s24, v2
	s_mul_i32 s7, s8, s0
	s_mul_hi_u32 s25, s8, s24
	s_mul_hi_u32 s3, s8, s0
	s_add_u32 s7, s25, s7
	s_addc_u32 s3, 0, s3
	s_mul_hi_u32 s26, s9, s24
	s_mul_i32 s24, s9, s24
	s_add_u32 s7, s7, s24
	s_mul_hi_u32 s25, s9, s0
	s_addc_u32 s3, s3, s26
	s_addc_u32 s7, s25, 0
	s_mul_i32 s0, s9, s0
	s_add_u32 s0, s3, s0
	s_addc_u32 s3, 0, s7
	s_mul_hi_u32 s7, s33, s0
	s_mul_i32 s0, s33, s0
	s_mul_i32 s3, s33, s3
	v_mov_b32_e32 v2, s0
	s_add_i32 s7, s7, s3
	v_sub_co_u32_e32 v2, vcc, s8, v2
	s_cmp_lg_u64 vcc, 0
	s_subb_u32 s0, s9, s7
	v_subrev_co_u32_e32 v3, vcc, s33, v2
	s_cmp_lg_u64 vcc, 0
	s_subb_u32 s3, s0, 0
	v_subrev_co_u32_e32 v4, vcc, s33, v3
	s_cmp_lg_u64 vcc, 0
	s_subb_u32 s7, s3, 0
	v_cmp_le_u32_e32 vcc, s33, v3
	s_cmp_eq_u32 s3, 0
	v_cndmask_b32_e64 v5, 0, -1, vcc
	s_cselect_b64 vcc, -1, 0
	v_cndmask_b32_e32 v5, -1, v5, vcc
	v_mov_b32_e32 v6, s3
	v_mov_b32_e32 v7, s7
	v_cmp_ne_u32_e32 vcc, 0, v5
	v_cndmask_b32_e32 v5, v6, v7, vcc
	v_cndmask_b32_e32 v3, v3, v4, vcc
	v_cmp_le_u32_e32 vcc, s33, v2
	s_cmp_eq_u32 s0, 0
	v_cndmask_b32_e64 v4, 0, -1, vcc
	s_cselect_b64 vcc, -1, 0
	v_cndmask_b32_e32 v4, -1, v4, vcc
	v_cmp_ne_u32_e32 vcc, 0, v4
	v_mov_b32_e32 v6, s0
	v_cndmask_b32_e32 v2, v2, v3, vcc
	v_cndmask_b32_e32 v4, v6, v5, vcc
	v_xor_b32_e32 v2, s2, v2
	v_xor_b32_e32 v3, s2, v4
	v_mov_b32_e32 v4, s2
	v_subrev_co_u32_e32 v2, vcc, s2, v2
	v_subb_co_u32_e32 v3, vcc, v3, v4, vcc
	s_cbranch_execnz .LBB53_114
.LBB53_113:                             ;   in Loop: Header=BB53_17 Depth=1
	v_cvt_f32_u32_e32 v2, s33
	s_sub_i32 s0, 0, s33
	v_rcp_iflag_f32_e32 v2, v2
	v_mul_f32_e32 v2, 0x4f7ffffe, v2
	v_cvt_u32_f32_e32 v2, v2
	v_mul_lo_u32 v3, s0, v2
	v_mul_hi_u32 v3, v2, v3
	v_add_u32_e32 v2, v2, v3
	v_mul_hi_u32 v2, s6, v2
	v_mul_lo_u32 v2, v2, s33
	v_sub_u32_e32 v2, s6, v2
	v_subrev_u32_e32 v3, s33, v2
	v_cmp_le_u32_e32 vcc, s33, v2
	v_cndmask_b32_e32 v2, v2, v3, vcc
	v_subrev_u32_e32 v3, s33, v2
	v_cmp_le_u32_e32 vcc, s33, v2
	v_cndmask_b32_e32 v12, v2, v3, vcc
	v_pk_mov_b32 v[2:3], v[12:13], v[12:13] op_sel:[0,1]
.LBB53_114:                             ;   in Loop: Header=BB53_17 Depth=1
	v_mov_b32_e32 v4, s1
	v_sub_co_u32_e32 v2, vcc, s6, v2
	v_subb_co_u32_e32 v3, vcc, v4, v3, vcc
	v_cmp_gt_i64_e32 vcc, v[2:3], v[0:1]
	s_mov_b64 s[0:1], 0
                                        ; implicit-def: $vgpr29
	s_and_saveexec_b64 s[2:3], vcc
	s_cbranch_execz .LBB53_123
; %bb.115:                              ;   in Loop: Header=BB53_17 Depth=1
	v_mov_b32_e32 v6, v14
	v_pk_mov_b32 v[4:5], v[0:1], v[0:1] op_sel:[0,1]
                                        ; implicit-def: $sgpr8_sgpr9
	s_branch .LBB53_117
.LBB53_116:                             ;   in Loop: Header=BB53_117 Depth=2
	s_or_b64 exec, exec, s[6:7]
	s_waitcnt lgkmcnt(0)
	s_barrier
	ds_read_b64 v[28:29], v13 offset:3072
	v_mov_b32_e32 v7, s28
	v_add_co_u32_e64 v4, s[6:7], s33, v4
	v_addc_co_u32_e64 v5, s[6:7], v5, v7, s[6:7]
	s_waitcnt lgkmcnt(0)
	v_cmp_neq_f32_e32 vcc, 0, v28
	v_cmp_ge_i64_e64 s[6:7], v[4:5], v[2:3]
	s_or_b64 s[6:7], vcc, s[6:7]
	s_and_b64 s[6:7], exec, s[6:7]
	s_or_b64 s[0:1], s[6:7], s[0:1]
	s_andn2_b64 s[6:7], s[8:9], exec
	s_and_b64 s[8:9], vcc, exec
	v_add_u32_e32 v6, s67, v6
	s_or_b64 s[8:9], s[6:7], s[8:9]
	s_barrier
	s_andn2_b64 exec, exec, s[0:1]
	s_cbranch_execz .LBB53_122
.LBB53_117:                             ;   Parent Loop BB53_17 Depth=1
                                        ; =>  This Inner Loop Header: Depth=2
	v_cmp_gt_i64_e32 vcc, s[14:15], v[4:5]
	s_waitcnt vmcnt(0)
	v_mov_b32_e32 v27, 0
	s_and_saveexec_b64 s[6:7], vcc
	s_cbranch_execz .LBB53_119
; %bb.118:                              ;   in Loop: Header=BB53_117 Depth=2
	ds_read_b32 v27, v6
.LBB53_119:                             ;   in Loop: Header=BB53_117 Depth=2
	s_or_b64 exec, exec, s[6:7]
	s_and_saveexec_b64 s[6:7], vcc
	s_cbranch_execz .LBB53_116
; %bb.120:                              ;   in Loop: Header=BB53_117 Depth=2
	s_waitcnt lgkmcnt(0)
	v_cmp_lt_i32_e32 vcc, -1, v27
	v_cndmask_b32_e32 v7, -1, v46, vcc
	v_xor_b32_e32 v7, v7, v27
	v_cmp_o_f32_e32 vcc, v27, v27
	v_cndmask_b32_e32 v7, -1, v7, vcc
	v_and_b32_e32 v7, s89, v7
	v_cmp_eq_u32_e32 vcc, s94, v7
	s_and_b64 exec, exec, vcc
	s_cbranch_execz .LBB53_116
; %bb.121:                              ;   in Loop: Header=BB53_117 Depth=2
	ds_write_b64 v13, v[26:27] offset:3072
	s_branch .LBB53_116
.LBB53_122:                             ;   in Loop: Header=BB53_17 Depth=1
	s_or_b64 exec, exec, s[0:1]
	s_and_b64 s[0:1], s[8:9], exec
.LBB53_123:                             ;   in Loop: Header=BB53_17 Depth=1
	s_or_b64 exec, exec, s[2:3]
	s_mov_b64 s[8:9], -1
	s_mov_b64 s[2:3], 0
	s_mov_b64 s[6:7], 0
.LBB53_124:                             ;   in Loop: Header=BB53_17 Depth=1
	s_andn2_b64 s[10:11], s[10:11], exec
	s_and_b64 s[2:3], s[2:3], exec
	s_or_b64 s[10:11], s[10:11], s[2:3]
	s_andn2_b64 s[2:3], s[70:71], exec
	s_and_b64 s[8:9], s[8:9], exec
	s_or_b64 s[70:71], s[2:3], s[8:9]
	s_andn2_b64 s[2:3], s[76:77], exec
	s_and_b64 s[6:7], s[6:7], exec
	s_or_b64 s[76:77], s[2:3], s[6:7]
	s_and_saveexec_b64 s[14:15], s[0:1]
	s_cbranch_execz .LBB53_16
; %bb.125:                              ;   in Loop: Header=BB53_17 Depth=1
	s_xor_b64 s[0:1], s[22:23], -1
	s_andn2_b64 vcc, exec, s[0:1]
	s_mov_b32 s47, 1
	s_cbranch_vccnz .LBB53_136
; %bb.126:                              ;   in Loop: Header=BB53_17 Depth=1
	v_pk_mov_b32 v[2:3], s[16:17], s[16:17] op_sel:[0,1]
	v_cmp_gt_i64_e32 vcc, s[58:59], v[2:3]
	s_mov_b64 s[0:1], -1
                                        ; implicit-def: $sgpr47
                                        ; implicit-def: $sgpr2
                                        ; implicit-def: $sgpr3
	s_cbranch_vccnz .LBB53_132
; %bb.127:                              ;   in Loop: Header=BB53_17 Depth=1
	ds_read_b64 v[2:3], v13 offset:5120
	s_waitcnt lgkmcnt(0)
	v_cmp_ne_u64_e32 vcc, 0, v[2:3]
	s_cbranch_vccnz .LBB53_131
; %bb.128:                              ;   in Loop: Header=BB53_17 Depth=1
	s_mov_b64 s[0:1], exec
	v_readlane_b32 s2, v52, 12
	v_readlane_b32 s3, v52, 13
	s_and_b64 s[2:3], s[0:1], s[2:3]
	s_mov_b64 exec, s[2:3]
	s_cbranch_execz .LBB53_130
; %bb.129:                              ;   in Loop: Header=BB53_17 Depth=1
	v_pk_mov_b32 v[2:3], s[16:17], s[16:17] op_sel:[0,1]
	ds_write_b64 v13, v[2:3] offset:5128
.LBB53_130:                             ;   in Loop: Header=BB53_17 Depth=1
	s_or_b64 exec, exec, s[0:1]
	s_waitcnt lgkmcnt(0)
	s_barrier
.LBB53_131:                             ;   in Loop: Header=BB53_17 Depth=1
	s_and_b32 s2, s94, s43
	s_or_b32 s3, s89, s46
	s_mov_b64 s[0:1], 0
	s_mov_b32 s47, 8
.LBB53_132:                             ;   in Loop: Header=BB53_17 Depth=1
	s_andn2_b64 vcc, exec, s[0:1]
	s_cbranch_vccnz .LBB53_134
; %bb.133:                              ;   in Loop: Header=BB53_17 Depth=1
	s_sub_u32 s58, s58, s16
	s_subb_u32 s59, s59, s17
	s_mov_b64 s[0:1], -1
	s_mov_b32 s47, 0
	s_mov_b32 s2, s94
	;; [unrolled: 1-line block ×3, first 2 shown]
.LBB53_134:                             ;   in Loop: Header=BB53_17 Depth=1
	s_mov_b32 s89, s3
	s_mov_b32 s94, s2
	s_mov_b64 s[16:17], -1
	s_and_b64 vcc, exec, s[0:1]
	s_cbranch_vccnz .LBB53_137
.LBB53_135:                             ;   in Loop: Header=BB53_17 Depth=1
	s_mov_b64 s[2:3], -1
                                        ; implicit-def: $sgpr20_sgpr21
                                        ; implicit-def: $sgpr24_sgpr25
                                        ; implicit-def: $sgpr22_sgpr23
	s_and_saveexec_b64 s[0:1], s[2:3]
	s_xor_b64 s[0:1], exec, s[0:1]
	s_cbranch_execz .LBB53_15
	s_branch .LBB53_283
.LBB53_136:                             ;   in Loop: Header=BB53_17 Depth=1
	s_mov_b64 s[58:59], 1
	s_mov_b64 s[16:17], -1
	s_branch .LBB53_135
.LBB53_137:                             ;   in Loop: Header=BB53_17 Depth=1
	s_cmp_eq_u64 s[30:31], 1
	s_cselect_b64 s[0:1], -1, 0
	s_cmp_eq_u64 s[58:59], 1
	s_cselect_b64 s[2:3], -1, 0
	s_and_b64 s[34:35], s[0:1], s[2:3]
	s_mov_b64 s[0:1], -1
	s_and_b64 vcc, exec, s[34:35]
	s_cbranch_vccz .LBB53_152
; %bb.138:                              ;   in Loop: Header=BB53_17 Depth=1
	ds_read_b64 v[2:3], v13 offset:5120
	s_waitcnt lgkmcnt(0)
	s_barrier
	v_readfirstlane_b32 s26, v2
	v_readfirstlane_b32 s27, v3
	s_mov_b64 s[0:1], exec
	v_readlane_b32 s2, v52, 24
	v_readlane_b32 s3, v52, 25
	s_and_b64 s[2:3], s[0:1], s[2:3]
	s_mov_b64 exec, s[2:3]
	s_cbranch_execz .LBB53_140
; %bb.139:                              ;   in Loop: Header=BB53_17 Depth=1
	ds_write_b32 v39, v13
.LBB53_140:                             ;   in Loop: Header=BB53_17 Depth=1
	s_or_b64 exec, exec, s[0:1]
	s_lshl_b32 s0, 1, s42
	s_and_b32 s1, s94, s43
	s_or_b32 s94, s1, s0
	v_cmp_gt_i64_e64 s[0:1], s[26:27], 0
	s_or_b32 s89, s89, s46
	s_and_b64 vcc, exec, s[0:1]
	s_waitcnt lgkmcnt(0)
	s_barrier
	s_cbranch_vccnz .LBB53_155
; %bb.141:                              ;   in Loop: Header=BB53_17 Depth=1
	s_mov_b32 s92, s85
	s_cmp_lg_u64 s[92:93], 0
	s_cbranch_scc0 .LBB53_200
; %bb.142:                              ;   in Loop: Header=BB53_17 Depth=1
	v_cvt_f32_u32_e32 v2, s33
	s_sub_u32 s0, 0, s33
	s_subb_u32 s1, 0, 0
	v_mac_f32_e32 v2, 0x4f800000, v47
	v_rcp_f32_e32 v2, v2
	v_mul_f32_e32 v2, 0x5f7ffffc, v2
	v_mul_f32_e32 v3, 0x2f800000, v2
	v_trunc_f32_e32 v3, v3
	v_mac_f32_e32 v2, 0xcf800000, v3
	v_cvt_u32_f32_e32 v3, v3
	v_cvt_u32_f32_e32 v2, v2
	v_readfirstlane_b32 s2, v3
	v_readfirstlane_b32 s3, v2
	s_mul_i32 s6, s0, s2
	s_mul_hi_u32 s8, s0, s3
	s_mul_i32 s7, s1, s3
	s_add_i32 s6, s8, s6
	s_mul_i32 s9, s0, s3
	s_add_i32 s6, s6, s7
	s_mul_hi_u32 s8, s3, s9
	s_mul_hi_u32 s7, s3, s6
	s_mul_i32 s3, s3, s6
	s_add_u32 s3, s8, s3
	s_addc_u32 s7, 0, s7
	s_mul_hi_u32 s20, s2, s9
	s_mul_i32 s9, s2, s9
	s_add_u32 s3, s3, s9
	s_mul_hi_u32 s8, s2, s6
	s_addc_u32 s3, s7, s20
	s_addc_u32 s7, s8, 0
	s_mul_i32 s6, s2, s6
	s_add_u32 s3, s3, s6
	s_addc_u32 s6, 0, s7
	v_add_co_u32_e32 v2, vcc, s3, v2
	s_cmp_lg_u64 vcc, 0
	s_addc_u32 s2, s2, s6
	v_readfirstlane_b32 s6, v2
	s_mul_i32 s3, s0, s2
	s_mul_hi_u32 s7, s0, s6
	s_add_i32 s3, s7, s3
	s_mul_i32 s1, s1, s6
	s_add_i32 s3, s3, s1
	s_mul_i32 s0, s0, s6
	s_mul_hi_u32 s7, s2, s0
	s_mul_i32 s8, s2, s0
	s_mul_i32 s20, s6, s3
	s_mul_hi_u32 s0, s6, s0
	s_mul_hi_u32 s9, s6, s3
	s_add_u32 s0, s0, s20
	s_addc_u32 s6, 0, s9
	s_add_u32 s0, s0, s8
	s_mul_hi_u32 s1, s2, s3
	s_addc_u32 s0, s6, s7
	s_addc_u32 s1, s1, 0
	s_mul_i32 s3, s2, s3
	s_add_u32 s0, s0, s3
	s_addc_u32 s1, 0, s1
	v_add_co_u32_e32 v2, vcc, s0, v2
	s_cmp_lg_u64 vcc, 0
	s_addc_u32 s6, s2, s1
	s_ashr_i32 s0, s93, 31
	s_add_u32 s2, s95, s0
	s_mov_b32 s1, s0
	s_addc_u32 s3, s93, s0
	s_xor_b64 s[2:3], s[2:3], s[0:1]
	v_readfirstlane_b32 s8, v2
	s_mul_i32 s7, s2, s6
	s_mul_hi_u32 s9, s2, s8
	s_mul_hi_u32 s1, s2, s6
	s_add_u32 s7, s9, s7
	s_addc_u32 s1, 0, s1
	s_mul_hi_u32 s20, s3, s8
	s_mul_i32 s8, s3, s8
	s_add_u32 s7, s7, s8
	s_mul_hi_u32 s9, s3, s6
	s_addc_u32 s1, s1, s20
	s_addc_u32 s7, s9, 0
	s_mul_i32 s6, s3, s6
	s_add_u32 s1, s1, s6
	s_addc_u32 s6, 0, s7
	s_mul_hi_u32 s7, s33, s1
	s_mul_i32 s1, s33, s1
	s_mul_i32 s6, s33, s6
	v_mov_b32_e32 v2, s1
	s_add_i32 s7, s7, s6
	v_sub_co_u32_e32 v2, vcc, s2, v2
	s_cmp_lg_u64 vcc, 0
	s_subb_u32 s1, s3, s7
	v_subrev_co_u32_e32 v3, vcc, s33, v2
	s_cmp_lg_u64 vcc, 0
	s_subb_u32 s2, s1, 0
	v_subrev_co_u32_e32 v4, vcc, s33, v3
	s_cmp_lg_u64 vcc, 0
	s_subb_u32 s3, s2, 0
	v_cmp_le_u32_e32 vcc, s33, v3
	s_cmp_eq_u32 s2, 0
	v_cndmask_b32_e64 v5, 0, -1, vcc
	s_cselect_b64 vcc, -1, 0
	v_cndmask_b32_e32 v5, -1, v5, vcc
	v_mov_b32_e32 v6, s2
	v_mov_b32_e32 v7, s3
	v_cmp_ne_u32_e32 vcc, 0, v5
	v_cndmask_b32_e32 v5, v6, v7, vcc
	v_cndmask_b32_e32 v3, v3, v4, vcc
	v_cmp_le_u32_e32 vcc, s33, v2
	s_cmp_eq_u32 s1, 0
	v_cndmask_b32_e64 v4, 0, -1, vcc
	s_cselect_b64 vcc, -1, 0
	v_cndmask_b32_e32 v4, -1, v4, vcc
	v_cmp_ne_u32_e32 vcc, 0, v4
	v_mov_b32_e32 v6, s1
	v_cndmask_b32_e32 v2, v2, v3, vcc
	v_cndmask_b32_e32 v4, v6, v5, vcc
	v_xor_b32_e32 v2, s0, v2
	v_xor_b32_e32 v3, s0, v4
	v_mov_b32_e32 v4, s0
	v_subrev_co_u32_e32 v2, vcc, s0, v2
	v_subb_co_u32_e32 v3, vcc, v3, v4, vcc
	s_cbranch_execnz .LBB53_144
.LBB53_143:                             ;   in Loop: Header=BB53_17 Depth=1
	v_cvt_f32_u32_e32 v2, s33
	s_sub_i32 s0, 0, s33
	v_rcp_iflag_f32_e32 v2, v2
	v_mul_f32_e32 v2, 0x4f7ffffe, v2
	v_cvt_u32_f32_e32 v2, v2
	v_mul_lo_u32 v3, s0, v2
	v_mul_hi_u32 v3, v2, v3
	v_add_u32_e32 v2, v2, v3
	s_mov_b32 s0, s95
	v_mul_hi_u32 v2, s0, v2
	v_mul_lo_u32 v2, v2, s33
	v_sub_u32_e32 v2, s0, v2
	v_subrev_u32_e32 v3, s33, v2
	v_cmp_le_u32_e32 vcc, s33, v2
	v_cndmask_b32_e32 v2, v2, v3, vcc
	v_subrev_u32_e32 v3, s33, v2
	v_cmp_le_u32_e32 vcc, s33, v2
	v_cndmask_b32_e32 v12, v2, v3, vcc
	v_pk_mov_b32 v[2:3], v[12:13], v[12:13] op_sel:[0,1]
.LBB53_144:                             ;   in Loop: Header=BB53_17 Depth=1
	v_mov_b32_e32 v4, s93
	v_sub_co_u32_e32 v2, vcc, s95, v2
	v_subb_co_u32_e32 v3, vcc, v4, v3, vcc
	v_cmp_gt_i64_e32 vcc, v[2:3], v[0:1]
	s_mov_b64 s[0:1], 0
                                        ; implicit-def: $vgpr29
	s_and_saveexec_b64 s[2:3], vcc
	s_cbranch_execz .LBB53_157
; %bb.145:                              ;   in Loop: Header=BB53_17 Depth=1
	v_pk_mov_b32 v[4:5], v[10:11], v[10:11] op_sel:[0,1]
	v_pk_mov_b32 v[6:7], v[0:1], v[0:1] op_sel:[0,1]
                                        ; implicit-def: $sgpr8_sgpr9
	s_branch .LBB53_147
.LBB53_146:                             ;   in Loop: Header=BB53_147 Depth=2
	s_or_b64 exec, exec, s[6:7]
	s_waitcnt lgkmcnt(0)
	s_barrier
	ds_read_b64 v[28:29], v13 offset:3072
	v_mov_b32_e32 v8, s28
	v_add_co_u32_e64 v6, s[6:7], s33, v6
	v_addc_co_u32_e64 v7, s[6:7], v7, v8, s[6:7]
	s_waitcnt lgkmcnt(0)
	v_cmp_neq_f32_e32 vcc, 0, v28
	v_cmp_ge_i64_e64 s[6:7], v[6:7], v[2:3]
	s_or_b64 s[20:21], vcc, s[6:7]
	v_mov_b32_e32 v8, s83
	v_add_co_u32_e64 v4, s[6:7], s82, v4
	v_addc_co_u32_e64 v5, s[6:7], v5, v8, s[6:7]
	s_and_b64 s[6:7], exec, s[20:21]
	s_or_b64 s[0:1], s[6:7], s[0:1]
	s_andn2_b64 s[6:7], s[8:9], exec
	s_and_b64 s[8:9], vcc, exec
	s_or_b64 s[8:9], s[6:7], s[8:9]
	s_barrier
	s_andn2_b64 exec, exec, s[0:1]
	s_cbranch_execz .LBB53_156
.LBB53_147:                             ;   Parent Loop BB53_17 Depth=1
                                        ; =>  This Inner Loop Header: Depth=2
	v_cmp_gt_i64_e32 vcc, s[56:57], v[6:7]
	s_waitcnt vmcnt(0)
	v_mov_b32_e32 v27, 0
	s_and_saveexec_b64 s[6:7], vcc
	s_cbranch_execz .LBB53_149
; %bb.148:                              ;   in Loop: Header=BB53_147 Depth=2
	global_load_dword v27, v[4:5], off
.LBB53_149:                             ;   in Loop: Header=BB53_147 Depth=2
	s_or_b64 exec, exec, s[6:7]
	s_and_saveexec_b64 s[6:7], vcc
	s_cbranch_execz .LBB53_146
; %bb.150:                              ;   in Loop: Header=BB53_147 Depth=2
	s_waitcnt vmcnt(0)
	v_cmp_lt_i32_e32 vcc, -1, v27
	v_cndmask_b32_e32 v8, -1, v46, vcc
	v_xor_b32_e32 v8, v8, v27
	v_cmp_o_f32_e32 vcc, v27, v27
	v_cndmask_b32_e32 v8, -1, v8, vcc
	v_and_b32_e32 v8, s89, v8
	v_cmp_eq_u32_e32 vcc, s94, v8
	s_and_b64 exec, exec, vcc
	s_cbranch_execz .LBB53_146
; %bb.151:                              ;   in Loop: Header=BB53_147 Depth=2
	ds_write_b64 v13, v[26:27] offset:3072
	s_branch .LBB53_146
.LBB53_152:                             ;   in Loop: Header=BB53_17 Depth=1
                                        ; implicit-def: $sgpr22_sgpr23
                                        ; implicit-def: $sgpr24_sgpr25
                                        ; implicit-def: $sgpr20_sgpr21
	s_branch .LBB53_171
.LBB53_153:                             ;   in Loop: Header=BB53_17 Depth=1
                                        ; implicit-def: $vgpr2_vgpr3
	s_branch .LBB53_98
.LBB53_154:                             ;   in Loop: Header=BB53_17 Depth=1
                                        ; implicit-def: $vgpr2_vgpr3
	s_branch .LBB53_113
.LBB53_155:                             ;   in Loop: Header=BB53_17 Depth=1
	s_mov_b64 s[22:23], -1
	s_mov_b64 s[0:1], 0
                                        ; implicit-def: $sgpr20_sgpr21
                                        ; implicit-def: $vgpr29
	s_mov_b64 s[24:25], s[22:23]
	s_cbranch_execnz .LBB53_158
	s_branch .LBB53_171
.LBB53_156:                             ;   in Loop: Header=BB53_17 Depth=1
	s_or_b64 exec, exec, s[0:1]
	s_and_b64 s[0:1], s[8:9], exec
.LBB53_157:                             ;   in Loop: Header=BB53_17 Depth=1
	s_or_b64 exec, exec, s[2:3]
	s_mov_b64 s[20:21], -1
	s_mov_b64 s[22:23], 0
	s_mov_b64 s[24:25], s[22:23]
	s_branch .LBB53_171
.LBB53_158:                             ;   in Loop: Header=BB53_17 Depth=1
	v_readlane_b32 s0, v52, 34
	s_add_u32 s6, s0, s26
	v_readlane_b32 s0, v52, 35
	s_addc_u32 s1, s0, s27
	s_mov_b32 s0, s85
	s_cmp_lg_u64 s[0:1], 0
	s_cbranch_scc0 .LBB53_201
; %bb.159:                              ;   in Loop: Header=BB53_17 Depth=1
	v_cvt_f32_u32_e32 v2, s33
	s_sub_u32 s0, 0, s33
	s_subb_u32 s2, 0, 0
	v_mac_f32_e32 v2, 0x4f800000, v47
	v_rcp_f32_e32 v2, v2
	v_mul_f32_e32 v2, 0x5f7ffffc, v2
	v_mul_f32_e32 v3, 0x2f800000, v2
	v_trunc_f32_e32 v3, v3
	v_mac_f32_e32 v2, 0xcf800000, v3
	v_cvt_u32_f32_e32 v3, v3
	v_cvt_u32_f32_e32 v2, v2
	v_readfirstlane_b32 s3, v3
	v_readfirstlane_b32 s7, v2
	s_mul_i32 s8, s0, s3
	s_mul_hi_u32 s20, s0, s7
	s_mul_i32 s9, s2, s7
	s_add_i32 s8, s20, s8
	s_mul_i32 s21, s0, s7
	s_add_i32 s8, s8, s9
	s_mul_hi_u32 s20, s7, s21
	s_mul_hi_u32 s9, s7, s8
	s_mul_i32 s7, s7, s8
	s_add_u32 s7, s20, s7
	s_addc_u32 s9, 0, s9
	s_mul_hi_u32 s22, s3, s21
	s_mul_i32 s21, s3, s21
	s_add_u32 s7, s7, s21
	s_mul_hi_u32 s20, s3, s8
	s_addc_u32 s7, s9, s22
	s_addc_u32 s9, s20, 0
	s_mul_i32 s8, s3, s8
	s_add_u32 s7, s7, s8
	s_addc_u32 s8, 0, s9
	v_add_co_u32_e32 v2, vcc, s7, v2
	s_cmp_lg_u64 vcc, 0
	s_addc_u32 s3, s3, s8
	v_readfirstlane_b32 s8, v2
	s_mul_i32 s7, s0, s3
	s_mul_hi_u32 s9, s0, s8
	s_add_i32 s7, s9, s7
	s_mul_i32 s2, s2, s8
	s_add_i32 s7, s7, s2
	s_mul_i32 s0, s0, s8
	s_mul_hi_u32 s9, s3, s0
	s_mul_i32 s20, s3, s0
	s_mul_i32 s22, s8, s7
	s_mul_hi_u32 s0, s8, s0
	s_mul_hi_u32 s21, s8, s7
	s_add_u32 s0, s0, s22
	s_addc_u32 s8, 0, s21
	s_add_u32 s0, s0, s20
	s_mul_hi_u32 s2, s3, s7
	s_addc_u32 s0, s8, s9
	s_addc_u32 s2, s2, 0
	s_mul_i32 s7, s3, s7
	s_add_u32 s0, s0, s7
	s_addc_u32 s2, 0, s2
	v_add_co_u32_e32 v2, vcc, s0, v2
	s_cmp_lg_u64 vcc, 0
	s_addc_u32 s0, s3, s2
	s_ashr_i32 s2, s1, 31
	s_add_u32 s8, s6, s2
	s_mov_b32 s3, s2
	s_addc_u32 s9, s1, s2
	s_xor_b64 s[8:9], s[8:9], s[2:3]
	v_readfirstlane_b32 s20, v2
	s_mul_i32 s7, s8, s0
	s_mul_hi_u32 s21, s8, s20
	s_mul_hi_u32 s3, s8, s0
	s_add_u32 s7, s21, s7
	s_addc_u32 s3, 0, s3
	s_mul_hi_u32 s22, s9, s20
	s_mul_i32 s20, s9, s20
	s_add_u32 s7, s7, s20
	s_mul_hi_u32 s21, s9, s0
	s_addc_u32 s3, s3, s22
	s_addc_u32 s7, s21, 0
	s_mul_i32 s0, s9, s0
	s_add_u32 s0, s3, s0
	s_addc_u32 s3, 0, s7
	s_mul_hi_u32 s7, s33, s0
	s_mul_i32 s0, s33, s0
	s_mul_i32 s3, s33, s3
	v_mov_b32_e32 v2, s0
	s_add_i32 s7, s7, s3
	v_sub_co_u32_e32 v2, vcc, s8, v2
	s_cmp_lg_u64 vcc, 0
	s_subb_u32 s0, s9, s7
	v_subrev_co_u32_e32 v3, vcc, s33, v2
	s_cmp_lg_u64 vcc, 0
	s_subb_u32 s3, s0, 0
	v_subrev_co_u32_e32 v4, vcc, s33, v3
	s_cmp_lg_u64 vcc, 0
	s_subb_u32 s7, s3, 0
	v_cmp_le_u32_e32 vcc, s33, v3
	s_cmp_eq_u32 s3, 0
	v_cndmask_b32_e64 v5, 0, -1, vcc
	s_cselect_b64 vcc, -1, 0
	v_cndmask_b32_e32 v5, -1, v5, vcc
	v_mov_b32_e32 v6, s3
	v_mov_b32_e32 v7, s7
	v_cmp_ne_u32_e32 vcc, 0, v5
	v_cndmask_b32_e32 v5, v6, v7, vcc
	v_cndmask_b32_e32 v3, v3, v4, vcc
	v_cmp_le_u32_e32 vcc, s33, v2
	s_cmp_eq_u32 s0, 0
	v_cndmask_b32_e64 v4, 0, -1, vcc
	s_cselect_b64 vcc, -1, 0
	v_cndmask_b32_e32 v4, -1, v4, vcc
	v_cmp_ne_u32_e32 vcc, 0, v4
	v_mov_b32_e32 v6, s0
	v_cndmask_b32_e32 v2, v2, v3, vcc
	v_cndmask_b32_e32 v4, v6, v5, vcc
	v_xor_b32_e32 v2, s2, v2
	v_xor_b32_e32 v3, s2, v4
	v_mov_b32_e32 v4, s2
	v_subrev_co_u32_e32 v2, vcc, s2, v2
	v_subb_co_u32_e32 v3, vcc, v3, v4, vcc
	s_cbranch_execnz .LBB53_161
.LBB53_160:                             ;   in Loop: Header=BB53_17 Depth=1
	v_cvt_f32_u32_e32 v2, s33
	s_sub_i32 s0, 0, s33
	v_rcp_iflag_f32_e32 v2, v2
	v_mul_f32_e32 v2, 0x4f7ffffe, v2
	v_cvt_u32_f32_e32 v2, v2
	v_mul_lo_u32 v3, s0, v2
	v_mul_hi_u32 v3, v2, v3
	v_add_u32_e32 v2, v2, v3
	v_mul_hi_u32 v2, s6, v2
	v_mul_lo_u32 v2, v2, s33
	v_sub_u32_e32 v2, s6, v2
	v_subrev_u32_e32 v3, s33, v2
	v_cmp_le_u32_e32 vcc, s33, v2
	v_cndmask_b32_e32 v2, v2, v3, vcc
	v_subrev_u32_e32 v3, s33, v2
	v_cmp_le_u32_e32 vcc, s33, v2
	v_cndmask_b32_e32 v12, v2, v3, vcc
	v_pk_mov_b32 v[2:3], v[12:13], v[12:13] op_sel:[0,1]
.LBB53_161:                             ;   in Loop: Header=BB53_17 Depth=1
	v_mov_b32_e32 v4, s1
	v_sub_co_u32_e32 v2, vcc, s6, v2
	v_subb_co_u32_e32 v3, vcc, v4, v3, vcc
	v_cmp_gt_i64_e32 vcc, v[2:3], v[0:1]
	s_mov_b64 s[0:1], 0
                                        ; implicit-def: $vgpr29
	s_and_saveexec_b64 s[2:3], vcc
	s_cbranch_execz .LBB53_170
; %bb.162:                              ;   in Loop: Header=BB53_17 Depth=1
	v_mov_b32_e32 v6, v14
	v_pk_mov_b32 v[4:5], v[0:1], v[0:1] op_sel:[0,1]
                                        ; implicit-def: $sgpr8_sgpr9
	s_branch .LBB53_164
.LBB53_163:                             ;   in Loop: Header=BB53_164 Depth=2
	s_or_b64 exec, exec, s[6:7]
	s_waitcnt lgkmcnt(0)
	s_barrier
	ds_read_b64 v[28:29], v13 offset:3072
	v_mov_b32_e32 v7, s28
	v_add_co_u32_e64 v4, s[6:7], s33, v4
	v_addc_co_u32_e64 v5, s[6:7], v5, v7, s[6:7]
	s_waitcnt lgkmcnt(0)
	v_cmp_neq_f32_e32 vcc, 0, v28
	v_cmp_ge_i64_e64 s[6:7], v[4:5], v[2:3]
	s_or_b64 s[6:7], vcc, s[6:7]
	s_and_b64 s[6:7], exec, s[6:7]
	s_or_b64 s[0:1], s[6:7], s[0:1]
	s_andn2_b64 s[6:7], s[8:9], exec
	s_and_b64 s[8:9], vcc, exec
	v_add_u32_e32 v6, s67, v6
	s_or_b64 s[8:9], s[6:7], s[8:9]
	s_barrier
	s_andn2_b64 exec, exec, s[0:1]
	s_cbranch_execz .LBB53_169
.LBB53_164:                             ;   Parent Loop BB53_17 Depth=1
                                        ; =>  This Inner Loop Header: Depth=2
	v_cmp_gt_i64_e32 vcc, s[26:27], v[4:5]
	s_waitcnt vmcnt(0)
	v_mov_b32_e32 v27, 0
	s_and_saveexec_b64 s[6:7], vcc
	s_cbranch_execz .LBB53_166
; %bb.165:                              ;   in Loop: Header=BB53_164 Depth=2
	ds_read_b32 v27, v6
.LBB53_166:                             ;   in Loop: Header=BB53_164 Depth=2
	s_or_b64 exec, exec, s[6:7]
	s_and_saveexec_b64 s[6:7], vcc
	s_cbranch_execz .LBB53_163
; %bb.167:                              ;   in Loop: Header=BB53_164 Depth=2
	s_waitcnt lgkmcnt(0)
	v_cmp_lt_i32_e32 vcc, -1, v27
	v_cndmask_b32_e32 v7, -1, v46, vcc
	v_xor_b32_e32 v7, v7, v27
	v_cmp_o_f32_e32 vcc, v27, v27
	v_cndmask_b32_e32 v7, -1, v7, vcc
	v_and_b32_e32 v7, s89, v7
	v_cmp_eq_u32_e32 vcc, s94, v7
	s_and_b64 exec, exec, vcc
	s_cbranch_execz .LBB53_163
; %bb.168:                              ;   in Loop: Header=BB53_164 Depth=2
	ds_write_b64 v13, v[26:27] offset:3072
	s_branch .LBB53_163
.LBB53_169:                             ;   in Loop: Header=BB53_17 Depth=1
	s_or_b64 exec, exec, s[0:1]
	s_and_b64 s[0:1], s[8:9], exec
.LBB53_170:                             ;   in Loop: Header=BB53_17 Depth=1
	s_or_b64 exec, exec, s[2:3]
	s_mov_b64 s[24:25], -1
	s_mov_b64 s[22:23], 0
	s_mov_b64 s[20:21], 0
.LBB53_171:                             ;   in Loop: Header=BB53_17 Depth=1
	s_mov_b64 s[2:3], 0
                                        ; implicit-def: $sgpr47
	s_and_saveexec_b64 s[26:27], s[0:1]
	s_cbranch_execz .LBB53_282
; %bb.172:                              ;   in Loop: Header=BB53_17 Depth=1
	s_xor_b64 s[0:1], s[34:35], -1
	s_andn2_b64 vcc, exec, s[0:1]
	s_mov_b32 s47, 1
	s_cbranch_vccnz .LBB53_183
; %bb.173:                              ;   in Loop: Header=BB53_17 Depth=1
	v_pk_mov_b32 v[2:3], s[30:31], s[30:31] op_sel:[0,1]
	v_cmp_gt_i64_e32 vcc, s[58:59], v[2:3]
	s_mov_b64 s[0:1], -1
                                        ; implicit-def: $sgpr47
                                        ; implicit-def: $sgpr2
                                        ; implicit-def: $sgpr3
	s_cbranch_vccnz .LBB53_179
; %bb.174:                              ;   in Loop: Header=BB53_17 Depth=1
	ds_read_b64 v[2:3], v13 offset:5120
	s_waitcnt lgkmcnt(0)
	v_cmp_ne_u64_e32 vcc, 0, v[2:3]
	s_cbranch_vccnz .LBB53_178
; %bb.175:                              ;   in Loop: Header=BB53_17 Depth=1
	s_mov_b64 s[0:1], exec
	v_readlane_b32 s2, v52, 12
	v_readlane_b32 s3, v52, 13
	s_and_b64 s[2:3], s[0:1], s[2:3]
	s_mov_b64 exec, s[2:3]
	s_cbranch_execz .LBB53_177
; %bb.176:                              ;   in Loop: Header=BB53_17 Depth=1
	v_pk_mov_b32 v[2:3], s[30:31], s[30:31] op_sel:[0,1]
	ds_write_b64 v13, v[2:3] offset:5128
.LBB53_177:                             ;   in Loop: Header=BB53_17 Depth=1
	s_or_b64 exec, exec, s[0:1]
	s_waitcnt lgkmcnt(0)
	s_barrier
.LBB53_178:                             ;   in Loop: Header=BB53_17 Depth=1
	s_lshl_b32 s0, 1, s42
	s_and_b32 s1, s94, s43
	s_or_b32 s2, s1, s0
	s_or_b32 s3, s89, s46
	s_mov_b64 s[0:1], 0
	s_mov_b32 s47, 8
.LBB53_179:                             ;   in Loop: Header=BB53_17 Depth=1
	s_andn2_b64 vcc, exec, s[0:1]
	s_cbranch_vccnz .LBB53_181
; %bb.180:                              ;   in Loop: Header=BB53_17 Depth=1
	s_sub_u32 s58, s58, s30
	s_subb_u32 s59, s59, s31
	s_mov_b64 s[0:1], -1
	s_mov_b32 s47, 0
	s_mov_b32 s2, s94
	;; [unrolled: 1-line block ×3, first 2 shown]
.LBB53_181:                             ;   in Loop: Header=BB53_17 Depth=1
	s_mov_b32 s89, s3
	s_mov_b32 s94, s2
	s_andn2_b64 vcc, exec, s[0:1]
	s_mov_b64 s[2:3], -1
	s_cbranch_vccz .LBB53_184
.LBB53_182:                             ;   in Loop: Header=BB53_17 Depth=1
                                        ; implicit-def: $sgpr34_sgpr35
                                        ; implicit-def: $sgpr36_sgpr37
                                        ; implicit-def: $sgpr30_sgpr31
	s_branch .LBB53_281
.LBB53_183:                             ;   in Loop: Header=BB53_17 Depth=1
	s_mov_b64 s[58:59], 1
	s_mov_b64 s[2:3], -1
	s_cbranch_execnz .LBB53_182
.LBB53_184:                             ;   in Loop: Header=BB53_17 Depth=1
	s_cmp_eq_u64 s[18:19], 1
	s_cselect_b64 s[0:1], -1, 0
	s_cmp_eq_u64 s[58:59], 1
	s_cselect_b64 s[2:3], -1, 0
	s_and_b64 s[40:41], s[0:1], s[2:3]
	s_mov_b64 s[0:1], -1
	s_and_b64 vcc, exec, s[40:41]
	s_cbranch_vccz .LBB53_199
; %bb.185:                              ;   in Loop: Header=BB53_17 Depth=1
	ds_read_b64 v[2:3], v13 offset:5120
	s_waitcnt lgkmcnt(0)
	s_barrier
	v_readfirstlane_b32 s38, v2
	v_readfirstlane_b32 s39, v3
	s_mov_b64 s[0:1], exec
	v_readlane_b32 s2, v52, 24
	v_readlane_b32 s3, v52, 25
	s_and_b64 s[2:3], s[0:1], s[2:3]
	s_mov_b64 exec, s[2:3]
	s_cbranch_execz .LBB53_187
; %bb.186:                              ;   in Loop: Header=BB53_17 Depth=1
	ds_write_b32 v39, v13
.LBB53_187:                             ;   in Loop: Header=BB53_17 Depth=1
	s_or_b64 exec, exec, s[0:1]
	s_lshl_b32 s0, 2, s42
	s_and_b32 s1, s94, s43
	s_or_b32 s94, s1, s0
	v_cmp_gt_i64_e64 s[0:1], s[38:39], 0
	s_or_b32 s89, s89, s46
	s_and_b64 vcc, exec, s[0:1]
	s_waitcnt lgkmcnt(0)
	s_barrier
	s_cbranch_vccnz .LBB53_202
; %bb.188:                              ;   in Loop: Header=BB53_17 Depth=1
	s_mov_b32 s92, s85
	s_cmp_lg_u64 s[92:93], 0
	s_cbranch_scc0 .LBB53_247
; %bb.189:                              ;   in Loop: Header=BB53_17 Depth=1
	v_cvt_f32_u32_e32 v2, s33
	s_sub_u32 s0, 0, s33
	s_subb_u32 s1, 0, 0
	v_mac_f32_e32 v2, 0x4f800000, v47
	v_rcp_f32_e32 v2, v2
	v_mul_f32_e32 v2, 0x5f7ffffc, v2
	v_mul_f32_e32 v3, 0x2f800000, v2
	v_trunc_f32_e32 v3, v3
	v_mac_f32_e32 v2, 0xcf800000, v3
	v_cvt_u32_f32_e32 v3, v3
	v_cvt_u32_f32_e32 v2, v2
	v_readfirstlane_b32 s2, v3
	v_readfirstlane_b32 s3, v2
	s_mul_i32 s6, s0, s2
	s_mul_hi_u32 s8, s0, s3
	s_mul_i32 s7, s1, s3
	s_add_i32 s6, s8, s6
	s_mul_i32 s9, s0, s3
	s_add_i32 s6, s6, s7
	s_mul_hi_u32 s8, s3, s9
	s_mul_hi_u32 s7, s3, s6
	s_mul_i32 s3, s3, s6
	s_add_u32 s3, s8, s3
	s_addc_u32 s7, 0, s7
	s_mul_hi_u32 s30, s2, s9
	s_mul_i32 s9, s2, s9
	s_add_u32 s3, s3, s9
	s_mul_hi_u32 s8, s2, s6
	s_addc_u32 s3, s7, s30
	s_addc_u32 s7, s8, 0
	s_mul_i32 s6, s2, s6
	s_add_u32 s3, s3, s6
	s_addc_u32 s6, 0, s7
	v_add_co_u32_e32 v2, vcc, s3, v2
	s_cmp_lg_u64 vcc, 0
	s_addc_u32 s2, s2, s6
	v_readfirstlane_b32 s6, v2
	s_mul_i32 s3, s0, s2
	s_mul_hi_u32 s7, s0, s6
	s_add_i32 s3, s7, s3
	s_mul_i32 s1, s1, s6
	s_add_i32 s3, s3, s1
	s_mul_i32 s0, s0, s6
	s_mul_hi_u32 s7, s2, s0
	s_mul_i32 s8, s2, s0
	s_mul_i32 s30, s6, s3
	s_mul_hi_u32 s0, s6, s0
	s_mul_hi_u32 s9, s6, s3
	s_add_u32 s0, s0, s30
	s_addc_u32 s6, 0, s9
	s_add_u32 s0, s0, s8
	s_mul_hi_u32 s1, s2, s3
	s_addc_u32 s0, s6, s7
	s_addc_u32 s1, s1, 0
	s_mul_i32 s3, s2, s3
	s_add_u32 s0, s0, s3
	s_addc_u32 s1, 0, s1
	v_add_co_u32_e32 v2, vcc, s0, v2
	s_cmp_lg_u64 vcc, 0
	s_addc_u32 s6, s2, s1
	s_ashr_i32 s0, s93, 31
	s_add_u32 s2, s95, s0
	s_mov_b32 s1, s0
	s_addc_u32 s3, s93, s0
	s_xor_b64 s[2:3], s[2:3], s[0:1]
	v_readfirstlane_b32 s8, v2
	s_mul_i32 s7, s2, s6
	s_mul_hi_u32 s9, s2, s8
	s_mul_hi_u32 s1, s2, s6
	s_add_u32 s7, s9, s7
	s_addc_u32 s1, 0, s1
	s_mul_hi_u32 s30, s3, s8
	s_mul_i32 s8, s3, s8
	s_add_u32 s7, s7, s8
	s_mul_hi_u32 s9, s3, s6
	s_addc_u32 s1, s1, s30
	s_addc_u32 s7, s9, 0
	s_mul_i32 s6, s3, s6
	s_add_u32 s1, s1, s6
	s_addc_u32 s6, 0, s7
	s_mul_hi_u32 s7, s33, s1
	s_mul_i32 s1, s33, s1
	s_mul_i32 s6, s33, s6
	v_mov_b32_e32 v2, s1
	s_add_i32 s7, s7, s6
	v_sub_co_u32_e32 v2, vcc, s2, v2
	s_cmp_lg_u64 vcc, 0
	s_subb_u32 s1, s3, s7
	v_subrev_co_u32_e32 v3, vcc, s33, v2
	s_cmp_lg_u64 vcc, 0
	s_subb_u32 s2, s1, 0
	v_subrev_co_u32_e32 v4, vcc, s33, v3
	s_cmp_lg_u64 vcc, 0
	s_subb_u32 s3, s2, 0
	v_cmp_le_u32_e32 vcc, s33, v3
	s_cmp_eq_u32 s2, 0
	v_cndmask_b32_e64 v5, 0, -1, vcc
	s_cselect_b64 vcc, -1, 0
	v_cndmask_b32_e32 v5, -1, v5, vcc
	v_mov_b32_e32 v6, s2
	v_mov_b32_e32 v7, s3
	v_cmp_ne_u32_e32 vcc, 0, v5
	v_cndmask_b32_e32 v5, v6, v7, vcc
	v_cndmask_b32_e32 v3, v3, v4, vcc
	v_cmp_le_u32_e32 vcc, s33, v2
	s_cmp_eq_u32 s1, 0
	v_cndmask_b32_e64 v4, 0, -1, vcc
	s_cselect_b64 vcc, -1, 0
	v_cndmask_b32_e32 v4, -1, v4, vcc
	v_cmp_ne_u32_e32 vcc, 0, v4
	v_mov_b32_e32 v6, s1
	v_cndmask_b32_e32 v2, v2, v3, vcc
	v_cndmask_b32_e32 v4, v6, v5, vcc
	v_xor_b32_e32 v2, s0, v2
	v_xor_b32_e32 v3, s0, v4
	v_mov_b32_e32 v4, s0
	v_subrev_co_u32_e32 v2, vcc, s0, v2
	v_subb_co_u32_e32 v3, vcc, v3, v4, vcc
	s_cbranch_execnz .LBB53_191
.LBB53_190:                             ;   in Loop: Header=BB53_17 Depth=1
	v_cvt_f32_u32_e32 v2, s33
	s_sub_i32 s0, 0, s33
	v_rcp_iflag_f32_e32 v2, v2
	v_mul_f32_e32 v2, 0x4f7ffffe, v2
	v_cvt_u32_f32_e32 v2, v2
	v_mul_lo_u32 v3, s0, v2
	v_mul_hi_u32 v3, v2, v3
	v_add_u32_e32 v2, v2, v3
	s_mov_b32 s0, s95
	v_mul_hi_u32 v2, s0, v2
	v_mul_lo_u32 v2, v2, s33
	v_sub_u32_e32 v2, s0, v2
	v_subrev_u32_e32 v3, s33, v2
	v_cmp_le_u32_e32 vcc, s33, v2
	v_cndmask_b32_e32 v2, v2, v3, vcc
	v_subrev_u32_e32 v3, s33, v2
	v_cmp_le_u32_e32 vcc, s33, v2
	v_cndmask_b32_e32 v12, v2, v3, vcc
	v_pk_mov_b32 v[2:3], v[12:13], v[12:13] op_sel:[0,1]
.LBB53_191:                             ;   in Loop: Header=BB53_17 Depth=1
	v_mov_b32_e32 v4, s93
	v_sub_co_u32_e32 v2, vcc, s95, v2
	v_subb_co_u32_e32 v3, vcc, v4, v3, vcc
	v_cmp_gt_i64_e32 vcc, v[2:3], v[0:1]
	s_mov_b64 s[0:1], 0
                                        ; implicit-def: $vgpr29
	s_and_saveexec_b64 s[2:3], vcc
	s_cbranch_execz .LBB53_204
; %bb.192:                              ;   in Loop: Header=BB53_17 Depth=1
	v_pk_mov_b32 v[4:5], v[10:11], v[10:11] op_sel:[0,1]
	v_pk_mov_b32 v[6:7], v[0:1], v[0:1] op_sel:[0,1]
                                        ; implicit-def: $sgpr8_sgpr9
	s_branch .LBB53_194
.LBB53_193:                             ;   in Loop: Header=BB53_194 Depth=2
	s_or_b64 exec, exec, s[6:7]
	s_waitcnt lgkmcnt(0)
	s_barrier
	ds_read_b64 v[28:29], v13 offset:3072
	v_mov_b32_e32 v8, s28
	v_add_co_u32_e64 v6, s[6:7], s33, v6
	v_addc_co_u32_e64 v7, s[6:7], v7, v8, s[6:7]
	s_waitcnt lgkmcnt(0)
	v_cmp_neq_f32_e32 vcc, 0, v28
	v_cmp_ge_i64_e64 s[6:7], v[6:7], v[2:3]
	s_or_b64 s[30:31], vcc, s[6:7]
	v_mov_b32_e32 v8, s83
	v_add_co_u32_e64 v4, s[6:7], s82, v4
	v_addc_co_u32_e64 v5, s[6:7], v5, v8, s[6:7]
	s_and_b64 s[6:7], exec, s[30:31]
	s_or_b64 s[0:1], s[6:7], s[0:1]
	s_andn2_b64 s[6:7], s[8:9], exec
	s_and_b64 s[8:9], vcc, exec
	s_or_b64 s[8:9], s[6:7], s[8:9]
	s_barrier
	s_andn2_b64 exec, exec, s[0:1]
	s_cbranch_execz .LBB53_203
.LBB53_194:                             ;   Parent Loop BB53_17 Depth=1
                                        ; =>  This Inner Loop Header: Depth=2
	v_cmp_gt_i64_e32 vcc, s[56:57], v[6:7]
	s_waitcnt vmcnt(0)
	v_mov_b32_e32 v27, 0
	s_and_saveexec_b64 s[6:7], vcc
	s_cbranch_execz .LBB53_196
; %bb.195:                              ;   in Loop: Header=BB53_194 Depth=2
	global_load_dword v27, v[4:5], off
.LBB53_196:                             ;   in Loop: Header=BB53_194 Depth=2
	s_or_b64 exec, exec, s[6:7]
	s_and_saveexec_b64 s[6:7], vcc
	s_cbranch_execz .LBB53_193
; %bb.197:                              ;   in Loop: Header=BB53_194 Depth=2
	s_waitcnt vmcnt(0)
	v_cmp_lt_i32_e32 vcc, -1, v27
	v_cndmask_b32_e32 v8, -1, v46, vcc
	v_xor_b32_e32 v8, v8, v27
	v_cmp_o_f32_e32 vcc, v27, v27
	v_cndmask_b32_e32 v8, -1, v8, vcc
	v_and_b32_e32 v8, s89, v8
	v_cmp_eq_u32_e32 vcc, s94, v8
	s_and_b64 exec, exec, vcc
	s_cbranch_execz .LBB53_193
; %bb.198:                              ;   in Loop: Header=BB53_194 Depth=2
	ds_write_b64 v13, v[26:27] offset:3072
	s_branch .LBB53_193
.LBB53_199:                             ;   in Loop: Header=BB53_17 Depth=1
                                        ; implicit-def: $sgpr30_sgpr31
                                        ; implicit-def: $sgpr36_sgpr37
                                        ; implicit-def: $sgpr34_sgpr35
	s_branch .LBB53_218
.LBB53_200:                             ;   in Loop: Header=BB53_17 Depth=1
                                        ; implicit-def: $vgpr2_vgpr3
	s_branch .LBB53_143
.LBB53_201:                             ;   in Loop: Header=BB53_17 Depth=1
                                        ; implicit-def: $vgpr2_vgpr3
	s_branch .LBB53_160
.LBB53_202:                             ;   in Loop: Header=BB53_17 Depth=1
	s_mov_b64 s[30:31], -1
	s_mov_b64 s[0:1], 0
                                        ; implicit-def: $sgpr34_sgpr35
                                        ; implicit-def: $vgpr29
	s_mov_b64 s[36:37], s[30:31]
	s_cbranch_execnz .LBB53_205
	s_branch .LBB53_218
.LBB53_203:                             ;   in Loop: Header=BB53_17 Depth=1
	s_or_b64 exec, exec, s[0:1]
	s_and_b64 s[0:1], s[8:9], exec
.LBB53_204:                             ;   in Loop: Header=BB53_17 Depth=1
	s_or_b64 exec, exec, s[2:3]
	s_mov_b64 s[34:35], -1
	s_mov_b64 s[30:31], 0
	s_mov_b64 s[36:37], s[30:31]
	s_branch .LBB53_218
.LBB53_205:                             ;   in Loop: Header=BB53_17 Depth=1
	v_readlane_b32 s0, v52, 34
	s_add_u32 s6, s0, s38
	v_readlane_b32 s0, v52, 35
	s_addc_u32 s1, s0, s39
	s_mov_b32 s0, s85
	s_cmp_lg_u64 s[0:1], 0
	s_cbranch_scc0 .LBB53_248
; %bb.206:                              ;   in Loop: Header=BB53_17 Depth=1
	v_cvt_f32_u32_e32 v2, s33
	s_sub_u32 s0, 0, s33
	s_subb_u32 s2, 0, 0
	v_mac_f32_e32 v2, 0x4f800000, v47
	v_rcp_f32_e32 v2, v2
	v_mul_f32_e32 v2, 0x5f7ffffc, v2
	v_mul_f32_e32 v3, 0x2f800000, v2
	v_trunc_f32_e32 v3, v3
	v_mac_f32_e32 v2, 0xcf800000, v3
	v_cvt_u32_f32_e32 v3, v3
	v_cvt_u32_f32_e32 v2, v2
	v_readfirstlane_b32 s3, v3
	v_readfirstlane_b32 s7, v2
	s_mul_i32 s8, s0, s3
	s_mul_hi_u32 s30, s0, s7
	s_mul_i32 s9, s2, s7
	s_add_i32 s8, s30, s8
	s_mul_i32 s31, s0, s7
	s_add_i32 s8, s8, s9
	s_mul_hi_u32 s30, s7, s31
	s_mul_hi_u32 s9, s7, s8
	s_mul_i32 s7, s7, s8
	s_add_u32 s7, s30, s7
	s_addc_u32 s9, 0, s9
	s_mul_hi_u32 s34, s3, s31
	s_mul_i32 s31, s3, s31
	s_add_u32 s7, s7, s31
	s_mul_hi_u32 s30, s3, s8
	s_addc_u32 s7, s9, s34
	s_addc_u32 s9, s30, 0
	s_mul_i32 s8, s3, s8
	s_add_u32 s7, s7, s8
	s_addc_u32 s8, 0, s9
	v_add_co_u32_e32 v2, vcc, s7, v2
	s_cmp_lg_u64 vcc, 0
	s_addc_u32 s3, s3, s8
	v_readfirstlane_b32 s8, v2
	s_mul_i32 s7, s0, s3
	s_mul_hi_u32 s9, s0, s8
	s_add_i32 s7, s9, s7
	s_mul_i32 s2, s2, s8
	s_add_i32 s7, s7, s2
	s_mul_i32 s0, s0, s8
	s_mul_hi_u32 s9, s3, s0
	s_mul_i32 s30, s3, s0
	s_mul_i32 s34, s8, s7
	s_mul_hi_u32 s0, s8, s0
	s_mul_hi_u32 s31, s8, s7
	s_add_u32 s0, s0, s34
	s_addc_u32 s8, 0, s31
	s_add_u32 s0, s0, s30
	s_mul_hi_u32 s2, s3, s7
	s_addc_u32 s0, s8, s9
	s_addc_u32 s2, s2, 0
	s_mul_i32 s7, s3, s7
	s_add_u32 s0, s0, s7
	s_addc_u32 s2, 0, s2
	v_add_co_u32_e32 v2, vcc, s0, v2
	s_cmp_lg_u64 vcc, 0
	s_addc_u32 s0, s3, s2
	s_ashr_i32 s2, s1, 31
	s_add_u32 s8, s6, s2
	s_mov_b32 s3, s2
	s_addc_u32 s9, s1, s2
	s_xor_b64 s[8:9], s[8:9], s[2:3]
	v_readfirstlane_b32 s30, v2
	s_mul_i32 s7, s8, s0
	s_mul_hi_u32 s31, s8, s30
	s_mul_hi_u32 s3, s8, s0
	s_add_u32 s7, s31, s7
	s_addc_u32 s3, 0, s3
	s_mul_hi_u32 s34, s9, s30
	s_mul_i32 s30, s9, s30
	s_add_u32 s7, s7, s30
	s_mul_hi_u32 s31, s9, s0
	s_addc_u32 s3, s3, s34
	s_addc_u32 s7, s31, 0
	s_mul_i32 s0, s9, s0
	s_add_u32 s0, s3, s0
	s_addc_u32 s3, 0, s7
	s_mul_hi_u32 s7, s33, s0
	s_mul_i32 s0, s33, s0
	s_mul_i32 s3, s33, s3
	v_mov_b32_e32 v2, s0
	s_add_i32 s7, s7, s3
	v_sub_co_u32_e32 v2, vcc, s8, v2
	s_cmp_lg_u64 vcc, 0
	s_subb_u32 s0, s9, s7
	v_subrev_co_u32_e32 v3, vcc, s33, v2
	s_cmp_lg_u64 vcc, 0
	s_subb_u32 s3, s0, 0
	v_subrev_co_u32_e32 v4, vcc, s33, v3
	s_cmp_lg_u64 vcc, 0
	s_subb_u32 s7, s3, 0
	v_cmp_le_u32_e32 vcc, s33, v3
	s_cmp_eq_u32 s3, 0
	v_cndmask_b32_e64 v5, 0, -1, vcc
	s_cselect_b64 vcc, -1, 0
	v_cndmask_b32_e32 v5, -1, v5, vcc
	v_mov_b32_e32 v6, s3
	v_mov_b32_e32 v7, s7
	v_cmp_ne_u32_e32 vcc, 0, v5
	v_cndmask_b32_e32 v5, v6, v7, vcc
	v_cndmask_b32_e32 v3, v3, v4, vcc
	v_cmp_le_u32_e32 vcc, s33, v2
	s_cmp_eq_u32 s0, 0
	v_cndmask_b32_e64 v4, 0, -1, vcc
	s_cselect_b64 vcc, -1, 0
	v_cndmask_b32_e32 v4, -1, v4, vcc
	v_cmp_ne_u32_e32 vcc, 0, v4
	v_mov_b32_e32 v6, s0
	v_cndmask_b32_e32 v2, v2, v3, vcc
	v_cndmask_b32_e32 v4, v6, v5, vcc
	v_xor_b32_e32 v2, s2, v2
	v_xor_b32_e32 v3, s2, v4
	v_mov_b32_e32 v4, s2
	v_subrev_co_u32_e32 v2, vcc, s2, v2
	v_subb_co_u32_e32 v3, vcc, v3, v4, vcc
	s_cbranch_execnz .LBB53_208
.LBB53_207:                             ;   in Loop: Header=BB53_17 Depth=1
	v_cvt_f32_u32_e32 v2, s33
	s_sub_i32 s0, 0, s33
	v_rcp_iflag_f32_e32 v2, v2
	v_mul_f32_e32 v2, 0x4f7ffffe, v2
	v_cvt_u32_f32_e32 v2, v2
	v_mul_lo_u32 v3, s0, v2
	v_mul_hi_u32 v3, v2, v3
	v_add_u32_e32 v2, v2, v3
	v_mul_hi_u32 v2, s6, v2
	v_mul_lo_u32 v2, v2, s33
	v_sub_u32_e32 v2, s6, v2
	v_subrev_u32_e32 v3, s33, v2
	v_cmp_le_u32_e32 vcc, s33, v2
	v_cndmask_b32_e32 v2, v2, v3, vcc
	v_subrev_u32_e32 v3, s33, v2
	v_cmp_le_u32_e32 vcc, s33, v2
	v_cndmask_b32_e32 v12, v2, v3, vcc
	v_pk_mov_b32 v[2:3], v[12:13], v[12:13] op_sel:[0,1]
.LBB53_208:                             ;   in Loop: Header=BB53_17 Depth=1
	v_mov_b32_e32 v4, s1
	v_sub_co_u32_e32 v2, vcc, s6, v2
	v_subb_co_u32_e32 v3, vcc, v4, v3, vcc
	v_cmp_gt_i64_e32 vcc, v[2:3], v[0:1]
	s_mov_b64 s[0:1], 0
                                        ; implicit-def: $vgpr29
	s_and_saveexec_b64 s[2:3], vcc
	s_cbranch_execz .LBB53_217
; %bb.209:                              ;   in Loop: Header=BB53_17 Depth=1
	v_mov_b32_e32 v6, v14
	v_pk_mov_b32 v[4:5], v[0:1], v[0:1] op_sel:[0,1]
                                        ; implicit-def: $sgpr8_sgpr9
	s_branch .LBB53_211
.LBB53_210:                             ;   in Loop: Header=BB53_211 Depth=2
	s_or_b64 exec, exec, s[6:7]
	s_waitcnt lgkmcnt(0)
	s_barrier
	ds_read_b64 v[28:29], v13 offset:3072
	v_mov_b32_e32 v7, s28
	v_add_co_u32_e64 v4, s[6:7], s33, v4
	v_addc_co_u32_e64 v5, s[6:7], v5, v7, s[6:7]
	s_waitcnt lgkmcnt(0)
	v_cmp_neq_f32_e32 vcc, 0, v28
	v_cmp_ge_i64_e64 s[6:7], v[4:5], v[2:3]
	s_or_b64 s[6:7], vcc, s[6:7]
	s_and_b64 s[6:7], exec, s[6:7]
	s_or_b64 s[0:1], s[6:7], s[0:1]
	s_andn2_b64 s[6:7], s[8:9], exec
	s_and_b64 s[8:9], vcc, exec
	v_add_u32_e32 v6, s67, v6
	s_or_b64 s[8:9], s[6:7], s[8:9]
	s_barrier
	s_andn2_b64 exec, exec, s[0:1]
	s_cbranch_execz .LBB53_216
.LBB53_211:                             ;   Parent Loop BB53_17 Depth=1
                                        ; =>  This Inner Loop Header: Depth=2
	v_cmp_gt_i64_e32 vcc, s[38:39], v[4:5]
	s_waitcnt vmcnt(0)
	v_mov_b32_e32 v27, 0
	s_and_saveexec_b64 s[6:7], vcc
	s_cbranch_execz .LBB53_213
; %bb.212:                              ;   in Loop: Header=BB53_211 Depth=2
	ds_read_b32 v27, v6
.LBB53_213:                             ;   in Loop: Header=BB53_211 Depth=2
	s_or_b64 exec, exec, s[6:7]
	s_and_saveexec_b64 s[6:7], vcc
	s_cbranch_execz .LBB53_210
; %bb.214:                              ;   in Loop: Header=BB53_211 Depth=2
	s_waitcnt lgkmcnt(0)
	v_cmp_lt_i32_e32 vcc, -1, v27
	v_cndmask_b32_e32 v7, -1, v46, vcc
	v_xor_b32_e32 v7, v7, v27
	v_cmp_o_f32_e32 vcc, v27, v27
	v_cndmask_b32_e32 v7, -1, v7, vcc
	v_and_b32_e32 v7, s89, v7
	v_cmp_eq_u32_e32 vcc, s94, v7
	s_and_b64 exec, exec, vcc
	s_cbranch_execz .LBB53_210
; %bb.215:                              ;   in Loop: Header=BB53_211 Depth=2
	ds_write_b64 v13, v[26:27] offset:3072
	s_branch .LBB53_210
.LBB53_216:                             ;   in Loop: Header=BB53_17 Depth=1
	s_or_b64 exec, exec, s[0:1]
	s_and_b64 s[0:1], s[8:9], exec
.LBB53_217:                             ;   in Loop: Header=BB53_17 Depth=1
	s_or_b64 exec, exec, s[2:3]
	s_mov_b64 s[36:37], -1
	s_mov_b64 s[30:31], 0
	s_mov_b64 s[34:35], 0
.LBB53_218:                             ;   in Loop: Header=BB53_17 Depth=1
	s_mov_b64 s[2:3], 0
                                        ; implicit-def: $sgpr47
	s_and_saveexec_b64 s[38:39], s[0:1]
	s_cbranch_execz .LBB53_280
; %bb.219:                              ;   in Loop: Header=BB53_17 Depth=1
	s_xor_b64 s[0:1], s[40:41], -1
	s_andn2_b64 vcc, exec, s[0:1]
	s_mov_b32 s47, 1
	s_cbranch_vccnz .LBB53_230
; %bb.220:                              ;   in Loop: Header=BB53_17 Depth=1
	v_pk_mov_b32 v[2:3], s[18:19], s[18:19] op_sel:[0,1]
	v_cmp_gt_i64_e32 vcc, s[58:59], v[2:3]
	s_mov_b64 s[0:1], -1
                                        ; implicit-def: $sgpr47
                                        ; implicit-def: $sgpr2
                                        ; implicit-def: $sgpr3
	s_cbranch_vccnz .LBB53_226
; %bb.221:                              ;   in Loop: Header=BB53_17 Depth=1
	ds_read_b64 v[2:3], v13 offset:5120
	s_waitcnt lgkmcnt(0)
	v_cmp_ne_u64_e32 vcc, 0, v[2:3]
	s_cbranch_vccnz .LBB53_225
; %bb.222:                              ;   in Loop: Header=BB53_17 Depth=1
	s_mov_b64 s[0:1], exec
	v_readlane_b32 s2, v52, 12
	v_readlane_b32 s3, v52, 13
	s_and_b64 s[2:3], s[0:1], s[2:3]
	s_mov_b64 exec, s[2:3]
	s_cbranch_execz .LBB53_224
; %bb.223:                              ;   in Loop: Header=BB53_17 Depth=1
	v_pk_mov_b32 v[2:3], s[18:19], s[18:19] op_sel:[0,1]
	ds_write_b64 v13, v[2:3] offset:5128
.LBB53_224:                             ;   in Loop: Header=BB53_17 Depth=1
	s_or_b64 exec, exec, s[0:1]
	s_waitcnt lgkmcnt(0)
	s_barrier
.LBB53_225:                             ;   in Loop: Header=BB53_17 Depth=1
	s_lshl_b32 s0, 2, s42
	s_and_b32 s1, s94, s43
	s_or_b32 s2, s1, s0
	s_or_b32 s3, s89, s46
	s_mov_b64 s[0:1], 0
	s_mov_b32 s47, 8
.LBB53_226:                             ;   in Loop: Header=BB53_17 Depth=1
	s_andn2_b64 vcc, exec, s[0:1]
	s_cbranch_vccnz .LBB53_228
; %bb.227:                              ;   in Loop: Header=BB53_17 Depth=1
	s_sub_u32 s58, s58, s18
	s_subb_u32 s59, s59, s19
	s_mov_b64 s[0:1], -1
	s_mov_b32 s47, 0
	s_mov_b32 s2, s94
	;; [unrolled: 1-line block ×3, first 2 shown]
.LBB53_228:                             ;   in Loop: Header=BB53_17 Depth=1
	s_mov_b32 s89, s3
	s_mov_b32 s94, s2
	s_andn2_b64 vcc, exec, s[0:1]
	s_mov_b64 s[42:43], -1
	s_cbranch_vccz .LBB53_231
.LBB53_229:                             ;   in Loop: Header=BB53_17 Depth=1
                                        ; implicit-def: $sgpr0_sgpr1
                                        ; implicit-def: $sgpr6_sgpr7
                                        ; implicit-def: $sgpr2_sgpr3
	s_branch .LBB53_279
.LBB53_230:                             ;   in Loop: Header=BB53_17 Depth=1
	s_mov_b64 s[58:59], 1
	s_mov_b64 s[42:43], -1
	s_cbranch_execnz .LBB53_229
.LBB53_231:                             ;   in Loop: Header=BB53_17 Depth=1
	s_cmp_eq_u64 s[12:13], 1
	s_cselect_b64 s[0:1], -1, 0
	s_cmp_eq_u64 s[58:59], 1
	s_cselect_b64 s[2:3], -1, 0
	s_and_b64 s[18:19], s[0:1], s[2:3]
	s_mov_b64 s[8:9], -1
	s_and_b64 vcc, exec, s[18:19]
	s_cbranch_vccz .LBB53_246
; %bb.232:                              ;   in Loop: Header=BB53_17 Depth=1
	ds_read_b64 v[2:3], v13 offset:5120
	s_waitcnt lgkmcnt(0)
	s_barrier
	v_readfirstlane_b32 s40, v2
	v_readfirstlane_b32 s41, v3
	s_mov_b64 s[0:1], exec
	v_readlane_b32 s2, v52, 24
	v_readlane_b32 s3, v52, 25
	s_and_b64 s[2:3], s[0:1], s[2:3]
	s_mov_b64 exec, s[2:3]
	s_cbranch_execz .LBB53_234
; %bb.233:                              ;   in Loop: Header=BB53_17 Depth=1
	ds_write_b32 v39, v13
.LBB53_234:                             ;   in Loop: Header=BB53_17 Depth=1
	s_or_b64 exec, exec, s[0:1]
	v_cmp_gt_i64_e64 s[0:1], s[40:41], 0
	s_or_b32 s94, s94, s46
	s_or_b32 s89, s89, s46
	s_and_b64 vcc, exec, s[0:1]
	s_waitcnt lgkmcnt(0)
	s_barrier
	s_cbranch_vccnz .LBB53_249
; %bb.235:                              ;   in Loop: Header=BB53_17 Depth=1
	s_mov_b32 s92, s85
	s_cmp_lg_u64 s[92:93], 0
	s_cbranch_scc0 .LBB53_285
; %bb.236:                              ;   in Loop: Header=BB53_17 Depth=1
	v_cvt_f32_u32_e32 v2, s33
	s_sub_u32 s0, 0, s33
	s_subb_u32 s1, 0, 0
	v_mac_f32_e32 v2, 0x4f800000, v47
	v_rcp_f32_e32 v2, v2
	v_mul_f32_e32 v2, 0x5f7ffffc, v2
	v_mul_f32_e32 v3, 0x2f800000, v2
	v_trunc_f32_e32 v3, v3
	v_mac_f32_e32 v2, 0xcf800000, v3
	v_cvt_u32_f32_e32 v3, v3
	v_cvt_u32_f32_e32 v2, v2
	v_readfirstlane_b32 s2, v3
	v_readfirstlane_b32 s3, v2
	s_mul_i32 s6, s0, s2
	s_mul_hi_u32 s8, s0, s3
	s_mul_i32 s7, s1, s3
	s_add_i32 s6, s8, s6
	s_mul_i32 s9, s0, s3
	s_add_i32 s6, s6, s7
	s_mul_hi_u32 s8, s3, s9
	s_mul_hi_u32 s7, s3, s6
	s_mul_i32 s3, s3, s6
	s_add_u32 s3, s8, s3
	s_addc_u32 s7, 0, s7
	s_mul_hi_u32 s42, s2, s9
	s_mul_i32 s9, s2, s9
	s_add_u32 s3, s3, s9
	s_mul_hi_u32 s8, s2, s6
	s_addc_u32 s3, s7, s42
	s_addc_u32 s7, s8, 0
	s_mul_i32 s6, s2, s6
	s_add_u32 s3, s3, s6
	s_addc_u32 s6, 0, s7
	v_add_co_u32_e32 v2, vcc, s3, v2
	s_cmp_lg_u64 vcc, 0
	s_addc_u32 s2, s2, s6
	v_readfirstlane_b32 s6, v2
	s_mul_i32 s3, s0, s2
	s_mul_hi_u32 s7, s0, s6
	s_add_i32 s3, s7, s3
	s_mul_i32 s1, s1, s6
	s_add_i32 s3, s3, s1
	s_mul_i32 s0, s0, s6
	s_mul_hi_u32 s7, s2, s0
	s_mul_i32 s8, s2, s0
	s_mul_i32 s42, s6, s3
	s_mul_hi_u32 s0, s6, s0
	s_mul_hi_u32 s9, s6, s3
	s_add_u32 s0, s0, s42
	s_addc_u32 s6, 0, s9
	s_add_u32 s0, s0, s8
	s_mul_hi_u32 s1, s2, s3
	s_addc_u32 s0, s6, s7
	s_addc_u32 s1, s1, 0
	s_mul_i32 s3, s2, s3
	s_add_u32 s0, s0, s3
	s_addc_u32 s1, 0, s1
	v_add_co_u32_e32 v2, vcc, s0, v2
	s_cmp_lg_u64 vcc, 0
	s_addc_u32 s6, s2, s1
	s_ashr_i32 s0, s93, 31
	s_add_u32 s2, s95, s0
	s_mov_b32 s1, s0
	s_addc_u32 s3, s93, s0
	s_xor_b64 s[2:3], s[2:3], s[0:1]
	v_readfirstlane_b32 s8, v2
	s_mul_i32 s7, s2, s6
	s_mul_hi_u32 s9, s2, s8
	s_mul_hi_u32 s1, s2, s6
	s_add_u32 s7, s9, s7
	s_addc_u32 s1, 0, s1
	s_mul_hi_u32 s42, s3, s8
	s_mul_i32 s8, s3, s8
	s_add_u32 s7, s7, s8
	s_mul_hi_u32 s9, s3, s6
	s_addc_u32 s1, s1, s42
	s_addc_u32 s7, s9, 0
	s_mul_i32 s6, s3, s6
	s_add_u32 s1, s1, s6
	s_addc_u32 s6, 0, s7
	s_mul_hi_u32 s7, s33, s1
	s_mul_i32 s1, s33, s1
	s_mul_i32 s6, s33, s6
	v_mov_b32_e32 v2, s1
	s_add_i32 s7, s7, s6
	v_sub_co_u32_e32 v2, vcc, s2, v2
	s_cmp_lg_u64 vcc, 0
	s_subb_u32 s1, s3, s7
	v_subrev_co_u32_e32 v3, vcc, s33, v2
	s_cmp_lg_u64 vcc, 0
	s_subb_u32 s2, s1, 0
	v_subrev_co_u32_e32 v4, vcc, s33, v3
	s_cmp_lg_u64 vcc, 0
	s_subb_u32 s3, s2, 0
	v_cmp_le_u32_e32 vcc, s33, v3
	s_cmp_eq_u32 s2, 0
	v_cndmask_b32_e64 v5, 0, -1, vcc
	s_cselect_b64 vcc, -1, 0
	v_cndmask_b32_e32 v5, -1, v5, vcc
	v_mov_b32_e32 v6, s2
	v_mov_b32_e32 v7, s3
	v_cmp_ne_u32_e32 vcc, 0, v5
	v_cndmask_b32_e32 v5, v6, v7, vcc
	v_cndmask_b32_e32 v3, v3, v4, vcc
	v_cmp_le_u32_e32 vcc, s33, v2
	s_cmp_eq_u32 s1, 0
	v_cndmask_b32_e64 v4, 0, -1, vcc
	s_cselect_b64 vcc, -1, 0
	v_cndmask_b32_e32 v4, -1, v4, vcc
	v_cmp_ne_u32_e32 vcc, 0, v4
	v_mov_b32_e32 v6, s1
	v_cndmask_b32_e32 v2, v2, v3, vcc
	v_cndmask_b32_e32 v4, v6, v5, vcc
	v_xor_b32_e32 v2, s0, v2
	v_xor_b32_e32 v3, s0, v4
	v_mov_b32_e32 v4, s0
	v_subrev_co_u32_e32 v2, vcc, s0, v2
	v_subb_co_u32_e32 v3, vcc, v3, v4, vcc
	s_cbranch_execnz .LBB53_238
.LBB53_237:                             ;   in Loop: Header=BB53_17 Depth=1
	v_cvt_f32_u32_e32 v2, s33
	s_sub_i32 s0, 0, s33
	v_rcp_iflag_f32_e32 v2, v2
	v_mul_f32_e32 v2, 0x4f7ffffe, v2
	v_cvt_u32_f32_e32 v2, v2
	v_mul_lo_u32 v3, s0, v2
	v_mul_hi_u32 v3, v2, v3
	v_add_u32_e32 v2, v2, v3
	s_mov_b32 s0, s95
	v_mul_hi_u32 v2, s0, v2
	v_mul_lo_u32 v2, v2, s33
	v_sub_u32_e32 v2, s0, v2
	v_subrev_u32_e32 v3, s33, v2
	v_cmp_le_u32_e32 vcc, s33, v2
	v_cndmask_b32_e32 v2, v2, v3, vcc
	v_subrev_u32_e32 v3, s33, v2
	v_cmp_le_u32_e32 vcc, s33, v2
	v_cndmask_b32_e32 v12, v2, v3, vcc
	v_pk_mov_b32 v[2:3], v[12:13], v[12:13] op_sel:[0,1]
.LBB53_238:                             ;   in Loop: Header=BB53_17 Depth=1
	v_mov_b32_e32 v4, s93
	v_sub_co_u32_e32 v2, vcc, s95, v2
	v_subb_co_u32_e32 v3, vcc, v4, v3, vcc
	v_cmp_gt_i64_e32 vcc, v[2:3], v[0:1]
	s_mov_b64 s[8:9], 0
                                        ; implicit-def: $vgpr29
	s_and_saveexec_b64 s[0:1], vcc
	s_cbranch_execz .LBB53_251
; %bb.239:                              ;   in Loop: Header=BB53_17 Depth=1
	s_mov_b64 s[2:3], 0
	v_pk_mov_b32 v[4:5], v[10:11], v[10:11] op_sel:[0,1]
	v_pk_mov_b32 v[6:7], v[0:1], v[0:1] op_sel:[0,1]
                                        ; implicit-def: $sgpr8_sgpr9
	s_branch .LBB53_241
.LBB53_240:                             ;   in Loop: Header=BB53_241 Depth=2
	s_or_b64 exec, exec, s[6:7]
	s_waitcnt lgkmcnt(0)
	s_barrier
	ds_read_b64 v[28:29], v13 offset:3072
	v_mov_b32_e32 v8, s28
	v_add_co_u32_e64 v6, s[6:7], s33, v6
	v_addc_co_u32_e64 v7, s[6:7], v7, v8, s[6:7]
	s_waitcnt lgkmcnt(0)
	v_cmp_neq_f32_e32 vcc, 0, v28
	v_cmp_ge_i64_e64 s[6:7], v[6:7], v[2:3]
	s_or_b64 s[42:43], vcc, s[6:7]
	v_mov_b32_e32 v8, s83
	v_add_co_u32_e64 v4, s[6:7], s82, v4
	v_addc_co_u32_e64 v5, s[6:7], v5, v8, s[6:7]
	s_and_b64 s[6:7], exec, s[42:43]
	s_or_b64 s[2:3], s[6:7], s[2:3]
	s_andn2_b64 s[6:7], s[8:9], exec
	s_and_b64 s[8:9], vcc, exec
	s_or_b64 s[8:9], s[6:7], s[8:9]
	s_barrier
	s_andn2_b64 exec, exec, s[2:3]
	s_cbranch_execz .LBB53_250
.LBB53_241:                             ;   Parent Loop BB53_17 Depth=1
                                        ; =>  This Inner Loop Header: Depth=2
	v_cmp_gt_i64_e32 vcc, s[56:57], v[6:7]
	s_waitcnt vmcnt(0)
	v_mov_b32_e32 v27, 0
	s_and_saveexec_b64 s[6:7], vcc
	s_cbranch_execz .LBB53_243
; %bb.242:                              ;   in Loop: Header=BB53_241 Depth=2
	global_load_dword v27, v[4:5], off
.LBB53_243:                             ;   in Loop: Header=BB53_241 Depth=2
	s_or_b64 exec, exec, s[6:7]
	s_and_saveexec_b64 s[6:7], vcc
	s_cbranch_execz .LBB53_240
; %bb.244:                              ;   in Loop: Header=BB53_241 Depth=2
	s_waitcnt vmcnt(0)
	v_cmp_lt_i32_e32 vcc, -1, v27
	v_cndmask_b32_e32 v8, -1, v46, vcc
	v_xor_b32_e32 v8, v8, v27
	v_cmp_o_f32_e32 vcc, v27, v27
	v_cndmask_b32_e32 v8, -1, v8, vcc
	v_and_b32_e32 v8, s89, v8
	v_cmp_eq_u32_e32 vcc, s94, v8
	s_and_b64 exec, exec, vcc
	s_cbranch_execz .LBB53_240
; %bb.245:                              ;   in Loop: Header=BB53_241 Depth=2
	ds_write_b64 v13, v[26:27] offset:3072
	s_branch .LBB53_240
.LBB53_246:                             ;   in Loop: Header=BB53_17 Depth=1
                                        ; implicit-def: $sgpr0_sgpr1
                                        ; implicit-def: $sgpr6_sgpr7
                                        ; implicit-def: $sgpr2_sgpr3
	s_branch .LBB53_265
.LBB53_247:                             ;   in Loop: Header=BB53_17 Depth=1
                                        ; implicit-def: $vgpr2_vgpr3
	s_branch .LBB53_190
.LBB53_248:                             ;   in Loop: Header=BB53_17 Depth=1
                                        ; implicit-def: $vgpr2_vgpr3
	s_branch .LBB53_207
.LBB53_249:                             ;   in Loop: Header=BB53_17 Depth=1
	s_mov_b64 s[0:1], -1
	s_mov_b64 s[8:9], 0
                                        ; implicit-def: $sgpr2_sgpr3
                                        ; implicit-def: $vgpr29
	s_mov_b64 s[6:7], s[0:1]
	s_cbranch_execnz .LBB53_252
	s_branch .LBB53_265
.LBB53_250:                             ;   in Loop: Header=BB53_17 Depth=1
	s_or_b64 exec, exec, s[2:3]
	s_and_b64 s[8:9], s[8:9], exec
.LBB53_251:                             ;   in Loop: Header=BB53_17 Depth=1
	s_or_b64 exec, exec, s[0:1]
	s_mov_b64 s[2:3], -1
	s_mov_b64 s[0:1], 0
	s_mov_b64 s[6:7], s[0:1]
	s_branch .LBB53_265
.LBB53_252:                             ;   in Loop: Header=BB53_17 Depth=1
	v_readlane_b32 s0, v52, 34
	s_add_u32 s6, s0, s40
	v_readlane_b32 s0, v52, 35
	s_addc_u32 s1, s0, s41
	s_mov_b32 s0, s85
	s_cmp_lg_u64 s[0:1], 0
	s_cbranch_scc0 .LBB53_286
; %bb.253:                              ;   in Loop: Header=BB53_17 Depth=1
	v_cvt_f32_u32_e32 v2, s33
	s_sub_u32 s0, 0, s33
	s_subb_u32 s2, 0, 0
	v_mac_f32_e32 v2, 0x4f800000, v47
	v_rcp_f32_e32 v2, v2
	v_mul_f32_e32 v2, 0x5f7ffffc, v2
	v_mul_f32_e32 v3, 0x2f800000, v2
	v_trunc_f32_e32 v3, v3
	v_mac_f32_e32 v2, 0xcf800000, v3
	v_cvt_u32_f32_e32 v3, v3
	v_cvt_u32_f32_e32 v2, v2
	v_readfirstlane_b32 s3, v3
	v_readfirstlane_b32 s7, v2
	s_mul_i32 s8, s0, s3
	s_mul_hi_u32 s42, s0, s7
	s_mul_i32 s9, s2, s7
	s_add_i32 s8, s42, s8
	s_mul_i32 s43, s0, s7
	s_add_i32 s8, s8, s9
	s_mul_hi_u32 s42, s7, s43
	s_mul_hi_u32 s9, s7, s8
	s_mul_i32 s7, s7, s8
	s_add_u32 s7, s42, s7
	s_addc_u32 s9, 0, s9
	s_mul_hi_u32 s44, s3, s43
	s_mul_i32 s43, s3, s43
	s_add_u32 s7, s7, s43
	s_mul_hi_u32 s42, s3, s8
	s_addc_u32 s7, s9, s44
	s_addc_u32 s9, s42, 0
	s_mul_i32 s8, s3, s8
	s_add_u32 s7, s7, s8
	s_addc_u32 s8, 0, s9
	v_add_co_u32_e32 v2, vcc, s7, v2
	s_cmp_lg_u64 vcc, 0
	s_addc_u32 s3, s3, s8
	v_readfirstlane_b32 s8, v2
	s_mul_i32 s7, s0, s3
	s_mul_hi_u32 s9, s0, s8
	s_add_i32 s7, s9, s7
	s_mul_i32 s2, s2, s8
	s_add_i32 s7, s7, s2
	s_mul_i32 s0, s0, s8
	s_mul_hi_u32 s9, s3, s0
	s_mul_i32 s42, s3, s0
	s_mul_i32 s44, s8, s7
	s_mul_hi_u32 s0, s8, s0
	s_mul_hi_u32 s43, s8, s7
	s_add_u32 s0, s0, s44
	s_addc_u32 s8, 0, s43
	s_add_u32 s0, s0, s42
	s_mul_hi_u32 s2, s3, s7
	s_addc_u32 s0, s8, s9
	s_addc_u32 s2, s2, 0
	s_mul_i32 s7, s3, s7
	s_add_u32 s0, s0, s7
	s_addc_u32 s2, 0, s2
	v_add_co_u32_e32 v2, vcc, s0, v2
	s_cmp_lg_u64 vcc, 0
	s_addc_u32 s0, s3, s2
	s_ashr_i32 s2, s1, 31
	s_add_u32 s8, s6, s2
	s_mov_b32 s3, s2
	s_addc_u32 s9, s1, s2
	s_xor_b64 s[8:9], s[8:9], s[2:3]
	v_readfirstlane_b32 s42, v2
	s_mul_i32 s7, s8, s0
	s_mul_hi_u32 s43, s8, s42
	s_mul_hi_u32 s3, s8, s0
	s_add_u32 s7, s43, s7
	s_addc_u32 s3, 0, s3
	s_mul_hi_u32 s44, s9, s42
	s_mul_i32 s42, s9, s42
	s_add_u32 s7, s7, s42
	s_mul_hi_u32 s43, s9, s0
	s_addc_u32 s3, s3, s44
	s_addc_u32 s7, s43, 0
	s_mul_i32 s0, s9, s0
	s_add_u32 s0, s3, s0
	s_addc_u32 s3, 0, s7
	s_mul_hi_u32 s7, s33, s0
	s_mul_i32 s0, s33, s0
	s_mul_i32 s3, s33, s3
	v_mov_b32_e32 v2, s0
	s_add_i32 s7, s7, s3
	v_sub_co_u32_e32 v2, vcc, s8, v2
	s_cmp_lg_u64 vcc, 0
	s_subb_u32 s0, s9, s7
	v_subrev_co_u32_e32 v3, vcc, s33, v2
	s_cmp_lg_u64 vcc, 0
	s_subb_u32 s3, s0, 0
	v_subrev_co_u32_e32 v4, vcc, s33, v3
	s_cmp_lg_u64 vcc, 0
	s_subb_u32 s7, s3, 0
	v_cmp_le_u32_e32 vcc, s33, v3
	s_cmp_eq_u32 s3, 0
	v_cndmask_b32_e64 v5, 0, -1, vcc
	s_cselect_b64 vcc, -1, 0
	v_cndmask_b32_e32 v5, -1, v5, vcc
	v_mov_b32_e32 v6, s3
	v_mov_b32_e32 v7, s7
	v_cmp_ne_u32_e32 vcc, 0, v5
	v_cndmask_b32_e32 v5, v6, v7, vcc
	v_cndmask_b32_e32 v3, v3, v4, vcc
	v_cmp_le_u32_e32 vcc, s33, v2
	s_cmp_eq_u32 s0, 0
	v_cndmask_b32_e64 v4, 0, -1, vcc
	s_cselect_b64 vcc, -1, 0
	v_cndmask_b32_e32 v4, -1, v4, vcc
	v_cmp_ne_u32_e32 vcc, 0, v4
	v_mov_b32_e32 v6, s0
	v_cndmask_b32_e32 v2, v2, v3, vcc
	v_cndmask_b32_e32 v4, v6, v5, vcc
	v_xor_b32_e32 v2, s2, v2
	v_xor_b32_e32 v3, s2, v4
	v_mov_b32_e32 v4, s2
	v_subrev_co_u32_e32 v2, vcc, s2, v2
	v_subb_co_u32_e32 v3, vcc, v3, v4, vcc
	s_cbranch_execnz .LBB53_255
.LBB53_254:                             ;   in Loop: Header=BB53_17 Depth=1
	v_cvt_f32_u32_e32 v2, s33
	s_sub_i32 s0, 0, s33
	v_rcp_iflag_f32_e32 v2, v2
	v_mul_f32_e32 v2, 0x4f7ffffe, v2
	v_cvt_u32_f32_e32 v2, v2
	v_mul_lo_u32 v3, s0, v2
	v_mul_hi_u32 v3, v2, v3
	v_add_u32_e32 v2, v2, v3
	v_mul_hi_u32 v2, s6, v2
	v_mul_lo_u32 v2, v2, s33
	v_sub_u32_e32 v2, s6, v2
	v_subrev_u32_e32 v3, s33, v2
	v_cmp_le_u32_e32 vcc, s33, v2
	v_cndmask_b32_e32 v2, v2, v3, vcc
	v_subrev_u32_e32 v3, s33, v2
	v_cmp_le_u32_e32 vcc, s33, v2
	v_cndmask_b32_e32 v12, v2, v3, vcc
	v_pk_mov_b32 v[2:3], v[12:13], v[12:13] op_sel:[0,1]
.LBB53_255:                             ;   in Loop: Header=BB53_17 Depth=1
	v_mov_b32_e32 v4, s1
	v_sub_co_u32_e32 v2, vcc, s6, v2
	v_subb_co_u32_e32 v3, vcc, v4, v3, vcc
	v_cmp_gt_i64_e32 vcc, v[2:3], v[0:1]
	s_mov_b64 s[8:9], 0
                                        ; implicit-def: $vgpr29
	s_and_saveexec_b64 s[0:1], vcc
	s_cbranch_execz .LBB53_264
; %bb.256:                              ;   in Loop: Header=BB53_17 Depth=1
	s_mov_b64 s[2:3], 0
	v_mov_b32_e32 v6, v14
	v_pk_mov_b32 v[4:5], v[0:1], v[0:1] op_sel:[0,1]
                                        ; implicit-def: $sgpr8_sgpr9
	s_branch .LBB53_258
.LBB53_257:                             ;   in Loop: Header=BB53_258 Depth=2
	s_or_b64 exec, exec, s[6:7]
	s_waitcnt lgkmcnt(0)
	s_barrier
	ds_read_b64 v[28:29], v13 offset:3072
	v_mov_b32_e32 v7, s28
	v_add_co_u32_e64 v4, s[6:7], s33, v4
	v_addc_co_u32_e64 v5, s[6:7], v5, v7, s[6:7]
	s_waitcnt lgkmcnt(0)
	v_cmp_neq_f32_e32 vcc, 0, v28
	v_cmp_ge_i64_e64 s[6:7], v[4:5], v[2:3]
	s_or_b64 s[6:7], vcc, s[6:7]
	s_and_b64 s[6:7], exec, s[6:7]
	s_or_b64 s[2:3], s[6:7], s[2:3]
	s_andn2_b64 s[6:7], s[8:9], exec
	s_and_b64 s[8:9], vcc, exec
	v_add_u32_e32 v6, s67, v6
	s_or_b64 s[8:9], s[6:7], s[8:9]
	s_barrier
	s_andn2_b64 exec, exec, s[2:3]
	s_cbranch_execz .LBB53_263
.LBB53_258:                             ;   Parent Loop BB53_17 Depth=1
                                        ; =>  This Inner Loop Header: Depth=2
	v_cmp_gt_i64_e32 vcc, s[40:41], v[4:5]
	s_waitcnt vmcnt(0)
	v_mov_b32_e32 v27, 0
	s_and_saveexec_b64 s[6:7], vcc
	s_cbranch_execz .LBB53_260
; %bb.259:                              ;   in Loop: Header=BB53_258 Depth=2
	ds_read_b32 v27, v6
.LBB53_260:                             ;   in Loop: Header=BB53_258 Depth=2
	s_or_b64 exec, exec, s[6:7]
	s_and_saveexec_b64 s[6:7], vcc
	s_cbranch_execz .LBB53_257
; %bb.261:                              ;   in Loop: Header=BB53_258 Depth=2
	s_waitcnt lgkmcnt(0)
	v_cmp_lt_i32_e32 vcc, -1, v27
	v_cndmask_b32_e32 v7, -1, v46, vcc
	v_xor_b32_e32 v7, v7, v27
	v_cmp_o_f32_e32 vcc, v27, v27
	v_cndmask_b32_e32 v7, -1, v7, vcc
	v_and_b32_e32 v7, s89, v7
	v_cmp_eq_u32_e32 vcc, s94, v7
	s_and_b64 exec, exec, vcc
	s_cbranch_execz .LBB53_257
; %bb.262:                              ;   in Loop: Header=BB53_258 Depth=2
	ds_write_b64 v13, v[26:27] offset:3072
	s_branch .LBB53_257
.LBB53_263:                             ;   in Loop: Header=BB53_17 Depth=1
	s_or_b64 exec, exec, s[2:3]
	s_and_b64 s[8:9], s[8:9], exec
.LBB53_264:                             ;   in Loop: Header=BB53_17 Depth=1
	s_or_b64 exec, exec, s[0:1]
	s_mov_b64 s[6:7], -1
	s_mov_b64 s[0:1], 0
	s_mov_b64 s[2:3], 0
.LBB53_265:                             ;   in Loop: Header=BB53_17 Depth=1
	s_mov_b64 s[42:43], 0
                                        ; implicit-def: $sgpr47
                                        ; implicit-def: $sgpr44_sgpr45
	s_and_saveexec_b64 s[40:41], s[8:9]
	s_cbranch_execz .LBB53_278
; %bb.266:                              ;   in Loop: Header=BB53_17 Depth=1
	s_xor_b64 s[8:9], s[18:19], -1
	s_mov_b64 s[44:45], 1
	s_andn2_b64 vcc, exec, s[8:9]
	s_mov_b32 s47, 1
	s_cbranch_vccnz .LBB53_277
; %bb.267:                              ;   in Loop: Header=BB53_17 Depth=1
	v_pk_mov_b32 v[2:3], s[12:13], s[12:13] op_sel:[0,1]
	v_cmp_gt_i64_e32 vcc, s[58:59], v[2:3]
	s_cbranch_vccnz .LBB53_273
; %bb.268:                              ;   in Loop: Header=BB53_17 Depth=1
	ds_read_b64 v[2:3], v13 offset:5120
	s_waitcnt lgkmcnt(0)
	v_cmp_ne_u64_e32 vcc, 0, v[2:3]
	s_cbranch_vccnz .LBB53_272
; %bb.269:                              ;   in Loop: Header=BB53_17 Depth=1
	s_mov_b64 s[8:9], exec
	v_readlane_b32 s18, v52, 12
	v_readlane_b32 s19, v52, 13
	s_and_b64 s[18:19], s[8:9], s[18:19]
	s_mov_b64 exec, s[18:19]
	s_cbranch_execz .LBB53_271
; %bb.270:                              ;   in Loop: Header=BB53_17 Depth=1
	v_pk_mov_b32 v[2:3], s[12:13], s[12:13] op_sel:[0,1]
	ds_write_b64 v13, v[2:3] offset:5128
.LBB53_271:                             ;   in Loop: Header=BB53_17 Depth=1
	s_or_b64 exec, exec, s[8:9]
	s_waitcnt lgkmcnt(0)
	s_barrier
.LBB53_272:                             ;   in Loop: Header=BB53_17 Depth=1
	s_or_b32 s18, s94, s46
	s_or_b32 s19, s89, s46
	s_mov_b64 s[8:9], 0
	s_mov_b32 s47, 8
	s_branch .LBB53_274
.LBB53_273:                             ;   in Loop: Header=BB53_17 Depth=1
	s_mov_b64 s[8:9], -1
                                        ; implicit-def: $sgpr47
                                        ; implicit-def: $sgpr18
                                        ; implicit-def: $sgpr19
.LBB53_274:                             ;   in Loop: Header=BB53_17 Depth=1
	s_andn2_b64 vcc, exec, s[8:9]
	s_cbranch_vccnz .LBB53_276
; %bb.275:                              ;   in Loop: Header=BB53_17 Depth=1
	s_sub_u32 s58, s58, s12
	s_subb_u32 s59, s59, s13
	s_mov_b32 s47, 8
	s_mov_b32 s18, s94
	s_mov_b32 s19, s89
.LBB53_276:                             ;   in Loop: Header=BB53_17 Depth=1
	s_mov_b64 s[44:45], s[58:59]
	s_mov_b32 s94, s18
	s_mov_b32 s89, s19
.LBB53_277:                             ;   in Loop: Header=BB53_17 Depth=1
	s_mov_b64 s[42:43], exec
.LBB53_278:                             ;   in Loop: Header=BB53_17 Depth=1
	s_or_b64 exec, exec, s[40:41]
	s_mov_b64 s[58:59], s[44:45]
.LBB53_279:                             ;   in Loop: Header=BB53_17 Depth=1
	s_andn2_b64 s[8:9], s[30:31], exec
	s_and_b64 s[0:1], s[0:1], exec
	s_or_b64 s[30:31], s[8:9], s[0:1]
	s_andn2_b64 s[0:1], s[36:37], exec
	s_and_b64 s[6:7], s[6:7], exec
	s_or_b64 s[36:37], s[0:1], s[6:7]
	;; [unrolled: 3-line block ×3, first 2 shown]
	s_and_b64 s[2:3], s[42:43], exec
.LBB53_280:                             ;   in Loop: Header=BB53_17 Depth=1
	s_or_b64 exec, exec, s[38:39]
.LBB53_281:                             ;   in Loop: Header=BB53_17 Depth=1
	s_andn2_b64 s[0:1], s[22:23], exec
	s_and_b64 s[6:7], s[30:31], exec
	s_or_b64 s[22:23], s[0:1], s[6:7]
	s_andn2_b64 s[0:1], s[24:25], exec
	s_and_b64 s[6:7], s[36:37], exec
	s_or_b64 s[24:25], s[0:1], s[6:7]
	;; [unrolled: 3-line block ×3, first 2 shown]
	s_and_b64 s[2:3], s[2:3], exec
.LBB53_282:                             ;   in Loop: Header=BB53_17 Depth=1
	s_or_b64 exec, exec, s[26:27]
	s_and_saveexec_b64 s[0:1], s[2:3]
	s_xor_b64 s[0:1], exec, s[0:1]
	s_cbranch_execz .LBB53_15
.LBB53_283:                             ;   in Loop: Header=BB53_17 Depth=1
	s_and_b32 s2, s47, -9
	s_cmp_eq_u32 s2, 0
	s_cbranch_scc1 .LBB53_13
; %bb.284:                              ;   in Loop: Header=BB53_17 Depth=1
	s_mov_b64 s[2:3], -1
                                        ; implicit-def: $sgpr89
                                        ; implicit-def: $sgpr29
                                        ; implicit-def: $sgpr88
	s_mov_b64 s[6:7], -1
	s_branch .LBB53_14
.LBB53_285:                             ;   in Loop: Header=BB53_17 Depth=1
                                        ; implicit-def: $vgpr2_vgpr3
	s_branch .LBB53_237
.LBB53_286:                             ;   in Loop: Header=BB53_17 Depth=1
                                        ; implicit-def: $vgpr2_vgpr3
	s_branch .LBB53_254
.LBB53_287:
	s_or_b64 exec, exec, s[68:69]
	s_xor_b64 s[4:5], s[74:75], -1
	s_xor_b64 s[0:1], s[60:61], -1
	;; [unrolled: 1-line block ×3, first 2 shown]
	s_mov_b64 s[2:3], 0
	s_and_saveexec_b64 s[8:9], s[0:1]
	s_xor_b64 s[0:1], exec, s[8:9]
	s_cbranch_execnz .LBB53_292
; %bb.288:
	s_andn2_saveexec_b64 s[0:1], s[0:1]
	s_cbranch_execnz .LBB53_317
.LBB53_289:
	s_or_b64 exec, exec, s[0:1]
	s_and_saveexec_b64 s[0:1], s[2:3]
.LBB53_290:
	; divergent unreachable
.LBB53_291:
	s_endpgm
.LBB53_292:
	s_and_saveexec_b64 s[2:3], s[4:5]
	s_xor_b64 s[4:5], exec, s[2:3]
	s_cbranch_execz .LBB53_315
; %bb.293:
	s_and_saveexec_b64 s[2:3], s[6:7]
	s_xor_b64 s[2:3], exec, s[2:3]
; %bb.294:
	v_bfrev_b32_e32 v3, 1
	v_cmp_lt_i32_e32 vcc, -1, v2
	v_cndmask_b32_e64 v3, v3, -1, vcc
	v_xor_b32_e32 v29, v3, v2
; %bb.295:
	s_or_b64 exec, exec, s[2:3]
	s_mov_b64 s[2:3], exec
	v_readlane_b32 s6, v52, 12
	v_readlane_b32 s7, v52, 13
	;; [unrolled: 1-line block ×3, first 2 shown]
	s_and_b64 s[6:7], s[2:3], s[6:7]
	v_readlane_b32 s26, v52, 22
	v_readlane_b32 s31, v52, 7
	;; [unrolled: 1-line block ×3, first 2 shown]
	s_mov_b64 exec, s[6:7]
	s_cbranch_execz .LBB53_297
; %bb.296:
	v_mov_b32_e32 v2, 0
	v_mov_b32_e32 v3, s56
	ds_write_b32 v2, v3 offset:5140
.LBB53_297:
	s_or_b64 exec, exec, s[2:3]
	s_waitcnt lgkmcnt(0)
	s_barrier
	s_mov_b64 s[6:7], exec
	v_readlane_b32 s2, v52, 30
	v_readlane_b32 s3, v52, 31
	s_and_b64 s[2:3], s[6:7], s[2:3]
	s_mov_b64 exec, s[2:3]
	s_cbranch_execz .LBB53_312
; %bb.298:
	v_mov_b32_e32 v2, 0
	ds_read_b32 v4, v2 offset:5140
	v_cmp_u_f32_e32 vcc, v29, v29
	s_mov_b64 s[8:9], 0
	s_xor_b64 s[10:11], vcc, -1
                                        ; implicit-def: $sgpr12_sgpr13
                                        ; implicit-def: $sgpr14_sgpr15
                                        ; implicit-def: $sgpr16_sgpr17
	s_waitcnt lgkmcnt(0)
	v_ashrrev_i32_e32 v5, 31, v4
	s_branch .LBB53_301
.LBB53_299:                             ;   in Loop: Header=BB53_301 Depth=1
	s_or_b64 exec, exec, s[22:23]
	s_andn2_b64 s[16:17], s[16:17], exec
	s_and_b64 s[2:3], s[2:3], exec
	s_or_b64 s[16:17], s[16:17], s[2:3]
	s_andn2_b64 s[2:3], s[14:15], exec
	s_and_b64 s[14:15], s[20:21], exec
	s_or_b64 s[14:15], s[2:3], s[14:15]
.LBB53_300:                             ;   in Loop: Header=BB53_301 Depth=1
	s_or_b64 exec, exec, s[18:19]
	s_and_b64 s[2:3], exec, s[14:15]
	s_or_b64 s[8:9], s[2:3], s[8:9]
	s_andn2_b64 s[2:3], s[12:13], exec
	s_and_b64 s[12:13], s[16:17], exec
	s_or_b64 s[12:13], s[2:3], s[12:13]
	s_andn2_b64 exec, exec, s[8:9]
	s_cbranch_execz .LBB53_307
.LBB53_301:                             ; =>This Inner Loop Header: Depth=1
	v_pk_mov_b32 v[2:3], v[0:1], v[0:1] op_sel:[0,1]
	v_cmp_lt_i64_e32 vcc, v[2:3], v[4:5]
	s_or_b64 s[16:17], s[16:17], exec
	s_or_b64 s[14:15], s[14:15], exec
                                        ; implicit-def: $vgpr0_vgpr1
	s_and_saveexec_b64 s[18:19], vcc
	s_cbranch_execz .LBB53_300
; %bb.302:                              ;   in Loop: Header=BB53_301 Depth=1
	global_load_dword v0, v[10:11], off
	s_mov_b64 s[20:21], -1
	s_waitcnt vmcnt(0)
	v_cmp_o_f32_e64 s[2:3], v0, v0
	v_cmp_neq_f32_e32 vcc, v0, v29
	s_or_b64 s[2:3], s[2:3], s[10:11]
	s_and_b64 s[24:25], vcc, s[2:3]
	s_mov_b64 s[2:3], 0
                                        ; implicit-def: $vgpr0_vgpr1
	s_and_saveexec_b64 s[22:23], s[24:25]
	s_cbranch_execz .LBB53_299
; %bb.303:                              ;   in Loop: Header=BB53_301 Depth=1
	v_mov_b32_e32 v1, s28
	v_add_co_u32_e32 v0, vcc, s33, v2
	v_addc_co_u32_e32 v1, vcc, v3, v1, vcc
	v_mov_b32_e32 v3, s83
	v_add_co_u32_e32 v10, vcc, s82, v10
	v_addc_co_u32_e32 v11, vcc, v11, v3, vcc
	v_cmp_le_i64_e32 vcc, s[56:57], v[0:1]
	s_mov_b64 s[2:3], exec
	s_orn2_b64 s[20:21], vcc, exec
	s_branch .LBB53_299
.LBB53_304:
                                        ; implicit-def: $sgpr16_sgpr17
	s_branch .LBB53_3
.LBB53_305:
                                        ; implicit-def: $sgpr0_sgpr1
                                        ; kill: killed $sgpr0_sgpr1
	s_branch .LBB53_6
.LBB53_306:
                                        ; implicit-def: $sgpr0_sgpr1
                                        ; kill: killed $sgpr0_sgpr1
	s_load_dwordx2 s[0:1], s[4:5], 0x0
	s_branch .LBB53_9
.LBB53_307:
	s_or_b64 exec, exec, s[8:9]
	s_xor_b64 s[2:3], s[12:13], -1
	s_and_saveexec_b64 s[8:9], s[2:3]
	s_xor_b64 s[8:9], exec, s[8:9]
	s_cbranch_execz .LBB53_312
; %bb.308:
	s_mov_b64 s[2:3], exec
	s_brev_b32 s8, -2
.LBB53_309:                             ; =>This Inner Loop Header: Depth=1
	s_ff1_i32_b64 s9, s[2:3]
	v_readlane_b32 s12, v2, s9
	s_lshl_b64 s[10:11], 1, s9
	s_min_i32 s8, s8, s12
	s_andn2_b64 s[2:3], s[2:3], s[10:11]
	s_cmp_lg_u64 s[2:3], 0
	s_cbranch_scc1 .LBB53_309
; %bb.310:
	v_mbcnt_lo_u32_b32 v0, exec_lo, 0
	v_mbcnt_hi_u32_b32 v0, exec_hi, v0
	v_cmp_eq_u32_e32 vcc, 0, v0
	s_and_saveexec_b64 s[2:3], vcc
	s_xor_b64 s[2:3], exec, s[2:3]
	s_cbranch_execz .LBB53_312
; %bb.311:
	v_mov_b32_e32 v0, 0
	v_mov_b32_e32 v1, s8
	ds_min_i32 v0, v1 offset:5140
.LBB53_312:
	s_or_b64 exec, exec, s[6:7]
	s_waitcnt lgkmcnt(0)
	s_barrier
	s_mov_b64 s[2:3], exec
	v_readlane_b32 s6, v52, 12
	v_readlane_b32 s7, v52, 13
	s_and_b64 s[6:7], s[2:3], s[6:7]
	s_mov_b64 exec, s[6:7]
	s_cbranch_execz .LBB53_314
; %bb.313:
	v_readlane_b32 s8, v52, 0
	v_readlane_b32 s9, v52, 1
	;; [unrolled: 1-line block ×4, first 2 shown]
	s_mul_i32 s6, s10, s9
	s_mul_hi_u32 s7, s10, s8
	s_add_i32 s6, s7, s6
	s_mul_i32 s7, s11, s8
	s_add_i32 s6, s6, s7
	s_mul_i32 s7, s10, s8
	v_readlane_b32 s12, v52, 18
	s_sub_u32 s8, s26, s7
	v_readlane_b32 s14, v52, 20
	v_readlane_b32 s15, v52, 21
	s_subb_u32 s6, 0, s6
	s_mul_i32 s7, s8, s15
	s_mul_hi_u32 s9, s8, s14
	v_readlane_b32 s13, v52, 19
	s_add_i32 s7, s9, s7
	s_mul_i32 s6, s6, s14
	s_add_i32 s7, s7, s6
	s_mul_i32 s6, s8, s14
	s_mul_i32 s8, s10, s13
	s_mul_hi_u32 s9, s10, s12
	s_add_i32 s8, s9, s8
	s_mul_i32 s9, s11, s12
	v_readlane_b32 s14, v52, 4
	s_add_i32 s9, s8, s9
	s_mul_i32 s8, s10, s12
	v_readlane_b32 s15, v52, 5
	s_mul_i32 s10, s14, s31
	s_mul_hi_u32 s11, s14, s30
	s_add_i32 s10, s11, s10
	s_mul_i32 s11, s15, s30
	s_add_i32 s10, s10, s11
	s_mul_i32 s11, s14, s30
	v_readlane_b32 s16, v52, 14
	s_sub_u32 s12, s26, s11
	v_readlane_b32 s18, v52, 16
	v_readlane_b32 s19, v52, 17
	s_subb_u32 s10, 0, s10
	s_mul_i32 s11, s12, s19
	s_mul_hi_u32 s13, s12, s18
	v_readlane_b32 s17, v52, 15
	s_add_i32 s11, s13, s11
	s_mul_i32 s10, s10, s18
	s_add_i32 s11, s11, s10
	s_mul_i32 s10, s12, s18
	s_mul_i32 s12, s14, s17
	s_mul_hi_u32 s13, s14, s16
	s_add_i32 s12, s13, s12
	s_mul_i32 s13, s15, s16
	s_add_i32 s13, s12, s13
	s_mul_i32 s12, s14, s16
	s_lshl_b64 s[8:9], s[8:9], 2
	v_readlane_b32 s14, v52, 10
	v_readlane_b32 s15, v52, 11
	s_add_u32 s8, s14, s8
	s_addc_u32 s9, s15, s9
	s_lshl_b64 s[6:7], s[6:7], 2
	v_mov_b32_e32 v2, 0
	s_add_u32 s6, s8, s6
	ds_read_b32 v0, v2 offset:5140
	s_addc_u32 s7, s9, s7
	s_lshl_b64 s[8:9], s[12:13], 3
	v_readlane_b32 s12, v52, 8
	v_readlane_b32 s13, v52, 9
	s_add_u32 s12, s12, s8
	s_addc_u32 s13, s13, s9
	s_lshl_b64 s[8:9], s[10:11], 3
	s_add_u32 s8, s12, s8
	s_addc_u32 s9, s13, s9
	s_waitcnt lgkmcnt(0)
	v_ashrrev_i32_e32 v1, 31, v0
	global_store_dwordx2 v2, v[0:1], s[8:9]
	global_store_dword v2, v29, s[6:7]
.LBB53_314:
	s_or_b64 exec, exec, s[2:3]
.LBB53_315:
	s_or_saveexec_b64 s[2:3], s[4:5]
	s_mov_b64 s[4:5], 0
	s_xor_b64 exec, exec, s[2:3]
	s_cbranch_execnz .LBB53_318
.LBB53_316:
	s_or_b64 exec, exec, s[2:3]
	s_and_b64 s[2:3], s[4:5], exec
	s_andn2_saveexec_b64 s[0:1], s[0:1]
	s_cbranch_execz .LBB53_289
.LBB53_317:
	s_or_b64 s[2:3], s[2:3], exec
	s_trap 2
	s_or_b64 exec, exec, s[0:1]
	s_and_saveexec_b64 s[0:1], s[2:3]
	s_cbranch_execnz .LBB53_290
	s_branch .LBB53_291
.LBB53_318:
	s_mov_b64 s[4:5], exec
	s_trap 2
	s_branch .LBB53_316
	.section	.rodata,"a",@progbits
	.p2align	6, 0x0
	.amdhsa_kernel _ZN2at6native12_GLOBAL__N_114gatherKthValueIflLi2EEEvNS_4cuda6detail10TensorInfoIKT_T0_EES8_S8_S8_S8_NS5_IS6_S8_EENS5_IlS8_EE
		.amdhsa_group_segment_fixed_size 5144
		.amdhsa_private_segment_fixed_size 0
		.amdhsa_kernarg_size 1536
		.amdhsa_user_sgpr_count 6
		.amdhsa_user_sgpr_private_segment_buffer 1
		.amdhsa_user_sgpr_dispatch_ptr 0
		.amdhsa_user_sgpr_queue_ptr 0
		.amdhsa_user_sgpr_kernarg_segment_ptr 1
		.amdhsa_user_sgpr_dispatch_id 0
		.amdhsa_user_sgpr_flat_scratch_init 0
		.amdhsa_user_sgpr_kernarg_preload_length 0
		.amdhsa_user_sgpr_kernarg_preload_offset 0
		.amdhsa_user_sgpr_private_segment_size 0
		.amdhsa_uses_dynamic_stack 0
		.amdhsa_system_sgpr_private_segment_wavefront_offset 0
		.amdhsa_system_sgpr_workgroup_id_x 1
		.amdhsa_system_sgpr_workgroup_id_y 1
		.amdhsa_system_sgpr_workgroup_id_z 1
		.amdhsa_system_sgpr_workgroup_info 0
		.amdhsa_system_vgpr_workitem_id 0
		.amdhsa_next_free_vgpr 53
		.amdhsa_next_free_sgpr 96
		.amdhsa_accum_offset 56
		.amdhsa_reserve_vcc 1
		.amdhsa_reserve_flat_scratch 0
		.amdhsa_float_round_mode_32 0
		.amdhsa_float_round_mode_16_64 0
		.amdhsa_float_denorm_mode_32 3
		.amdhsa_float_denorm_mode_16_64 3
		.amdhsa_dx10_clamp 1
		.amdhsa_ieee_mode 1
		.amdhsa_fp16_overflow 0
		.amdhsa_tg_split 0
		.amdhsa_exception_fp_ieee_invalid_op 0
		.amdhsa_exception_fp_denorm_src 0
		.amdhsa_exception_fp_ieee_div_zero 0
		.amdhsa_exception_fp_ieee_overflow 0
		.amdhsa_exception_fp_ieee_underflow 0
		.amdhsa_exception_fp_ieee_inexact 0
		.amdhsa_exception_int_div_zero 0
	.end_amdhsa_kernel
	.section	.text._ZN2at6native12_GLOBAL__N_114gatherKthValueIflLi2EEEvNS_4cuda6detail10TensorInfoIKT_T0_EES8_S8_S8_S8_NS5_IS6_S8_EENS5_IlS8_EE,"axG",@progbits,_ZN2at6native12_GLOBAL__N_114gatherKthValueIflLi2EEEvNS_4cuda6detail10TensorInfoIKT_T0_EES8_S8_S8_S8_NS5_IS6_S8_EENS5_IlS8_EE,comdat
.Lfunc_end53:
	.size	_ZN2at6native12_GLOBAL__N_114gatherKthValueIflLi2EEEvNS_4cuda6detail10TensorInfoIKT_T0_EES8_S8_S8_S8_NS5_IS6_S8_EENS5_IlS8_EE, .Lfunc_end53-_ZN2at6native12_GLOBAL__N_114gatherKthValueIflLi2EEEvNS_4cuda6detail10TensorInfoIKT_T0_EES8_S8_S8_S8_NS5_IS6_S8_EENS5_IlS8_EE
                                        ; -- End function
	.section	.AMDGPU.csdata,"",@progbits
; Kernel info:
; codeLenInByte = 18696
; NumSgprs: 100
; NumVgprs: 53
; NumAgprs: 0
; TotalNumVgprs: 53
; ScratchSize: 0
; MemoryBound: 0
; FloatMode: 240
; IeeeMode: 1
; LDSByteSize: 5144 bytes/workgroup (compile time only)
; SGPRBlocks: 12
; VGPRBlocks: 6
; NumSGPRsForWavesPerEU: 100
; NumVGPRsForWavesPerEU: 53
; AccumOffset: 56
; Occupancy: 8
; WaveLimiterHint : 1
; COMPUTE_PGM_RSRC2:SCRATCH_EN: 0
; COMPUTE_PGM_RSRC2:USER_SGPR: 6
; COMPUTE_PGM_RSRC2:TRAP_HANDLER: 0
; COMPUTE_PGM_RSRC2:TGID_X_EN: 1
; COMPUTE_PGM_RSRC2:TGID_Y_EN: 1
; COMPUTE_PGM_RSRC2:TGID_Z_EN: 1
; COMPUTE_PGM_RSRC2:TIDIG_COMP_CNT: 0
; COMPUTE_PGM_RSRC3_GFX90A:ACCUM_OFFSET: 13
; COMPUTE_PGM_RSRC3_GFX90A:TG_SPLIT: 0
	.section	.text._ZN2at6native12_GLOBAL__N_114gatherKthValueIflLi3EEEvNS_4cuda6detail10TensorInfoIKT_T0_EES8_S8_S8_S8_NS5_IS6_S8_EENS5_IlS8_EE,"axG",@progbits,_ZN2at6native12_GLOBAL__N_114gatherKthValueIflLi3EEEvNS_4cuda6detail10TensorInfoIKT_T0_EES8_S8_S8_S8_NS5_IS6_S8_EENS5_IlS8_EE,comdat
	.globl	_ZN2at6native12_GLOBAL__N_114gatherKthValueIflLi3EEEvNS_4cuda6detail10TensorInfoIKT_T0_EES8_S8_S8_S8_NS5_IS6_S8_EENS5_IlS8_EE ; -- Begin function _ZN2at6native12_GLOBAL__N_114gatherKthValueIflLi3EEEvNS_4cuda6detail10TensorInfoIKT_T0_EES8_S8_S8_S8_NS5_IS6_S8_EENS5_IlS8_EE
	.p2align	8
	.type	_ZN2at6native12_GLOBAL__N_114gatherKthValueIflLi3EEEvNS_4cuda6detail10TensorInfoIKT_T0_EES8_S8_S8_S8_NS5_IS6_S8_EENS5_IlS8_EE,@function
_ZN2at6native12_GLOBAL__N_114gatherKthValueIflLi3EEEvNS_4cuda6detail10TensorInfoIKT_T0_EES8_S8_S8_S8_NS5_IS6_S8_EENS5_IlS8_EE: ; @_ZN2at6native12_GLOBAL__N_114gatherKthValueIflLi3EEEvNS_4cuda6detail10TensorInfoIKT_T0_EES8_S8_S8_S8_NS5_IS6_S8_EENS5_IlS8_EE
; %bb.0:
	s_load_dwordx8 s[56:63], s[4:5], 0x1a0
	s_load_dwordx2 s[18:19], s[4:5], 0x500
	s_add_u32 s16, s4, 0x500
	s_addc_u32 s17, s5, 0
	s_mov_b32 s39, 0
	s_waitcnt lgkmcnt(0)
	v_mov_b32_e32 v2, s60
	s_mul_i32 s0, s19, s8
	s_add_i32 s0, s0, s7
	s_mul_i32 s0, s0, s18
	v_mov_b32_e32 v3, s61
	s_add_i32 s38, s0, s6
	v_cmp_ge_i64_e32 vcc, s[38:39], v[2:3]
	s_cbranch_vccnz .LBB54_308
; %bb.1:
	s_load_dwordx4 s[8:11], s[4:5], 0x10
	s_mov_b32 s0, s39
	s_waitcnt lgkmcnt(0)
	s_mov_b32 s1, s11
	s_cmp_lg_u64 s[0:1], 0
	s_cbranch_scc0 .LBB54_12
; %bb.2:
	s_ashr_i32 s2, s11, 31
	s_add_u32 s0, s10, s2
	s_mov_b32 s3, s2
	s_addc_u32 s1, s11, s2
	s_xor_b64 s[14:15], s[0:1], s[2:3]
	v_cvt_f32_u32_e32 v1, s14
	v_cvt_f32_u32_e32 v2, s15
	s_sub_u32 s0, 0, s14
	s_subb_u32 s1, 0, s15
	v_madmk_f32 v1, v2, 0x4f800000, v1
	v_rcp_f32_e32 v1, v1
	v_mul_f32_e32 v1, 0x5f7ffffc, v1
	v_mul_f32_e32 v2, 0x2f800000, v1
	v_trunc_f32_e32 v2, v2
	v_madmk_f32 v1, v2, 0xcf800000, v1
	v_cvt_u32_f32_e32 v2, v2
	v_cvt_u32_f32_e32 v1, v1
	v_readfirstlane_b32 s7, v2
	v_readfirstlane_b32 s19, v1
	s_mul_i32 s20, s0, s7
	s_mul_hi_u32 s22, s0, s19
	s_mul_i32 s21, s1, s19
	s_add_i32 s20, s22, s20
	s_add_i32 s20, s20, s21
	s_mul_i32 s23, s0, s19
	s_mul_hi_u32 s21, s19, s20
	s_mul_i32 s22, s19, s20
	s_mul_hi_u32 s19, s19, s23
	s_add_u32 s19, s19, s22
	s_addc_u32 s21, 0, s21
	s_mul_hi_u32 s24, s7, s23
	s_mul_i32 s23, s7, s23
	s_add_u32 s19, s19, s23
	s_mul_hi_u32 s22, s7, s20
	s_addc_u32 s19, s21, s24
	s_addc_u32 s21, s22, 0
	s_mul_i32 s20, s7, s20
	s_add_u32 s19, s19, s20
	s_addc_u32 s20, 0, s21
	v_add_co_u32_e32 v1, vcc, s19, v1
	s_cmp_lg_u64 vcc, 0
	s_addc_u32 s7, s7, s20
	v_readfirstlane_b32 s20, v1
	s_mul_i32 s19, s0, s7
	s_mul_hi_u32 s21, s0, s20
	s_add_i32 s19, s21, s19
	s_mul_i32 s1, s1, s20
	s_add_i32 s19, s19, s1
	s_mul_i32 s0, s0, s20
	s_mul_hi_u32 s21, s7, s0
	s_mul_i32 s22, s7, s0
	s_mul_i32 s24, s20, s19
	s_mul_hi_u32 s0, s20, s0
	s_mul_hi_u32 s23, s20, s19
	s_add_u32 s0, s0, s24
	s_addc_u32 s20, 0, s23
	s_add_u32 s0, s0, s22
	s_mul_hi_u32 s1, s7, s19
	s_addc_u32 s0, s20, s21
	s_addc_u32 s1, s1, 0
	s_mul_i32 s19, s7, s19
	s_add_u32 s0, s0, s19
	s_addc_u32 s1, 0, s1
	v_add_co_u32_e32 v1, vcc, s0, v1
	s_cmp_lg_u64 vcc, 0
	s_addc_u32 s7, s7, s1
	s_ashr_i32 s20, 0, 31
	s_add_u32 s0, s38, s20
	s_mov_b32 s21, s20
	s_addc_u32 s1, 0, s20
	s_xor_b64 s[22:23], s[0:1], s[20:21]
	v_readfirstlane_b32 s19, v1
	s_mul_i32 s1, s22, s7
	s_mul_hi_u32 s24, s22, s19
	s_mul_hi_u32 s0, s22, s7
	s_add_u32 s1, s24, s1
	s_addc_u32 s0, 0, s0
	s_mul_hi_u32 s25, s23, s19
	s_mul_i32 s19, s23, s19
	s_add_u32 s1, s1, s19
	s_mul_hi_u32 s24, s23, s7
	s_addc_u32 s0, s0, s25
	s_addc_u32 s1, s24, 0
	s_mul_i32 s7, s23, s7
	s_add_u32 s7, s0, s7
	s_addc_u32 s19, 0, s1
	s_mul_i32 s0, s14, s19
	s_mul_hi_u32 s1, s14, s7
	s_add_i32 s0, s1, s0
	s_mul_i32 s1, s15, s7
	s_add_i32 s24, s0, s1
	s_mul_i32 s1, s14, s7
	v_mov_b32_e32 v1, s1
	s_sub_i32 s0, s23, s24
	v_sub_co_u32_e32 v1, vcc, s22, v1
	s_cmp_lg_u64 vcc, 0
	s_subb_u32 s22, s0, s15
	v_subrev_co_u32_e64 v2, s[0:1], s14, v1
	s_cmp_lg_u64 s[0:1], 0
	s_subb_u32 s0, s22, 0
	s_cmp_ge_u32 s0, s15
	v_readfirstlane_b32 s22, v2
	s_cselect_b32 s1, -1, 0
	s_cmp_ge_u32 s22, s14
	s_cselect_b32 s22, -1, 0
	s_cmp_eq_u32 s0, s15
	s_cselect_b32 s0, s22, s1
	s_add_u32 s1, s7, 1
	s_addc_u32 s22, s19, 0
	s_add_u32 s25, s7, 2
	s_addc_u32 s26, s19, 0
	s_cmp_lg_u32 s0, 0
	s_cselect_b32 s0, s25, s1
	s_cselect_b32 s1, s26, s22
	s_cmp_lg_u64 vcc, 0
	s_subb_u32 s22, s23, s24
	s_cmp_ge_u32 s22, s15
	v_readfirstlane_b32 s24, v1
	s_cselect_b32 s23, -1, 0
	s_cmp_ge_u32 s24, s14
	s_cselect_b32 s14, -1, 0
	s_cmp_eq_u32 s22, s15
	s_cselect_b32 s14, s14, s23
	s_cmp_lg_u32 s14, 0
	s_cselect_b32 s1, s1, s19
	s_cselect_b32 s0, s0, s7
	s_xor_b64 s[2:3], s[20:21], s[2:3]
	s_xor_b64 s[0:1], s[0:1], s[2:3]
	s_sub_u32 s2, s0, s2
	s_subb_u32 s3, s1, s3
	s_cbranch_execnz .LBB54_4
.LBB54_3:
	v_cvt_f32_u32_e32 v1, s10
	s_sub_i32 s0, 0, s10
	s_mov_b32 s3, 0
	v_rcp_iflag_f32_e32 v1, v1
	v_mul_f32_e32 v1, 0x4f7ffffe, v1
	v_cvt_u32_f32_e32 v1, v1
	v_readfirstlane_b32 s1, v1
	s_mul_i32 s0, s0, s1
	s_mul_hi_u32 s0, s1, s0
	s_add_i32 s1, s1, s0
	s_mul_hi_u32 s0, s38, s1
	s_mul_i32 s2, s0, s10
	s_sub_i32 s2, s38, s2
	s_add_i32 s1, s0, 1
	s_sub_i32 s7, s2, s10
	s_cmp_ge_u32 s2, s10
	s_cselect_b32 s0, s1, s0
	s_cselect_b32 s2, s7, s2
	s_add_i32 s1, s0, 1
	s_cmp_ge_u32 s2, s10
	s_cselect_b32 s2, s1, s0
.LBB54_4:
	s_or_b64 s[0:1], s[2:3], s[8:9]
	s_mov_b32 s0, 0
	s_cmp_lg_u64 s[0:1], 0
	s_cbranch_scc0 .LBB54_13
; %bb.5:
	s_ashr_i32 s14, s9, 31
	s_add_u32 s0, s8, s14
	s_mov_b32 s15, s14
	s_addc_u32 s1, s9, s14
	s_xor_b64 s[20:21], s[0:1], s[14:15]
	v_cvt_f32_u32_e32 v1, s20
	v_cvt_f32_u32_e32 v2, s21
	s_sub_u32 s0, 0, s20
	s_subb_u32 s1, 0, s21
	v_madmk_f32 v1, v2, 0x4f800000, v1
	v_rcp_f32_e32 v1, v1
	v_mul_f32_e32 v1, 0x5f7ffffc, v1
	v_mul_f32_e32 v2, 0x2f800000, v1
	v_trunc_f32_e32 v2, v2
	v_madmk_f32 v1, v2, 0xcf800000, v1
	v_cvt_u32_f32_e32 v2, v2
	v_cvt_u32_f32_e32 v1, v1
	v_readfirstlane_b32 s7, v2
	v_readfirstlane_b32 s19, v1
	s_mul_i32 s22, s0, s7
	s_mul_hi_u32 s24, s0, s19
	s_mul_i32 s23, s1, s19
	s_add_i32 s22, s24, s22
	s_add_i32 s22, s22, s23
	s_mul_i32 s25, s0, s19
	s_mul_hi_u32 s23, s19, s22
	s_mul_i32 s24, s19, s22
	s_mul_hi_u32 s19, s19, s25
	s_add_u32 s19, s19, s24
	s_addc_u32 s23, 0, s23
	s_mul_hi_u32 s26, s7, s25
	s_mul_i32 s25, s7, s25
	s_add_u32 s19, s19, s25
	s_mul_hi_u32 s24, s7, s22
	s_addc_u32 s19, s23, s26
	s_addc_u32 s23, s24, 0
	s_mul_i32 s22, s7, s22
	s_add_u32 s19, s19, s22
	s_addc_u32 s22, 0, s23
	v_add_co_u32_e32 v1, vcc, s19, v1
	s_cmp_lg_u64 vcc, 0
	s_addc_u32 s7, s7, s22
	v_readfirstlane_b32 s22, v1
	s_mul_i32 s19, s0, s7
	s_mul_hi_u32 s23, s0, s22
	s_add_i32 s19, s23, s19
	s_mul_i32 s1, s1, s22
	s_add_i32 s19, s19, s1
	s_mul_i32 s0, s0, s22
	s_mul_hi_u32 s23, s7, s0
	s_mul_i32 s24, s7, s0
	s_mul_i32 s26, s22, s19
	s_mul_hi_u32 s0, s22, s0
	s_mul_hi_u32 s25, s22, s19
	s_add_u32 s0, s0, s26
	s_addc_u32 s22, 0, s25
	s_add_u32 s0, s0, s24
	s_mul_hi_u32 s1, s7, s19
	s_addc_u32 s0, s22, s23
	s_addc_u32 s1, s1, 0
	s_mul_i32 s19, s7, s19
	s_add_u32 s0, s0, s19
	s_addc_u32 s1, 0, s1
	v_add_co_u32_e32 v1, vcc, s0, v1
	s_cmp_lg_u64 vcc, 0
	s_addc_u32 s7, s7, s1
	s_ashr_i32 s22, s3, 31
	s_add_u32 s0, s2, s22
	s_mov_b32 s23, s22
	s_addc_u32 s1, s3, s22
	s_xor_b64 s[24:25], s[0:1], s[22:23]
	v_readfirstlane_b32 s19, v1
	s_mul_i32 s1, s24, s7
	s_mul_hi_u32 s26, s24, s19
	s_mul_hi_u32 s0, s24, s7
	s_add_u32 s1, s26, s1
	s_addc_u32 s0, 0, s0
	s_mul_hi_u32 s27, s25, s19
	s_mul_i32 s19, s25, s19
	s_add_u32 s1, s1, s19
	s_mul_hi_u32 s26, s25, s7
	s_addc_u32 s0, s0, s27
	s_addc_u32 s1, s26, 0
	s_mul_i32 s7, s25, s7
	s_add_u32 s7, s0, s7
	s_addc_u32 s19, 0, s1
	s_mul_i32 s0, s20, s19
	s_mul_hi_u32 s1, s20, s7
	s_add_i32 s0, s1, s0
	s_mul_i32 s1, s21, s7
	s_add_i32 s26, s0, s1
	s_mul_i32 s1, s20, s7
	v_mov_b32_e32 v1, s1
	s_sub_i32 s0, s25, s26
	v_sub_co_u32_e32 v1, vcc, s24, v1
	s_cmp_lg_u64 vcc, 0
	s_subb_u32 s24, s0, s21
	v_subrev_co_u32_e64 v2, s[0:1], s20, v1
	s_cmp_lg_u64 s[0:1], 0
	s_subb_u32 s0, s24, 0
	s_cmp_ge_u32 s0, s21
	v_readfirstlane_b32 s24, v2
	s_cselect_b32 s1, -1, 0
	s_cmp_ge_u32 s24, s20
	s_cselect_b32 s24, -1, 0
	s_cmp_eq_u32 s0, s21
	s_cselect_b32 s0, s24, s1
	s_add_u32 s1, s7, 1
	s_addc_u32 s24, s19, 0
	s_add_u32 s27, s7, 2
	s_addc_u32 s28, s19, 0
	s_cmp_lg_u32 s0, 0
	s_cselect_b32 s0, s27, s1
	s_cselect_b32 s1, s28, s24
	s_cmp_lg_u64 vcc, 0
	s_subb_u32 s24, s25, s26
	s_cmp_ge_u32 s24, s21
	v_readfirstlane_b32 s26, v1
	s_cselect_b32 s25, -1, 0
	s_cmp_ge_u32 s26, s20
	s_cselect_b32 s20, -1, 0
	s_cmp_eq_u32 s24, s21
	s_cselect_b32 s20, s20, s25
	s_cmp_lg_u32 s20, 0
	s_cselect_b32 s1, s1, s19
	s_cselect_b32 s0, s0, s7
	s_xor_b64 s[14:15], s[22:23], s[14:15]
	s_xor_b64 s[0:1], s[0:1], s[14:15]
	s_sub_u32 s20, s0, s14
	s_subb_u32 s21, s1, s15
	s_load_dwordx4 s[24:27], s[4:5], 0x1d0
	s_cbranch_execnz .LBB54_7
.LBB54_6:
	v_cvt_f32_u32_e32 v1, s8
	s_sub_i32 s0, 0, s8
	s_mov_b32 s21, 0
	v_rcp_iflag_f32_e32 v1, v1
	v_mul_f32_e32 v1, 0x4f7ffffe, v1
	v_cvt_u32_f32_e32 v1, v1
	v_readfirstlane_b32 s1, v1
	s_mul_i32 s0, s0, s1
	s_mul_hi_u32 s0, s1, s0
	s_add_i32 s1, s1, s0
	s_mul_hi_u32 s0, s2, s1
	s_mul_i32 s7, s0, s8
	s_sub_i32 s7, s2, s7
	s_add_i32 s1, s0, 1
	s_sub_i32 s12, s7, s8
	s_cmp_ge_u32 s7, s8
	s_cselect_b32 s0, s1, s0
	s_cselect_b32 s7, s12, s7
	s_add_i32 s1, s0, 1
	s_cmp_ge_u32 s7, s8
	s_cselect_b32 s20, s1, s0
.LBB54_7:
                                        ; implicit-def: $vgpr54 : SGPR spill to VGPR lane
	s_waitcnt lgkmcnt(0)
	s_mov_b32 s1, s27
	v_writelane_b32 v54, s24, 0
	s_mov_b32 s0, 0
	v_writelane_b32 v54, s25, 1
	s_cmp_lg_u64 s[0:1], 0
	v_writelane_b32 v54, s26, 2
	v_writelane_b32 v54, s27, 3
	s_cbranch_scc0 .LBB54_14
; %bb.8:
	s_ashr_i32 s12, s27, 31
	s_add_u32 s0, s26, s12
	s_mov_b32 s13, s12
	s_addc_u32 s1, s27, s12
	s_xor_b64 s[22:23], s[0:1], s[12:13]
	v_cvt_f32_u32_e32 v1, s22
	v_cvt_f32_u32_e32 v2, s23
	s_sub_u32 s0, 0, s22
	s_subb_u32 s1, 0, s23
	v_madmk_f32 v1, v2, 0x4f800000, v1
	v_rcp_f32_e32 v1, v1
	v_mul_f32_e32 v1, 0x5f7ffffc, v1
	v_mul_f32_e32 v2, 0x2f800000, v1
	v_trunc_f32_e32 v2, v2
	v_madmk_f32 v1, v2, 0xcf800000, v1
	v_cvt_u32_f32_e32 v2, v2
	v_cvt_u32_f32_e32 v1, v1
	v_readfirstlane_b32 s7, v2
	v_readfirstlane_b32 s19, v1
	s_mul_i32 s24, s0, s7
	s_mul_hi_u32 s26, s0, s19
	s_mul_i32 s25, s1, s19
	s_add_i32 s24, s26, s24
	s_add_i32 s24, s24, s25
	s_mul_i32 s27, s0, s19
	s_mul_hi_u32 s25, s19, s24
	s_mul_i32 s26, s19, s24
	s_mul_hi_u32 s19, s19, s27
	s_add_u32 s19, s19, s26
	s_addc_u32 s25, 0, s25
	s_mul_hi_u32 s28, s7, s27
	s_mul_i32 s27, s7, s27
	s_add_u32 s19, s19, s27
	s_mul_hi_u32 s26, s7, s24
	s_addc_u32 s19, s25, s28
	s_addc_u32 s25, s26, 0
	s_mul_i32 s24, s7, s24
	s_add_u32 s19, s19, s24
	s_addc_u32 s24, 0, s25
	v_add_co_u32_e32 v1, vcc, s19, v1
	s_cmp_lg_u64 vcc, 0
	s_addc_u32 s7, s7, s24
	v_readfirstlane_b32 s24, v1
	s_mul_i32 s19, s0, s7
	s_mul_hi_u32 s25, s0, s24
	s_add_i32 s19, s25, s19
	s_mul_i32 s1, s1, s24
	s_add_i32 s19, s19, s1
	s_mul_i32 s0, s0, s24
	s_mul_hi_u32 s25, s7, s0
	s_mul_i32 s26, s7, s0
	s_mul_i32 s28, s24, s19
	s_mul_hi_u32 s0, s24, s0
	s_mul_hi_u32 s27, s24, s19
	s_add_u32 s0, s0, s28
	s_addc_u32 s24, 0, s27
	s_add_u32 s0, s0, s26
	s_mul_hi_u32 s1, s7, s19
	s_addc_u32 s0, s24, s25
	s_addc_u32 s1, s1, 0
	s_mul_i32 s19, s7, s19
	s_add_u32 s0, s0, s19
	s_addc_u32 s1, 0, s1
	v_add_co_u32_e32 v1, vcc, s0, v1
	s_cmp_lg_u64 vcc, 0
	s_addc_u32 s7, s7, s1
	s_ashr_i32 s24, 0, 31
	s_add_u32 s0, s38, s24
	s_mov_b32 s25, s24
	s_addc_u32 s1, 0, s24
	s_xor_b64 s[26:27], s[0:1], s[24:25]
	v_readfirstlane_b32 s19, v1
	s_mul_i32 s1, s26, s7
	s_mul_hi_u32 s28, s26, s19
	s_mul_hi_u32 s0, s26, s7
	s_add_u32 s1, s28, s1
	s_addc_u32 s0, 0, s0
	s_mul_hi_u32 s29, s27, s19
	s_mul_i32 s19, s27, s19
	s_add_u32 s1, s1, s19
	s_mul_hi_u32 s28, s27, s7
	s_addc_u32 s0, s0, s29
	s_addc_u32 s1, s28, 0
	s_mul_i32 s7, s27, s7
	s_add_u32 s7, s0, s7
	s_addc_u32 s19, 0, s1
	s_mul_i32 s0, s22, s19
	s_mul_hi_u32 s1, s22, s7
	s_add_i32 s0, s1, s0
	s_mul_i32 s1, s23, s7
	s_add_i32 s28, s0, s1
	s_mul_i32 s1, s22, s7
	v_mov_b32_e32 v1, s1
	s_sub_i32 s0, s27, s28
	v_sub_co_u32_e32 v1, vcc, s26, v1
	s_cmp_lg_u64 vcc, 0
	s_subb_u32 s26, s0, s23
	v_subrev_co_u32_e64 v2, s[0:1], s22, v1
	s_cmp_lg_u64 s[0:1], 0
	s_subb_u32 s0, s26, 0
	s_cmp_ge_u32 s0, s23
	v_readfirstlane_b32 s26, v2
	s_cselect_b32 s1, -1, 0
	s_cmp_ge_u32 s26, s22
	s_cselect_b32 s26, -1, 0
	s_cmp_eq_u32 s0, s23
	s_cselect_b32 s0, s26, s1
	s_add_u32 s1, s7, 1
	s_addc_u32 s26, s19, 0
	s_add_u32 s29, s7, 2
	s_addc_u32 s30, s19, 0
	s_cmp_lg_u32 s0, 0
	s_cselect_b32 s0, s29, s1
	s_cselect_b32 s1, s30, s26
	s_cmp_lg_u64 vcc, 0
	s_subb_u32 s26, s27, s28
	s_cmp_ge_u32 s26, s23
	v_readfirstlane_b32 s28, v1
	s_cselect_b32 s27, -1, 0
	s_cmp_ge_u32 s28, s22
	s_cselect_b32 s22, -1, 0
	s_cmp_eq_u32 s26, s23
	s_cselect_b32 s22, s22, s27
	s_cmp_lg_u32 s22, 0
	s_cselect_b32 s1, s1, s19
	s_cselect_b32 s0, s0, s7
	s_xor_b64 s[12:13], s[24:25], s[12:13]
	s_load_dwordx4 s[24:27], s[4:5], 0x1d0
	s_xor_b64 s[0:1], s[0:1], s[12:13]
	s_sub_u32 s30, s0, s12
	s_subb_u32 s31, s1, s13
	s_cbranch_execnz .LBB54_10
.LBB54_9:
	s_waitcnt lgkmcnt(0)
	v_cvt_f32_u32_e32 v1, s26
	s_sub_i32 s0, 0, s26
	s_mov_b32 s31, 0
	v_rcp_iflag_f32_e32 v1, v1
	v_mul_f32_e32 v1, 0x4f7ffffe, v1
	v_cvt_u32_f32_e32 v1, v1
	v_readfirstlane_b32 s1, v1
	s_mul_i32 s0, s0, s1
	s_mul_hi_u32 s0, s1, s0
	s_add_i32 s1, s1, s0
	s_mul_hi_u32 s0, s38, s1
	s_mul_i32 s7, s0, s26
	s_sub_i32 s7, s38, s7
	s_add_i32 s1, s0, 1
	s_sub_i32 s12, s7, s26
	s_cmp_ge_u32 s7, s26
	s_cselect_b32 s0, s1, s0
	s_cselect_b32 s7, s12, s7
	s_add_i32 s1, s0, 1
	s_cmp_ge_u32 s7, s26
	s_cselect_b32 s30, s1, s0
.LBB54_10:
	s_waitcnt lgkmcnt(0)
	s_or_b64 s[0:1], s[30:31], s[24:25]
	s_mov_b32 s0, 0
	s_cmp_lg_u64 s[0:1], 0
	v_writelane_b32 v54, s30, 4
	v_writelane_b32 v54, s31, 5
	s_cbranch_scc0 .LBB54_15
; %bb.11:
	s_ashr_i32 s14, s25, 31
	s_add_u32 s0, s24, s14
	s_mov_b32 s15, s14
	s_addc_u32 s1, s25, s14
	s_xor_b64 s[22:23], s[0:1], s[14:15]
	v_cvt_f32_u32_e32 v1, s22
	v_cvt_f32_u32_e32 v2, s23
	s_sub_u32 s0, 0, s22
	s_subb_u32 s1, 0, s23
	s_mov_b64 s[12:13], 0
	v_madmk_f32 v1, v2, 0x4f800000, v1
	v_rcp_f32_e32 v1, v1
	v_mul_f32_e32 v1, 0x5f7ffffc, v1
	v_mul_f32_e32 v2, 0x2f800000, v1
	v_trunc_f32_e32 v2, v2
	v_madmk_f32 v1, v2, 0xcf800000, v1
	v_cvt_u32_f32_e32 v2, v2
	v_cvt_u32_f32_e32 v1, v1
	v_readfirstlane_b32 s7, v2
	v_readfirstlane_b32 s19, v1
	s_mul_i32 s24, s0, s7
	s_mul_hi_u32 s26, s0, s19
	s_mul_i32 s25, s1, s19
	s_add_i32 s24, s26, s24
	s_add_i32 s24, s24, s25
	s_mul_i32 s27, s0, s19
	s_mul_hi_u32 s25, s19, s24
	s_mul_i32 s26, s19, s24
	s_mul_hi_u32 s19, s19, s27
	s_add_u32 s19, s19, s26
	s_addc_u32 s25, 0, s25
	s_mul_hi_u32 s28, s7, s27
	s_mul_i32 s27, s7, s27
	s_add_u32 s19, s19, s27
	s_mul_hi_u32 s26, s7, s24
	s_addc_u32 s19, s25, s28
	s_addc_u32 s25, s26, 0
	s_mul_i32 s24, s7, s24
	s_add_u32 s19, s19, s24
	s_addc_u32 s24, 0, s25
	v_add_co_u32_e32 v1, vcc, s19, v1
	s_cmp_lg_u64 vcc, 0
	s_addc_u32 s7, s7, s24
	v_readfirstlane_b32 s24, v1
	s_mul_i32 s19, s0, s7
	s_mul_hi_u32 s25, s0, s24
	s_add_i32 s19, s25, s19
	s_mul_i32 s1, s1, s24
	s_add_i32 s19, s19, s1
	s_mul_i32 s0, s0, s24
	s_mul_hi_u32 s25, s7, s0
	s_mul_i32 s26, s7, s0
	s_mul_i32 s28, s24, s19
	s_mul_hi_u32 s0, s24, s0
	s_mul_hi_u32 s27, s24, s19
	s_add_u32 s0, s0, s28
	s_addc_u32 s24, 0, s27
	s_add_u32 s0, s0, s26
	s_mul_hi_u32 s1, s7, s19
	s_addc_u32 s0, s24, s25
	s_addc_u32 s1, s1, 0
	s_mul_i32 s19, s7, s19
	s_add_u32 s0, s0, s19
	s_addc_u32 s1, 0, s1
	v_add_co_u32_e32 v1, vcc, s0, v1
	s_cmp_lg_u64 vcc, 0
	s_addc_u32 s7, s7, s1
	s_ashr_i32 s24, s31, 31
	s_add_u32 s0, s30, s24
	s_mov_b32 s25, s24
	s_addc_u32 s1, s31, s24
	s_xor_b64 s[26:27], s[0:1], s[24:25]
	v_readfirstlane_b32 s19, v1
	s_mul_i32 s1, s26, s7
	s_mul_hi_u32 s28, s26, s19
	s_mul_hi_u32 s0, s26, s7
	s_add_u32 s1, s28, s1
	s_addc_u32 s0, 0, s0
	s_mul_hi_u32 s29, s27, s19
	s_mul_i32 s19, s27, s19
	s_add_u32 s1, s1, s19
	s_mul_hi_u32 s28, s27, s7
	s_addc_u32 s0, s0, s29
	s_addc_u32 s1, s28, 0
	s_mul_i32 s7, s27, s7
	s_add_u32 s7, s0, s7
	s_addc_u32 s19, 0, s1
	s_mul_i32 s0, s22, s19
	s_mul_hi_u32 s1, s22, s7
	s_add_i32 s0, s1, s0
	s_mul_i32 s1, s23, s7
	s_add_i32 s28, s0, s1
	s_mul_i32 s1, s22, s7
	v_mov_b32_e32 v1, s1
	s_sub_i32 s0, s27, s28
	v_sub_co_u32_e32 v1, vcc, s26, v1
	s_cmp_lg_u64 vcc, 0
	s_subb_u32 s26, s0, s23
	v_subrev_co_u32_e64 v2, s[0:1], s22, v1
	s_cmp_lg_u64 s[0:1], 0
	s_subb_u32 s0, s26, 0
	s_cmp_ge_u32 s0, s23
	v_readfirstlane_b32 s26, v2
	s_cselect_b32 s1, -1, 0
	s_cmp_ge_u32 s26, s22
	s_cselect_b32 s26, -1, 0
	s_cmp_eq_u32 s0, s23
	s_cselect_b32 s0, s26, s1
	s_add_u32 s1, s7, 1
	s_addc_u32 s26, s19, 0
	s_add_u32 s29, s7, 2
	s_addc_u32 s30, s19, 0
	s_cmp_lg_u32 s0, 0
	s_cselect_b32 s0, s29, s1
	s_cselect_b32 s1, s30, s26
	s_cmp_lg_u64 vcc, 0
	s_subb_u32 s26, s27, s28
	s_cmp_ge_u32 s26, s23
	v_readfirstlane_b32 s28, v1
	s_cselect_b32 s27, -1, 0
	s_cmp_ge_u32 s28, s22
	s_cselect_b32 s22, -1, 0
	s_cmp_eq_u32 s26, s23
	s_cselect_b32 s22, s22, s27
	s_cmp_lg_u32 s22, 0
	s_cselect_b32 s1, s1, s19
	s_cselect_b32 s0, s0, s7
	s_xor_b64 s[14:15], s[24:25], s[14:15]
	s_load_dwordx4 s[24:27], s[4:5], 0x1d0
	s_xor_b64 s[0:1], s[0:1], s[14:15]
	s_sub_u32 s14, s0, s14
	s_subb_u32 s15, s1, s15
	s_branch .LBB54_16
.LBB54_12:
                                        ; implicit-def: $sgpr2_sgpr3
	s_branch .LBB54_3
.LBB54_13:
                                        ; implicit-def: $sgpr20_sgpr21
	s_load_dwordx4 s[24:27], s[4:5], 0x1d0
	s_branch .LBB54_6
.LBB54_14:
                                        ; implicit-def: $sgpr30_sgpr31
	s_branch .LBB54_9
.LBB54_15:
	s_mov_b64 s[12:13], -1
                                        ; implicit-def: $sgpr14_sgpr15
.LBB54_16:
	s_load_dwordx4 s[28:31], s[4:5], 0x370
	s_andn2_b64 vcc, exec, s[12:13]
	s_waitcnt lgkmcnt(0)
	v_writelane_b32 v54, s28, 6
	v_writelane_b32 v54, s29, 7
	;; [unrolled: 1-line block ×4, first 2 shown]
	s_cbranch_vccnz .LBB54_18
; %bb.17:
	v_cvt_f32_u32_e32 v1, s24
	s_sub_i32 s0, 0, s24
	v_readlane_b32 s12, v54, 4
	s_mov_b32 s15, 0
	v_rcp_iflag_f32_e32 v1, v1
	v_readlane_b32 s13, v54, 5
	v_mul_f32_e32 v1, 0x4f7ffffe, v1
	v_cvt_u32_f32_e32 v1, v1
	v_readfirstlane_b32 s1, v1
	s_mul_i32 s0, s0, s1
	s_mul_hi_u32 s0, s1, s0
	s_add_i32 s1, s1, s0
	s_mul_hi_u32 s0, s12, s1
	s_mul_i32 s7, s0, s24
	s_sub_i32 s7, s12, s7
	s_add_i32 s1, s0, 1
	s_sub_i32 s12, s7, s24
	s_cmp_ge_u32 s7, s24
	s_cselect_b32 s0, s1, s0
	s_cselect_b32 s7, s12, s7
	s_add_i32 s1, s0, 1
	s_cmp_ge_u32 s7, s24
	s_cselect_b32 s14, s1, s0
.LBB54_18:
	s_load_dwordx4 s[24:27], s[4:5], 0x370
	s_mov_b32 s0, 0
	v_writelane_b32 v54, s14, 10
	v_writelane_b32 v54, s15, 11
	s_waitcnt lgkmcnt(0)
	s_mov_b32 s1, s27
	s_cmp_lg_u64 s[0:1], 0
	s_cbranch_scc0 .LBB54_23
; %bb.19:
	s_ashr_i32 s12, s27, 31
	s_add_u32 s0, s26, s12
	s_mov_b32 s13, s12
	s_addc_u32 s1, s27, s12
	s_xor_b64 s[22:23], s[0:1], s[12:13]
	v_cvt_f32_u32_e32 v1, s22
	v_cvt_f32_u32_e32 v2, s23
	s_sub_u32 s0, 0, s22
	s_subb_u32 s1, 0, s23
	v_madmk_f32 v1, v2, 0x4f800000, v1
	v_rcp_f32_e32 v1, v1
	v_mul_f32_e32 v1, 0x5f7ffffc, v1
	v_mul_f32_e32 v2, 0x2f800000, v1
	v_trunc_f32_e32 v2, v2
	v_madmk_f32 v1, v2, 0xcf800000, v1
	v_cvt_u32_f32_e32 v2, v2
	v_cvt_u32_f32_e32 v1, v1
	v_readfirstlane_b32 s7, v2
	v_readfirstlane_b32 s19, v1
	s_mul_i32 s24, s0, s7
	s_mul_hi_u32 s26, s0, s19
	s_mul_i32 s25, s1, s19
	s_add_i32 s24, s26, s24
	s_add_i32 s24, s24, s25
	s_mul_i32 s27, s0, s19
	s_mul_hi_u32 s25, s19, s24
	s_mul_i32 s26, s19, s24
	s_mul_hi_u32 s19, s19, s27
	s_add_u32 s19, s19, s26
	s_addc_u32 s25, 0, s25
	s_mul_hi_u32 s28, s7, s27
	s_mul_i32 s27, s7, s27
	s_add_u32 s19, s19, s27
	s_mul_hi_u32 s26, s7, s24
	s_addc_u32 s19, s25, s28
	s_addc_u32 s25, s26, 0
	s_mul_i32 s24, s7, s24
	s_add_u32 s19, s19, s24
	s_addc_u32 s24, 0, s25
	v_add_co_u32_e32 v1, vcc, s19, v1
	s_cmp_lg_u64 vcc, 0
	s_addc_u32 s7, s7, s24
	v_readfirstlane_b32 s24, v1
	s_mul_i32 s19, s0, s7
	s_mul_hi_u32 s25, s0, s24
	s_add_i32 s19, s25, s19
	s_mul_i32 s1, s1, s24
	s_add_i32 s19, s19, s1
	s_mul_i32 s0, s0, s24
	s_mul_hi_u32 s25, s7, s0
	s_mul_i32 s26, s7, s0
	s_mul_i32 s28, s24, s19
	s_mul_hi_u32 s0, s24, s0
	s_mul_hi_u32 s27, s24, s19
	s_add_u32 s0, s0, s28
	s_addc_u32 s24, 0, s27
	s_add_u32 s0, s0, s26
	s_mul_hi_u32 s1, s7, s19
	s_addc_u32 s0, s24, s25
	s_addc_u32 s1, s1, 0
	s_mul_i32 s19, s7, s19
	s_add_u32 s0, s0, s19
	s_addc_u32 s1, 0, s1
	v_add_co_u32_e32 v1, vcc, s0, v1
	s_cmp_lg_u64 vcc, 0
	s_addc_u32 s7, s7, s1
	s_ashr_i32 s24, 0, 31
	s_add_u32 s0, s38, s24
	s_mov_b32 s25, s24
	s_addc_u32 s1, 0, s24
	s_xor_b64 s[26:27], s[0:1], s[24:25]
	v_readfirstlane_b32 s19, v1
	s_mul_i32 s1, s26, s7
	s_mul_hi_u32 s28, s26, s19
	s_mul_hi_u32 s0, s26, s7
	s_add_u32 s1, s28, s1
	s_addc_u32 s0, 0, s0
	s_mul_hi_u32 s29, s27, s19
	s_mul_i32 s19, s27, s19
	s_add_u32 s1, s1, s19
	s_mul_hi_u32 s28, s27, s7
	s_addc_u32 s0, s0, s29
	s_addc_u32 s1, s28, 0
	s_mul_i32 s7, s27, s7
	s_add_u32 s7, s0, s7
	s_addc_u32 s19, 0, s1
	s_mul_i32 s0, s22, s19
	s_mul_hi_u32 s1, s22, s7
	s_add_i32 s0, s1, s0
	s_mul_i32 s1, s23, s7
	s_add_i32 s28, s0, s1
	s_mul_i32 s1, s22, s7
	v_mov_b32_e32 v1, s1
	s_sub_i32 s0, s27, s28
	v_sub_co_u32_e32 v1, vcc, s26, v1
	s_cmp_lg_u64 vcc, 0
	s_subb_u32 s26, s0, s23
	v_subrev_co_u32_e64 v2, s[0:1], s22, v1
	s_cmp_lg_u64 s[0:1], 0
	s_subb_u32 s0, s26, 0
	s_cmp_ge_u32 s0, s23
	v_readfirstlane_b32 s26, v2
	s_cselect_b32 s1, -1, 0
	s_cmp_ge_u32 s26, s22
	s_cselect_b32 s26, -1, 0
	s_cmp_eq_u32 s0, s23
	s_cselect_b32 s0, s26, s1
	s_add_u32 s1, s7, 1
	s_addc_u32 s26, s19, 0
	s_add_u32 s29, s7, 2
	s_addc_u32 s30, s19, 0
	s_cmp_lg_u32 s0, 0
	s_cselect_b32 s0, s29, s1
	s_cselect_b32 s1, s30, s26
	s_cmp_lg_u64 vcc, 0
	s_subb_u32 s26, s27, s28
	s_cmp_ge_u32 s26, s23
	v_readfirstlane_b32 s28, v1
	s_cselect_b32 s27, -1, 0
	s_cmp_ge_u32 s28, s22
	s_cselect_b32 s22, -1, 0
	s_cmp_eq_u32 s26, s23
	s_cselect_b32 s22, s22, s27
	s_cmp_lg_u32 s22, 0
	s_cselect_b32 s1, s1, s19
	s_cselect_b32 s0, s0, s7
	s_xor_b64 s[12:13], s[24:25], s[12:13]
	s_load_dwordx4 s[24:27], s[4:5], 0x370
	s_xor_b64 s[0:1], s[0:1], s[12:13]
	s_sub_u32 s40, s0, s12
	s_subb_u32 s41, s1, s13
	s_cbranch_execnz .LBB54_21
.LBB54_20:
	s_waitcnt lgkmcnt(0)
	v_cvt_f32_u32_e32 v1, s26
	s_sub_i32 s0, 0, s26
	s_mov_b32 s41, 0
	v_rcp_iflag_f32_e32 v1, v1
	v_mul_f32_e32 v1, 0x4f7ffffe, v1
	v_cvt_u32_f32_e32 v1, v1
	v_readfirstlane_b32 s1, v1
	s_mul_i32 s0, s0, s1
	s_mul_hi_u32 s0, s1, s0
	s_add_i32 s1, s1, s0
	s_mul_hi_u32 s0, s38, s1
	s_mul_i32 s7, s0, s26
	s_sub_i32 s7, s38, s7
	s_add_i32 s1, s0, 1
	s_sub_i32 s12, s7, s26
	s_cmp_ge_u32 s7, s26
	s_cselect_b32 s0, s1, s0
	s_cselect_b32 s7, s12, s7
	s_add_i32 s1, s0, 1
	s_cmp_ge_u32 s7, s26
	s_cselect_b32 s40, s1, s0
.LBB54_21:
	s_load_dwordx2 s[22:23], s[4:5], 0xe0
	s_load_dwordx4 s[12:15], s[4:5], 0xd0
	s_waitcnt lgkmcnt(0)
	s_or_b64 s[0:1], s[40:41], s[24:25]
	s_mov_b32 s0, 0
	s_cmp_lg_u64 s[0:1], 0
	s_cbranch_scc0 .LBB54_24
; %bb.22:
	s_ashr_i32 s26, s25, 31
	s_add_u32 s0, s24, s26
	s_mov_b32 s27, s26
	s_addc_u32 s1, s25, s26
	s_xor_b64 s[28:29], s[0:1], s[26:27]
	v_cvt_f32_u32_e32 v1, s28
	v_cvt_f32_u32_e32 v2, s29
	s_sub_u32 s0, 0, s28
	s_subb_u32 s1, 0, s29
	s_mov_b64 s[24:25], 0
	v_madmk_f32 v1, v2, 0x4f800000, v1
	v_rcp_f32_e32 v1, v1
	v_mul_f32_e32 v1, 0x5f7ffffc, v1
	v_mul_f32_e32 v2, 0x2f800000, v1
	v_trunc_f32_e32 v2, v2
	v_madmk_f32 v1, v2, 0xcf800000, v1
	v_cvt_u32_f32_e32 v2, v2
	v_cvt_u32_f32_e32 v1, v1
	v_readfirstlane_b32 s7, v2
	v_readfirstlane_b32 s19, v1
	s_mul_i32 s30, s0, s7
	s_mul_hi_u32 s33, s0, s19
	s_mul_i32 s31, s1, s19
	s_add_i32 s30, s33, s30
	s_add_i32 s30, s30, s31
	s_mul_i32 s34, s0, s19
	s_mul_hi_u32 s31, s19, s30
	s_mul_i32 s33, s19, s30
	s_mul_hi_u32 s19, s19, s34
	s_add_u32 s19, s19, s33
	s_addc_u32 s31, 0, s31
	s_mul_hi_u32 s35, s7, s34
	s_mul_i32 s34, s7, s34
	s_add_u32 s19, s19, s34
	s_mul_hi_u32 s33, s7, s30
	s_addc_u32 s19, s31, s35
	s_addc_u32 s31, s33, 0
	s_mul_i32 s30, s7, s30
	s_add_u32 s19, s19, s30
	s_addc_u32 s30, 0, s31
	v_add_co_u32_e32 v1, vcc, s19, v1
	s_cmp_lg_u64 vcc, 0
	s_addc_u32 s7, s7, s30
	v_readfirstlane_b32 s30, v1
	s_mul_i32 s19, s0, s7
	s_mul_hi_u32 s31, s0, s30
	s_add_i32 s19, s31, s19
	s_mul_i32 s1, s1, s30
	s_add_i32 s19, s19, s1
	s_mul_i32 s0, s0, s30
	s_mul_hi_u32 s31, s7, s0
	s_mul_i32 s33, s7, s0
	s_mul_i32 s35, s30, s19
	s_mul_hi_u32 s0, s30, s0
	s_mul_hi_u32 s34, s30, s19
	s_add_u32 s0, s0, s35
	s_addc_u32 s30, 0, s34
	s_add_u32 s0, s0, s33
	s_mul_hi_u32 s1, s7, s19
	s_addc_u32 s0, s30, s31
	s_addc_u32 s1, s1, 0
	s_mul_i32 s19, s7, s19
	s_add_u32 s0, s0, s19
	s_addc_u32 s1, 0, s1
	v_add_co_u32_e32 v1, vcc, s0, v1
	s_cmp_lg_u64 vcc, 0
	s_addc_u32 s7, s7, s1
	s_ashr_i32 s30, s41, 31
	s_add_u32 s0, s40, s30
	s_mov_b32 s31, s30
	s_addc_u32 s1, s41, s30
	s_xor_b64 s[34:35], s[0:1], s[30:31]
	v_readfirstlane_b32 s19, v1
	s_mul_i32 s1, s34, s7
	s_mul_hi_u32 s33, s34, s19
	s_mul_hi_u32 s0, s34, s7
	s_add_u32 s1, s33, s1
	s_addc_u32 s0, 0, s0
	s_mul_hi_u32 s36, s35, s19
	s_mul_i32 s19, s35, s19
	s_add_u32 s1, s1, s19
	s_mul_hi_u32 s33, s35, s7
	s_addc_u32 s0, s0, s36
	s_addc_u32 s1, s33, 0
	s_mul_i32 s7, s35, s7
	s_add_u32 s7, s0, s7
	s_addc_u32 s19, 0, s1
	s_mul_i32 s0, s28, s19
	s_mul_hi_u32 s1, s28, s7
	s_add_i32 s0, s1, s0
	s_mul_i32 s1, s29, s7
	s_add_i32 s33, s0, s1
	s_mul_i32 s1, s28, s7
	v_mov_b32_e32 v1, s1
	s_sub_i32 s0, s35, s33
	v_sub_co_u32_e32 v1, vcc, s34, v1
	s_cmp_lg_u64 vcc, 0
	s_subb_u32 s34, s0, s29
	v_subrev_co_u32_e64 v2, s[0:1], s28, v1
	s_cmp_lg_u64 s[0:1], 0
	s_subb_u32 s0, s34, 0
	s_cmp_ge_u32 s0, s29
	v_readfirstlane_b32 s34, v2
	s_cselect_b32 s1, -1, 0
	s_cmp_ge_u32 s34, s28
	s_cselect_b32 s34, -1, 0
	s_cmp_eq_u32 s0, s29
	s_cselect_b32 s0, s34, s1
	s_add_u32 s1, s7, 1
	s_addc_u32 s34, s19, 0
	s_add_u32 s36, s7, 2
	s_addc_u32 s37, s19, 0
	s_cmp_lg_u32 s0, 0
	s_cselect_b32 s0, s36, s1
	s_cselect_b32 s1, s37, s34
	s_cmp_lg_u64 vcc, 0
	s_subb_u32 s33, s35, s33
	s_cmp_ge_u32 s33, s29
	v_readfirstlane_b32 s35, v1
	s_cselect_b32 s34, -1, 0
	s_cmp_ge_u32 s35, s28
	s_cselect_b32 s28, -1, 0
	s_cmp_eq_u32 s33, s29
	s_cselect_b32 s28, s28, s34
	s_cmp_lg_u32 s28, 0
	s_cselect_b32 s1, s1, s19
	s_cselect_b32 s0, s0, s7
	s_xor_b64 s[26:27], s[30:31], s[26:27]
	s_xor_b64 s[0:1], s[0:1], s[26:27]
	s_sub_u32 s0, s0, s26
	s_subb_u32 s1, s1, s27
	v_writelane_b32 v54, s0, 24
	v_writelane_b32 v54, s1, 25
	s_branch .LBB54_25
.LBB54_23:
                                        ; implicit-def: $sgpr40_sgpr41
	s_branch .LBB54_20
.LBB54_24:
	s_mov_b64 s[24:25], -1
                                        ; implicit-def: $sgpr0_sgpr1
                                        ; kill: killed $sgpr0_sgpr1
.LBB54_25:
	s_load_dwordx2 s[0:1], s[4:5], 0x440
	s_load_dwordx4 s[28:31], s[4:5], 0x430
	s_andn2_b64 vcc, exec, s[24:25]
	s_waitcnt lgkmcnt(0)
	v_writelane_b32 v54, s0, 12
	v_writelane_b32 v54, s1, 13
	s_load_dwordx2 s[0:1], s[4:5], 0x2a0
	v_writelane_b32 v54, s28, 14
	v_writelane_b32 v54, s29, 15
	;; [unrolled: 1-line block ×4, first 2 shown]
	s_load_dwordx4 s[28:31], s[4:5], 0x290
	s_waitcnt lgkmcnt(0)
	v_writelane_b32 v54, s0, 18
	v_writelane_b32 v54, s1, 19
	s_load_dwordx2 s[0:1], s[4:5], 0x0
	v_writelane_b32 v54, s28, 20
	v_writelane_b32 v54, s29, 21
	;; [unrolled: 1-line block ×4, first 2 shown]
	s_cbranch_vccnz .LBB54_27
; %bb.26:
	s_load_dwordx4 s[28:31], s[4:5], 0x370
	s_mov_b32 s27, 0
	s_waitcnt lgkmcnt(0)
	v_cvt_f32_u32_e32 v1, s28
	s_sub_i32 s7, 0, s28
	v_rcp_iflag_f32_e32 v1, v1
	v_mul_f32_e32 v1, 0x4f7ffffe, v1
	v_cvt_u32_f32_e32 v1, v1
	v_readfirstlane_b32 s19, v1
	s_mul_i32 s7, s7, s19
	s_mul_hi_u32 s7, s19, s7
	s_add_i32 s19, s19, s7
	s_mul_hi_u32 s7, s40, s19
	s_mul_i32 s24, s7, s28
	s_sub_i32 s24, s40, s24
	s_add_i32 s19, s7, 1
	s_sub_i32 s25, s24, s28
	s_cmp_ge_u32 s24, s28
	s_cselect_b32 s7, s19, s7
	s_cselect_b32 s24, s25, s24
	s_add_i32 s19, s7, 1
	s_cmp_ge_u32 s24, s28
	s_cselect_b32 s26, s19, s7
	v_writelane_b32 v54, s26, 24
	v_writelane_b32 v54, s27, 25
.LBB54_27:
	s_load_dwordx2 s[24:25], s[4:5], 0x360
	v_writelane_b32 v54, s40, 26
	s_load_dwordx2 s[4:5], s[4:5], 0x1c0
	v_writelane_b32 v54, s41, 27
	s_mov_b32 s95, 0
	s_waitcnt lgkmcnt(0)
	v_writelane_b32 v54, s24, 28
	v_writelane_b32 v54, s25, 29
	v_writelane_b32 v54, s4, 30
	v_writelane_b32 v54, s5, 31
	v_cmp_eq_u32_e64 s[24:25], 0, v0
	s_mov_b64 s[4:5], exec
	v_writelane_b32 v54, s24, 32
	v_writelane_b32 v54, s25, 33
	s_and_b64 s[24:25], s[4:5], s[24:25]
	s_mov_b64 exec, s[24:25]
	s_cbranch_execz .LBB54_29
; %bb.28:
	v_mov_b32_e32 v2, 0
	v_mov_b32_e32 v4, s56
	;; [unrolled: 1-line block ×4, first 2 shown]
	ds_write_b32 v2, v2 offset:5136
	ds_write_b128 v2, v[2:5] offset:5120
.LBB54_29:
	s_or_b64 exec, exec, s[4:5]
	s_mul_i32 s4, s20, s9
	s_mul_hi_u32 s5, s20, s8
	s_add_i32 s4, s5, s4
	s_mul_i32 s5, s21, s8
	s_add_i32 s4, s4, s5
	s_mul_i32 s5, s20, s8
	s_sub_u32 s7, s2, s5
	s_subb_u32 s4, s3, s4
	s_mul_i32 s5, s7, s15
	s_mul_hi_u32 s8, s7, s14
	s_add_i32 s5, s8, s5
	s_mul_i32 s4, s4, s14
	s_add_i32 s5, s5, s4
	s_mul_i32 s4, s7, s14
	s_mul_i32 s7, s20, s13
	s_mul_hi_u32 s8, s20, s12
	s_add_i32 s7, s8, s7
	s_mul_i32 s8, s21, s12
	s_add_i32 s9, s7, s8
	s_mul_i32 s7, s2, s11
	s_mul_hi_u32 s11, s2, s10
	s_add_i32 s7, s11, s7
	s_mul_i32 s3, s3, s10
	s_add_i32 s7, s7, s3
	s_mul_i32 s2, s2, s10
	s_mov_b32 s10, s38
	v_writelane_b32 v54, s10, 34
	s_sub_u32 s2, s38, s2
	v_writelane_b32 v54, s11, 35
	s_subb_u32 s3, 0, s7
	s_mul_i32 s7, s2, s23
	s_mul_hi_u32 s10, s2, s22
	s_mul_i32 s8, s20, s12
	s_add_i32 s7, s10, s7
	s_mul_i32 s3, s3, s22
	s_add_i32 s3, s7, s3
	s_lshl_b64 s[8:9], s[8:9], 2
	s_add_u32 s7, s0, s8
	s_addc_u32 s12, s1, s9
	s_lshl_b64 s[10:11], s[4:5], 2
	s_mul_i32 s2, s2, s22
	s_add_u32 s4, s7, s10
	v_mbcnt_lo_u32_b32 v1, -1, 0
	s_addc_u32 s5, s12, s11
	s_lshl_b64 s[12:13], s[2:3], 2
	v_mbcnt_hi_u32_b32 v40, -1, v1
	s_add_u32 s14, s4, s12
	v_cmp_gt_u32_e32 vcc, 64, v0
	v_cmp_gt_i32_e64 s[2:3], 4, v40
	s_addc_u32 s15, s5, s13
	s_and_b64 s[48:49], vcc, s[2:3]
	v_cmp_gt_u32_e64 s[2:3], 2, v0
	v_mov_b32_e32 v2, 0x300
	v_writelane_b32 v54, s2, 36
	v_mov_b32_e32 v3, 0
	v_mov_b32_e32 v13, 0
	v_writelane_b32 v54, s3, 37
	v_cmp_gt_i64_e64 s[2:3], s[56:57], v[2:3]
	v_mov_b32_e32 v1, v13
	v_writelane_b32 v54, s2, 38
	v_writelane_b32 v54, s3, 39
	v_cmp_gt_u64_e64 s[2:3], s[56:57], v[0:1]
	v_writelane_b32 v54, s2, 40
	v_writelane_b32 v54, s3, 41
	v_mad_u64_u32 v[2:3], s[2:3], v0, s62, 0
	v_mov_b32_e32 v4, v3
	v_mad_u64_u32 v[4:5], s[2:3], v0, s63, v[4:5]
	v_mov_b32_e32 v6, s15
	v_writelane_b32 v54, s14, 42
	v_writelane_b32 v54, s15, 43
	v_cmp_gt_i64_e64 s[2:3], s[56:57], v[0:1]
	v_writelane_b32 v54, s2, 44
	s_waitcnt lgkmcnt(0)
	s_barrier
	v_writelane_b32 v54, s3, 45
	s_load_dword s2, s[16:17], 0xc
	v_mov_b32_e32 v3, v4
	v_lshlrev_b64 v[4:5], 2, v[2:3]
	v_add_co_u32_e32 v16, vcc, s14, v4
	s_waitcnt lgkmcnt(0)
	s_and_b32 s33, s2, 0xffff
	s_bfe_u32 s3, s2, 0xa0006
	s_add_u32 s7, s33, -1
	v_cmp_gt_u16_e64 s[14:15], s2, 63
	s_addc_u32 s2, 0, -1
	v_writelane_b32 v54, s14, 46
	s_add_u32 s87, s7, s56
	v_writelane_b32 v54, s15, 47
	s_addc_u32 s73, s2, s57
	v_writelane_b32 v54, s7, 48
	s_cmp_lt_u32 s6, s18
	v_writelane_b32 v54, s2, 49
	s_cselect_b32 s2, 12, 18
	s_add_u32 s74, s16, s2
	s_addc_u32 s75, s17, 0
	s_add_i32 s2, s3, -1
	s_bfe_u32 s6, s33, 0x30006
	s_cmp_gt_u32 s2, 6
	s_cselect_b64 s[14:15], -1, 0
	v_writelane_b32 v54, s14, 50
	s_and_b32 s64, s3, 0x3f8
	v_writelane_b32 v54, s15, 51
	s_cmp_lg_u32 s6, 0
	v_writelane_b32 v54, s6, 52
	s_cselect_b64 s[2:3], -1, 0
	v_writelane_b32 v54, s2, 53
	v_writelane_b32 v54, s3, 54
	s_add_u32 s2, s8, s12
	v_addc_co_u32_e32 v17, vcc, v6, v5, vcc
	v_lshrrev_b32_e32 v6, 4, v0
	s_addc_u32 s3, s9, s13
	v_and_b32_e32 v42, 60, v6
	v_lshlrev_b32_e32 v6, 2, v40
	s_add_u32 s2, s2, s10
	v_and_b32_e32 v43, 0x100, v6
	v_lshlrev_b64 v[6:7], v40, -1
	s_addc_u32 s3, s3, s11
	v_lshlrev_b32_e32 v44, 4, v0
	v_not_b32_e32 v19, v7
	s_add_u32 s2, s0, s2
	v_or_b32_e32 v7, 12, v44
	s_addc_u32 s3, s1, s3
	v_mad_u64_u32 v[20:21], s[0:1], s62, v7, 0
	v_not_b32_e32 v18, v6
	v_mov_b32_e32 v6, v21
	v_mad_u64_u32 v[6:7], s[0:1], s63, v7, v[6:7]
	s_lshl_b64 s[0:1], s[62:63], 4
	v_writelane_b32 v54, s0, 55
	v_or_b32_e32 v7, 8, v44
	v_writelane_b32 v54, s1, 56
	v_mad_u64_u32 v[22:23], s[0:1], s62, v7, 0
	v_mov_b32_e32 v21, v6
	v_mov_b32_e32 v6, v23
	v_mad_u64_u32 v[6:7], s[0:1], s63, v7, v[6:7]
	v_or_b32_e32 v7, 4, v44
	v_mad_u64_u32 v[24:25], s[0:1], s62, v7, 0
	v_mov_b32_e32 v23, v6
	v_mov_b32_e32 v6, v25
	v_lshlrev_b64 v[26:27], 4, v[2:3]
	v_mov_b32_e32 v2, s57
	v_add_co_u32_e32 v45, vcc, s56, v0
	v_mad_u64_u32 v[6:7], s[0:1], s63, v7, v[6:7]
	v_addc_co_u32_e32 v46, vcc, 0, v2, vcc
	v_mov_b32_e32 v2, 0xc00
	v_lshl_or_b32 v47, v40, 3, v2
	v_mov_b32_e32 v2, s3
	v_writelane_b32 v54, s2, 57
	s_mul_i32 s0, s63, s33
	s_mul_hi_u32 s1, s62, s33
	v_lshlrev_b32_e32 v14, 2, v0
	v_writelane_b32 v54, s3, 58
	v_add_co_u32_e32 v10, vcc, s2, v4
	s_add_i32 s1, s1, s0
	s_mul_i32 s0, s62, s33
	v_cmp_eq_u32_e64 s[4:5], 0, v40
	v_add_u32_e32 v41, 0xc00, v14
	v_mov_b32_e32 v15, v13
	s_mov_b32 s28, s95
	s_lshl_b64 s[84:85], s[62:63], 2
	v_mov_b32_e32 v25, v6
	v_addc_co_u32_e32 v11, vcc, v2, v5, vcc
	s_lshl_b64 s[88:89], s[0:1], 2
	s_lshl_b32 s65, s33, 2
	s_mov_b32 s29, 30
	s_mov_b64 s[66:67], 0
	v_mov_b32_e32 v28, 1.0
	v_bfrev_b32_e32 v48, 1
	v_cvt_f32_ubyte0_e32 v49, 0
	v_mov_b32_e32 v31, 0
	s_mov_b32 s90, 0
	s_mov_b32 s86, 0
	;; [unrolled: 1-line block ×3, first 2 shown]
	v_writelane_b32 v54, s48, 59
                                        ; implicit-def: $sgpr68_sgpr69
                                        ; implicit-def: $sgpr60_sgpr61
                                        ; implicit-def: $sgpr70_sgpr71
                                        ; implicit-def: $sgpr82_sgpr83
                                        ; implicit-def: $sgpr10_sgpr11
                                        ; implicit-def: $sgpr76_sgpr77
	v_writelane_b32 v54, s49, 60
	s_branch .LBB54_34
.LBB54_30:                              ;   in Loop: Header=BB54_34 Depth=1
	s_xor_b32 s90, s90, 1
	s_add_i32 s8, s29, -2
	s_cmp_eq_u32 s29, 0
	s_mov_b64 s[2:3], 0
	s_cselect_b64 s[6:7], -1, 0
	s_mov_b32 s29, s8
.LBB54_31:                              ;   in Loop: Header=BB54_34 Depth=1
	s_andn2_b64 s[8:9], s[22:23], exec
	s_and_b64 s[2:3], s[2:3], exec
	s_or_b64 s[22:23], s[8:9], s[2:3]
	s_andn2_b64 s[24:25], s[24:25], exec
	s_andn2_b64 s[20:21], s[20:21], exec
	s_orn2_b64 s[16:17], s[6:7], exec
.LBB54_32:                              ;   in Loop: Header=BB54_34 Depth=1
	s_or_b64 exec, exec, s[0:1]
	s_andn2_b64 s[0:1], s[76:77], exec
	s_and_b64 s[2:3], s[22:23], exec
	s_or_b64 s[76:77], s[0:1], s[2:3]
	s_andn2_b64 s[0:1], s[10:11], exec
	s_and_b64 s[2:3], s[24:25], exec
	s_or_b64 s[10:11], s[0:1], s[2:3]
	;; [unrolled: 3-line block ×3, first 2 shown]
	s_orn2_b64 s[20:21], s[16:17], exec
.LBB54_33:                              ;   in Loop: Header=BB54_34 Depth=1
	s_or_b64 exec, exec, s[14:15]
	s_and_b64 s[0:1], exec, s[20:21]
	s_or_b64 s[66:67], s[0:1], s[66:67]
	s_andn2_b64 s[0:1], s[70:71], exec
	s_and_b64 s[2:3], s[76:77], exec
	s_or_b64 s[70:71], s[0:1], s[2:3]
	s_andn2_b64 s[0:1], s[60:61], exec
	s_and_b64 s[2:3], s[10:11], exec
	s_or_b64 s[60:61], s[0:1], s[2:3]
	s_andn2_b64 s[0:1], s[68:69], exec
	s_and_b64 s[2:3], s[82:83], exec
	v_mov_b32_e32 v2, s86
	s_or_b64 s[68:69], s[0:1], s[2:3]
	s_andn2_b64 exec, exec, s[66:67]
	s_cbranch_execz .LBB54_304
.LBB54_34:                              ; =>This Loop Header: Depth=1
                                        ;     Child Loop BB54_42 Depth 2
                                        ;     Child Loop BB54_61 Depth 2
                                        ;     Child Loop BB54_88 Depth 2
                                        ;     Child Loop BB54_92 Depth 2
                                        ;     Child Loop BB54_74 Depth 2
                                        ;     Child Loop BB54_81 Depth 2
                                        ;     Child Loop BB54_101 Depth 2
                                        ;     Child Loop BB54_107 Depth 2
                                        ;     Child Loop BB54_134 Depth 2
                                        ;     Child Loop BB54_119 Depth 2
                                        ;     Child Loop BB54_181 Depth 2
                                        ;     Child Loop BB54_164 Depth 2
                                        ;     Child Loop BB54_228 Depth 2
                                        ;     Child Loop BB54_211 Depth 2
                                        ;     Child Loop BB54_275 Depth 2
                                        ;     Child Loop BB54_258 Depth 2
	ds_read_b128 v[2:5], v13 offset:5120
	s_waitcnt lgkmcnt(0)
	v_readfirstlane_b32 s79, v3
	v_readfirstlane_b32 s78, v2
	v_cmp_gt_i64_e64 s[0:1], s[78:79], 0
	s_and_b64 vcc, exec, s[0:1]
	s_cbranch_vccnz .LBB54_68
; %bb.35:                               ;   in Loop: Header=BB54_34 Depth=1
	v_readlane_b32 s0, v54, 38
	v_readlane_b32 s1, v54, 39
	s_and_b64 vcc, exec, s[0:1]
	s_cbranch_vccz .LBB54_50
; %bb.36:                               ;   in Loop: Header=BB54_34 Depth=1
	s_mov_b64 s[0:1], 0x301
	v_cmp_gt_i64_e32 vcc, s[0:1], v[4:5]
	s_mov_b64 s[0:1], 0
	s_mov_b64 s[2:3], 0
	s_cbranch_vccz .LBB54_55
; %bb.37:                               ;   in Loop: Header=BB54_34 Depth=1
	v_mov_b32_e32 v6, 0
	s_mov_b64 s[2:3], exec
	v_readlane_b32 s6, v54, 40
	v_readlane_b32 s7, v54, 41
	s_and_b64 s[6:7], s[2:3], s[6:7]
	s_mov_b64 exec, s[6:7]
	s_cbranch_execz .LBB54_39
; %bb.38:                               ;   in Loop: Header=BB54_34 Depth=1
	global_load_dword v6, v[16:17], off
.LBB54_39:                              ;   in Loop: Header=BB54_34 Depth=1
	s_or_b64 exec, exec, s[2:3]
	s_mov_b64 s[2:3], exec
	v_readlane_b32 s6, v54, 40
	v_readlane_b32 s7, v54, 41
	s_and_b64 s[6:7], s[2:3], s[6:7]
	s_mov_b64 exec, s[6:7]
	s_cbranch_execz .LBB54_51
; %bb.40:                               ;   in Loop: Header=BB54_34 Depth=1
	global_load_ushort v7, v13, s[74:75]
	v_readlane_b32 s6, v54, 57
	v_readlane_b32 s7, v54, 58
	v_pk_mov_b32 v[2:3], s[6:7], s[6:7] op_sel:[0,1]
	s_mov_b64 s[8:9], 0
	s_waitcnt vmcnt(0)
	v_readfirstlane_b32 s6, v7
	s_and_b32 s6, 0xffff, s6
	v_add_u32_e32 v5, s6, v0
	s_mul_i32 s12, s85, s6
	s_mul_hi_u32 s13, s84, s6
	s_mul_i32 s20, s84, s6
	v_mad_u64_u32 v[2:3], s[6:7], s84, v5, v[2:3]
	v_mov_b32_e32 v4, v3
	v_mad_u64_u32 v[4:5], s[6:7], s85, v5, v[4:5]
	s_add_i32 s21, s13, s12
	v_mov_b32_e32 v3, v4
	v_pk_mov_b32 v[4:5], v[0:1], v[0:1] op_sel:[0,1]
	s_branch .LBB54_42
.LBB54_41:                              ;   in Loop: Header=BB54_42 Depth=2
	s_or_b64 exec, exec, s[6:7]
	v_mov_b32_e32 v6, s21
	v_add_co_u32_e32 v2, vcc, s20, v2
	v_addc_co_u32_e32 v3, vcc, v3, v6, vcc
	s_waitcnt vmcnt(0)
	v_mov_b32_e32 v6, v8
	s_andn2_b64 exec, exec, s[8:9]
	s_cbranch_execz .LBB54_51
.LBB54_42:                              ;   Parent Loop BB54_34 Depth=1
                                        ; =>  This Inner Loop Header: Depth=2
	v_add_co_u32_sdwa v4, vcc, v4, v7 dst_sel:DWORD dst_unused:UNUSED_PAD src0_sel:DWORD src1_sel:WORD_0
	v_addc_co_u32_e32 v5, vcc, 0, v5, vcc
	v_cmp_gt_i64_e64 s[6:7], s[56:57], v[4:5]
	v_cmp_le_i64_e32 vcc, s[56:57], v[4:5]
	s_waitcnt lgkmcnt(0)
	v_mov_b32_e32 v9, 0
	v_mov_b32_e32 v8, 0
	s_and_saveexec_b64 s[12:13], s[6:7]
	s_cbranch_execz .LBB54_44
; %bb.43:                               ;   in Loop: Header=BB54_42 Depth=2
	global_load_dword v8, v[2:3], off
.LBB54_44:                              ;   in Loop: Header=BB54_42 Depth=2
	s_or_b64 exec, exec, s[12:13]
	v_cmp_lt_i32_e64 s[6:7], -1, v6
	v_cndmask_b32_e64 v12, -1, v48, s[6:7]
	v_xor_b32_e32 v12, v12, v6
	v_cmp_o_f32_e64 s[6:7], v6, v6
	v_cndmask_b32_e64 v12, -1, v12, s[6:7]
	v_and_b32_e32 v12, s91, v12
	v_cmp_eq_u32_e64 s[12:13], s86, v12
	s_cmp_lg_u64 s[12:13], 0
	s_cselect_b64 s[6:7], -1, 0
	s_and_b64 s[6:7], s[4:5], s[6:7]
	s_and_saveexec_b64 s[14:15], s[6:7]
	s_cbranch_execz .LBB54_48
; %bb.45:                               ;   in Loop: Header=BB54_42 Depth=2
	s_mov_b64 s[18:19], exec
	v_mbcnt_lo_u32_b32 v9, s18, 0
	v_mbcnt_hi_u32_b32 v9, s19, v9
	s_bcnt1_i32_b64 s22, s[12:13]
	v_cmp_eq_u32_e64 s[6:7], 0, v9
                                        ; implicit-def: $vgpr12
	s_and_saveexec_b64 s[16:17], s[6:7]
	s_cbranch_execz .LBB54_47
; %bb.46:                               ;   in Loop: Header=BB54_42 Depth=2
	s_bcnt1_i32_b64 s6, s[18:19]
	s_mul_i32 s6, s22, s6
	v_mov_b32_e32 v12, s6
	ds_add_rtn_u32 v12, v13, v12 offset:5136
.LBB54_47:                              ;   in Loop: Header=BB54_42 Depth=2
	s_or_b64 exec, exec, s[16:17]
	s_waitcnt lgkmcnt(0)
	v_readfirstlane_b32 s6, v12
	v_mov_b32_e32 v12, s6
	v_mad_u32_u24 v9, s22, v9, v12
.LBB54_48:                              ;   in Loop: Header=BB54_42 Depth=2
	s_or_b64 exec, exec, s[14:15]
	ds_bpermute_b32 v9, v43, v9
	s_and_b64 s[6:7], exec, vcc
	s_or_b64 s[8:9], s[6:7], s[8:9]
	s_and_saveexec_b64 s[6:7], s[12:13]
	s_cbranch_execz .LBB54_41
; %bb.49:                               ;   in Loop: Header=BB54_42 Depth=2
	v_and_b32_e32 v29, s12, v18
	v_and_b32_e32 v12, s13, v19
	v_bcnt_u32_b32 v29, v29, 0
	v_bcnt_u32_b32 v12, v12, v29
	v_lshlrev_b32_e32 v12, 2, v12
	s_waitcnt lgkmcnt(0)
	v_lshl_add_u32 v9, v9, 2, v12
	ds_write_b32 v9, v6
	s_branch .LBB54_41
.LBB54_50:                              ;   in Loop: Header=BB54_34 Depth=1
	s_mov_b64 s[0:1], -1
	s_mov_b64 s[2:3], 0
	s_branch .LBB54_54
.LBB54_51:                              ;   in Loop: Header=BB54_34 Depth=1
	s_or_b64 exec, exec, s[2:3]
	s_waitcnt lgkmcnt(0)
	s_barrier
	s_mov_b64 s[2:3], exec
	v_readlane_b32 s6, v54, 32
	v_readlane_b32 s7, v54, 33
	s_and_b64 s[6:7], s[2:3], s[6:7]
	s_mov_b64 exec, s[6:7]
	s_cbranch_execz .LBB54_53
; %bb.52:                               ;   in Loop: Header=BB54_34 Depth=1
	ds_read_b32 v2, v13 offset:5136
	s_waitcnt lgkmcnt(0)
	v_ashrrev_i32_e32 v3, 31, v2
	ds_write_b64 v13, v[2:3] offset:5120
.LBB54_53:                              ;   in Loop: Header=BB54_34 Depth=1
	s_or_b64 exec, exec, s[2:3]
	s_waitcnt lgkmcnt(0)
	s_barrier
	s_mov_b64 s[2:3], -1
.LBB54_54:                              ;   in Loop: Header=BB54_34 Depth=1
                                        ; implicit-def: $sgpr78_sgpr79
.LBB54_55:                              ;   in Loop: Header=BB54_34 Depth=1
	s_and_b64 vcc, exec, s[0:1]
	s_cbranch_vccz .LBB54_66
; %bb.56:                               ;   in Loop: Header=BB54_34 Depth=1
	s_waitcnt vmcnt(0)
	v_mov_b32_e32 v6, 0
	s_mov_b64 s[0:1], exec
	v_readlane_b32 s2, v54, 44
	v_readlane_b32 s3, v54, 45
	s_and_b64 s[2:3], s[0:1], s[2:3]
	s_mov_b64 exec, s[2:3]
	s_cbranch_execz .LBB54_58
; %bb.57:                               ;   in Loop: Header=BB54_34 Depth=1
	global_load_dword v6, v[16:17], off
.LBB54_58:                              ;   in Loop: Header=BB54_34 Depth=1
	s_or_b64 exec, exec, s[0:1]
	s_mov_b64 s[0:1], exec
	v_readlane_b32 s2, v54, 44
	v_readlane_b32 s3, v54, 45
	s_and_b64 s[2:3], s[0:1], s[2:3]
	s_mov_b64 exec, s[2:3]
	s_cbranch_execz .LBB54_63
; %bb.59:                               ;   in Loop: Header=BB54_34 Depth=1
	global_load_ushort v7, v13, s[74:75]
	v_readlane_b32 s2, v54, 57
	v_readlane_b32 s3, v54, 58
	v_pk_mov_b32 v[2:3], s[2:3], s[2:3] op_sel:[0,1]
	s_mov_b64 s[2:3], 0
	v_mov_b32_e32 v8, v14
	s_waitcnt vmcnt(0)
	v_readfirstlane_b32 s6, v7
	s_and_b32 s6, 0xffff, s6
	v_add_u32_e32 v5, s6, v0
	s_lshl_b32 s12, s6, 2
	s_mul_i32 s8, s85, s6
	s_mul_hi_u32 s9, s84, s6
	s_mul_i32 s13, s84, s6
	v_mad_u64_u32 v[2:3], s[6:7], s84, v5, v[2:3]
	v_mov_b32_e32 v4, v3
	v_mad_u64_u32 v[4:5], s[6:7], s85, v5, v[4:5]
	s_add_i32 s14, s9, s8
	v_mov_b32_e32 v3, v4
	v_pk_mov_b32 v[4:5], v[0:1], v[0:1] op_sel:[0,1]
	s_branch .LBB54_61
.LBB54_60:                              ;   in Loop: Header=BB54_61 Depth=2
	s_or_b64 exec, exec, s[8:9]
	s_and_b64 s[6:7], exec, vcc
	ds_write_b32 v8, v6
	v_mov_b32_e32 v6, s14
	v_add_co_u32_e32 v2, vcc, s13, v2
	s_or_b64 s[2:3], s[6:7], s[2:3]
	v_add_u32_e32 v8, s12, v8
	v_addc_co_u32_e32 v3, vcc, v3, v6, vcc
	s_waitcnt vmcnt(0)
	v_mov_b32_e32 v6, v9
	s_andn2_b64 exec, exec, s[2:3]
	s_cbranch_execz .LBB54_63
.LBB54_61:                              ;   Parent Loop BB54_34 Depth=1
                                        ; =>  This Inner Loop Header: Depth=2
	v_add_co_u32_sdwa v4, vcc, v4, v7 dst_sel:DWORD dst_unused:UNUSED_PAD src0_sel:DWORD src1_sel:WORD_0
	v_addc_co_u32_e32 v5, vcc, 0, v5, vcc
	v_cmp_gt_i64_e64 s[6:7], s[56:57], v[4:5]
	v_cmp_le_i64_e32 vcc, s[56:57], v[4:5]
	v_mov_b32_e32 v9, 0
	s_and_saveexec_b64 s[8:9], s[6:7]
	s_cbranch_execz .LBB54_60
; %bb.62:                               ;   in Loop: Header=BB54_61 Depth=2
	global_load_dword v9, v[2:3], off
	s_branch .LBB54_60
.LBB54_63:                              ;   in Loop: Header=BB54_34 Depth=1
	s_or_b64 exec, exec, s[0:1]
	s_waitcnt lgkmcnt(0)
	s_barrier
	s_mov_b64 s[0:1], exec
	v_readlane_b32 s2, v54, 32
	v_readlane_b32 s3, v54, 33
	s_and_b64 s[2:3], s[0:1], s[2:3]
	s_mov_b64 exec, s[2:3]
	s_cbranch_execz .LBB54_65
; %bb.64:                               ;   in Loop: Header=BB54_34 Depth=1
	v_pk_mov_b32 v[2:3], s[56:57], s[56:57] op_sel:[0,1]
	ds_write_b64 v13, v[2:3] offset:5120
.LBB54_65:                              ;   in Loop: Header=BB54_34 Depth=1
	s_or_b64 exec, exec, s[0:1]
	s_mov_b64 s[2:3], -1
	s_waitcnt lgkmcnt(0)
	s_barrier
                                        ; implicit-def: $sgpr78_sgpr79
.LBB54_66:                              ;   in Loop: Header=BB54_34 Depth=1
	s_and_b64 vcc, exec, s[2:3]
	s_cbranch_vccz .LBB54_68
; %bb.67:                               ;   in Loop: Header=BB54_34 Depth=1
	ds_read_b64 v[2:3], v13 offset:5120
	s_waitcnt lgkmcnt(0)
	v_readfirstlane_b32 s78, v2
.LBB54_68:                              ;   in Loop: Header=BB54_34 Depth=1
	s_cmp_lt_i32 s78, 1
	s_cbranch_scc0 .LBB54_83
; %bb.69:                               ;   in Loop: Header=BB54_34 Depth=1
	global_load_ushort v2, v13, s[74:75]
	s_mov_b32 s0, s95
	s_waitcnt vmcnt(0)
	v_readfirstlane_b32 s1, v2
	s_and_b32 s1, 0xffff, s1
	s_lshl_b32 s72, s1, 2
	s_mov_b32 s1, s57
	s_cmp_lg_u64 s[0:1], 0
	s_cbranch_scc0 .LBB54_103
; %bb.70:                               ;   in Loop: Header=BB54_34 Depth=1
	v_cvt_f32_u32_e32 v3, s72
	s_sub_u32 s0, 0, s72
	s_subb_u32 s1, 0, 0
	v_mac_f32_e32 v3, 0x4f800000, v49
	v_rcp_f32_e32 v3, v3
	v_mul_f32_e32 v3, 0x5f7ffffc, v3
	v_mul_f32_e32 v4, 0x2f800000, v3
	v_trunc_f32_e32 v4, v4
	v_mac_f32_e32 v3, 0xcf800000, v4
	v_cvt_u32_f32_e32 v4, v4
	v_cvt_u32_f32_e32 v3, v3
	v_readfirstlane_b32 s2, v4
	v_readfirstlane_b32 s3, v3
	s_mul_i32 s6, s0, s2
	s_mul_hi_u32 s8, s0, s3
	s_mul_i32 s7, s1, s3
	s_add_i32 s6, s8, s6
	s_mul_i32 s9, s0, s3
	s_add_i32 s6, s6, s7
	s_mul_hi_u32 s8, s3, s9
	s_mul_hi_u32 s7, s3, s6
	s_mul_i32 s3, s3, s6
	s_add_u32 s3, s8, s3
	s_addc_u32 s7, 0, s7
	s_mul_hi_u32 s12, s2, s9
	s_mul_i32 s9, s2, s9
	s_add_u32 s3, s3, s9
	s_mul_hi_u32 s8, s2, s6
	s_addc_u32 s3, s7, s12
	s_addc_u32 s7, s8, 0
	s_mul_i32 s6, s2, s6
	s_add_u32 s3, s3, s6
	s_addc_u32 s6, 0, s7
	v_add_co_u32_e32 v3, vcc, s3, v3
	s_cmp_lg_u64 vcc, 0
	s_addc_u32 s2, s2, s6
	v_readfirstlane_b32 s6, v3
	s_mul_i32 s3, s0, s2
	s_mul_hi_u32 s7, s0, s6
	s_add_i32 s3, s7, s3
	s_mul_i32 s1, s1, s6
	s_add_i32 s3, s3, s1
	s_mul_i32 s0, s0, s6
	s_mul_hi_u32 s7, s2, s0
	s_mul_i32 s8, s2, s0
	s_mul_i32 s12, s6, s3
	s_mul_hi_u32 s0, s6, s0
	s_mul_hi_u32 s9, s6, s3
	s_add_u32 s0, s0, s12
	s_addc_u32 s6, 0, s9
	s_add_u32 s0, s0, s8
	s_mul_hi_u32 s1, s2, s3
	s_addc_u32 s0, s6, s7
	s_addc_u32 s1, s1, 0
	s_mul_i32 s3, s2, s3
	s_add_u32 s0, s0, s3
	s_addc_u32 s1, 0, s1
	v_add_co_u32_e32 v3, vcc, s0, v3
	s_cmp_lg_u64 vcc, 0
	s_addc_u32 s6, s2, s1
	s_ashr_i32 s0, s57, 31
	s_add_u32 s2, s56, s0
	s_mov_b32 s1, s0
	s_addc_u32 s3, s57, s0
	s_xor_b64 s[2:3], s[2:3], s[0:1]
	v_readfirstlane_b32 s8, v3
	s_mul_i32 s7, s2, s6
	s_mul_hi_u32 s9, s2, s8
	s_mul_hi_u32 s1, s2, s6
	s_add_u32 s7, s9, s7
	s_addc_u32 s1, 0, s1
	s_mul_hi_u32 s12, s3, s8
	s_mul_i32 s8, s3, s8
	s_add_u32 s7, s7, s8
	s_mul_hi_u32 s9, s3, s6
	s_addc_u32 s1, s1, s12
	s_addc_u32 s7, s9, 0
	s_mul_i32 s6, s3, s6
	s_add_u32 s1, s1, s6
	s_addc_u32 s6, 0, s7
	s_mul_hi_u32 s7, s72, s1
	s_mul_i32 s1, s72, s1
	s_mul_i32 s6, s72, s6
	v_mov_b32_e32 v3, s1
	s_add_i32 s7, s7, s6
	v_sub_co_u32_e32 v3, vcc, s2, v3
	s_cmp_lg_u64 vcc, 0
	s_subb_u32 s1, s3, s7
	v_subrev_co_u32_e32 v4, vcc, s72, v3
	s_cmp_lg_u64 vcc, 0
	s_subb_u32 s2, s1, 0
	v_subrev_co_u32_e32 v5, vcc, s72, v4
	s_cmp_lg_u64 vcc, 0
	s_subb_u32 s3, s2, 0
	v_cmp_le_u32_e32 vcc, s72, v4
	s_cmp_eq_u32 s2, 0
	v_cndmask_b32_e64 v6, 0, -1, vcc
	s_cselect_b64 vcc, -1, 0
	v_cndmask_b32_e32 v6, -1, v6, vcc
	v_mov_b32_e32 v7, s2
	v_mov_b32_e32 v8, s3
	v_cmp_ne_u32_e32 vcc, 0, v6
	v_cndmask_b32_e32 v6, v7, v8, vcc
	v_cndmask_b32_e32 v4, v4, v5, vcc
	v_cmp_le_u32_e32 vcc, s72, v3
	s_cmp_eq_u32 s1, 0
	v_cndmask_b32_e64 v5, 0, -1, vcc
	s_cselect_b64 vcc, -1, 0
	v_cndmask_b32_e32 v5, -1, v5, vcc
	v_cmp_ne_u32_e32 vcc, 0, v5
	v_mov_b32_e32 v7, s1
	v_cndmask_b32_e32 v3, v3, v4, vcc
	v_cndmask_b32_e32 v5, v7, v6, vcc
	v_xor_b32_e32 v3, s0, v3
	v_xor_b32_e32 v4, s0, v5
	v_mov_b32_e32 v5, s0
	v_subrev_co_u32_e32 v32, vcc, s0, v3
	v_subb_co_u32_e32 v33, vcc, v4, v5, vcc
	s_cbranch_execnz .LBB54_72
.LBB54_71:                              ;   in Loop: Header=BB54_34 Depth=1
	v_cvt_f32_u32_e32 v3, s72
	s_sub_i32 s0, 0, s72
	v_rcp_iflag_f32_e32 v3, v3
	v_mul_f32_e32 v3, 0x4f7ffffe, v3
	v_cvt_u32_f32_e32 v3, v3
	v_mul_lo_u32 v4, s0, v3
	v_mul_hi_u32 v4, v3, v4
	v_add_u32_e32 v3, v3, v4
	v_mul_hi_u32 v3, s56, v3
	v_mul_lo_u32 v3, v3, s72
	v_sub_u32_e32 v3, s56, v3
	v_subrev_u32_e32 v4, s72, v3
	v_cmp_le_u32_e32 vcc, s72, v3
	v_cndmask_b32_e32 v3, v3, v4, vcc
	v_subrev_u32_e32 v4, s72, v3
	v_cmp_le_u32_e32 vcc, s72, v3
	v_cndmask_b32_e32 v12, v3, v4, vcc
	v_pk_mov_b32 v[32:33], v[12:13], v[12:13] op_sel:[0,1]
.LBB54_72:                              ;   in Loop: Header=BB54_34 Depth=1
	v_and_b32_e32 v12, 0xffff, v2
	v_mov_b32_e32 v2, s57
	v_sub_co_u32_e32 v34, vcc, s56, v32
	v_subb_co_u32_e32 v35, vcc, v2, v33, vcc
	v_pk_mov_b32 v[2:3], 0, 0
	v_cmp_gt_i64_e32 vcc, v[34:35], v[14:15]
	s_mov_b64 s[0:1], 0
	v_pk_mov_b32 v[4:5], v[2:3], v[2:3] op_sel:[0,1]
	v_pk_mov_b32 v[6:7], v[2:3], v[2:3] op_sel:[0,1]
	;; [unrolled: 1-line block ×3, first 2 shown]
	s_and_saveexec_b64 s[54:55], vcc
	s_cbranch_execz .LBB54_76
; %bb.73:                               ;   in Loop: Header=BB54_34 Depth=1
	v_readlane_b32 s2, v54, 55
	v_readlane_b32 s3, v54, 56
	v_mul_lo_u32 v2, s3, v12
	v_mul_hi_u32 v3, s2, v12
	v_mul_lo_u32 v30, s2, v12
	v_readlane_b32 s2, v54, 42
	v_readlane_b32 s3, v54, 43
	s_and_b32 s79, s29, 0xfe
	v_add_u32_e32 v29, v3, v2
	v_pk_mov_b32 v[36:37], s[2:3], s[2:3] op_sel:[0,1]
	s_mov_b64 s[8:9], 0
	s_mov_b64 s[92:93], 0
	;; [unrolled: 1-line block ×4, first 2 shown]
	v_pk_mov_b32 v[38:39], v[14:15], v[14:15] op_sel:[0,1]
.LBB54_74:                              ;   Parent Loop BB54_34 Depth=1
                                        ; =>  This Inner Loop Header: Depth=2
	v_add_co_u32_e32 v2, vcc, v36, v26
	v_addc_co_u32_e32 v3, vcc, v37, v27, vcc
	v_add_co_u32_e32 v4, vcc, v36, v24
	v_addc_co_u32_e32 v5, vcc, v37, v25, vcc
	;; [unrolled: 2-line block ×4, first 2 shown]
	global_load_dword v2, v[2:3], off
	s_nop 0
	global_load_dword v3, v[4:5], off
	s_nop 0
	global_load_dword v4, v[6:7], off
	global_load_dword v5, v[8:9], off
	v_add_co_u32_e32 v38, vcc, s72, v38
	v_addc_co_u32_e32 v39, vcc, 0, v39, vcc
	v_add_co_u32_e32 v36, vcc, v36, v30
	v_addc_co_u32_e32 v37, vcc, v37, v29, vcc
	v_cmp_ge_i64_e32 vcc, v[38:39], v[34:35]
	s_waitcnt vmcnt(3)
	v_cmp_lt_i32_e64 s[6:7], -1, v2
	v_cndmask_b32_e64 v6, -1, v48, s[6:7]
	s_waitcnt vmcnt(2)
	v_cmp_lt_i32_e64 s[6:7], -1, v3
	v_cndmask_b32_e64 v7, -1, v48, s[6:7]
	;; [unrolled: 3-line block ×4, first 2 shown]
	v_xor_b32_e32 v7, v7, v3
	v_cmp_o_f32_e64 s[6:7], v3, v3
	v_xor_b32_e32 v3, v8, v4
	v_cmp_o_f32_e64 s[12:13], v4, v4
	v_xor_b32_e32 v4, v9, v5
	v_cmp_o_f32_e64 s[14:15], v5, v5
	v_xor_b32_e32 v5, v6, v2
	v_cmp_o_f32_e64 s[16:17], v2, v2
	v_cndmask_b32_e64 v2, -1, v5, s[16:17]
	v_cndmask_b32_e64 v5, -1, v7, s[6:7]
	v_and_b32_e32 v6, s91, v2
	v_bfe_u32 v2, v2, s79, 2
	v_cndmask_b32_e64 v3, -1, v3, s[12:13]
	v_and_b32_e32 v7, s91, v5
	v_bfe_u32 v5, v5, s79, 2
	v_cmp_eq_u32_e64 s[18:19], s86, v6
	v_cmp_eq_u32_e64 s[6:7], 0, v2
	v_cndmask_b32_e64 v4, -1, v4, s[14:15]
	v_and_b32_e32 v8, s91, v3
	v_bfe_u32 v3, v3, s79, 2
	v_cmp_eq_u32_e64 s[16:17], s86, v7
	v_cmp_eq_u32_e64 s[30:31], 0, v5
	s_and_b64 s[6:7], s[18:19], s[6:7]
	v_and_b32_e32 v9, s91, v4
	v_bfe_u32 v4, v4, s79, 2
	v_cmp_eq_u32_e64 s[14:15], s86, v8
	v_cmp_eq_u32_e64 s[34:35], 0, v3
	;; [unrolled: 1-line block ×5, first 2 shown]
	v_cndmask_b32_e64 v2, 0, 1, s[6:7]
	s_and_b64 s[6:7], s[16:17], s[30:31]
	v_cmp_eq_u32_e64 s[12:13], s86, v9
	v_cmp_eq_u32_e64 s[36:37], 0, v4
	;; [unrolled: 1-line block ×5, first 2 shown]
	v_cndmask_b32_e64 v3, 0, 1, s[6:7]
	s_and_b64 s[6:7], s[14:15], s[34:35]
	v_cmp_eq_u32_e64 s[44:45], 1, v4
	v_cmp_eq_u32_e64 s[52:53], 2, v4
	;; [unrolled: 1-line block ×3, first 2 shown]
	v_cndmask_b32_e64 v4, 0, 1, s[6:7]
	s_and_b64 s[6:7], s[12:13], s[36:37]
	v_cmp_eq_u32_e64 s[40:41], 1, v5
	v_cmp_eq_u32_e64 s[48:49], 2, v5
	;; [unrolled: 1-line block ×3, first 2 shown]
	v_cndmask_b32_e64 v5, 0, 1, s[6:7]
	v_cmp_ne_u32_e64 s[6:7], 0, v2
	v_cmp_ne_u32_e64 s[30:31], 0, v3
	v_cmp_ne_u32_e64 s[34:35], 0, v4
	v_cmp_ne_u32_e64 s[36:37], 0, v5
	s_bcnt1_i32_b64 s6, s[6:7]
	s_bcnt1_i32_b64 s7, s[30:31]
	s_bcnt1_i32_b64 s30, s[34:35]
	s_bcnt1_i32_b64 s31, s[36:37]
	s_add_u32 s6, s6, s80
	s_addc_u32 s34, 0, s81
	s_add_u32 s6, s6, s7
	s_addc_u32 s7, s34, 0
	s_add_u32 s6, s6, s30
	s_addc_u32 s7, s7, 0
	s_add_u32 s80, s6, s31
	s_addc_u32 s81, s7, 0
	s_and_b64 s[6:7], s[18:19], s[38:39]
	v_cndmask_b32_e64 v4, 0, 1, s[6:7]
	s_and_b64 s[6:7], s[16:17], s[40:41]
	v_cndmask_b32_e64 v5, 0, 1, s[6:7]
	s_and_b64 s[6:7], s[14:15], s[42:43]
	v_cndmask_b32_e64 v6, 0, 1, s[6:7]
	s_and_b64 s[6:7], s[12:13], s[44:45]
	v_cndmask_b32_e64 v7, 0, 1, s[6:7]
	v_cmp_ne_u32_e64 s[6:7], 0, v4
	v_cmp_ne_u32_e64 s[30:31], 0, v5
	v_cmp_ne_u32_e64 s[34:35], 0, v6
	v_cmp_ne_u32_e64 s[36:37], 0, v7
	s_bcnt1_i32_b64 s6, s[6:7]
	s_bcnt1_i32_b64 s7, s[30:31]
	s_bcnt1_i32_b64 s30, s[34:35]
	s_bcnt1_i32_b64 s31, s[36:37]
	s_add_u32 s2, s6, s2
	s_addc_u32 s3, 0, s3
	s_add_u32 s2, s2, s7
	s_addc_u32 s3, s3, 0
	s_add_u32 s2, s2, s30
	s_addc_u32 s3, s3, 0
	s_add_u32 s2, s2, s31
	s_addc_u32 s3, s3, 0
	s_and_b64 s[6:7], s[18:19], s[46:47]
	v_cndmask_b32_e64 v6, 0, 1, s[6:7]
	s_and_b64 s[6:7], s[16:17], s[48:49]
	v_cndmask_b32_e64 v7, 0, 1, s[6:7]
	s_and_b64 s[6:7], s[14:15], s[50:51]
	v_cndmask_b32_e64 v8, 0, 1, s[6:7]
	s_and_b64 s[6:7], s[12:13], s[52:53]
	;; [unrolled: 24-line block ×3, first 2 shown]
	v_cndmask_b32_e64 v51, 0, 1, s[6:7]
	v_cmp_ne_u32_e64 s[6:7], 0, v8
	v_cmp_ne_u32_e64 s[12:13], 0, v9
	;; [unrolled: 1-line block ×4, first 2 shown]
	s_bcnt1_i32_b64 s6, s[6:7]
	s_bcnt1_i32_b64 s7, s[12:13]
	;; [unrolled: 1-line block ×4, first 2 shown]
	s_add_u32 s6, s6, s8
	s_addc_u32 s8, 0, s9
	s_add_u32 s6, s6, s7
	s_addc_u32 s7, s8, 0
	;; [unrolled: 2-line block ×4, first 2 shown]
	v_pk_mov_b32 v[2:3], s[80:81], s[80:81] op_sel:[0,1]
	v_pk_mov_b32 v[4:5], s[2:3], s[2:3] op_sel:[0,1]
	;; [unrolled: 1-line block ×3, first 2 shown]
	s_or_b64 s[0:1], vcc, s[0:1]
	v_pk_mov_b32 v[8:9], s[8:9], s[8:9] op_sel:[0,1]
	s_andn2_b64 exec, exec, s[0:1]
	s_cbranch_execnz .LBB54_74
; %bb.75:                               ;   in Loop: Header=BB54_34 Depth=1
	s_or_b64 exec, exec, s[0:1]
	v_readlane_b32 s48, v54, 59
	v_readlane_b32 s49, v54, 60
.LBB54_76:                              ;   in Loop: Header=BB54_34 Depth=1
	s_or_b64 exec, exec, s[54:55]
	v_add_co_u32_e32 v34, vcc, v34, v0
	v_addc_co_u32_e32 v35, vcc, 0, v35, vcc
	v_cmp_gt_i64_e32 vcc, s[56:57], v[34:35]
	v_mov_b32_e32 v36, 0
	s_and_saveexec_b64 s[0:1], vcc
	s_cbranch_execz .LBB54_78
; %bb.77:                               ;   in Loop: Header=BB54_34 Depth=1
	v_mul_lo_u32 v29, v35, s62
	v_mul_lo_u32 v30, v34, s63
	v_mad_u64_u32 v[36:37], s[2:3], v34, s62, 0
	v_add3_u32 v37, v37, v30, v29
	v_readlane_b32 s2, v54, 42
	v_lshlrev_b64 v[36:37], 2, v[36:37]
	v_readlane_b32 s3, v54, 43
	v_mov_b32_e32 v29, s3
	v_add_co_u32_e64 v36, s[6:7], s2, v36
	v_addc_co_u32_e64 v37, s[6:7], v29, v37, s[6:7]
	global_load_dword v36, v[36:37], off
.LBB54_78:                              ;   in Loop: Header=BB54_34 Depth=1
	s_or_b64 exec, exec, s[0:1]
	s_and_saveexec_b64 s[0:1], vcc
	s_cbranch_execz .LBB54_85
; %bb.79:                               ;   in Loop: Header=BB54_34 Depth=1
	v_add_co_u32_e32 v29, vcc, v45, v12
	v_addc_co_u32_e32 v30, vcc, 0, v46, vcc
	v_readlane_b32 s2, v54, 57
	v_sub_co_u32_e32 v29, vcc, v29, v32
	v_readlane_b32 s3, v54, 58
	v_subb_co_u32_e32 v30, vcc, v30, v33, vcc
	v_pk_mov_b32 v[32:33], s[2:3], s[2:3] op_sel:[0,1]
	v_mul_lo_u32 v30, s84, v30
	v_mul_lo_u32 v37, s85, v29
	v_mad_u64_u32 v[32:33], s[2:3], s84, v29, v[32:33]
	v_add3_u32 v33, v37, v33, v30
	v_mul_lo_u32 v29, s85, v12
	v_mul_hi_u32 v30, s84, v12
	s_and_b32 s12, s29, 0xfe
	v_add_u32_e32 v29, v30, v29
	v_mul_lo_u32 v30, s84, v12
	s_mov_b64 s[2:3], 0
	s_branch .LBB54_81
.LBB54_80:                              ;   in Loop: Header=BB54_81 Depth=2
	s_or_b64 exec, exec, s[8:9]
	s_and_b64 s[6:7], exec, vcc
	s_waitcnt vmcnt(0)
	v_cmp_lt_i32_e32 vcc, -1, v36
	v_cndmask_b32_e32 v38, -1, v48, vcc
	v_xor_b32_e32 v38, v38, v36
	v_cmp_o_f32_e32 vcc, v36, v36
	v_cndmask_b32_e32 v36, -1, v38, vcc
	v_and_b32_e32 v38, s91, v36
	v_bfe_u32 v36, v36, s12, 2
	s_or_b64 s[2:3], s[6:7], s[2:3]
	v_cmp_eq_u32_e32 vcc, s86, v38
	v_cmp_eq_u32_e64 s[6:7], 0, v36
	s_and_b64 s[6:7], vcc, s[6:7]
	v_cndmask_b32_e64 v38, 0, 1, s[6:7]
	v_cmp_ne_u32_e64 s[6:7], 0, v38
	s_bcnt1_i32_b64 s6, s[6:7]
	v_add_co_u32_e64 v2, s[6:7], s6, v2
	v_addc_co_u32_e64 v3, s[6:7], 0, v3, s[6:7]
	v_cmp_eq_u32_e64 s[6:7], 1, v36
	s_and_b64 s[6:7], vcc, s[6:7]
	v_cndmask_b32_e64 v38, 0, 1, s[6:7]
	v_cmp_ne_u32_e64 s[6:7], 0, v38
	s_bcnt1_i32_b64 s6, s[6:7]
	v_add_co_u32_e64 v4, s[6:7], s6, v4
	v_addc_co_u32_e64 v5, s[6:7], 0, v5, s[6:7]
	;; [unrolled: 7-line block ×3, first 2 shown]
	v_cmp_eq_u32_e64 s[6:7], 3, v36
	s_and_b64 s[6:7], vcc, s[6:7]
	v_cndmask_b32_e64 v36, 0, 1, s[6:7]
	v_cmp_ne_u32_e32 vcc, 0, v36
	s_bcnt1_i32_b64 s6, vcc
	v_add_co_u32_e32 v8, vcc, s6, v8
	v_addc_co_u32_e32 v9, vcc, 0, v9, vcc
	v_add_co_u32_e32 v32, vcc, v32, v30
	v_addc_co_u32_e32 v33, vcc, v33, v29, vcc
	v_mov_b32_e32 v36, v37
	s_andn2_b64 exec, exec, s[2:3]
	s_cbranch_execz .LBB54_84
.LBB54_81:                              ;   Parent Loop BB54_34 Depth=1
                                        ; =>  This Inner Loop Header: Depth=2
	v_add_co_u32_e32 v34, vcc, v34, v12
	v_addc_co_u32_e32 v35, vcc, 0, v35, vcc
	v_cmp_gt_i64_e64 s[6:7], s[56:57], v[34:35]
	v_cmp_le_i64_e32 vcc, s[56:57], v[34:35]
	v_mov_b32_e32 v37, 0
	s_and_saveexec_b64 s[8:9], s[6:7]
	s_cbranch_execz .LBB54_80
; %bb.82:                               ;   in Loop: Header=BB54_81 Depth=2
	global_load_dword v37, v[32:33], off
	s_branch .LBB54_80
.LBB54_83:                              ;   in Loop: Header=BB54_34 Depth=1
                                        ; implicit-def: $vgpr8_vgpr9
                                        ; implicit-def: $vgpr4_vgpr5
	s_cbranch_execnz .LBB54_86
	s_branch .LBB54_95
.LBB54_84:                              ;   in Loop: Header=BB54_34 Depth=1
	s_or_b64 exec, exec, s[2:3]
.LBB54_85:                              ;   in Loop: Header=BB54_34 Depth=1
	s_or_b64 exec, exec, s[0:1]
	s_branch .LBB54_95
.LBB54_86:                              ;   in Loop: Header=BB54_34 Depth=1
	global_load_ushort v8, v13, s[74:75]
	s_waitcnt vmcnt(0)
	v_readfirstlane_b32 s0, v8
	s_and_b32 s0, 0xffff, s0
	s_lshl_b32 s72, s0, 2
	v_cvt_f32_u32_e32 v2, s72
	s_sub_i32 s2, 0, s72
	s_mov_b64 s[0:1], 0
	v_and_b32_e32 v29, 0xffff, v8
	v_rcp_iflag_f32_e32 v6, v2
	v_pk_mov_b32 v[2:3], 0, 0
	v_pk_mov_b32 v[4:5], v[2:3], v[2:3] op_sel:[0,1]
	v_mul_f32_e32 v6, 0x4f7ffffe, v6
	v_cvt_u32_f32_e32 v9, v6
	v_pk_mov_b32 v[6:7], v[2:3], v[2:3] op_sel:[0,1]
	v_readfirstlane_b32 s3, v9
	s_mul_i32 s2, s2, s3
	s_mul_hi_u32 s2, s3, s2
	s_add_i32 s3, s3, s2
	s_mul_hi_u32 s2, s78, s3
	s_mul_i32 s2, s2, s72
	s_sub_i32 s2, s78, s2
	s_sub_i32 s3, s2, s72
	s_cmp_ge_u32 s2, s72
	s_cselect_b32 s2, s3, s2
	s_sub_i32 s3, s2, s72
	s_cmp_ge_u32 s2, s72
	s_cselect_b32 s2, s3, s2
	s_sub_i32 s94, s78, s2
	v_cmp_gt_u32_e32 vcc, s94, v14
	v_pk_mov_b32 v[8:9], v[2:3], v[2:3] op_sel:[0,1]
	s_and_saveexec_b64 s[2:3], vcc
	s_cbranch_execz .LBB54_90
; %bb.87:                               ;   in Loop: Header=BB54_34 Depth=1
	s_and_b32 s79, s29, 0xfe
	v_lshlrev_b32_e32 v12, 4, v29
	v_mov_b32_e32 v30, v44
	s_mov_b64 s[8:9], 0
	s_mov_b64 s[54:55], 0
	;; [unrolled: 1-line block ×4, first 2 shown]
	v_pk_mov_b32 v[32:33], v[14:15], v[14:15] op_sel:[0,1]
.LBB54_88:                              ;   Parent Loop BB54_34 Depth=1
                                        ; =>  This Inner Loop Header: Depth=2
	ds_read_b128 v[2:5], v30
	v_add_co_u32_e32 v32, vcc, s72, v32
	v_addc_co_u32_e32 v33, vcc, 0, v33, vcc
	s_waitcnt lgkmcnt(0)
	v_cmp_lt_i32_e64 s[6:7], -1, v2
	v_cndmask_b32_e64 v6, -1, v48, s[6:7]
	v_cmp_lt_i32_e64 s[6:7], -1, v3
	v_cndmask_b32_e64 v7, -1, v48, s[6:7]
	;; [unrolled: 2-line block ×4, first 2 shown]
	v_xor_b32_e32 v7, v7, v3
	v_cmp_o_f32_e64 s[6:7], v3, v3
	v_xor_b32_e32 v3, v8, v4
	v_cmp_o_f32_e64 s[12:13], v4, v4
	;; [unrolled: 2-line block ×4, first 2 shown]
	v_cndmask_b32_e64 v2, -1, v5, s[16:17]
	v_cndmask_b32_e64 v5, -1, v7, s[6:7]
	v_and_b32_e32 v6, s91, v2
	v_bfe_u32 v2, v2, s79, 2
	v_cndmask_b32_e64 v3, -1, v3, s[12:13]
	v_and_b32_e32 v7, s91, v5
	v_bfe_u32 v5, v5, s79, 2
	v_cmp_eq_u32_e64 s[18:19], s86, v6
	v_cmp_eq_u32_e64 s[6:7], 0, v2
	v_cndmask_b32_e64 v4, -1, v4, s[14:15]
	v_and_b32_e32 v8, s91, v3
	v_bfe_u32 v3, v3, s79, 2
	v_cmp_eq_u32_e64 s[16:17], s86, v7
	v_cmp_eq_u32_e64 s[30:31], 0, v5
	s_and_b64 s[6:7], s[18:19], s[6:7]
	v_and_b32_e32 v9, s91, v4
	v_bfe_u32 v4, v4, s79, 2
	v_cmp_eq_u32_e64 s[14:15], s86, v8
	v_cmp_eq_u32_e64 s[34:35], 0, v3
	;; [unrolled: 1-line block ×5, first 2 shown]
	v_cndmask_b32_e64 v2, 0, 1, s[6:7]
	s_and_b64 s[6:7], s[16:17], s[30:31]
	v_cmp_eq_u32_e64 s[12:13], s86, v9
	v_cmp_eq_u32_e64 s[36:37], 0, v4
	v_cmp_eq_u32_e64 s[42:43], 1, v3
	v_cmp_eq_u32_e64 s[50:51], 2, v3
	v_cmp_eq_u32_e64 s[22:23], 3, v3
	v_cndmask_b32_e64 v3, 0, 1, s[6:7]
	s_and_b64 s[6:7], s[14:15], s[34:35]
	v_cmp_eq_u32_e64 s[44:45], 1, v4
	v_cmp_eq_u32_e64 s[52:53], 2, v4
	;; [unrolled: 1-line block ×3, first 2 shown]
	v_cndmask_b32_e64 v4, 0, 1, s[6:7]
	s_and_b64 s[6:7], s[12:13], s[36:37]
	v_cmp_eq_u32_e64 s[40:41], 1, v5
	v_cmp_eq_u32_e64 s[48:49], 2, v5
	;; [unrolled: 1-line block ×3, first 2 shown]
	v_cndmask_b32_e64 v5, 0, 1, s[6:7]
	v_cmp_ne_u32_e64 s[6:7], 0, v2
	v_cmp_ne_u32_e64 s[30:31], 0, v3
	v_cmp_ne_u32_e64 s[34:35], 0, v4
	v_cmp_ne_u32_e64 s[36:37], 0, v5
	s_bcnt1_i32_b64 s6, s[6:7]
	s_bcnt1_i32_b64 s7, s[30:31]
	s_bcnt1_i32_b64 s30, s[34:35]
	s_bcnt1_i32_b64 s31, s[36:37]
	s_add_u32 s6, s6, s92
	s_addc_u32 s34, 0, s93
	s_add_u32 s6, s6, s7
	s_addc_u32 s7, s34, 0
	s_add_u32 s6, s6, s30
	s_addc_u32 s7, s7, 0
	s_add_u32 s92, s6, s31
	s_addc_u32 s93, s7, 0
	s_and_b64 s[6:7], s[18:19], s[38:39]
	v_cndmask_b32_e64 v4, 0, 1, s[6:7]
	s_and_b64 s[6:7], s[16:17], s[40:41]
	v_cndmask_b32_e64 v5, 0, 1, s[6:7]
	s_and_b64 s[6:7], s[14:15], s[42:43]
	v_cndmask_b32_e64 v6, 0, 1, s[6:7]
	s_and_b64 s[6:7], s[12:13], s[44:45]
	v_cndmask_b32_e64 v7, 0, 1, s[6:7]
	v_cmp_ne_u32_e64 s[6:7], 0, v4
	v_cmp_ne_u32_e64 s[30:31], 0, v5
	v_cmp_ne_u32_e64 s[34:35], 0, v6
	v_cmp_ne_u32_e64 s[36:37], 0, v7
	s_bcnt1_i32_b64 s6, s[6:7]
	s_bcnt1_i32_b64 s7, s[30:31]
	s_bcnt1_i32_b64 s30, s[34:35]
	s_bcnt1_i32_b64 s31, s[36:37]
	s_add_u32 s6, s6, s80
	s_addc_u32 s34, 0, s81
	s_add_u32 s6, s6, s7
	s_addc_u32 s7, s34, 0
	s_add_u32 s6, s6, s30
	s_addc_u32 s7, s7, 0
	s_add_u32 s80, s6, s31
	s_addc_u32 s81, s7, 0
	s_and_b64 s[6:7], s[18:19], s[46:47]
	v_cndmask_b32_e64 v6, 0, 1, s[6:7]
	s_and_b64 s[6:7], s[16:17], s[48:49]
	v_cndmask_b32_e64 v7, 0, 1, s[6:7]
	s_and_b64 s[6:7], s[14:15], s[50:51]
	v_cndmask_b32_e64 v8, 0, 1, s[6:7]
	s_and_b64 s[6:7], s[12:13], s[52:53]
	;; [unrolled: 24-line block ×3, first 2 shown]
	v_cndmask_b32_e64 v35, 0, 1, s[6:7]
	v_cmp_ne_u32_e64 s[6:7], 0, v8
	v_cmp_ne_u32_e64 s[12:13], 0, v9
	;; [unrolled: 1-line block ×4, first 2 shown]
	s_bcnt1_i32_b64 s6, s[6:7]
	s_bcnt1_i32_b64 s7, s[12:13]
	;; [unrolled: 1-line block ×4, first 2 shown]
	s_add_u32 s6, s6, s8
	s_addc_u32 s8, 0, s9
	s_add_u32 s6, s6, s7
	s_addc_u32 s7, s8, 0
	;; [unrolled: 2-line block ×3, first 2 shown]
	s_add_u32 s8, s6, s13
	v_cmp_le_u64_e32 vcc, s[94:95], v[32:33]
	s_addc_u32 s9, s7, 0
	v_add_u32_e32 v30, v30, v12
	v_pk_mov_b32 v[2:3], s[92:93], s[92:93] op_sel:[0,1]
	v_pk_mov_b32 v[4:5], s[80:81], s[80:81] op_sel:[0,1]
	;; [unrolled: 1-line block ×3, first 2 shown]
	s_or_b64 s[0:1], vcc, s[0:1]
	v_pk_mov_b32 v[8:9], s[8:9], s[8:9] op_sel:[0,1]
	s_andn2_b64 exec, exec, s[0:1]
	s_cbranch_execnz .LBB54_88
; %bb.89:                               ;   in Loop: Header=BB54_34 Depth=1
	s_or_b64 exec, exec, s[0:1]
	v_readlane_b32 s48, v54, 59
	v_readlane_b32 s49, v54, 60
.LBB54_90:                              ;   in Loop: Header=BB54_34 Depth=1
	s_or_b64 exec, exec, s[2:3]
	v_add_u32_e32 v12, s94, v0
	v_cmp_gt_u32_e32 vcc, s78, v12
	s_and_saveexec_b64 s[0:1], vcc
	s_cbranch_execz .LBB54_94
; %bb.91:                               ;   in Loop: Header=BB54_34 Depth=1
	s_and_b32 s94, s78, 0x7fffffff
	s_and_b32 s8, s29, 0xfe
	v_lshlrev_b32_e32 v30, 2, v12
	s_mov_b64 s[2:3], 0
	v_pk_mov_b32 v[32:33], v[12:13], v[12:13] op_sel:[0,1]
.LBB54_92:                              ;   Parent Loop BB54_34 Depth=1
                                        ; =>  This Inner Loop Header: Depth=2
	ds_read_b32 v12, v30
	v_add_co_u32_e32 v32, vcc, v32, v29
	v_addc_co_u32_e32 v33, vcc, 0, v33, vcc
	s_waitcnt lgkmcnt(0)
	v_cmp_lt_i32_e64 s[6:7], -1, v12
	v_cndmask_b32_e64 v34, -1, v48, s[6:7]
	v_xor_b32_e32 v34, v34, v12
	v_cmp_o_f32_e64 s[6:7], v12, v12
	v_cndmask_b32_e64 v12, -1, v34, s[6:7]
	v_and_b32_e32 v34, s91, v12
	v_bfe_u32 v12, v12, s8, 2
	v_cmp_eq_u32_e64 s[6:7], s86, v34
	v_cmp_eq_u32_e64 s[12:13], 0, v12
	;; [unrolled: 1-line block ×3, first 2 shown]
	s_and_b64 s[12:13], s[6:7], s[12:13]
	v_cmp_eq_u32_e64 s[16:17], 2, v12
	v_cmp_eq_u32_e64 s[18:19], 3, v12
	v_cndmask_b32_e64 v12, 0, 1, s[12:13]
	s_and_b64 s[12:13], s[6:7], s[14:15]
	v_cndmask_b32_e64 v34, 0, 1, s[12:13]
	s_and_b64 s[12:13], s[6:7], s[16:17]
	s_and_b64 s[6:7], s[6:7], s[18:19]
	v_cndmask_b32_e64 v35, 0, 1, s[12:13]
	v_cndmask_b32_e64 v36, 0, 1, s[6:7]
	v_cmp_ne_u32_e64 s[6:7], 0, v12
	v_cmp_ne_u32_e64 s[12:13], 0, v34
	;; [unrolled: 1-line block ×4, first 2 shown]
	v_cmp_le_u64_e32 vcc, s[94:95], v[32:33]
	s_bcnt1_i32_b64 s6, s[6:7]
	s_bcnt1_i32_b64 s7, s[12:13]
	;; [unrolled: 1-line block ×4, first 2 shown]
	s_or_b64 s[2:3], vcc, s[2:3]
	v_add_co_u32_e32 v2, vcc, s6, v2
	v_addc_co_u32_e32 v3, vcc, 0, v3, vcc
	v_add_co_u32_e32 v4, vcc, s7, v4
	v_addc_co_u32_e32 v5, vcc, 0, v5, vcc
	v_add_co_u32_e32 v6, vcc, s9, v6
	v_addc_co_u32_e32 v7, vcc, 0, v7, vcc
	v_add_co_u32_e32 v8, vcc, s12, v8
	v_add_u32_e32 v30, s72, v30
	v_addc_co_u32_e32 v9, vcc, 0, v9, vcc
	s_andn2_b64 exec, exec, s[2:3]
	s_cbranch_execnz .LBB54_92
; %bb.93:                               ;   in Loop: Header=BB54_34 Depth=1
	s_or_b64 exec, exec, s[2:3]
.LBB54_94:                              ;   in Loop: Header=BB54_34 Depth=1
	s_or_b64 exec, exec, s[0:1]
.LBB54_95:                              ;   in Loop: Header=BB54_34 Depth=1
	s_lshl_b32 s2, s90, 6
	s_and_saveexec_b64 s[0:1], s[4:5]
	s_cbranch_execz .LBB54_97
; %bb.96:                               ;   in Loop: Header=BB54_34 Depth=1
	v_or_b32_e32 v12, s2, v42
	v_lshlrev_b32_e32 v12, 3, v12
	ds_write_b128 v12, v[2:5] offset:3072
	s_waitcnt vmcnt(0)
	ds_write_b128 v12, v[6:9] offset:3088
.LBB54_97:                              ;   in Loop: Header=BB54_34 Depth=1
	s_or_b64 exec, exec, s[0:1]
	s_waitcnt lgkmcnt(0)
	s_barrier
	s_and_saveexec_b64 s[0:1], s[48:49]
	s_cbranch_execz .LBB54_109
; %bb.98:                               ;   in Loop: Header=BB54_34 Depth=1
	v_readlane_b32 s6, v54, 46
	v_readlane_b32 s7, v54, 47
	s_andn2_b64 vcc, exec, s[6:7]
	v_pk_mov_b32 v[2:3], 0, 0
	s_cbranch_vccnz .LBB54_108
; %bb.99:                               ;   in Loop: Header=BB54_34 Depth=1
	v_readlane_b32 s6, v54, 50
	v_readlane_b32 s7, v54, 51
	s_andn2_b64 vcc, exec, s[6:7]
	s_cbranch_vccnz .LBB54_104
; %bb.100:                              ;   in Loop: Header=BB54_34 Depth=1
	v_lshl_add_u32 v4, s90, 9, v47
	s_mov_b32 s3, 0
	v_pk_mov_b32 v[2:3], 0, 0
.LBB54_101:                             ;   Parent Loop BB54_34 Depth=1
                                        ; =>  This Inner Loop Header: Depth=2
	s_waitcnt vmcnt(0)
	ds_read2_b64 v[6:9], v4 offset1:4
	ds_read2_b64 v[32:35], v4 offset0:8 offset1:12
	ds_read2_b64 v[36:39], v4 offset0:16 offset1:20
	;; [unrolled: 1-line block ×3, first 2 shown]
	s_add_i32 s3, s3, 8
	s_waitcnt lgkmcnt(3)
	v_add_co_u32_e32 v2, vcc, v6, v2
	v_addc_co_u32_e32 v3, vcc, v7, v3, vcc
	v_add_co_u32_e32 v2, vcc, v8, v2
	v_addc_co_u32_e32 v3, vcc, v9, v3, vcc
	s_waitcnt lgkmcnt(2)
	v_add_co_u32_e32 v2, vcc, v32, v2
	v_addc_co_u32_e32 v3, vcc, v33, v3, vcc
	v_add_co_u32_e32 v2, vcc, v34, v2
	v_addc_co_u32_e32 v3, vcc, v35, v3, vcc
	;; [unrolled: 5-line block ×3, first 2 shown]
	s_waitcnt lgkmcnt(0)
	v_add_co_u32_e32 v2, vcc, v50, v2
	v_addc_co_u32_e32 v3, vcc, v51, v3, vcc
	v_add_co_u32_e32 v2, vcc, v52, v2
	v_add_u32_e32 v4, 0x100, v4
	s_cmp_eq_u32 s64, s3
	v_addc_co_u32_e32 v3, vcc, v53, v3, vcc
	s_cbranch_scc0 .LBB54_101
; %bb.102:                              ;   in Loop: Header=BB54_34 Depth=1
	s_mov_b32 s3, s64
	s_branch .LBB54_105
.LBB54_103:                             ;   in Loop: Header=BB54_34 Depth=1
                                        ; implicit-def: $vgpr32_vgpr33
	s_branch .LBB54_71
.LBB54_104:                             ;   in Loop: Header=BB54_34 Depth=1
	s_mov_b32 s3, 0
	v_pk_mov_b32 v[2:3], 0, 0
.LBB54_105:                             ;   in Loop: Header=BB54_34 Depth=1
	v_readlane_b32 s6, v54, 53
	v_readlane_b32 s7, v54, 54
	s_andn2_b64 vcc, exec, s[6:7]
	s_cbranch_vccnz .LBB54_108
; %bb.106:                              ;   in Loop: Header=BB54_34 Depth=1
	s_lshl_b32 s6, s90, 9
	s_lshl_b32 s3, s3, 5
	s_add_i32 s6, s6, s3
	v_add_u32_e32 v4, s6, v47
	v_readlane_b32 s3, v54, 52
.LBB54_107:                             ;   Parent Loop BB54_34 Depth=1
                                        ; =>  This Inner Loop Header: Depth=2
	s_waitcnt vmcnt(0)
	ds_read_b64 v[6:7], v4
	s_add_i32 s3, s3, -1
	v_add_u32_e32 v4, 32, v4
	s_cmp_lg_u32 s3, 0
	s_waitcnt lgkmcnt(0)
	v_add_co_u32_e32 v2, vcc, v6, v2
	v_addc_co_u32_e32 v3, vcc, v7, v3, vcc
	s_cbranch_scc1 .LBB54_107
.LBB54_108:                             ;   in Loop: Header=BB54_34 Depth=1
	v_add_lshl_u32 v4, s2, v40, 3
	ds_write_b64 v4, v[2:3] offset:3072
.LBB54_109:                             ;   in Loop: Header=BB54_34 Depth=1
	s_or_b64 exec, exec, s[0:1]
	s_lshl_b32 s0, s2, 3
	s_waitcnt vmcnt(0)
	v_mov_b32_e32 v6, s0
	s_waitcnt lgkmcnt(0)
	s_barrier
	ds_read_b128 v[2:5], v6 offset:3072
	ds_read_b128 v[6:9], v6 offset:3088
	s_and_b32 s42, s29, 0xfe
	s_lshl_b32 s46, 3, s42
	s_not_b32 s43, s46
	s_waitcnt lgkmcnt(1)
	v_readfirstlane_b32 s17, v3
	v_readfirstlane_b32 s16, v2
	s_cmp_eq_u64 s[16:17], 1
	s_cselect_b64 s[0:1], -1, 0
	s_cmp_eq_u64 s[58:59], 1
	s_cselect_b64 s[2:3], -1, 0
	s_and_b64 s[22:23], s[0:1], s[2:3]
	v_readfirstlane_b32 s30, v4
	v_readfirstlane_b32 s31, v5
	s_waitcnt lgkmcnt(0)
	v_readfirstlane_b32 s18, v6
	v_readfirstlane_b32 s19, v7
	;; [unrolled: 1-line block ×4, first 2 shown]
	s_mov_b64 s[20:21], -1
	s_and_b64 vcc, exec, s[22:23]
	s_cbranch_vccz .LBB54_124
; %bb.110:                              ;   in Loop: Header=BB54_34 Depth=1
	ds_read_b64 v[2:3], v13 offset:5120
	s_waitcnt lgkmcnt(0)
	s_barrier
	v_readfirstlane_b32 s14, v2
	v_readfirstlane_b32 s15, v3
	s_mov_b64 s[0:1], exec
	v_readlane_b32 s2, v54, 36
	v_readlane_b32 s3, v54, 37
	s_and_b64 s[2:3], s[0:1], s[2:3]
	s_mov_b64 exec, s[2:3]
	s_cbranch_execz .LBB54_112
; %bb.111:                              ;   in Loop: Header=BB54_34 Depth=1
	ds_write_b32 v41, v13
.LBB54_112:                             ;   in Loop: Header=BB54_34 Depth=1
	s_or_b64 exec, exec, s[0:1]
	v_cmp_lt_i64_e64 s[0:1], s[14:15], 1
	s_and_b32 s86, s86, s43
	s_or_b32 s91, s91, s46
	s_and_b64 vcc, exec, s[0:1]
	s_waitcnt lgkmcnt(0)
	s_barrier
	s_cbranch_vccz .LBB54_125
; %bb.113:                              ;   in Loop: Header=BB54_34 Depth=1
	s_mov_b32 s72, s95
	s_cmp_lg_u64 s[72:73], 0
	s_cbranch_scc0 .LBB54_170
; %bb.114:                              ;   in Loop: Header=BB54_34 Depth=1
	v_cvt_f32_u32_e32 v2, s33
	s_sub_u32 s0, 0, s33
	s_subb_u32 s1, 0, 0
	v_mac_f32_e32 v2, 0x4f800000, v49
	v_rcp_f32_e32 v2, v2
	v_mul_f32_e32 v2, 0x5f7ffffc, v2
	v_mul_f32_e32 v3, 0x2f800000, v2
	v_trunc_f32_e32 v3, v3
	v_mac_f32_e32 v2, 0xcf800000, v3
	v_cvt_u32_f32_e32 v3, v3
	v_cvt_u32_f32_e32 v2, v2
	v_readfirstlane_b32 s2, v3
	v_readfirstlane_b32 s3, v2
	s_mul_i32 s6, s0, s2
	s_mul_hi_u32 s8, s0, s3
	s_mul_i32 s7, s1, s3
	s_add_i32 s6, s8, s6
	s_mul_i32 s9, s0, s3
	s_add_i32 s6, s6, s7
	s_mul_hi_u32 s8, s3, s9
	s_mul_hi_u32 s7, s3, s6
	s_mul_i32 s3, s3, s6
	s_add_u32 s3, s8, s3
	s_addc_u32 s7, 0, s7
	s_mul_hi_u32 s24, s2, s9
	s_mul_i32 s9, s2, s9
	s_add_u32 s3, s3, s9
	s_mul_hi_u32 s8, s2, s6
	s_addc_u32 s3, s7, s24
	s_addc_u32 s7, s8, 0
	s_mul_i32 s6, s2, s6
	s_add_u32 s3, s3, s6
	s_addc_u32 s6, 0, s7
	v_add_co_u32_e32 v2, vcc, s3, v2
	s_cmp_lg_u64 vcc, 0
	s_addc_u32 s2, s2, s6
	v_readfirstlane_b32 s6, v2
	s_mul_i32 s3, s0, s2
	s_mul_hi_u32 s7, s0, s6
	s_add_i32 s3, s7, s3
	s_mul_i32 s1, s1, s6
	s_add_i32 s3, s3, s1
	s_mul_i32 s0, s0, s6
	s_mul_hi_u32 s7, s2, s0
	s_mul_i32 s8, s2, s0
	s_mul_i32 s24, s6, s3
	s_mul_hi_u32 s0, s6, s0
	s_mul_hi_u32 s9, s6, s3
	s_add_u32 s0, s0, s24
	s_addc_u32 s6, 0, s9
	s_add_u32 s0, s0, s8
	s_mul_hi_u32 s1, s2, s3
	s_addc_u32 s0, s6, s7
	s_addc_u32 s1, s1, 0
	s_mul_i32 s3, s2, s3
	s_add_u32 s0, s0, s3
	s_addc_u32 s1, 0, s1
	v_add_co_u32_e32 v2, vcc, s0, v2
	s_cmp_lg_u64 vcc, 0
	s_addc_u32 s6, s2, s1
	s_ashr_i32 s0, s73, 31
	s_add_u32 s2, s87, s0
	s_mov_b32 s1, s0
	s_addc_u32 s3, s73, s0
	s_xor_b64 s[2:3], s[2:3], s[0:1]
	v_readfirstlane_b32 s8, v2
	s_mul_i32 s7, s2, s6
	s_mul_hi_u32 s9, s2, s8
	s_mul_hi_u32 s1, s2, s6
	s_add_u32 s7, s9, s7
	s_addc_u32 s1, 0, s1
	s_mul_hi_u32 s24, s3, s8
	s_mul_i32 s8, s3, s8
	s_add_u32 s7, s7, s8
	s_mul_hi_u32 s9, s3, s6
	s_addc_u32 s1, s1, s24
	s_addc_u32 s7, s9, 0
	s_mul_i32 s6, s3, s6
	s_add_u32 s1, s1, s6
	s_addc_u32 s6, 0, s7
	s_mul_hi_u32 s7, s33, s1
	s_mul_i32 s1, s33, s1
	s_mul_i32 s6, s33, s6
	v_mov_b32_e32 v2, s1
	s_add_i32 s7, s7, s6
	v_sub_co_u32_e32 v2, vcc, s2, v2
	s_cmp_lg_u64 vcc, 0
	s_subb_u32 s1, s3, s7
	v_subrev_co_u32_e32 v3, vcc, s33, v2
	s_cmp_lg_u64 vcc, 0
	s_subb_u32 s2, s1, 0
	v_subrev_co_u32_e32 v4, vcc, s33, v3
	s_cmp_lg_u64 vcc, 0
	s_subb_u32 s3, s2, 0
	v_cmp_le_u32_e32 vcc, s33, v3
	s_cmp_eq_u32 s2, 0
	v_cndmask_b32_e64 v5, 0, -1, vcc
	s_cselect_b64 vcc, -1, 0
	v_cndmask_b32_e32 v5, -1, v5, vcc
	v_mov_b32_e32 v6, s2
	v_mov_b32_e32 v7, s3
	v_cmp_ne_u32_e32 vcc, 0, v5
	v_cndmask_b32_e32 v5, v6, v7, vcc
	v_cndmask_b32_e32 v3, v3, v4, vcc
	v_cmp_le_u32_e32 vcc, s33, v2
	s_cmp_eq_u32 s1, 0
	v_cndmask_b32_e64 v4, 0, -1, vcc
	s_cselect_b64 vcc, -1, 0
	v_cndmask_b32_e32 v4, -1, v4, vcc
	v_cmp_ne_u32_e32 vcc, 0, v4
	v_mov_b32_e32 v6, s1
	v_cndmask_b32_e32 v2, v2, v3, vcc
	v_cndmask_b32_e32 v4, v6, v5, vcc
	v_xor_b32_e32 v2, s0, v2
	v_xor_b32_e32 v3, s0, v4
	v_mov_b32_e32 v4, s0
	v_subrev_co_u32_e32 v2, vcc, s0, v2
	v_subb_co_u32_e32 v3, vcc, v3, v4, vcc
	s_cbranch_execnz .LBB54_116
.LBB54_115:                             ;   in Loop: Header=BB54_34 Depth=1
	v_cvt_f32_u32_e32 v2, s33
	s_sub_i32 s0, 0, s33
	v_rcp_iflag_f32_e32 v2, v2
	v_mul_f32_e32 v2, 0x4f7ffffe, v2
	v_cvt_u32_f32_e32 v2, v2
	v_mul_lo_u32 v3, s0, v2
	v_mul_hi_u32 v3, v2, v3
	v_add_u32_e32 v2, v2, v3
	s_mov_b32 s0, s87
	v_mul_hi_u32 v2, s0, v2
	v_mul_lo_u32 v2, v2, s33
	v_sub_u32_e32 v2, s0, v2
	v_subrev_u32_e32 v3, s33, v2
	v_cmp_le_u32_e32 vcc, s33, v2
	v_cndmask_b32_e32 v2, v2, v3, vcc
	v_subrev_u32_e32 v3, s33, v2
	v_cmp_le_u32_e32 vcc, s33, v2
	v_cndmask_b32_e32 v12, v2, v3, vcc
	v_pk_mov_b32 v[2:3], v[12:13], v[12:13] op_sel:[0,1]
.LBB54_116:                             ;   in Loop: Header=BB54_34 Depth=1
	v_mov_b32_e32 v4, s73
	v_sub_co_u32_e32 v2, vcc, s87, v2
	v_subb_co_u32_e32 v3, vcc, v4, v3, vcc
	v_cmp_gt_i64_e32 vcc, v[2:3], v[0:1]
	s_mov_b64 s[0:1], 0
                                        ; implicit-def: $vgpr31
	s_and_saveexec_b64 s[2:3], vcc
	s_cbranch_execz .LBB54_127
; %bb.117:                              ;   in Loop: Header=BB54_34 Depth=1
	v_pk_mov_b32 v[4:5], v[10:11], v[10:11] op_sel:[0,1]
	v_pk_mov_b32 v[6:7], v[0:1], v[0:1] op_sel:[0,1]
                                        ; implicit-def: $sgpr8_sgpr9
	s_branch .LBB54_119
.LBB54_118:                             ;   in Loop: Header=BB54_119 Depth=2
	s_or_b64 exec, exec, s[6:7]
	s_waitcnt lgkmcnt(0)
	s_barrier
	ds_read_b64 v[30:31], v13 offset:3072
	v_mov_b32_e32 v8, s28
	v_add_co_u32_e64 v6, s[6:7], s33, v6
	v_addc_co_u32_e64 v7, s[6:7], v7, v8, s[6:7]
	s_waitcnt lgkmcnt(0)
	v_cmp_neq_f32_e32 vcc, 0, v30
	v_cmp_ge_i64_e64 s[6:7], v[6:7], v[2:3]
	s_or_b64 s[24:25], vcc, s[6:7]
	v_mov_b32_e32 v8, s89
	v_add_co_u32_e64 v4, s[6:7], s88, v4
	v_addc_co_u32_e64 v5, s[6:7], v5, v8, s[6:7]
	s_and_b64 s[6:7], exec, s[24:25]
	s_or_b64 s[0:1], s[6:7], s[0:1]
	s_andn2_b64 s[6:7], s[8:9], exec
	s_and_b64 s[8:9], vcc, exec
	s_or_b64 s[8:9], s[6:7], s[8:9]
	s_barrier
	s_andn2_b64 exec, exec, s[0:1]
	s_cbranch_execz .LBB54_126
.LBB54_119:                             ;   Parent Loop BB54_34 Depth=1
                                        ; =>  This Inner Loop Header: Depth=2
	v_cmp_gt_i64_e32 vcc, s[56:57], v[6:7]
	s_waitcnt vmcnt(0)
	v_mov_b32_e32 v29, 0
	s_and_saveexec_b64 s[6:7], vcc
	s_cbranch_execz .LBB54_121
; %bb.120:                              ;   in Loop: Header=BB54_119 Depth=2
	global_load_dword v29, v[4:5], off
.LBB54_121:                             ;   in Loop: Header=BB54_119 Depth=2
	s_or_b64 exec, exec, s[6:7]
	s_and_saveexec_b64 s[6:7], vcc
	s_cbranch_execz .LBB54_118
; %bb.122:                              ;   in Loop: Header=BB54_119 Depth=2
	s_waitcnt vmcnt(0)
	v_cmp_lt_i32_e32 vcc, -1, v29
	v_cndmask_b32_e32 v8, -1, v48, vcc
	v_xor_b32_e32 v8, v8, v29
	v_cmp_o_f32_e32 vcc, v29, v29
	v_cndmask_b32_e32 v8, -1, v8, vcc
	v_and_b32_e32 v8, s91, v8
	v_cmp_eq_u32_e32 vcc, s86, v8
	s_and_b64 exec, exec, vcc
	s_cbranch_execz .LBB54_118
; %bb.123:                              ;   in Loop: Header=BB54_119 Depth=2
	ds_write_b64 v13, v[28:29] offset:3072
	s_branch .LBB54_118
.LBB54_124:                             ;   in Loop: Header=BB54_34 Depth=1
	s_mov_b64 s[0:1], -1
                                        ; implicit-def: $sgpr2_sgpr3
                                        ; implicit-def: $sgpr8_sgpr9
                                        ; implicit-def: $sgpr6_sgpr7
	s_branch .LBB54_141
.LBB54_125:                             ;   in Loop: Header=BB54_34 Depth=1
	s_mov_b64 s[2:3], -1
	s_mov_b64 s[0:1], 0
                                        ; implicit-def: $sgpr6_sgpr7
                                        ; implicit-def: $vgpr31
	s_mov_b64 s[8:9], s[2:3]
	s_cbranch_execnz .LBB54_128
	s_branch .LBB54_141
.LBB54_126:                             ;   in Loop: Header=BB54_34 Depth=1
	s_or_b64 exec, exec, s[0:1]
	s_and_b64 s[0:1], s[8:9], exec
.LBB54_127:                             ;   in Loop: Header=BB54_34 Depth=1
	s_or_b64 exec, exec, s[2:3]
	s_mov_b64 s[6:7], -1
	s_mov_b64 s[2:3], 0
	s_mov_b64 s[8:9], s[2:3]
	s_branch .LBB54_141
.LBB54_128:                             ;   in Loop: Header=BB54_34 Depth=1
	v_readlane_b32 s0, v54, 48
	s_add_u32 s6, s0, s14
	v_readlane_b32 s0, v54, 49
	s_addc_u32 s1, s0, s15
	s_mov_b32 s0, s95
	s_cmp_lg_u64 s[0:1], 0
	s_cbranch_scc0 .LBB54_171
; %bb.129:                              ;   in Loop: Header=BB54_34 Depth=1
	v_cvt_f32_u32_e32 v2, s33
	s_sub_u32 s0, 0, s33
	s_subb_u32 s2, 0, 0
	v_mac_f32_e32 v2, 0x4f800000, v49
	v_rcp_f32_e32 v2, v2
	v_mul_f32_e32 v2, 0x5f7ffffc, v2
	v_mul_f32_e32 v3, 0x2f800000, v2
	v_trunc_f32_e32 v3, v3
	v_mac_f32_e32 v2, 0xcf800000, v3
	v_cvt_u32_f32_e32 v3, v3
	v_cvt_u32_f32_e32 v2, v2
	v_readfirstlane_b32 s3, v3
	v_readfirstlane_b32 s7, v2
	s_mul_i32 s8, s0, s3
	s_mul_hi_u32 s24, s0, s7
	s_mul_i32 s9, s2, s7
	s_add_i32 s8, s24, s8
	s_mul_i32 s25, s0, s7
	s_add_i32 s8, s8, s9
	s_mul_hi_u32 s24, s7, s25
	s_mul_hi_u32 s9, s7, s8
	s_mul_i32 s7, s7, s8
	s_add_u32 s7, s24, s7
	s_addc_u32 s9, 0, s9
	s_mul_hi_u32 s26, s3, s25
	s_mul_i32 s25, s3, s25
	s_add_u32 s7, s7, s25
	s_mul_hi_u32 s24, s3, s8
	s_addc_u32 s7, s9, s26
	s_addc_u32 s9, s24, 0
	s_mul_i32 s8, s3, s8
	s_add_u32 s7, s7, s8
	s_addc_u32 s8, 0, s9
	v_add_co_u32_e32 v2, vcc, s7, v2
	s_cmp_lg_u64 vcc, 0
	s_addc_u32 s3, s3, s8
	v_readfirstlane_b32 s8, v2
	s_mul_i32 s7, s0, s3
	s_mul_hi_u32 s9, s0, s8
	s_add_i32 s7, s9, s7
	s_mul_i32 s2, s2, s8
	s_add_i32 s7, s7, s2
	s_mul_i32 s0, s0, s8
	s_mul_hi_u32 s9, s3, s0
	s_mul_i32 s24, s3, s0
	s_mul_i32 s26, s8, s7
	s_mul_hi_u32 s0, s8, s0
	s_mul_hi_u32 s25, s8, s7
	s_add_u32 s0, s0, s26
	s_addc_u32 s8, 0, s25
	s_add_u32 s0, s0, s24
	s_mul_hi_u32 s2, s3, s7
	s_addc_u32 s0, s8, s9
	s_addc_u32 s2, s2, 0
	s_mul_i32 s7, s3, s7
	s_add_u32 s0, s0, s7
	s_addc_u32 s2, 0, s2
	v_add_co_u32_e32 v2, vcc, s0, v2
	s_cmp_lg_u64 vcc, 0
	s_addc_u32 s0, s3, s2
	s_ashr_i32 s2, s1, 31
	s_add_u32 s8, s6, s2
	s_mov_b32 s3, s2
	s_addc_u32 s9, s1, s2
	s_xor_b64 s[8:9], s[8:9], s[2:3]
	v_readfirstlane_b32 s24, v2
	s_mul_i32 s7, s8, s0
	s_mul_hi_u32 s25, s8, s24
	s_mul_hi_u32 s3, s8, s0
	s_add_u32 s7, s25, s7
	s_addc_u32 s3, 0, s3
	s_mul_hi_u32 s26, s9, s24
	s_mul_i32 s24, s9, s24
	s_add_u32 s7, s7, s24
	s_mul_hi_u32 s25, s9, s0
	s_addc_u32 s3, s3, s26
	s_addc_u32 s7, s25, 0
	s_mul_i32 s0, s9, s0
	s_add_u32 s0, s3, s0
	s_addc_u32 s3, 0, s7
	s_mul_hi_u32 s7, s33, s0
	s_mul_i32 s0, s33, s0
	s_mul_i32 s3, s33, s3
	v_mov_b32_e32 v2, s0
	s_add_i32 s7, s7, s3
	v_sub_co_u32_e32 v2, vcc, s8, v2
	s_cmp_lg_u64 vcc, 0
	s_subb_u32 s0, s9, s7
	v_subrev_co_u32_e32 v3, vcc, s33, v2
	s_cmp_lg_u64 vcc, 0
	s_subb_u32 s3, s0, 0
	v_subrev_co_u32_e32 v4, vcc, s33, v3
	s_cmp_lg_u64 vcc, 0
	s_subb_u32 s7, s3, 0
	v_cmp_le_u32_e32 vcc, s33, v3
	s_cmp_eq_u32 s3, 0
	v_cndmask_b32_e64 v5, 0, -1, vcc
	s_cselect_b64 vcc, -1, 0
	v_cndmask_b32_e32 v5, -1, v5, vcc
	v_mov_b32_e32 v6, s3
	v_mov_b32_e32 v7, s7
	v_cmp_ne_u32_e32 vcc, 0, v5
	v_cndmask_b32_e32 v5, v6, v7, vcc
	v_cndmask_b32_e32 v3, v3, v4, vcc
	v_cmp_le_u32_e32 vcc, s33, v2
	s_cmp_eq_u32 s0, 0
	v_cndmask_b32_e64 v4, 0, -1, vcc
	s_cselect_b64 vcc, -1, 0
	v_cndmask_b32_e32 v4, -1, v4, vcc
	v_cmp_ne_u32_e32 vcc, 0, v4
	v_mov_b32_e32 v6, s0
	v_cndmask_b32_e32 v2, v2, v3, vcc
	v_cndmask_b32_e32 v4, v6, v5, vcc
	v_xor_b32_e32 v2, s2, v2
	v_xor_b32_e32 v3, s2, v4
	v_mov_b32_e32 v4, s2
	v_subrev_co_u32_e32 v2, vcc, s2, v2
	v_subb_co_u32_e32 v3, vcc, v3, v4, vcc
	s_cbranch_execnz .LBB54_131
.LBB54_130:                             ;   in Loop: Header=BB54_34 Depth=1
	v_cvt_f32_u32_e32 v2, s33
	s_sub_i32 s0, 0, s33
	v_rcp_iflag_f32_e32 v2, v2
	v_mul_f32_e32 v2, 0x4f7ffffe, v2
	v_cvt_u32_f32_e32 v2, v2
	v_mul_lo_u32 v3, s0, v2
	v_mul_hi_u32 v3, v2, v3
	v_add_u32_e32 v2, v2, v3
	v_mul_hi_u32 v2, s6, v2
	v_mul_lo_u32 v2, v2, s33
	v_sub_u32_e32 v2, s6, v2
	v_subrev_u32_e32 v3, s33, v2
	v_cmp_le_u32_e32 vcc, s33, v2
	v_cndmask_b32_e32 v2, v2, v3, vcc
	v_subrev_u32_e32 v3, s33, v2
	v_cmp_le_u32_e32 vcc, s33, v2
	v_cndmask_b32_e32 v12, v2, v3, vcc
	v_pk_mov_b32 v[2:3], v[12:13], v[12:13] op_sel:[0,1]
.LBB54_131:                             ;   in Loop: Header=BB54_34 Depth=1
	v_mov_b32_e32 v4, s1
	v_sub_co_u32_e32 v2, vcc, s6, v2
	v_subb_co_u32_e32 v3, vcc, v4, v3, vcc
	v_cmp_gt_i64_e32 vcc, v[2:3], v[0:1]
	s_mov_b64 s[0:1], 0
                                        ; implicit-def: $vgpr31
	s_and_saveexec_b64 s[2:3], vcc
	s_cbranch_execz .LBB54_140
; %bb.132:                              ;   in Loop: Header=BB54_34 Depth=1
	v_mov_b32_e32 v6, v14
	v_pk_mov_b32 v[4:5], v[0:1], v[0:1] op_sel:[0,1]
                                        ; implicit-def: $sgpr8_sgpr9
	s_branch .LBB54_134
.LBB54_133:                             ;   in Loop: Header=BB54_134 Depth=2
	s_or_b64 exec, exec, s[6:7]
	s_waitcnt lgkmcnt(0)
	s_barrier
	ds_read_b64 v[30:31], v13 offset:3072
	v_mov_b32_e32 v7, s28
	v_add_co_u32_e64 v4, s[6:7], s33, v4
	v_addc_co_u32_e64 v5, s[6:7], v5, v7, s[6:7]
	s_waitcnt lgkmcnt(0)
	v_cmp_neq_f32_e32 vcc, 0, v30
	v_cmp_ge_i64_e64 s[6:7], v[4:5], v[2:3]
	s_or_b64 s[6:7], vcc, s[6:7]
	s_and_b64 s[6:7], exec, s[6:7]
	s_or_b64 s[0:1], s[6:7], s[0:1]
	s_andn2_b64 s[6:7], s[8:9], exec
	s_and_b64 s[8:9], vcc, exec
	v_add_u32_e32 v6, s65, v6
	s_or_b64 s[8:9], s[6:7], s[8:9]
	s_barrier
	s_andn2_b64 exec, exec, s[0:1]
	s_cbranch_execz .LBB54_139
.LBB54_134:                             ;   Parent Loop BB54_34 Depth=1
                                        ; =>  This Inner Loop Header: Depth=2
	v_cmp_gt_i64_e32 vcc, s[14:15], v[4:5]
	s_waitcnt vmcnt(0)
	v_mov_b32_e32 v29, 0
	s_and_saveexec_b64 s[6:7], vcc
	s_cbranch_execz .LBB54_136
; %bb.135:                              ;   in Loop: Header=BB54_134 Depth=2
	ds_read_b32 v29, v6
.LBB54_136:                             ;   in Loop: Header=BB54_134 Depth=2
	s_or_b64 exec, exec, s[6:7]
	s_and_saveexec_b64 s[6:7], vcc
	s_cbranch_execz .LBB54_133
; %bb.137:                              ;   in Loop: Header=BB54_134 Depth=2
	s_waitcnt lgkmcnt(0)
	v_cmp_lt_i32_e32 vcc, -1, v29
	v_cndmask_b32_e32 v7, -1, v48, vcc
	v_xor_b32_e32 v7, v7, v29
	v_cmp_o_f32_e32 vcc, v29, v29
	v_cndmask_b32_e32 v7, -1, v7, vcc
	v_and_b32_e32 v7, s91, v7
	v_cmp_eq_u32_e32 vcc, s86, v7
	s_and_b64 exec, exec, vcc
	s_cbranch_execz .LBB54_133
; %bb.138:                              ;   in Loop: Header=BB54_134 Depth=2
	ds_write_b64 v13, v[28:29] offset:3072
	s_branch .LBB54_133
.LBB54_139:                             ;   in Loop: Header=BB54_34 Depth=1
	s_or_b64 exec, exec, s[0:1]
	s_and_b64 s[0:1], s[8:9], exec
.LBB54_140:                             ;   in Loop: Header=BB54_34 Depth=1
	s_or_b64 exec, exec, s[2:3]
	s_mov_b64 s[8:9], -1
	s_mov_b64 s[2:3], 0
	s_mov_b64 s[6:7], 0
.LBB54_141:                             ;   in Loop: Header=BB54_34 Depth=1
	s_andn2_b64 s[14:15], s[76:77], exec
	s_and_b64 s[2:3], s[2:3], exec
	s_or_b64 s[76:77], s[14:15], s[2:3]
	s_andn2_b64 s[2:3], s[10:11], exec
	s_and_b64 s[8:9], s[8:9], exec
	s_or_b64 s[10:11], s[2:3], s[8:9]
	;; [unrolled: 3-line block ×3, first 2 shown]
	s_and_saveexec_b64 s[14:15], s[0:1]
	s_cbranch_execz .LBB54_33
; %bb.142:                              ;   in Loop: Header=BB54_34 Depth=1
	s_xor_b64 s[0:1], s[22:23], -1
	s_andn2_b64 vcc, exec, s[0:1]
	s_mov_b32 s47, 1
	s_cbranch_vccnz .LBB54_153
; %bb.143:                              ;   in Loop: Header=BB54_34 Depth=1
	v_pk_mov_b32 v[2:3], s[16:17], s[16:17] op_sel:[0,1]
	v_cmp_gt_i64_e32 vcc, s[58:59], v[2:3]
	s_mov_b64 s[0:1], -1
                                        ; implicit-def: $sgpr47
                                        ; implicit-def: $sgpr2
                                        ; implicit-def: $sgpr3
	s_cbranch_vccnz .LBB54_149
; %bb.144:                              ;   in Loop: Header=BB54_34 Depth=1
	ds_read_b64 v[2:3], v13 offset:5120
	s_waitcnt lgkmcnt(0)
	v_cmp_ne_u64_e32 vcc, 0, v[2:3]
	s_cbranch_vccnz .LBB54_148
; %bb.145:                              ;   in Loop: Header=BB54_34 Depth=1
	s_mov_b64 s[0:1], exec
	v_readlane_b32 s2, v54, 32
	v_readlane_b32 s3, v54, 33
	s_and_b64 s[2:3], s[0:1], s[2:3]
	s_mov_b64 exec, s[2:3]
	s_cbranch_execz .LBB54_147
; %bb.146:                              ;   in Loop: Header=BB54_34 Depth=1
	v_pk_mov_b32 v[2:3], s[16:17], s[16:17] op_sel:[0,1]
	ds_write_b64 v13, v[2:3] offset:5128
.LBB54_147:                             ;   in Loop: Header=BB54_34 Depth=1
	s_or_b64 exec, exec, s[0:1]
	s_waitcnt lgkmcnt(0)
	s_barrier
.LBB54_148:                             ;   in Loop: Header=BB54_34 Depth=1
	s_and_b32 s2, s86, s43
	s_or_b32 s3, s91, s46
	s_mov_b64 s[0:1], 0
	s_mov_b32 s47, 8
.LBB54_149:                             ;   in Loop: Header=BB54_34 Depth=1
	s_andn2_b64 vcc, exec, s[0:1]
	s_cbranch_vccnz .LBB54_151
; %bb.150:                              ;   in Loop: Header=BB54_34 Depth=1
	s_sub_u32 s58, s58, s16
	s_subb_u32 s59, s59, s17
	s_mov_b64 s[0:1], -1
	s_mov_b32 s47, 0
	s_mov_b32 s2, s86
	;; [unrolled: 1-line block ×3, first 2 shown]
.LBB54_151:                             ;   in Loop: Header=BB54_34 Depth=1
	s_mov_b32 s91, s3
	s_mov_b32 s86, s2
	s_mov_b64 s[16:17], -1
	s_and_b64 vcc, exec, s[0:1]
	s_cbranch_vccnz .LBB54_154
.LBB54_152:                             ;   in Loop: Header=BB54_34 Depth=1
	s_mov_b64 s[2:3], -1
                                        ; implicit-def: $sgpr20_sgpr21
                                        ; implicit-def: $sgpr24_sgpr25
                                        ; implicit-def: $sgpr22_sgpr23
	s_and_saveexec_b64 s[0:1], s[2:3]
	s_xor_b64 s[0:1], exec, s[0:1]
	s_cbranch_execz .LBB54_32
	s_branch .LBB54_300
.LBB54_153:                             ;   in Loop: Header=BB54_34 Depth=1
	s_mov_b64 s[58:59], 1
	s_mov_b64 s[16:17], -1
	s_branch .LBB54_152
.LBB54_154:                             ;   in Loop: Header=BB54_34 Depth=1
	s_cmp_eq_u64 s[30:31], 1
	s_cselect_b64 s[0:1], -1, 0
	s_cmp_eq_u64 s[58:59], 1
	s_cselect_b64 s[2:3], -1, 0
	s_and_b64 s[34:35], s[0:1], s[2:3]
	s_mov_b64 s[0:1], -1
	s_and_b64 vcc, exec, s[34:35]
	s_cbranch_vccz .LBB54_169
; %bb.155:                              ;   in Loop: Header=BB54_34 Depth=1
	ds_read_b64 v[2:3], v13 offset:5120
	s_waitcnt lgkmcnt(0)
	s_barrier
	v_readfirstlane_b32 s26, v2
	v_readfirstlane_b32 s27, v3
	s_mov_b64 s[0:1], exec
	v_readlane_b32 s2, v54, 36
	v_readlane_b32 s3, v54, 37
	s_and_b64 s[2:3], s[0:1], s[2:3]
	s_mov_b64 exec, s[2:3]
	s_cbranch_execz .LBB54_157
; %bb.156:                              ;   in Loop: Header=BB54_34 Depth=1
	ds_write_b32 v41, v13
.LBB54_157:                             ;   in Loop: Header=BB54_34 Depth=1
	s_or_b64 exec, exec, s[0:1]
	s_lshl_b32 s0, 1, s42
	s_and_b32 s1, s86, s43
	s_or_b32 s86, s1, s0
	v_cmp_gt_i64_e64 s[0:1], s[26:27], 0
	s_or_b32 s91, s91, s46
	s_and_b64 vcc, exec, s[0:1]
	s_waitcnt lgkmcnt(0)
	s_barrier
	s_cbranch_vccnz .LBB54_172
; %bb.158:                              ;   in Loop: Header=BB54_34 Depth=1
	s_mov_b32 s72, s95
	s_cmp_lg_u64 s[72:73], 0
	s_cbranch_scc0 .LBB54_217
; %bb.159:                              ;   in Loop: Header=BB54_34 Depth=1
	v_cvt_f32_u32_e32 v2, s33
	s_sub_u32 s0, 0, s33
	s_subb_u32 s1, 0, 0
	v_mac_f32_e32 v2, 0x4f800000, v49
	v_rcp_f32_e32 v2, v2
	v_mul_f32_e32 v2, 0x5f7ffffc, v2
	v_mul_f32_e32 v3, 0x2f800000, v2
	v_trunc_f32_e32 v3, v3
	v_mac_f32_e32 v2, 0xcf800000, v3
	v_cvt_u32_f32_e32 v3, v3
	v_cvt_u32_f32_e32 v2, v2
	v_readfirstlane_b32 s2, v3
	v_readfirstlane_b32 s3, v2
	s_mul_i32 s6, s0, s2
	s_mul_hi_u32 s8, s0, s3
	s_mul_i32 s7, s1, s3
	s_add_i32 s6, s8, s6
	s_mul_i32 s9, s0, s3
	s_add_i32 s6, s6, s7
	s_mul_hi_u32 s8, s3, s9
	s_mul_hi_u32 s7, s3, s6
	s_mul_i32 s3, s3, s6
	s_add_u32 s3, s8, s3
	s_addc_u32 s7, 0, s7
	s_mul_hi_u32 s20, s2, s9
	s_mul_i32 s9, s2, s9
	s_add_u32 s3, s3, s9
	s_mul_hi_u32 s8, s2, s6
	s_addc_u32 s3, s7, s20
	s_addc_u32 s7, s8, 0
	s_mul_i32 s6, s2, s6
	s_add_u32 s3, s3, s6
	s_addc_u32 s6, 0, s7
	v_add_co_u32_e32 v2, vcc, s3, v2
	s_cmp_lg_u64 vcc, 0
	s_addc_u32 s2, s2, s6
	v_readfirstlane_b32 s6, v2
	s_mul_i32 s3, s0, s2
	s_mul_hi_u32 s7, s0, s6
	s_add_i32 s3, s7, s3
	s_mul_i32 s1, s1, s6
	s_add_i32 s3, s3, s1
	s_mul_i32 s0, s0, s6
	s_mul_hi_u32 s7, s2, s0
	s_mul_i32 s8, s2, s0
	s_mul_i32 s20, s6, s3
	s_mul_hi_u32 s0, s6, s0
	s_mul_hi_u32 s9, s6, s3
	s_add_u32 s0, s0, s20
	s_addc_u32 s6, 0, s9
	s_add_u32 s0, s0, s8
	s_mul_hi_u32 s1, s2, s3
	s_addc_u32 s0, s6, s7
	s_addc_u32 s1, s1, 0
	s_mul_i32 s3, s2, s3
	s_add_u32 s0, s0, s3
	s_addc_u32 s1, 0, s1
	v_add_co_u32_e32 v2, vcc, s0, v2
	s_cmp_lg_u64 vcc, 0
	s_addc_u32 s6, s2, s1
	s_ashr_i32 s0, s73, 31
	s_add_u32 s2, s87, s0
	s_mov_b32 s1, s0
	s_addc_u32 s3, s73, s0
	s_xor_b64 s[2:3], s[2:3], s[0:1]
	v_readfirstlane_b32 s8, v2
	s_mul_i32 s7, s2, s6
	s_mul_hi_u32 s9, s2, s8
	s_mul_hi_u32 s1, s2, s6
	s_add_u32 s7, s9, s7
	s_addc_u32 s1, 0, s1
	s_mul_hi_u32 s20, s3, s8
	s_mul_i32 s8, s3, s8
	s_add_u32 s7, s7, s8
	s_mul_hi_u32 s9, s3, s6
	s_addc_u32 s1, s1, s20
	s_addc_u32 s7, s9, 0
	s_mul_i32 s6, s3, s6
	s_add_u32 s1, s1, s6
	s_addc_u32 s6, 0, s7
	s_mul_hi_u32 s7, s33, s1
	s_mul_i32 s1, s33, s1
	s_mul_i32 s6, s33, s6
	v_mov_b32_e32 v2, s1
	s_add_i32 s7, s7, s6
	v_sub_co_u32_e32 v2, vcc, s2, v2
	s_cmp_lg_u64 vcc, 0
	s_subb_u32 s1, s3, s7
	v_subrev_co_u32_e32 v3, vcc, s33, v2
	s_cmp_lg_u64 vcc, 0
	s_subb_u32 s2, s1, 0
	v_subrev_co_u32_e32 v4, vcc, s33, v3
	s_cmp_lg_u64 vcc, 0
	s_subb_u32 s3, s2, 0
	v_cmp_le_u32_e32 vcc, s33, v3
	s_cmp_eq_u32 s2, 0
	v_cndmask_b32_e64 v5, 0, -1, vcc
	s_cselect_b64 vcc, -1, 0
	v_cndmask_b32_e32 v5, -1, v5, vcc
	v_mov_b32_e32 v6, s2
	v_mov_b32_e32 v7, s3
	v_cmp_ne_u32_e32 vcc, 0, v5
	v_cndmask_b32_e32 v5, v6, v7, vcc
	v_cndmask_b32_e32 v3, v3, v4, vcc
	v_cmp_le_u32_e32 vcc, s33, v2
	s_cmp_eq_u32 s1, 0
	v_cndmask_b32_e64 v4, 0, -1, vcc
	s_cselect_b64 vcc, -1, 0
	v_cndmask_b32_e32 v4, -1, v4, vcc
	v_cmp_ne_u32_e32 vcc, 0, v4
	v_mov_b32_e32 v6, s1
	v_cndmask_b32_e32 v2, v2, v3, vcc
	v_cndmask_b32_e32 v4, v6, v5, vcc
	v_xor_b32_e32 v2, s0, v2
	v_xor_b32_e32 v3, s0, v4
	v_mov_b32_e32 v4, s0
	v_subrev_co_u32_e32 v2, vcc, s0, v2
	v_subb_co_u32_e32 v3, vcc, v3, v4, vcc
	s_cbranch_execnz .LBB54_161
.LBB54_160:                             ;   in Loop: Header=BB54_34 Depth=1
	v_cvt_f32_u32_e32 v2, s33
	s_sub_i32 s0, 0, s33
	v_rcp_iflag_f32_e32 v2, v2
	v_mul_f32_e32 v2, 0x4f7ffffe, v2
	v_cvt_u32_f32_e32 v2, v2
	v_mul_lo_u32 v3, s0, v2
	v_mul_hi_u32 v3, v2, v3
	v_add_u32_e32 v2, v2, v3
	s_mov_b32 s0, s87
	v_mul_hi_u32 v2, s0, v2
	v_mul_lo_u32 v2, v2, s33
	v_sub_u32_e32 v2, s0, v2
	v_subrev_u32_e32 v3, s33, v2
	v_cmp_le_u32_e32 vcc, s33, v2
	v_cndmask_b32_e32 v2, v2, v3, vcc
	v_subrev_u32_e32 v3, s33, v2
	v_cmp_le_u32_e32 vcc, s33, v2
	v_cndmask_b32_e32 v12, v2, v3, vcc
	v_pk_mov_b32 v[2:3], v[12:13], v[12:13] op_sel:[0,1]
.LBB54_161:                             ;   in Loop: Header=BB54_34 Depth=1
	v_mov_b32_e32 v4, s73
	v_sub_co_u32_e32 v2, vcc, s87, v2
	v_subb_co_u32_e32 v3, vcc, v4, v3, vcc
	v_cmp_gt_i64_e32 vcc, v[2:3], v[0:1]
	s_mov_b64 s[0:1], 0
                                        ; implicit-def: $vgpr31
	s_and_saveexec_b64 s[2:3], vcc
	s_cbranch_execz .LBB54_174
; %bb.162:                              ;   in Loop: Header=BB54_34 Depth=1
	v_pk_mov_b32 v[4:5], v[10:11], v[10:11] op_sel:[0,1]
	v_pk_mov_b32 v[6:7], v[0:1], v[0:1] op_sel:[0,1]
                                        ; implicit-def: $sgpr8_sgpr9
	s_branch .LBB54_164
.LBB54_163:                             ;   in Loop: Header=BB54_164 Depth=2
	s_or_b64 exec, exec, s[6:7]
	s_waitcnt lgkmcnt(0)
	s_barrier
	ds_read_b64 v[30:31], v13 offset:3072
	v_mov_b32_e32 v8, s28
	v_add_co_u32_e64 v6, s[6:7], s33, v6
	v_addc_co_u32_e64 v7, s[6:7], v7, v8, s[6:7]
	s_waitcnt lgkmcnt(0)
	v_cmp_neq_f32_e32 vcc, 0, v30
	v_cmp_ge_i64_e64 s[6:7], v[6:7], v[2:3]
	s_or_b64 s[20:21], vcc, s[6:7]
	v_mov_b32_e32 v8, s89
	v_add_co_u32_e64 v4, s[6:7], s88, v4
	v_addc_co_u32_e64 v5, s[6:7], v5, v8, s[6:7]
	s_and_b64 s[6:7], exec, s[20:21]
	s_or_b64 s[0:1], s[6:7], s[0:1]
	s_andn2_b64 s[6:7], s[8:9], exec
	s_and_b64 s[8:9], vcc, exec
	s_or_b64 s[8:9], s[6:7], s[8:9]
	s_barrier
	s_andn2_b64 exec, exec, s[0:1]
	s_cbranch_execz .LBB54_173
.LBB54_164:                             ;   Parent Loop BB54_34 Depth=1
                                        ; =>  This Inner Loop Header: Depth=2
	v_cmp_gt_i64_e32 vcc, s[56:57], v[6:7]
	s_waitcnt vmcnt(0)
	v_mov_b32_e32 v29, 0
	s_and_saveexec_b64 s[6:7], vcc
	s_cbranch_execz .LBB54_166
; %bb.165:                              ;   in Loop: Header=BB54_164 Depth=2
	global_load_dword v29, v[4:5], off
.LBB54_166:                             ;   in Loop: Header=BB54_164 Depth=2
	s_or_b64 exec, exec, s[6:7]
	s_and_saveexec_b64 s[6:7], vcc
	s_cbranch_execz .LBB54_163
; %bb.167:                              ;   in Loop: Header=BB54_164 Depth=2
	s_waitcnt vmcnt(0)
	v_cmp_lt_i32_e32 vcc, -1, v29
	v_cndmask_b32_e32 v8, -1, v48, vcc
	v_xor_b32_e32 v8, v8, v29
	v_cmp_o_f32_e32 vcc, v29, v29
	v_cndmask_b32_e32 v8, -1, v8, vcc
	v_and_b32_e32 v8, s91, v8
	v_cmp_eq_u32_e32 vcc, s86, v8
	s_and_b64 exec, exec, vcc
	s_cbranch_execz .LBB54_163
; %bb.168:                              ;   in Loop: Header=BB54_164 Depth=2
	ds_write_b64 v13, v[28:29] offset:3072
	s_branch .LBB54_163
.LBB54_169:                             ;   in Loop: Header=BB54_34 Depth=1
                                        ; implicit-def: $sgpr22_sgpr23
                                        ; implicit-def: $sgpr24_sgpr25
                                        ; implicit-def: $sgpr20_sgpr21
	s_branch .LBB54_188
.LBB54_170:                             ;   in Loop: Header=BB54_34 Depth=1
                                        ; implicit-def: $vgpr2_vgpr3
	s_branch .LBB54_115
.LBB54_171:                             ;   in Loop: Header=BB54_34 Depth=1
                                        ; implicit-def: $vgpr2_vgpr3
	s_branch .LBB54_130
.LBB54_172:                             ;   in Loop: Header=BB54_34 Depth=1
	s_mov_b64 s[22:23], -1
	s_mov_b64 s[0:1], 0
                                        ; implicit-def: $sgpr20_sgpr21
                                        ; implicit-def: $vgpr31
	s_mov_b64 s[24:25], s[22:23]
	s_cbranch_execnz .LBB54_175
	s_branch .LBB54_188
.LBB54_173:                             ;   in Loop: Header=BB54_34 Depth=1
	s_or_b64 exec, exec, s[0:1]
	s_and_b64 s[0:1], s[8:9], exec
.LBB54_174:                             ;   in Loop: Header=BB54_34 Depth=1
	s_or_b64 exec, exec, s[2:3]
	s_mov_b64 s[20:21], -1
	s_mov_b64 s[22:23], 0
	s_mov_b64 s[24:25], s[22:23]
	s_branch .LBB54_188
.LBB54_175:                             ;   in Loop: Header=BB54_34 Depth=1
	v_readlane_b32 s0, v54, 48
	s_add_u32 s6, s0, s26
	v_readlane_b32 s0, v54, 49
	s_addc_u32 s1, s0, s27
	s_mov_b32 s0, s95
	s_cmp_lg_u64 s[0:1], 0
	s_cbranch_scc0 .LBB54_218
; %bb.176:                              ;   in Loop: Header=BB54_34 Depth=1
	v_cvt_f32_u32_e32 v2, s33
	s_sub_u32 s0, 0, s33
	s_subb_u32 s2, 0, 0
	v_mac_f32_e32 v2, 0x4f800000, v49
	v_rcp_f32_e32 v2, v2
	v_mul_f32_e32 v2, 0x5f7ffffc, v2
	v_mul_f32_e32 v3, 0x2f800000, v2
	v_trunc_f32_e32 v3, v3
	v_mac_f32_e32 v2, 0xcf800000, v3
	v_cvt_u32_f32_e32 v3, v3
	v_cvt_u32_f32_e32 v2, v2
	v_readfirstlane_b32 s3, v3
	v_readfirstlane_b32 s7, v2
	s_mul_i32 s8, s0, s3
	s_mul_hi_u32 s20, s0, s7
	s_mul_i32 s9, s2, s7
	s_add_i32 s8, s20, s8
	s_mul_i32 s21, s0, s7
	s_add_i32 s8, s8, s9
	s_mul_hi_u32 s20, s7, s21
	s_mul_hi_u32 s9, s7, s8
	s_mul_i32 s7, s7, s8
	s_add_u32 s7, s20, s7
	s_addc_u32 s9, 0, s9
	s_mul_hi_u32 s22, s3, s21
	s_mul_i32 s21, s3, s21
	s_add_u32 s7, s7, s21
	s_mul_hi_u32 s20, s3, s8
	s_addc_u32 s7, s9, s22
	s_addc_u32 s9, s20, 0
	s_mul_i32 s8, s3, s8
	s_add_u32 s7, s7, s8
	s_addc_u32 s8, 0, s9
	v_add_co_u32_e32 v2, vcc, s7, v2
	s_cmp_lg_u64 vcc, 0
	s_addc_u32 s3, s3, s8
	v_readfirstlane_b32 s8, v2
	s_mul_i32 s7, s0, s3
	s_mul_hi_u32 s9, s0, s8
	s_add_i32 s7, s9, s7
	s_mul_i32 s2, s2, s8
	s_add_i32 s7, s7, s2
	s_mul_i32 s0, s0, s8
	s_mul_hi_u32 s9, s3, s0
	s_mul_i32 s20, s3, s0
	s_mul_i32 s22, s8, s7
	s_mul_hi_u32 s0, s8, s0
	s_mul_hi_u32 s21, s8, s7
	s_add_u32 s0, s0, s22
	s_addc_u32 s8, 0, s21
	s_add_u32 s0, s0, s20
	s_mul_hi_u32 s2, s3, s7
	s_addc_u32 s0, s8, s9
	s_addc_u32 s2, s2, 0
	s_mul_i32 s7, s3, s7
	s_add_u32 s0, s0, s7
	s_addc_u32 s2, 0, s2
	v_add_co_u32_e32 v2, vcc, s0, v2
	s_cmp_lg_u64 vcc, 0
	s_addc_u32 s0, s3, s2
	s_ashr_i32 s2, s1, 31
	s_add_u32 s8, s6, s2
	s_mov_b32 s3, s2
	s_addc_u32 s9, s1, s2
	s_xor_b64 s[8:9], s[8:9], s[2:3]
	v_readfirstlane_b32 s20, v2
	s_mul_i32 s7, s8, s0
	s_mul_hi_u32 s21, s8, s20
	s_mul_hi_u32 s3, s8, s0
	s_add_u32 s7, s21, s7
	s_addc_u32 s3, 0, s3
	s_mul_hi_u32 s22, s9, s20
	s_mul_i32 s20, s9, s20
	s_add_u32 s7, s7, s20
	s_mul_hi_u32 s21, s9, s0
	s_addc_u32 s3, s3, s22
	s_addc_u32 s7, s21, 0
	s_mul_i32 s0, s9, s0
	s_add_u32 s0, s3, s0
	s_addc_u32 s3, 0, s7
	s_mul_hi_u32 s7, s33, s0
	s_mul_i32 s0, s33, s0
	s_mul_i32 s3, s33, s3
	v_mov_b32_e32 v2, s0
	s_add_i32 s7, s7, s3
	v_sub_co_u32_e32 v2, vcc, s8, v2
	s_cmp_lg_u64 vcc, 0
	s_subb_u32 s0, s9, s7
	v_subrev_co_u32_e32 v3, vcc, s33, v2
	s_cmp_lg_u64 vcc, 0
	s_subb_u32 s3, s0, 0
	v_subrev_co_u32_e32 v4, vcc, s33, v3
	s_cmp_lg_u64 vcc, 0
	s_subb_u32 s7, s3, 0
	v_cmp_le_u32_e32 vcc, s33, v3
	s_cmp_eq_u32 s3, 0
	v_cndmask_b32_e64 v5, 0, -1, vcc
	s_cselect_b64 vcc, -1, 0
	v_cndmask_b32_e32 v5, -1, v5, vcc
	v_mov_b32_e32 v6, s3
	v_mov_b32_e32 v7, s7
	v_cmp_ne_u32_e32 vcc, 0, v5
	v_cndmask_b32_e32 v5, v6, v7, vcc
	v_cndmask_b32_e32 v3, v3, v4, vcc
	v_cmp_le_u32_e32 vcc, s33, v2
	s_cmp_eq_u32 s0, 0
	v_cndmask_b32_e64 v4, 0, -1, vcc
	s_cselect_b64 vcc, -1, 0
	v_cndmask_b32_e32 v4, -1, v4, vcc
	v_cmp_ne_u32_e32 vcc, 0, v4
	v_mov_b32_e32 v6, s0
	v_cndmask_b32_e32 v2, v2, v3, vcc
	v_cndmask_b32_e32 v4, v6, v5, vcc
	v_xor_b32_e32 v2, s2, v2
	v_xor_b32_e32 v3, s2, v4
	v_mov_b32_e32 v4, s2
	v_subrev_co_u32_e32 v2, vcc, s2, v2
	v_subb_co_u32_e32 v3, vcc, v3, v4, vcc
	s_cbranch_execnz .LBB54_178
.LBB54_177:                             ;   in Loop: Header=BB54_34 Depth=1
	v_cvt_f32_u32_e32 v2, s33
	s_sub_i32 s0, 0, s33
	v_rcp_iflag_f32_e32 v2, v2
	v_mul_f32_e32 v2, 0x4f7ffffe, v2
	v_cvt_u32_f32_e32 v2, v2
	v_mul_lo_u32 v3, s0, v2
	v_mul_hi_u32 v3, v2, v3
	v_add_u32_e32 v2, v2, v3
	v_mul_hi_u32 v2, s6, v2
	v_mul_lo_u32 v2, v2, s33
	v_sub_u32_e32 v2, s6, v2
	v_subrev_u32_e32 v3, s33, v2
	v_cmp_le_u32_e32 vcc, s33, v2
	v_cndmask_b32_e32 v2, v2, v3, vcc
	v_subrev_u32_e32 v3, s33, v2
	v_cmp_le_u32_e32 vcc, s33, v2
	v_cndmask_b32_e32 v12, v2, v3, vcc
	v_pk_mov_b32 v[2:3], v[12:13], v[12:13] op_sel:[0,1]
.LBB54_178:                             ;   in Loop: Header=BB54_34 Depth=1
	v_mov_b32_e32 v4, s1
	v_sub_co_u32_e32 v2, vcc, s6, v2
	v_subb_co_u32_e32 v3, vcc, v4, v3, vcc
	v_cmp_gt_i64_e32 vcc, v[2:3], v[0:1]
	s_mov_b64 s[0:1], 0
                                        ; implicit-def: $vgpr31
	s_and_saveexec_b64 s[2:3], vcc
	s_cbranch_execz .LBB54_187
; %bb.179:                              ;   in Loop: Header=BB54_34 Depth=1
	v_mov_b32_e32 v6, v14
	v_pk_mov_b32 v[4:5], v[0:1], v[0:1] op_sel:[0,1]
                                        ; implicit-def: $sgpr8_sgpr9
	s_branch .LBB54_181
.LBB54_180:                             ;   in Loop: Header=BB54_181 Depth=2
	s_or_b64 exec, exec, s[6:7]
	s_waitcnt lgkmcnt(0)
	s_barrier
	ds_read_b64 v[30:31], v13 offset:3072
	v_mov_b32_e32 v7, s28
	v_add_co_u32_e64 v4, s[6:7], s33, v4
	v_addc_co_u32_e64 v5, s[6:7], v5, v7, s[6:7]
	s_waitcnt lgkmcnt(0)
	v_cmp_neq_f32_e32 vcc, 0, v30
	v_cmp_ge_i64_e64 s[6:7], v[4:5], v[2:3]
	s_or_b64 s[6:7], vcc, s[6:7]
	s_and_b64 s[6:7], exec, s[6:7]
	s_or_b64 s[0:1], s[6:7], s[0:1]
	s_andn2_b64 s[6:7], s[8:9], exec
	s_and_b64 s[8:9], vcc, exec
	v_add_u32_e32 v6, s65, v6
	s_or_b64 s[8:9], s[6:7], s[8:9]
	s_barrier
	s_andn2_b64 exec, exec, s[0:1]
	s_cbranch_execz .LBB54_186
.LBB54_181:                             ;   Parent Loop BB54_34 Depth=1
                                        ; =>  This Inner Loop Header: Depth=2
	v_cmp_gt_i64_e32 vcc, s[26:27], v[4:5]
	s_waitcnt vmcnt(0)
	v_mov_b32_e32 v29, 0
	s_and_saveexec_b64 s[6:7], vcc
	s_cbranch_execz .LBB54_183
; %bb.182:                              ;   in Loop: Header=BB54_181 Depth=2
	ds_read_b32 v29, v6
.LBB54_183:                             ;   in Loop: Header=BB54_181 Depth=2
	s_or_b64 exec, exec, s[6:7]
	s_and_saveexec_b64 s[6:7], vcc
	s_cbranch_execz .LBB54_180
; %bb.184:                              ;   in Loop: Header=BB54_181 Depth=2
	s_waitcnt lgkmcnt(0)
	v_cmp_lt_i32_e32 vcc, -1, v29
	v_cndmask_b32_e32 v7, -1, v48, vcc
	v_xor_b32_e32 v7, v7, v29
	v_cmp_o_f32_e32 vcc, v29, v29
	v_cndmask_b32_e32 v7, -1, v7, vcc
	v_and_b32_e32 v7, s91, v7
	v_cmp_eq_u32_e32 vcc, s86, v7
	s_and_b64 exec, exec, vcc
	s_cbranch_execz .LBB54_180
; %bb.185:                              ;   in Loop: Header=BB54_181 Depth=2
	ds_write_b64 v13, v[28:29] offset:3072
	s_branch .LBB54_180
.LBB54_186:                             ;   in Loop: Header=BB54_34 Depth=1
	s_or_b64 exec, exec, s[0:1]
	s_and_b64 s[0:1], s[8:9], exec
.LBB54_187:                             ;   in Loop: Header=BB54_34 Depth=1
	s_or_b64 exec, exec, s[2:3]
	s_mov_b64 s[24:25], -1
	s_mov_b64 s[22:23], 0
	s_mov_b64 s[20:21], 0
.LBB54_188:                             ;   in Loop: Header=BB54_34 Depth=1
	s_mov_b64 s[2:3], 0
                                        ; implicit-def: $sgpr47
	s_and_saveexec_b64 s[26:27], s[0:1]
	s_cbranch_execz .LBB54_299
; %bb.189:                              ;   in Loop: Header=BB54_34 Depth=1
	s_xor_b64 s[0:1], s[34:35], -1
	s_andn2_b64 vcc, exec, s[0:1]
	s_mov_b32 s47, 1
	s_cbranch_vccnz .LBB54_200
; %bb.190:                              ;   in Loop: Header=BB54_34 Depth=1
	v_pk_mov_b32 v[2:3], s[30:31], s[30:31] op_sel:[0,1]
	v_cmp_gt_i64_e32 vcc, s[58:59], v[2:3]
	s_mov_b64 s[0:1], -1
                                        ; implicit-def: $sgpr47
                                        ; implicit-def: $sgpr2
                                        ; implicit-def: $sgpr3
	s_cbranch_vccnz .LBB54_196
; %bb.191:                              ;   in Loop: Header=BB54_34 Depth=1
	ds_read_b64 v[2:3], v13 offset:5120
	s_waitcnt lgkmcnt(0)
	v_cmp_ne_u64_e32 vcc, 0, v[2:3]
	s_cbranch_vccnz .LBB54_195
; %bb.192:                              ;   in Loop: Header=BB54_34 Depth=1
	s_mov_b64 s[0:1], exec
	v_readlane_b32 s2, v54, 32
	v_readlane_b32 s3, v54, 33
	s_and_b64 s[2:3], s[0:1], s[2:3]
	s_mov_b64 exec, s[2:3]
	s_cbranch_execz .LBB54_194
; %bb.193:                              ;   in Loop: Header=BB54_34 Depth=1
	v_pk_mov_b32 v[2:3], s[30:31], s[30:31] op_sel:[0,1]
	ds_write_b64 v13, v[2:3] offset:5128
.LBB54_194:                             ;   in Loop: Header=BB54_34 Depth=1
	s_or_b64 exec, exec, s[0:1]
	s_waitcnt lgkmcnt(0)
	s_barrier
.LBB54_195:                             ;   in Loop: Header=BB54_34 Depth=1
	s_lshl_b32 s0, 1, s42
	s_and_b32 s1, s86, s43
	s_or_b32 s2, s1, s0
	s_or_b32 s3, s91, s46
	s_mov_b64 s[0:1], 0
	s_mov_b32 s47, 8
.LBB54_196:                             ;   in Loop: Header=BB54_34 Depth=1
	s_andn2_b64 vcc, exec, s[0:1]
	s_cbranch_vccnz .LBB54_198
; %bb.197:                              ;   in Loop: Header=BB54_34 Depth=1
	s_sub_u32 s58, s58, s30
	s_subb_u32 s59, s59, s31
	s_mov_b64 s[0:1], -1
	s_mov_b32 s47, 0
	s_mov_b32 s2, s86
	;; [unrolled: 1-line block ×3, first 2 shown]
.LBB54_198:                             ;   in Loop: Header=BB54_34 Depth=1
	s_mov_b32 s91, s3
	s_mov_b32 s86, s2
	s_andn2_b64 vcc, exec, s[0:1]
	s_mov_b64 s[2:3], -1
	s_cbranch_vccz .LBB54_201
.LBB54_199:                             ;   in Loop: Header=BB54_34 Depth=1
                                        ; implicit-def: $sgpr34_sgpr35
                                        ; implicit-def: $sgpr36_sgpr37
                                        ; implicit-def: $sgpr30_sgpr31
	s_branch .LBB54_298
.LBB54_200:                             ;   in Loop: Header=BB54_34 Depth=1
	s_mov_b64 s[58:59], 1
	s_mov_b64 s[2:3], -1
	s_cbranch_execnz .LBB54_199
.LBB54_201:                             ;   in Loop: Header=BB54_34 Depth=1
	s_cmp_eq_u64 s[18:19], 1
	s_cselect_b64 s[0:1], -1, 0
	s_cmp_eq_u64 s[58:59], 1
	s_cselect_b64 s[2:3], -1, 0
	s_and_b64 s[40:41], s[0:1], s[2:3]
	s_mov_b64 s[0:1], -1
	s_and_b64 vcc, exec, s[40:41]
	s_cbranch_vccz .LBB54_216
; %bb.202:                              ;   in Loop: Header=BB54_34 Depth=1
	ds_read_b64 v[2:3], v13 offset:5120
	s_waitcnt lgkmcnt(0)
	s_barrier
	v_readfirstlane_b32 s38, v2
	v_readfirstlane_b32 s39, v3
	s_mov_b64 s[0:1], exec
	v_readlane_b32 s2, v54, 36
	v_readlane_b32 s3, v54, 37
	s_and_b64 s[2:3], s[0:1], s[2:3]
	s_mov_b64 exec, s[2:3]
	s_cbranch_execz .LBB54_204
; %bb.203:                              ;   in Loop: Header=BB54_34 Depth=1
	ds_write_b32 v41, v13
.LBB54_204:                             ;   in Loop: Header=BB54_34 Depth=1
	s_or_b64 exec, exec, s[0:1]
	s_lshl_b32 s0, 2, s42
	s_and_b32 s1, s86, s43
	s_or_b32 s86, s1, s0
	v_cmp_gt_i64_e64 s[0:1], s[38:39], 0
	s_or_b32 s91, s91, s46
	s_and_b64 vcc, exec, s[0:1]
	s_waitcnt lgkmcnt(0)
	s_barrier
	s_cbranch_vccnz .LBB54_219
; %bb.205:                              ;   in Loop: Header=BB54_34 Depth=1
	s_mov_b32 s72, s95
	s_cmp_lg_u64 s[72:73], 0
	s_cbranch_scc0 .LBB54_264
; %bb.206:                              ;   in Loop: Header=BB54_34 Depth=1
	v_cvt_f32_u32_e32 v2, s33
	s_sub_u32 s0, 0, s33
	s_subb_u32 s1, 0, 0
	v_mac_f32_e32 v2, 0x4f800000, v49
	v_rcp_f32_e32 v2, v2
	v_mul_f32_e32 v2, 0x5f7ffffc, v2
	v_mul_f32_e32 v3, 0x2f800000, v2
	v_trunc_f32_e32 v3, v3
	v_mac_f32_e32 v2, 0xcf800000, v3
	v_cvt_u32_f32_e32 v3, v3
	v_cvt_u32_f32_e32 v2, v2
	v_readfirstlane_b32 s2, v3
	v_readfirstlane_b32 s3, v2
	s_mul_i32 s6, s0, s2
	s_mul_hi_u32 s8, s0, s3
	s_mul_i32 s7, s1, s3
	s_add_i32 s6, s8, s6
	s_mul_i32 s9, s0, s3
	s_add_i32 s6, s6, s7
	s_mul_hi_u32 s8, s3, s9
	s_mul_hi_u32 s7, s3, s6
	s_mul_i32 s3, s3, s6
	s_add_u32 s3, s8, s3
	s_addc_u32 s7, 0, s7
	s_mul_hi_u32 s30, s2, s9
	s_mul_i32 s9, s2, s9
	s_add_u32 s3, s3, s9
	s_mul_hi_u32 s8, s2, s6
	s_addc_u32 s3, s7, s30
	s_addc_u32 s7, s8, 0
	s_mul_i32 s6, s2, s6
	s_add_u32 s3, s3, s6
	s_addc_u32 s6, 0, s7
	v_add_co_u32_e32 v2, vcc, s3, v2
	s_cmp_lg_u64 vcc, 0
	s_addc_u32 s2, s2, s6
	v_readfirstlane_b32 s6, v2
	s_mul_i32 s3, s0, s2
	s_mul_hi_u32 s7, s0, s6
	s_add_i32 s3, s7, s3
	s_mul_i32 s1, s1, s6
	s_add_i32 s3, s3, s1
	s_mul_i32 s0, s0, s6
	s_mul_hi_u32 s7, s2, s0
	s_mul_i32 s8, s2, s0
	s_mul_i32 s30, s6, s3
	s_mul_hi_u32 s0, s6, s0
	s_mul_hi_u32 s9, s6, s3
	s_add_u32 s0, s0, s30
	s_addc_u32 s6, 0, s9
	s_add_u32 s0, s0, s8
	s_mul_hi_u32 s1, s2, s3
	s_addc_u32 s0, s6, s7
	s_addc_u32 s1, s1, 0
	s_mul_i32 s3, s2, s3
	s_add_u32 s0, s0, s3
	s_addc_u32 s1, 0, s1
	v_add_co_u32_e32 v2, vcc, s0, v2
	s_cmp_lg_u64 vcc, 0
	s_addc_u32 s6, s2, s1
	s_ashr_i32 s0, s73, 31
	s_add_u32 s2, s87, s0
	s_mov_b32 s1, s0
	s_addc_u32 s3, s73, s0
	s_xor_b64 s[2:3], s[2:3], s[0:1]
	v_readfirstlane_b32 s8, v2
	s_mul_i32 s7, s2, s6
	s_mul_hi_u32 s9, s2, s8
	s_mul_hi_u32 s1, s2, s6
	s_add_u32 s7, s9, s7
	s_addc_u32 s1, 0, s1
	s_mul_hi_u32 s30, s3, s8
	s_mul_i32 s8, s3, s8
	s_add_u32 s7, s7, s8
	s_mul_hi_u32 s9, s3, s6
	s_addc_u32 s1, s1, s30
	s_addc_u32 s7, s9, 0
	s_mul_i32 s6, s3, s6
	s_add_u32 s1, s1, s6
	s_addc_u32 s6, 0, s7
	s_mul_hi_u32 s7, s33, s1
	s_mul_i32 s1, s33, s1
	s_mul_i32 s6, s33, s6
	v_mov_b32_e32 v2, s1
	s_add_i32 s7, s7, s6
	v_sub_co_u32_e32 v2, vcc, s2, v2
	s_cmp_lg_u64 vcc, 0
	s_subb_u32 s1, s3, s7
	v_subrev_co_u32_e32 v3, vcc, s33, v2
	s_cmp_lg_u64 vcc, 0
	s_subb_u32 s2, s1, 0
	v_subrev_co_u32_e32 v4, vcc, s33, v3
	s_cmp_lg_u64 vcc, 0
	s_subb_u32 s3, s2, 0
	v_cmp_le_u32_e32 vcc, s33, v3
	s_cmp_eq_u32 s2, 0
	v_cndmask_b32_e64 v5, 0, -1, vcc
	s_cselect_b64 vcc, -1, 0
	v_cndmask_b32_e32 v5, -1, v5, vcc
	v_mov_b32_e32 v6, s2
	v_mov_b32_e32 v7, s3
	v_cmp_ne_u32_e32 vcc, 0, v5
	v_cndmask_b32_e32 v5, v6, v7, vcc
	v_cndmask_b32_e32 v3, v3, v4, vcc
	v_cmp_le_u32_e32 vcc, s33, v2
	s_cmp_eq_u32 s1, 0
	v_cndmask_b32_e64 v4, 0, -1, vcc
	s_cselect_b64 vcc, -1, 0
	v_cndmask_b32_e32 v4, -1, v4, vcc
	v_cmp_ne_u32_e32 vcc, 0, v4
	v_mov_b32_e32 v6, s1
	v_cndmask_b32_e32 v2, v2, v3, vcc
	v_cndmask_b32_e32 v4, v6, v5, vcc
	v_xor_b32_e32 v2, s0, v2
	v_xor_b32_e32 v3, s0, v4
	v_mov_b32_e32 v4, s0
	v_subrev_co_u32_e32 v2, vcc, s0, v2
	v_subb_co_u32_e32 v3, vcc, v3, v4, vcc
	s_cbranch_execnz .LBB54_208
.LBB54_207:                             ;   in Loop: Header=BB54_34 Depth=1
	v_cvt_f32_u32_e32 v2, s33
	s_sub_i32 s0, 0, s33
	v_rcp_iflag_f32_e32 v2, v2
	v_mul_f32_e32 v2, 0x4f7ffffe, v2
	v_cvt_u32_f32_e32 v2, v2
	v_mul_lo_u32 v3, s0, v2
	v_mul_hi_u32 v3, v2, v3
	v_add_u32_e32 v2, v2, v3
	s_mov_b32 s0, s87
	v_mul_hi_u32 v2, s0, v2
	v_mul_lo_u32 v2, v2, s33
	v_sub_u32_e32 v2, s0, v2
	v_subrev_u32_e32 v3, s33, v2
	v_cmp_le_u32_e32 vcc, s33, v2
	v_cndmask_b32_e32 v2, v2, v3, vcc
	v_subrev_u32_e32 v3, s33, v2
	v_cmp_le_u32_e32 vcc, s33, v2
	v_cndmask_b32_e32 v12, v2, v3, vcc
	v_pk_mov_b32 v[2:3], v[12:13], v[12:13] op_sel:[0,1]
.LBB54_208:                             ;   in Loop: Header=BB54_34 Depth=1
	v_mov_b32_e32 v4, s73
	v_sub_co_u32_e32 v2, vcc, s87, v2
	v_subb_co_u32_e32 v3, vcc, v4, v3, vcc
	v_cmp_gt_i64_e32 vcc, v[2:3], v[0:1]
	s_mov_b64 s[0:1], 0
                                        ; implicit-def: $vgpr31
	s_and_saveexec_b64 s[2:3], vcc
	s_cbranch_execz .LBB54_221
; %bb.209:                              ;   in Loop: Header=BB54_34 Depth=1
	v_pk_mov_b32 v[4:5], v[10:11], v[10:11] op_sel:[0,1]
	v_pk_mov_b32 v[6:7], v[0:1], v[0:1] op_sel:[0,1]
                                        ; implicit-def: $sgpr8_sgpr9
	s_branch .LBB54_211
.LBB54_210:                             ;   in Loop: Header=BB54_211 Depth=2
	s_or_b64 exec, exec, s[6:7]
	s_waitcnt lgkmcnt(0)
	s_barrier
	ds_read_b64 v[30:31], v13 offset:3072
	v_mov_b32_e32 v8, s28
	v_add_co_u32_e64 v6, s[6:7], s33, v6
	v_addc_co_u32_e64 v7, s[6:7], v7, v8, s[6:7]
	s_waitcnt lgkmcnt(0)
	v_cmp_neq_f32_e32 vcc, 0, v30
	v_cmp_ge_i64_e64 s[6:7], v[6:7], v[2:3]
	s_or_b64 s[30:31], vcc, s[6:7]
	v_mov_b32_e32 v8, s89
	v_add_co_u32_e64 v4, s[6:7], s88, v4
	v_addc_co_u32_e64 v5, s[6:7], v5, v8, s[6:7]
	s_and_b64 s[6:7], exec, s[30:31]
	s_or_b64 s[0:1], s[6:7], s[0:1]
	s_andn2_b64 s[6:7], s[8:9], exec
	s_and_b64 s[8:9], vcc, exec
	s_or_b64 s[8:9], s[6:7], s[8:9]
	s_barrier
	s_andn2_b64 exec, exec, s[0:1]
	s_cbranch_execz .LBB54_220
.LBB54_211:                             ;   Parent Loop BB54_34 Depth=1
                                        ; =>  This Inner Loop Header: Depth=2
	v_cmp_gt_i64_e32 vcc, s[56:57], v[6:7]
	s_waitcnt vmcnt(0)
	v_mov_b32_e32 v29, 0
	s_and_saveexec_b64 s[6:7], vcc
	s_cbranch_execz .LBB54_213
; %bb.212:                              ;   in Loop: Header=BB54_211 Depth=2
	global_load_dword v29, v[4:5], off
.LBB54_213:                             ;   in Loop: Header=BB54_211 Depth=2
	s_or_b64 exec, exec, s[6:7]
	s_and_saveexec_b64 s[6:7], vcc
	s_cbranch_execz .LBB54_210
; %bb.214:                              ;   in Loop: Header=BB54_211 Depth=2
	s_waitcnt vmcnt(0)
	v_cmp_lt_i32_e32 vcc, -1, v29
	v_cndmask_b32_e32 v8, -1, v48, vcc
	v_xor_b32_e32 v8, v8, v29
	v_cmp_o_f32_e32 vcc, v29, v29
	v_cndmask_b32_e32 v8, -1, v8, vcc
	v_and_b32_e32 v8, s91, v8
	v_cmp_eq_u32_e32 vcc, s86, v8
	s_and_b64 exec, exec, vcc
	s_cbranch_execz .LBB54_210
; %bb.215:                              ;   in Loop: Header=BB54_211 Depth=2
	ds_write_b64 v13, v[28:29] offset:3072
	s_branch .LBB54_210
.LBB54_216:                             ;   in Loop: Header=BB54_34 Depth=1
                                        ; implicit-def: $sgpr30_sgpr31
                                        ; implicit-def: $sgpr36_sgpr37
                                        ; implicit-def: $sgpr34_sgpr35
	s_branch .LBB54_235
.LBB54_217:                             ;   in Loop: Header=BB54_34 Depth=1
                                        ; implicit-def: $vgpr2_vgpr3
	s_branch .LBB54_160
.LBB54_218:                             ;   in Loop: Header=BB54_34 Depth=1
                                        ; implicit-def: $vgpr2_vgpr3
	s_branch .LBB54_177
.LBB54_219:                             ;   in Loop: Header=BB54_34 Depth=1
	s_mov_b64 s[30:31], -1
	s_mov_b64 s[0:1], 0
                                        ; implicit-def: $sgpr34_sgpr35
                                        ; implicit-def: $vgpr31
	s_mov_b64 s[36:37], s[30:31]
	s_cbranch_execnz .LBB54_222
	s_branch .LBB54_235
.LBB54_220:                             ;   in Loop: Header=BB54_34 Depth=1
	s_or_b64 exec, exec, s[0:1]
	s_and_b64 s[0:1], s[8:9], exec
.LBB54_221:                             ;   in Loop: Header=BB54_34 Depth=1
	s_or_b64 exec, exec, s[2:3]
	s_mov_b64 s[34:35], -1
	s_mov_b64 s[30:31], 0
	s_mov_b64 s[36:37], s[30:31]
	s_branch .LBB54_235
.LBB54_222:                             ;   in Loop: Header=BB54_34 Depth=1
	v_readlane_b32 s0, v54, 48
	s_add_u32 s6, s0, s38
	v_readlane_b32 s0, v54, 49
	s_addc_u32 s1, s0, s39
	s_mov_b32 s0, s95
	s_cmp_lg_u64 s[0:1], 0
	s_cbranch_scc0 .LBB54_265
; %bb.223:                              ;   in Loop: Header=BB54_34 Depth=1
	v_cvt_f32_u32_e32 v2, s33
	s_sub_u32 s0, 0, s33
	s_subb_u32 s2, 0, 0
	v_mac_f32_e32 v2, 0x4f800000, v49
	v_rcp_f32_e32 v2, v2
	v_mul_f32_e32 v2, 0x5f7ffffc, v2
	v_mul_f32_e32 v3, 0x2f800000, v2
	v_trunc_f32_e32 v3, v3
	v_mac_f32_e32 v2, 0xcf800000, v3
	v_cvt_u32_f32_e32 v3, v3
	v_cvt_u32_f32_e32 v2, v2
	v_readfirstlane_b32 s3, v3
	v_readfirstlane_b32 s7, v2
	s_mul_i32 s8, s0, s3
	s_mul_hi_u32 s30, s0, s7
	s_mul_i32 s9, s2, s7
	s_add_i32 s8, s30, s8
	s_mul_i32 s31, s0, s7
	s_add_i32 s8, s8, s9
	s_mul_hi_u32 s30, s7, s31
	s_mul_hi_u32 s9, s7, s8
	s_mul_i32 s7, s7, s8
	s_add_u32 s7, s30, s7
	s_addc_u32 s9, 0, s9
	s_mul_hi_u32 s34, s3, s31
	s_mul_i32 s31, s3, s31
	s_add_u32 s7, s7, s31
	s_mul_hi_u32 s30, s3, s8
	s_addc_u32 s7, s9, s34
	s_addc_u32 s9, s30, 0
	s_mul_i32 s8, s3, s8
	s_add_u32 s7, s7, s8
	s_addc_u32 s8, 0, s9
	v_add_co_u32_e32 v2, vcc, s7, v2
	s_cmp_lg_u64 vcc, 0
	s_addc_u32 s3, s3, s8
	v_readfirstlane_b32 s8, v2
	s_mul_i32 s7, s0, s3
	s_mul_hi_u32 s9, s0, s8
	s_add_i32 s7, s9, s7
	s_mul_i32 s2, s2, s8
	s_add_i32 s7, s7, s2
	s_mul_i32 s0, s0, s8
	s_mul_hi_u32 s9, s3, s0
	s_mul_i32 s30, s3, s0
	s_mul_i32 s34, s8, s7
	s_mul_hi_u32 s0, s8, s0
	s_mul_hi_u32 s31, s8, s7
	s_add_u32 s0, s0, s34
	s_addc_u32 s8, 0, s31
	s_add_u32 s0, s0, s30
	s_mul_hi_u32 s2, s3, s7
	s_addc_u32 s0, s8, s9
	s_addc_u32 s2, s2, 0
	s_mul_i32 s7, s3, s7
	s_add_u32 s0, s0, s7
	s_addc_u32 s2, 0, s2
	v_add_co_u32_e32 v2, vcc, s0, v2
	s_cmp_lg_u64 vcc, 0
	s_addc_u32 s0, s3, s2
	s_ashr_i32 s2, s1, 31
	s_add_u32 s8, s6, s2
	s_mov_b32 s3, s2
	s_addc_u32 s9, s1, s2
	s_xor_b64 s[8:9], s[8:9], s[2:3]
	v_readfirstlane_b32 s30, v2
	s_mul_i32 s7, s8, s0
	s_mul_hi_u32 s31, s8, s30
	s_mul_hi_u32 s3, s8, s0
	s_add_u32 s7, s31, s7
	s_addc_u32 s3, 0, s3
	s_mul_hi_u32 s34, s9, s30
	s_mul_i32 s30, s9, s30
	s_add_u32 s7, s7, s30
	s_mul_hi_u32 s31, s9, s0
	s_addc_u32 s3, s3, s34
	s_addc_u32 s7, s31, 0
	s_mul_i32 s0, s9, s0
	s_add_u32 s0, s3, s0
	s_addc_u32 s3, 0, s7
	s_mul_hi_u32 s7, s33, s0
	s_mul_i32 s0, s33, s0
	s_mul_i32 s3, s33, s3
	v_mov_b32_e32 v2, s0
	s_add_i32 s7, s7, s3
	v_sub_co_u32_e32 v2, vcc, s8, v2
	s_cmp_lg_u64 vcc, 0
	s_subb_u32 s0, s9, s7
	v_subrev_co_u32_e32 v3, vcc, s33, v2
	s_cmp_lg_u64 vcc, 0
	s_subb_u32 s3, s0, 0
	v_subrev_co_u32_e32 v4, vcc, s33, v3
	s_cmp_lg_u64 vcc, 0
	s_subb_u32 s7, s3, 0
	v_cmp_le_u32_e32 vcc, s33, v3
	s_cmp_eq_u32 s3, 0
	v_cndmask_b32_e64 v5, 0, -1, vcc
	s_cselect_b64 vcc, -1, 0
	v_cndmask_b32_e32 v5, -1, v5, vcc
	v_mov_b32_e32 v6, s3
	v_mov_b32_e32 v7, s7
	v_cmp_ne_u32_e32 vcc, 0, v5
	v_cndmask_b32_e32 v5, v6, v7, vcc
	v_cndmask_b32_e32 v3, v3, v4, vcc
	v_cmp_le_u32_e32 vcc, s33, v2
	s_cmp_eq_u32 s0, 0
	v_cndmask_b32_e64 v4, 0, -1, vcc
	s_cselect_b64 vcc, -1, 0
	v_cndmask_b32_e32 v4, -1, v4, vcc
	v_cmp_ne_u32_e32 vcc, 0, v4
	v_mov_b32_e32 v6, s0
	v_cndmask_b32_e32 v2, v2, v3, vcc
	v_cndmask_b32_e32 v4, v6, v5, vcc
	v_xor_b32_e32 v2, s2, v2
	v_xor_b32_e32 v3, s2, v4
	v_mov_b32_e32 v4, s2
	v_subrev_co_u32_e32 v2, vcc, s2, v2
	v_subb_co_u32_e32 v3, vcc, v3, v4, vcc
	s_cbranch_execnz .LBB54_225
.LBB54_224:                             ;   in Loop: Header=BB54_34 Depth=1
	v_cvt_f32_u32_e32 v2, s33
	s_sub_i32 s0, 0, s33
	v_rcp_iflag_f32_e32 v2, v2
	v_mul_f32_e32 v2, 0x4f7ffffe, v2
	v_cvt_u32_f32_e32 v2, v2
	v_mul_lo_u32 v3, s0, v2
	v_mul_hi_u32 v3, v2, v3
	v_add_u32_e32 v2, v2, v3
	v_mul_hi_u32 v2, s6, v2
	v_mul_lo_u32 v2, v2, s33
	v_sub_u32_e32 v2, s6, v2
	v_subrev_u32_e32 v3, s33, v2
	v_cmp_le_u32_e32 vcc, s33, v2
	v_cndmask_b32_e32 v2, v2, v3, vcc
	v_subrev_u32_e32 v3, s33, v2
	v_cmp_le_u32_e32 vcc, s33, v2
	v_cndmask_b32_e32 v12, v2, v3, vcc
	v_pk_mov_b32 v[2:3], v[12:13], v[12:13] op_sel:[0,1]
.LBB54_225:                             ;   in Loop: Header=BB54_34 Depth=1
	v_mov_b32_e32 v4, s1
	v_sub_co_u32_e32 v2, vcc, s6, v2
	v_subb_co_u32_e32 v3, vcc, v4, v3, vcc
	v_cmp_gt_i64_e32 vcc, v[2:3], v[0:1]
	s_mov_b64 s[0:1], 0
                                        ; implicit-def: $vgpr31
	s_and_saveexec_b64 s[2:3], vcc
	s_cbranch_execz .LBB54_234
; %bb.226:                              ;   in Loop: Header=BB54_34 Depth=1
	v_mov_b32_e32 v6, v14
	v_pk_mov_b32 v[4:5], v[0:1], v[0:1] op_sel:[0,1]
                                        ; implicit-def: $sgpr8_sgpr9
	s_branch .LBB54_228
.LBB54_227:                             ;   in Loop: Header=BB54_228 Depth=2
	s_or_b64 exec, exec, s[6:7]
	s_waitcnt lgkmcnt(0)
	s_barrier
	ds_read_b64 v[30:31], v13 offset:3072
	v_mov_b32_e32 v7, s28
	v_add_co_u32_e64 v4, s[6:7], s33, v4
	v_addc_co_u32_e64 v5, s[6:7], v5, v7, s[6:7]
	s_waitcnt lgkmcnt(0)
	v_cmp_neq_f32_e32 vcc, 0, v30
	v_cmp_ge_i64_e64 s[6:7], v[4:5], v[2:3]
	s_or_b64 s[6:7], vcc, s[6:7]
	s_and_b64 s[6:7], exec, s[6:7]
	s_or_b64 s[0:1], s[6:7], s[0:1]
	s_andn2_b64 s[6:7], s[8:9], exec
	s_and_b64 s[8:9], vcc, exec
	v_add_u32_e32 v6, s65, v6
	s_or_b64 s[8:9], s[6:7], s[8:9]
	s_barrier
	s_andn2_b64 exec, exec, s[0:1]
	s_cbranch_execz .LBB54_233
.LBB54_228:                             ;   Parent Loop BB54_34 Depth=1
                                        ; =>  This Inner Loop Header: Depth=2
	v_cmp_gt_i64_e32 vcc, s[38:39], v[4:5]
	s_waitcnt vmcnt(0)
	v_mov_b32_e32 v29, 0
	s_and_saveexec_b64 s[6:7], vcc
	s_cbranch_execz .LBB54_230
; %bb.229:                              ;   in Loop: Header=BB54_228 Depth=2
	ds_read_b32 v29, v6
.LBB54_230:                             ;   in Loop: Header=BB54_228 Depth=2
	s_or_b64 exec, exec, s[6:7]
	s_and_saveexec_b64 s[6:7], vcc
	s_cbranch_execz .LBB54_227
; %bb.231:                              ;   in Loop: Header=BB54_228 Depth=2
	s_waitcnt lgkmcnt(0)
	v_cmp_lt_i32_e32 vcc, -1, v29
	v_cndmask_b32_e32 v7, -1, v48, vcc
	v_xor_b32_e32 v7, v7, v29
	v_cmp_o_f32_e32 vcc, v29, v29
	v_cndmask_b32_e32 v7, -1, v7, vcc
	v_and_b32_e32 v7, s91, v7
	v_cmp_eq_u32_e32 vcc, s86, v7
	s_and_b64 exec, exec, vcc
	s_cbranch_execz .LBB54_227
; %bb.232:                              ;   in Loop: Header=BB54_228 Depth=2
	ds_write_b64 v13, v[28:29] offset:3072
	s_branch .LBB54_227
.LBB54_233:                             ;   in Loop: Header=BB54_34 Depth=1
	s_or_b64 exec, exec, s[0:1]
	s_and_b64 s[0:1], s[8:9], exec
.LBB54_234:                             ;   in Loop: Header=BB54_34 Depth=1
	s_or_b64 exec, exec, s[2:3]
	s_mov_b64 s[36:37], -1
	s_mov_b64 s[30:31], 0
	s_mov_b64 s[34:35], 0
.LBB54_235:                             ;   in Loop: Header=BB54_34 Depth=1
	s_mov_b64 s[2:3], 0
                                        ; implicit-def: $sgpr47
	s_and_saveexec_b64 s[38:39], s[0:1]
	s_cbranch_execz .LBB54_297
; %bb.236:                              ;   in Loop: Header=BB54_34 Depth=1
	s_xor_b64 s[0:1], s[40:41], -1
	s_andn2_b64 vcc, exec, s[0:1]
	s_mov_b32 s47, 1
	s_cbranch_vccnz .LBB54_247
; %bb.237:                              ;   in Loop: Header=BB54_34 Depth=1
	v_pk_mov_b32 v[2:3], s[18:19], s[18:19] op_sel:[0,1]
	v_cmp_gt_i64_e32 vcc, s[58:59], v[2:3]
	s_mov_b64 s[0:1], -1
                                        ; implicit-def: $sgpr47
                                        ; implicit-def: $sgpr2
                                        ; implicit-def: $sgpr3
	s_cbranch_vccnz .LBB54_243
; %bb.238:                              ;   in Loop: Header=BB54_34 Depth=1
	ds_read_b64 v[2:3], v13 offset:5120
	s_waitcnt lgkmcnt(0)
	v_cmp_ne_u64_e32 vcc, 0, v[2:3]
	s_cbranch_vccnz .LBB54_242
; %bb.239:                              ;   in Loop: Header=BB54_34 Depth=1
	s_mov_b64 s[0:1], exec
	v_readlane_b32 s2, v54, 32
	v_readlane_b32 s3, v54, 33
	s_and_b64 s[2:3], s[0:1], s[2:3]
	s_mov_b64 exec, s[2:3]
	s_cbranch_execz .LBB54_241
; %bb.240:                              ;   in Loop: Header=BB54_34 Depth=1
	v_pk_mov_b32 v[2:3], s[18:19], s[18:19] op_sel:[0,1]
	ds_write_b64 v13, v[2:3] offset:5128
.LBB54_241:                             ;   in Loop: Header=BB54_34 Depth=1
	s_or_b64 exec, exec, s[0:1]
	s_waitcnt lgkmcnt(0)
	s_barrier
.LBB54_242:                             ;   in Loop: Header=BB54_34 Depth=1
	s_lshl_b32 s0, 2, s42
	s_and_b32 s1, s86, s43
	s_or_b32 s2, s1, s0
	s_or_b32 s3, s91, s46
	s_mov_b64 s[0:1], 0
	s_mov_b32 s47, 8
.LBB54_243:                             ;   in Loop: Header=BB54_34 Depth=1
	s_andn2_b64 vcc, exec, s[0:1]
	s_cbranch_vccnz .LBB54_245
; %bb.244:                              ;   in Loop: Header=BB54_34 Depth=1
	s_sub_u32 s58, s58, s18
	s_subb_u32 s59, s59, s19
	s_mov_b64 s[0:1], -1
	s_mov_b32 s47, 0
	s_mov_b32 s2, s86
	;; [unrolled: 1-line block ×3, first 2 shown]
.LBB54_245:                             ;   in Loop: Header=BB54_34 Depth=1
	s_mov_b32 s91, s3
	s_mov_b32 s86, s2
	s_andn2_b64 vcc, exec, s[0:1]
	s_mov_b64 s[42:43], -1
	s_cbranch_vccz .LBB54_248
.LBB54_246:                             ;   in Loop: Header=BB54_34 Depth=1
                                        ; implicit-def: $sgpr0_sgpr1
                                        ; implicit-def: $sgpr6_sgpr7
                                        ; implicit-def: $sgpr2_sgpr3
	s_branch .LBB54_296
.LBB54_247:                             ;   in Loop: Header=BB54_34 Depth=1
	s_mov_b64 s[58:59], 1
	s_mov_b64 s[42:43], -1
	s_cbranch_execnz .LBB54_246
.LBB54_248:                             ;   in Loop: Header=BB54_34 Depth=1
	s_cmp_eq_u64 s[12:13], 1
	s_cselect_b64 s[0:1], -1, 0
	s_cmp_eq_u64 s[58:59], 1
	s_cselect_b64 s[2:3], -1, 0
	s_and_b64 s[18:19], s[0:1], s[2:3]
	s_mov_b64 s[8:9], -1
	s_and_b64 vcc, exec, s[18:19]
	s_cbranch_vccz .LBB54_263
; %bb.249:                              ;   in Loop: Header=BB54_34 Depth=1
	ds_read_b64 v[2:3], v13 offset:5120
	s_waitcnt lgkmcnt(0)
	s_barrier
	v_readfirstlane_b32 s40, v2
	v_readfirstlane_b32 s41, v3
	s_mov_b64 s[0:1], exec
	v_readlane_b32 s2, v54, 36
	v_readlane_b32 s3, v54, 37
	s_and_b64 s[2:3], s[0:1], s[2:3]
	s_mov_b64 exec, s[2:3]
	s_cbranch_execz .LBB54_251
; %bb.250:                              ;   in Loop: Header=BB54_34 Depth=1
	ds_write_b32 v41, v13
.LBB54_251:                             ;   in Loop: Header=BB54_34 Depth=1
	s_or_b64 exec, exec, s[0:1]
	v_cmp_gt_i64_e64 s[0:1], s[40:41], 0
	s_or_b32 s86, s86, s46
	s_or_b32 s91, s91, s46
	s_and_b64 vcc, exec, s[0:1]
	s_waitcnt lgkmcnt(0)
	s_barrier
	s_cbranch_vccnz .LBB54_266
; %bb.252:                              ;   in Loop: Header=BB54_34 Depth=1
	s_mov_b32 s72, s95
	s_cmp_lg_u64 s[72:73], 0
	s_cbranch_scc0 .LBB54_302
; %bb.253:                              ;   in Loop: Header=BB54_34 Depth=1
	v_cvt_f32_u32_e32 v2, s33
	s_sub_u32 s0, 0, s33
	s_subb_u32 s1, 0, 0
	v_mac_f32_e32 v2, 0x4f800000, v49
	v_rcp_f32_e32 v2, v2
	v_mul_f32_e32 v2, 0x5f7ffffc, v2
	v_mul_f32_e32 v3, 0x2f800000, v2
	v_trunc_f32_e32 v3, v3
	v_mac_f32_e32 v2, 0xcf800000, v3
	v_cvt_u32_f32_e32 v3, v3
	v_cvt_u32_f32_e32 v2, v2
	v_readfirstlane_b32 s2, v3
	v_readfirstlane_b32 s3, v2
	s_mul_i32 s6, s0, s2
	s_mul_hi_u32 s8, s0, s3
	s_mul_i32 s7, s1, s3
	s_add_i32 s6, s8, s6
	s_mul_i32 s9, s0, s3
	s_add_i32 s6, s6, s7
	s_mul_hi_u32 s8, s3, s9
	s_mul_hi_u32 s7, s3, s6
	s_mul_i32 s3, s3, s6
	s_add_u32 s3, s8, s3
	s_addc_u32 s7, 0, s7
	s_mul_hi_u32 s42, s2, s9
	s_mul_i32 s9, s2, s9
	s_add_u32 s3, s3, s9
	s_mul_hi_u32 s8, s2, s6
	s_addc_u32 s3, s7, s42
	s_addc_u32 s7, s8, 0
	s_mul_i32 s6, s2, s6
	s_add_u32 s3, s3, s6
	s_addc_u32 s6, 0, s7
	v_add_co_u32_e32 v2, vcc, s3, v2
	s_cmp_lg_u64 vcc, 0
	s_addc_u32 s2, s2, s6
	v_readfirstlane_b32 s6, v2
	s_mul_i32 s3, s0, s2
	s_mul_hi_u32 s7, s0, s6
	s_add_i32 s3, s7, s3
	s_mul_i32 s1, s1, s6
	s_add_i32 s3, s3, s1
	s_mul_i32 s0, s0, s6
	s_mul_hi_u32 s7, s2, s0
	s_mul_i32 s8, s2, s0
	s_mul_i32 s42, s6, s3
	s_mul_hi_u32 s0, s6, s0
	s_mul_hi_u32 s9, s6, s3
	s_add_u32 s0, s0, s42
	s_addc_u32 s6, 0, s9
	s_add_u32 s0, s0, s8
	s_mul_hi_u32 s1, s2, s3
	s_addc_u32 s0, s6, s7
	s_addc_u32 s1, s1, 0
	s_mul_i32 s3, s2, s3
	s_add_u32 s0, s0, s3
	s_addc_u32 s1, 0, s1
	v_add_co_u32_e32 v2, vcc, s0, v2
	s_cmp_lg_u64 vcc, 0
	s_addc_u32 s6, s2, s1
	s_ashr_i32 s0, s73, 31
	s_add_u32 s2, s87, s0
	s_mov_b32 s1, s0
	s_addc_u32 s3, s73, s0
	s_xor_b64 s[2:3], s[2:3], s[0:1]
	v_readfirstlane_b32 s8, v2
	s_mul_i32 s7, s2, s6
	s_mul_hi_u32 s9, s2, s8
	s_mul_hi_u32 s1, s2, s6
	s_add_u32 s7, s9, s7
	s_addc_u32 s1, 0, s1
	s_mul_hi_u32 s42, s3, s8
	s_mul_i32 s8, s3, s8
	s_add_u32 s7, s7, s8
	s_mul_hi_u32 s9, s3, s6
	s_addc_u32 s1, s1, s42
	s_addc_u32 s7, s9, 0
	s_mul_i32 s6, s3, s6
	s_add_u32 s1, s1, s6
	s_addc_u32 s6, 0, s7
	s_mul_hi_u32 s7, s33, s1
	s_mul_i32 s1, s33, s1
	s_mul_i32 s6, s33, s6
	v_mov_b32_e32 v2, s1
	s_add_i32 s7, s7, s6
	v_sub_co_u32_e32 v2, vcc, s2, v2
	s_cmp_lg_u64 vcc, 0
	s_subb_u32 s1, s3, s7
	v_subrev_co_u32_e32 v3, vcc, s33, v2
	s_cmp_lg_u64 vcc, 0
	s_subb_u32 s2, s1, 0
	v_subrev_co_u32_e32 v4, vcc, s33, v3
	s_cmp_lg_u64 vcc, 0
	s_subb_u32 s3, s2, 0
	v_cmp_le_u32_e32 vcc, s33, v3
	s_cmp_eq_u32 s2, 0
	v_cndmask_b32_e64 v5, 0, -1, vcc
	s_cselect_b64 vcc, -1, 0
	v_cndmask_b32_e32 v5, -1, v5, vcc
	v_mov_b32_e32 v6, s2
	v_mov_b32_e32 v7, s3
	v_cmp_ne_u32_e32 vcc, 0, v5
	v_cndmask_b32_e32 v5, v6, v7, vcc
	v_cndmask_b32_e32 v3, v3, v4, vcc
	v_cmp_le_u32_e32 vcc, s33, v2
	s_cmp_eq_u32 s1, 0
	v_cndmask_b32_e64 v4, 0, -1, vcc
	s_cselect_b64 vcc, -1, 0
	v_cndmask_b32_e32 v4, -1, v4, vcc
	v_cmp_ne_u32_e32 vcc, 0, v4
	v_mov_b32_e32 v6, s1
	v_cndmask_b32_e32 v2, v2, v3, vcc
	v_cndmask_b32_e32 v4, v6, v5, vcc
	v_xor_b32_e32 v2, s0, v2
	v_xor_b32_e32 v3, s0, v4
	v_mov_b32_e32 v4, s0
	v_subrev_co_u32_e32 v2, vcc, s0, v2
	v_subb_co_u32_e32 v3, vcc, v3, v4, vcc
	s_cbranch_execnz .LBB54_255
.LBB54_254:                             ;   in Loop: Header=BB54_34 Depth=1
	v_cvt_f32_u32_e32 v2, s33
	s_sub_i32 s0, 0, s33
	v_rcp_iflag_f32_e32 v2, v2
	v_mul_f32_e32 v2, 0x4f7ffffe, v2
	v_cvt_u32_f32_e32 v2, v2
	v_mul_lo_u32 v3, s0, v2
	v_mul_hi_u32 v3, v2, v3
	v_add_u32_e32 v2, v2, v3
	s_mov_b32 s0, s87
	v_mul_hi_u32 v2, s0, v2
	v_mul_lo_u32 v2, v2, s33
	v_sub_u32_e32 v2, s0, v2
	v_subrev_u32_e32 v3, s33, v2
	v_cmp_le_u32_e32 vcc, s33, v2
	v_cndmask_b32_e32 v2, v2, v3, vcc
	v_subrev_u32_e32 v3, s33, v2
	v_cmp_le_u32_e32 vcc, s33, v2
	v_cndmask_b32_e32 v12, v2, v3, vcc
	v_pk_mov_b32 v[2:3], v[12:13], v[12:13] op_sel:[0,1]
.LBB54_255:                             ;   in Loop: Header=BB54_34 Depth=1
	v_mov_b32_e32 v4, s73
	v_sub_co_u32_e32 v2, vcc, s87, v2
	v_subb_co_u32_e32 v3, vcc, v4, v3, vcc
	v_cmp_gt_i64_e32 vcc, v[2:3], v[0:1]
	s_mov_b64 s[8:9], 0
                                        ; implicit-def: $vgpr31
	s_and_saveexec_b64 s[0:1], vcc
	s_cbranch_execz .LBB54_268
; %bb.256:                              ;   in Loop: Header=BB54_34 Depth=1
	s_mov_b64 s[2:3], 0
	v_pk_mov_b32 v[4:5], v[10:11], v[10:11] op_sel:[0,1]
	v_pk_mov_b32 v[6:7], v[0:1], v[0:1] op_sel:[0,1]
                                        ; implicit-def: $sgpr8_sgpr9
	s_branch .LBB54_258
.LBB54_257:                             ;   in Loop: Header=BB54_258 Depth=2
	s_or_b64 exec, exec, s[6:7]
	s_waitcnt lgkmcnt(0)
	s_barrier
	ds_read_b64 v[30:31], v13 offset:3072
	v_mov_b32_e32 v8, s28
	v_add_co_u32_e64 v6, s[6:7], s33, v6
	v_addc_co_u32_e64 v7, s[6:7], v7, v8, s[6:7]
	s_waitcnt lgkmcnt(0)
	v_cmp_neq_f32_e32 vcc, 0, v30
	v_cmp_ge_i64_e64 s[6:7], v[6:7], v[2:3]
	s_or_b64 s[42:43], vcc, s[6:7]
	v_mov_b32_e32 v8, s89
	v_add_co_u32_e64 v4, s[6:7], s88, v4
	v_addc_co_u32_e64 v5, s[6:7], v5, v8, s[6:7]
	s_and_b64 s[6:7], exec, s[42:43]
	s_or_b64 s[2:3], s[6:7], s[2:3]
	s_andn2_b64 s[6:7], s[8:9], exec
	s_and_b64 s[8:9], vcc, exec
	s_or_b64 s[8:9], s[6:7], s[8:9]
	s_barrier
	s_andn2_b64 exec, exec, s[2:3]
	s_cbranch_execz .LBB54_267
.LBB54_258:                             ;   Parent Loop BB54_34 Depth=1
                                        ; =>  This Inner Loop Header: Depth=2
	v_cmp_gt_i64_e32 vcc, s[56:57], v[6:7]
	s_waitcnt vmcnt(0)
	v_mov_b32_e32 v29, 0
	s_and_saveexec_b64 s[6:7], vcc
	s_cbranch_execz .LBB54_260
; %bb.259:                              ;   in Loop: Header=BB54_258 Depth=2
	global_load_dword v29, v[4:5], off
.LBB54_260:                             ;   in Loop: Header=BB54_258 Depth=2
	s_or_b64 exec, exec, s[6:7]
	s_and_saveexec_b64 s[6:7], vcc
	s_cbranch_execz .LBB54_257
; %bb.261:                              ;   in Loop: Header=BB54_258 Depth=2
	s_waitcnt vmcnt(0)
	v_cmp_lt_i32_e32 vcc, -1, v29
	v_cndmask_b32_e32 v8, -1, v48, vcc
	v_xor_b32_e32 v8, v8, v29
	v_cmp_o_f32_e32 vcc, v29, v29
	v_cndmask_b32_e32 v8, -1, v8, vcc
	v_and_b32_e32 v8, s91, v8
	v_cmp_eq_u32_e32 vcc, s86, v8
	s_and_b64 exec, exec, vcc
	s_cbranch_execz .LBB54_257
; %bb.262:                              ;   in Loop: Header=BB54_258 Depth=2
	ds_write_b64 v13, v[28:29] offset:3072
	s_branch .LBB54_257
.LBB54_263:                             ;   in Loop: Header=BB54_34 Depth=1
                                        ; implicit-def: $sgpr0_sgpr1
                                        ; implicit-def: $sgpr6_sgpr7
                                        ; implicit-def: $sgpr2_sgpr3
	s_branch .LBB54_282
.LBB54_264:                             ;   in Loop: Header=BB54_34 Depth=1
                                        ; implicit-def: $vgpr2_vgpr3
	s_branch .LBB54_207
.LBB54_265:                             ;   in Loop: Header=BB54_34 Depth=1
                                        ; implicit-def: $vgpr2_vgpr3
	s_branch .LBB54_224
.LBB54_266:                             ;   in Loop: Header=BB54_34 Depth=1
	s_mov_b64 s[0:1], -1
	s_mov_b64 s[8:9], 0
                                        ; implicit-def: $sgpr2_sgpr3
                                        ; implicit-def: $vgpr31
	s_mov_b64 s[6:7], s[0:1]
	s_cbranch_execnz .LBB54_269
	s_branch .LBB54_282
.LBB54_267:                             ;   in Loop: Header=BB54_34 Depth=1
	s_or_b64 exec, exec, s[2:3]
	s_and_b64 s[8:9], s[8:9], exec
.LBB54_268:                             ;   in Loop: Header=BB54_34 Depth=1
	s_or_b64 exec, exec, s[0:1]
	s_mov_b64 s[2:3], -1
	s_mov_b64 s[0:1], 0
	s_mov_b64 s[6:7], s[0:1]
	s_branch .LBB54_282
.LBB54_269:                             ;   in Loop: Header=BB54_34 Depth=1
	v_readlane_b32 s0, v54, 48
	s_add_u32 s6, s0, s40
	v_readlane_b32 s0, v54, 49
	s_addc_u32 s1, s0, s41
	s_mov_b32 s0, s95
	s_cmp_lg_u64 s[0:1], 0
	s_cbranch_scc0 .LBB54_303
; %bb.270:                              ;   in Loop: Header=BB54_34 Depth=1
	v_cvt_f32_u32_e32 v2, s33
	s_sub_u32 s0, 0, s33
	s_subb_u32 s2, 0, 0
	v_mac_f32_e32 v2, 0x4f800000, v49
	v_rcp_f32_e32 v2, v2
	v_mul_f32_e32 v2, 0x5f7ffffc, v2
	v_mul_f32_e32 v3, 0x2f800000, v2
	v_trunc_f32_e32 v3, v3
	v_mac_f32_e32 v2, 0xcf800000, v3
	v_cvt_u32_f32_e32 v3, v3
	v_cvt_u32_f32_e32 v2, v2
	v_readfirstlane_b32 s3, v3
	v_readfirstlane_b32 s7, v2
	s_mul_i32 s8, s0, s3
	s_mul_hi_u32 s42, s0, s7
	s_mul_i32 s9, s2, s7
	s_add_i32 s8, s42, s8
	s_mul_i32 s43, s0, s7
	s_add_i32 s8, s8, s9
	s_mul_hi_u32 s42, s7, s43
	s_mul_hi_u32 s9, s7, s8
	s_mul_i32 s7, s7, s8
	s_add_u32 s7, s42, s7
	s_addc_u32 s9, 0, s9
	s_mul_hi_u32 s44, s3, s43
	s_mul_i32 s43, s3, s43
	s_add_u32 s7, s7, s43
	s_mul_hi_u32 s42, s3, s8
	s_addc_u32 s7, s9, s44
	s_addc_u32 s9, s42, 0
	s_mul_i32 s8, s3, s8
	s_add_u32 s7, s7, s8
	s_addc_u32 s8, 0, s9
	v_add_co_u32_e32 v2, vcc, s7, v2
	s_cmp_lg_u64 vcc, 0
	s_addc_u32 s3, s3, s8
	v_readfirstlane_b32 s8, v2
	s_mul_i32 s7, s0, s3
	s_mul_hi_u32 s9, s0, s8
	s_add_i32 s7, s9, s7
	s_mul_i32 s2, s2, s8
	s_add_i32 s7, s7, s2
	s_mul_i32 s0, s0, s8
	s_mul_hi_u32 s9, s3, s0
	s_mul_i32 s42, s3, s0
	s_mul_i32 s44, s8, s7
	s_mul_hi_u32 s0, s8, s0
	s_mul_hi_u32 s43, s8, s7
	s_add_u32 s0, s0, s44
	s_addc_u32 s8, 0, s43
	s_add_u32 s0, s0, s42
	s_mul_hi_u32 s2, s3, s7
	s_addc_u32 s0, s8, s9
	s_addc_u32 s2, s2, 0
	s_mul_i32 s7, s3, s7
	s_add_u32 s0, s0, s7
	s_addc_u32 s2, 0, s2
	v_add_co_u32_e32 v2, vcc, s0, v2
	s_cmp_lg_u64 vcc, 0
	s_addc_u32 s0, s3, s2
	s_ashr_i32 s2, s1, 31
	s_add_u32 s8, s6, s2
	s_mov_b32 s3, s2
	s_addc_u32 s9, s1, s2
	s_xor_b64 s[8:9], s[8:9], s[2:3]
	v_readfirstlane_b32 s42, v2
	s_mul_i32 s7, s8, s0
	s_mul_hi_u32 s43, s8, s42
	s_mul_hi_u32 s3, s8, s0
	s_add_u32 s7, s43, s7
	s_addc_u32 s3, 0, s3
	s_mul_hi_u32 s44, s9, s42
	s_mul_i32 s42, s9, s42
	s_add_u32 s7, s7, s42
	s_mul_hi_u32 s43, s9, s0
	s_addc_u32 s3, s3, s44
	s_addc_u32 s7, s43, 0
	s_mul_i32 s0, s9, s0
	s_add_u32 s0, s3, s0
	s_addc_u32 s3, 0, s7
	s_mul_hi_u32 s7, s33, s0
	s_mul_i32 s0, s33, s0
	s_mul_i32 s3, s33, s3
	v_mov_b32_e32 v2, s0
	s_add_i32 s7, s7, s3
	v_sub_co_u32_e32 v2, vcc, s8, v2
	s_cmp_lg_u64 vcc, 0
	s_subb_u32 s0, s9, s7
	v_subrev_co_u32_e32 v3, vcc, s33, v2
	s_cmp_lg_u64 vcc, 0
	s_subb_u32 s3, s0, 0
	v_subrev_co_u32_e32 v4, vcc, s33, v3
	s_cmp_lg_u64 vcc, 0
	s_subb_u32 s7, s3, 0
	v_cmp_le_u32_e32 vcc, s33, v3
	s_cmp_eq_u32 s3, 0
	v_cndmask_b32_e64 v5, 0, -1, vcc
	s_cselect_b64 vcc, -1, 0
	v_cndmask_b32_e32 v5, -1, v5, vcc
	v_mov_b32_e32 v6, s3
	v_mov_b32_e32 v7, s7
	v_cmp_ne_u32_e32 vcc, 0, v5
	v_cndmask_b32_e32 v5, v6, v7, vcc
	v_cndmask_b32_e32 v3, v3, v4, vcc
	v_cmp_le_u32_e32 vcc, s33, v2
	s_cmp_eq_u32 s0, 0
	v_cndmask_b32_e64 v4, 0, -1, vcc
	s_cselect_b64 vcc, -1, 0
	v_cndmask_b32_e32 v4, -1, v4, vcc
	v_cmp_ne_u32_e32 vcc, 0, v4
	v_mov_b32_e32 v6, s0
	v_cndmask_b32_e32 v2, v2, v3, vcc
	v_cndmask_b32_e32 v4, v6, v5, vcc
	v_xor_b32_e32 v2, s2, v2
	v_xor_b32_e32 v3, s2, v4
	v_mov_b32_e32 v4, s2
	v_subrev_co_u32_e32 v2, vcc, s2, v2
	v_subb_co_u32_e32 v3, vcc, v3, v4, vcc
	s_cbranch_execnz .LBB54_272
.LBB54_271:                             ;   in Loop: Header=BB54_34 Depth=1
	v_cvt_f32_u32_e32 v2, s33
	s_sub_i32 s0, 0, s33
	v_rcp_iflag_f32_e32 v2, v2
	v_mul_f32_e32 v2, 0x4f7ffffe, v2
	v_cvt_u32_f32_e32 v2, v2
	v_mul_lo_u32 v3, s0, v2
	v_mul_hi_u32 v3, v2, v3
	v_add_u32_e32 v2, v2, v3
	v_mul_hi_u32 v2, s6, v2
	v_mul_lo_u32 v2, v2, s33
	v_sub_u32_e32 v2, s6, v2
	v_subrev_u32_e32 v3, s33, v2
	v_cmp_le_u32_e32 vcc, s33, v2
	v_cndmask_b32_e32 v2, v2, v3, vcc
	v_subrev_u32_e32 v3, s33, v2
	v_cmp_le_u32_e32 vcc, s33, v2
	v_cndmask_b32_e32 v12, v2, v3, vcc
	v_pk_mov_b32 v[2:3], v[12:13], v[12:13] op_sel:[0,1]
.LBB54_272:                             ;   in Loop: Header=BB54_34 Depth=1
	v_mov_b32_e32 v4, s1
	v_sub_co_u32_e32 v2, vcc, s6, v2
	v_subb_co_u32_e32 v3, vcc, v4, v3, vcc
	v_cmp_gt_i64_e32 vcc, v[2:3], v[0:1]
	s_mov_b64 s[8:9], 0
                                        ; implicit-def: $vgpr31
	s_and_saveexec_b64 s[0:1], vcc
	s_cbranch_execz .LBB54_281
; %bb.273:                              ;   in Loop: Header=BB54_34 Depth=1
	s_mov_b64 s[2:3], 0
	v_mov_b32_e32 v6, v14
	v_pk_mov_b32 v[4:5], v[0:1], v[0:1] op_sel:[0,1]
                                        ; implicit-def: $sgpr8_sgpr9
	s_branch .LBB54_275
.LBB54_274:                             ;   in Loop: Header=BB54_275 Depth=2
	s_or_b64 exec, exec, s[6:7]
	s_waitcnt lgkmcnt(0)
	s_barrier
	ds_read_b64 v[30:31], v13 offset:3072
	v_mov_b32_e32 v7, s28
	v_add_co_u32_e64 v4, s[6:7], s33, v4
	v_addc_co_u32_e64 v5, s[6:7], v5, v7, s[6:7]
	s_waitcnt lgkmcnt(0)
	v_cmp_neq_f32_e32 vcc, 0, v30
	v_cmp_ge_i64_e64 s[6:7], v[4:5], v[2:3]
	s_or_b64 s[6:7], vcc, s[6:7]
	s_and_b64 s[6:7], exec, s[6:7]
	s_or_b64 s[2:3], s[6:7], s[2:3]
	s_andn2_b64 s[6:7], s[8:9], exec
	s_and_b64 s[8:9], vcc, exec
	v_add_u32_e32 v6, s65, v6
	s_or_b64 s[8:9], s[6:7], s[8:9]
	s_barrier
	s_andn2_b64 exec, exec, s[2:3]
	s_cbranch_execz .LBB54_280
.LBB54_275:                             ;   Parent Loop BB54_34 Depth=1
                                        ; =>  This Inner Loop Header: Depth=2
	v_cmp_gt_i64_e32 vcc, s[40:41], v[4:5]
	s_waitcnt vmcnt(0)
	v_mov_b32_e32 v29, 0
	s_and_saveexec_b64 s[6:7], vcc
	s_cbranch_execz .LBB54_277
; %bb.276:                              ;   in Loop: Header=BB54_275 Depth=2
	ds_read_b32 v29, v6
.LBB54_277:                             ;   in Loop: Header=BB54_275 Depth=2
	s_or_b64 exec, exec, s[6:7]
	s_and_saveexec_b64 s[6:7], vcc
	s_cbranch_execz .LBB54_274
; %bb.278:                              ;   in Loop: Header=BB54_275 Depth=2
	s_waitcnt lgkmcnt(0)
	v_cmp_lt_i32_e32 vcc, -1, v29
	v_cndmask_b32_e32 v7, -1, v48, vcc
	v_xor_b32_e32 v7, v7, v29
	v_cmp_o_f32_e32 vcc, v29, v29
	v_cndmask_b32_e32 v7, -1, v7, vcc
	v_and_b32_e32 v7, s91, v7
	v_cmp_eq_u32_e32 vcc, s86, v7
	s_and_b64 exec, exec, vcc
	s_cbranch_execz .LBB54_274
; %bb.279:                              ;   in Loop: Header=BB54_275 Depth=2
	ds_write_b64 v13, v[28:29] offset:3072
	s_branch .LBB54_274
.LBB54_280:                             ;   in Loop: Header=BB54_34 Depth=1
	s_or_b64 exec, exec, s[2:3]
	s_and_b64 s[8:9], s[8:9], exec
.LBB54_281:                             ;   in Loop: Header=BB54_34 Depth=1
	s_or_b64 exec, exec, s[0:1]
	s_mov_b64 s[6:7], -1
	s_mov_b64 s[0:1], 0
	s_mov_b64 s[2:3], 0
.LBB54_282:                             ;   in Loop: Header=BB54_34 Depth=1
	s_mov_b64 s[42:43], 0
                                        ; implicit-def: $sgpr47
                                        ; implicit-def: $sgpr44_sgpr45
	s_and_saveexec_b64 s[40:41], s[8:9]
	s_cbranch_execz .LBB54_295
; %bb.283:                              ;   in Loop: Header=BB54_34 Depth=1
	s_xor_b64 s[8:9], s[18:19], -1
	s_mov_b64 s[44:45], 1
	s_andn2_b64 vcc, exec, s[8:9]
	s_mov_b32 s47, 1
	s_cbranch_vccnz .LBB54_294
; %bb.284:                              ;   in Loop: Header=BB54_34 Depth=1
	v_pk_mov_b32 v[2:3], s[12:13], s[12:13] op_sel:[0,1]
	v_cmp_gt_i64_e32 vcc, s[58:59], v[2:3]
	s_cbranch_vccnz .LBB54_290
; %bb.285:                              ;   in Loop: Header=BB54_34 Depth=1
	ds_read_b64 v[2:3], v13 offset:5120
	s_waitcnt lgkmcnt(0)
	v_cmp_ne_u64_e32 vcc, 0, v[2:3]
	s_cbranch_vccnz .LBB54_289
; %bb.286:                              ;   in Loop: Header=BB54_34 Depth=1
	s_mov_b64 s[8:9], exec
	v_readlane_b32 s18, v54, 32
	v_readlane_b32 s19, v54, 33
	s_and_b64 s[18:19], s[8:9], s[18:19]
	s_mov_b64 exec, s[18:19]
	s_cbranch_execz .LBB54_288
; %bb.287:                              ;   in Loop: Header=BB54_34 Depth=1
	v_pk_mov_b32 v[2:3], s[12:13], s[12:13] op_sel:[0,1]
	ds_write_b64 v13, v[2:3] offset:5128
.LBB54_288:                             ;   in Loop: Header=BB54_34 Depth=1
	s_or_b64 exec, exec, s[8:9]
	s_waitcnt lgkmcnt(0)
	s_barrier
.LBB54_289:                             ;   in Loop: Header=BB54_34 Depth=1
	s_or_b32 s18, s86, s46
	s_or_b32 s19, s91, s46
	s_mov_b64 s[8:9], 0
	s_mov_b32 s47, 8
	s_branch .LBB54_291
.LBB54_290:                             ;   in Loop: Header=BB54_34 Depth=1
	s_mov_b64 s[8:9], -1
                                        ; implicit-def: $sgpr47
                                        ; implicit-def: $sgpr18
                                        ; implicit-def: $sgpr19
.LBB54_291:                             ;   in Loop: Header=BB54_34 Depth=1
	s_andn2_b64 vcc, exec, s[8:9]
	s_cbranch_vccnz .LBB54_293
; %bb.292:                              ;   in Loop: Header=BB54_34 Depth=1
	s_sub_u32 s58, s58, s12
	s_subb_u32 s59, s59, s13
	s_mov_b32 s47, 8
	s_mov_b32 s18, s86
	;; [unrolled: 1-line block ×3, first 2 shown]
.LBB54_293:                             ;   in Loop: Header=BB54_34 Depth=1
	s_mov_b64 s[44:45], s[58:59]
	s_mov_b32 s86, s18
	s_mov_b32 s91, s19
.LBB54_294:                             ;   in Loop: Header=BB54_34 Depth=1
	s_mov_b64 s[42:43], exec
.LBB54_295:                             ;   in Loop: Header=BB54_34 Depth=1
	s_or_b64 exec, exec, s[40:41]
	s_mov_b64 s[58:59], s[44:45]
.LBB54_296:                             ;   in Loop: Header=BB54_34 Depth=1
	s_andn2_b64 s[8:9], s[30:31], exec
	s_and_b64 s[0:1], s[0:1], exec
	s_or_b64 s[30:31], s[8:9], s[0:1]
	s_andn2_b64 s[0:1], s[36:37], exec
	s_and_b64 s[6:7], s[6:7], exec
	s_or_b64 s[36:37], s[0:1], s[6:7]
	;; [unrolled: 3-line block ×3, first 2 shown]
	s_and_b64 s[2:3], s[42:43], exec
.LBB54_297:                             ;   in Loop: Header=BB54_34 Depth=1
	s_or_b64 exec, exec, s[38:39]
.LBB54_298:                             ;   in Loop: Header=BB54_34 Depth=1
	s_andn2_b64 s[0:1], s[22:23], exec
	s_and_b64 s[6:7], s[30:31], exec
	s_or_b64 s[22:23], s[0:1], s[6:7]
	s_andn2_b64 s[0:1], s[24:25], exec
	s_and_b64 s[6:7], s[36:37], exec
	s_or_b64 s[24:25], s[0:1], s[6:7]
	;; [unrolled: 3-line block ×3, first 2 shown]
	s_and_b64 s[2:3], s[2:3], exec
.LBB54_299:                             ;   in Loop: Header=BB54_34 Depth=1
	s_or_b64 exec, exec, s[26:27]
	s_and_saveexec_b64 s[0:1], s[2:3]
	s_xor_b64 s[0:1], exec, s[0:1]
	s_cbranch_execz .LBB54_32
.LBB54_300:                             ;   in Loop: Header=BB54_34 Depth=1
	s_and_b32 s2, s47, -9
	s_cmp_eq_u32 s2, 0
	s_cbranch_scc1 .LBB54_30
; %bb.301:                              ;   in Loop: Header=BB54_34 Depth=1
	s_mov_b64 s[2:3], -1
                                        ; implicit-def: $sgpr91
                                        ; implicit-def: $sgpr29
                                        ; implicit-def: $sgpr90
	s_mov_b64 s[6:7], -1
	s_branch .LBB54_31
.LBB54_302:                             ;   in Loop: Header=BB54_34 Depth=1
                                        ; implicit-def: $vgpr2_vgpr3
	s_branch .LBB54_254
.LBB54_303:                             ;   in Loop: Header=BB54_34 Depth=1
                                        ; implicit-def: $vgpr2_vgpr3
	s_branch .LBB54_271
.LBB54_304:
	s_or_b64 exec, exec, s[66:67]
	s_xor_b64 s[4:5], s[60:61], -1
	s_xor_b64 s[0:1], s[68:69], -1
	s_xor_b64 s[6:7], s[70:71], -1
	s_mov_b64 s[2:3], 0
	s_and_saveexec_b64 s[8:9], s[0:1]
	s_xor_b64 s[0:1], exec, s[8:9]
	s_cbranch_execnz .LBB54_309
; %bb.305:
	s_andn2_saveexec_b64 s[0:1], s[0:1]
	s_cbranch_execnz .LBB54_331
.LBB54_306:
	s_or_b64 exec, exec, s[0:1]
	s_and_saveexec_b64 s[0:1], s[2:3]
.LBB54_307:
	; divergent unreachable
.LBB54_308:
	s_endpgm
.LBB54_309:
	s_and_saveexec_b64 s[2:3], s[4:5]
	s_xor_b64 s[4:5], exec, s[2:3]
	s_cbranch_execz .LBB54_329
; %bb.310:
	s_and_saveexec_b64 s[2:3], s[6:7]
	s_xor_b64 s[2:3], exec, s[2:3]
; %bb.311:
	v_bfrev_b32_e32 v3, 1
	v_cmp_lt_i32_e32 vcc, -1, v2
	v_cndmask_b32_e64 v3, v3, -1, vcc
	v_xor_b32_e32 v31, v3, v2
; %bb.312:
	s_or_b64 exec, exec, s[2:3]
	s_mov_b64 s[2:3], exec
	v_readlane_b32 s6, v54, 32
	v_readlane_b32 s7, v54, 33
	;; [unrolled: 1-line block ×3, first 2 shown]
	s_and_b64 s[6:7], s[2:3], s[6:7]
	v_readlane_b32 s26, v54, 34
	v_readlane_b32 s31, v54, 27
	;; [unrolled: 1-line block ×3, first 2 shown]
	s_mov_b64 exec, s[6:7]
	s_cbranch_execz .LBB54_314
; %bb.313:
	v_mov_b32_e32 v2, 0
	v_mov_b32_e32 v3, s56
	ds_write_b32 v2, v3 offset:5140
.LBB54_314:
	s_or_b64 exec, exec, s[2:3]
	s_waitcnt lgkmcnt(0)
	s_barrier
	s_mov_b64 s[6:7], exec
	v_readlane_b32 s2, v54, 44
	v_readlane_b32 s3, v54, 45
	s_and_b64 s[2:3], s[6:7], s[2:3]
	s_mov_b64 exec, s[2:3]
	s_cbranch_execz .LBB54_326
; %bb.315:
	v_mov_b32_e32 v2, 0
	ds_read_b32 v4, v2 offset:5140
	v_cmp_u_f32_e32 vcc, v31, v31
	s_mov_b64 s[8:9], 0
	s_xor_b64 s[10:11], vcc, -1
                                        ; implicit-def: $sgpr12_sgpr13
                                        ; implicit-def: $sgpr14_sgpr15
                                        ; implicit-def: $sgpr16_sgpr17
	s_waitcnt lgkmcnt(0)
	v_ashrrev_i32_e32 v5, 31, v4
	s_branch .LBB54_318
.LBB54_316:                             ;   in Loop: Header=BB54_318 Depth=1
	s_or_b64 exec, exec, s[22:23]
	s_andn2_b64 s[16:17], s[16:17], exec
	s_and_b64 s[2:3], s[2:3], exec
	s_or_b64 s[16:17], s[16:17], s[2:3]
	s_andn2_b64 s[2:3], s[14:15], exec
	s_and_b64 s[14:15], s[20:21], exec
	s_or_b64 s[14:15], s[2:3], s[14:15]
.LBB54_317:                             ;   in Loop: Header=BB54_318 Depth=1
	s_or_b64 exec, exec, s[18:19]
	s_and_b64 s[2:3], exec, s[14:15]
	s_or_b64 s[8:9], s[2:3], s[8:9]
	s_andn2_b64 s[2:3], s[12:13], exec
	s_and_b64 s[12:13], s[16:17], exec
	s_or_b64 s[12:13], s[2:3], s[12:13]
	s_andn2_b64 exec, exec, s[8:9]
	s_cbranch_execz .LBB54_321
.LBB54_318:                             ; =>This Inner Loop Header: Depth=1
	v_pk_mov_b32 v[2:3], v[0:1], v[0:1] op_sel:[0,1]
	v_cmp_lt_i64_e32 vcc, v[2:3], v[4:5]
	s_or_b64 s[16:17], s[16:17], exec
	s_or_b64 s[14:15], s[14:15], exec
                                        ; implicit-def: $vgpr0_vgpr1
	s_and_saveexec_b64 s[18:19], vcc
	s_cbranch_execz .LBB54_317
; %bb.319:                              ;   in Loop: Header=BB54_318 Depth=1
	global_load_dword v0, v[10:11], off
	s_mov_b64 s[20:21], -1
	s_waitcnt vmcnt(0)
	v_cmp_o_f32_e64 s[2:3], v0, v0
	v_cmp_neq_f32_e32 vcc, v0, v31
	s_or_b64 s[2:3], s[2:3], s[10:11]
	s_and_b64 s[24:25], vcc, s[2:3]
	s_mov_b64 s[2:3], 0
                                        ; implicit-def: $vgpr0_vgpr1
	s_and_saveexec_b64 s[22:23], s[24:25]
	s_cbranch_execz .LBB54_316
; %bb.320:                              ;   in Loop: Header=BB54_318 Depth=1
	v_mov_b32_e32 v1, s28
	v_add_co_u32_e32 v0, vcc, s33, v2
	v_addc_co_u32_e32 v1, vcc, v3, v1, vcc
	v_mov_b32_e32 v3, s89
	v_add_co_u32_e32 v10, vcc, s88, v10
	v_addc_co_u32_e32 v11, vcc, v11, v3, vcc
	v_cmp_le_i64_e32 vcc, s[56:57], v[0:1]
	s_mov_b64 s[2:3], exec
	s_orn2_b64 s[20:21], vcc, exec
	s_branch .LBB54_316
.LBB54_321:
	s_or_b64 exec, exec, s[8:9]
	s_xor_b64 s[2:3], s[12:13], -1
	s_and_saveexec_b64 s[8:9], s[2:3]
	s_xor_b64 s[8:9], exec, s[8:9]
	s_cbranch_execz .LBB54_326
; %bb.322:
	s_mov_b64 s[2:3], exec
	s_brev_b32 s8, -2
.LBB54_323:                             ; =>This Inner Loop Header: Depth=1
	s_ff1_i32_b64 s9, s[2:3]
	v_readlane_b32 s12, v2, s9
	s_lshl_b64 s[10:11], 1, s9
	s_min_i32 s8, s8, s12
	s_andn2_b64 s[2:3], s[2:3], s[10:11]
	s_cmp_lg_u64 s[2:3], 0
	s_cbranch_scc1 .LBB54_323
; %bb.324:
	v_mbcnt_lo_u32_b32 v0, exec_lo, 0
	v_mbcnt_hi_u32_b32 v0, exec_hi, v0
	v_cmp_eq_u32_e32 vcc, 0, v0
	s_and_saveexec_b64 s[2:3], vcc
	s_xor_b64 s[2:3], exec, s[2:3]
	s_cbranch_execz .LBB54_326
; %bb.325:
	v_mov_b32_e32 v0, 0
	v_mov_b32_e32 v1, s8
	ds_min_i32 v0, v1 offset:5140
.LBB54_326:
	s_or_b64 exec, exec, s[6:7]
	s_waitcnt lgkmcnt(0)
	s_barrier
	s_mov_b64 s[2:3], exec
	v_readlane_b32 s6, v54, 32
	v_readlane_b32 s7, v54, 33
	s_and_b64 s[6:7], s[2:3], s[6:7]
	s_mov_b64 exec, s[6:7]
	s_cbranch_execz .LBB54_328
; %bb.327:
	v_readlane_b32 s20, v54, 6
	v_readlane_b32 s22, v54, 8
	;; [unrolled: 1-line block ×3, first 2 shown]
	s_mul_i32 s6, s30, s23
	s_mul_hi_u32 s7, s30, s22
	s_add_i32 s6, s7, s6
	s_mul_i32 s7, s31, s22
	s_add_i32 s6, s6, s7
	s_mul_i32 s7, s30, s22
	v_readlane_b32 s10, v54, 12
	s_sub_u32 s8, s26, s7
	v_readlane_b32 s11, v54, 13
	s_subb_u32 s6, 0, s6
	s_mul_i32 s7, s8, s11
	s_mul_hi_u32 s9, s8, s10
	v_readlane_b32 s12, v54, 0
	s_add_i32 s7, s9, s7
	s_mul_i32 s6, s6, s10
	v_readlane_b32 s13, v54, 1
	v_readlane_b32 s18, v54, 10
	s_add_i32 s7, s7, s6
	s_mul_i32 s6, s8, s10
	v_readlane_b32 s19, v54, 11
	s_mul_i32 s8, s18, s13
	s_mul_hi_u32 s9, s18, s12
	s_add_i32 s8, s9, s8
	s_mul_i32 s9, s19, s12
	s_add_i32 s8, s8, s9
	s_mul_i32 s9, s18, s12
	v_readlane_b32 s16, v54, 4
	v_readlane_b32 s36, v54, 20
	;; [unrolled: 1-line block ×3, first 2 shown]
	s_sub_u32 s10, s16, s9
	v_readlane_b32 s38, v54, 22
	v_readlane_b32 s39, v54, 23
	s_subb_u32 s8, s17, s8
	s_mul_i32 s9, s10, s39
	s_mul_hi_u32 s11, s10, s38
	v_readlane_b32 s14, v54, 2
	v_readlane_b32 s15, v54, 3
	;; [unrolled: 1-line block ×3, first 2 shown]
	s_add_i32 s9, s11, s9
	s_mul_i32 s8, s8, s38
	s_add_i32 s9, s9, s8
	s_mul_i32 s8, s10, s38
	s_mul_i32 s10, s18, s37
	s_mul_hi_u32 s11, s18, s36
	s_mul_i32 s12, s16, s15
	s_mul_hi_u32 s13, s16, s14
	s_add_i32 s10, s11, s10
	s_mul_i32 s11, s19, s36
	s_add_i32 s12, s13, s12
	s_mul_i32 s13, s17, s14
	s_add_i32 s11, s10, s11
	s_add_i32 s12, s12, s13
	s_mul_i32 s13, s16, s14
	v_readlane_b32 s16, v54, 18
	s_sub_u32 s14, s26, s13
	v_readlane_b32 s17, v54, 19
	s_subb_u32 s12, 0, s12
	s_mul_i32 s13, s14, s17
	s_mul_hi_u32 s15, s14, s16
	v_readlane_b32 s21, v54, 7
	s_mul_i32 s10, s18, s36
	s_add_i32 s13, s15, s13
	s_mul_i32 s12, s12, s16
	v_readlane_b32 s18, v54, 24
	s_add_i32 s13, s13, s12
	s_mul_i32 s12, s14, s16
	v_readlane_b32 s19, v54, 25
	s_mul_i32 s14, s18, s21
	s_mul_hi_u32 s15, s18, s20
	s_add_i32 s14, s15, s14
	s_mul_i32 s15, s19, s20
	s_add_i32 s14, s14, s15
	s_mul_i32 s15, s18, s20
	v_readlane_b32 s20, v54, 14
	s_sub_u32 s16, s30, s15
	v_readlane_b32 s22, v54, 16
	v_readlane_b32 s23, v54, 17
	s_subb_u32 s14, s31, s14
	s_mul_i32 s15, s16, s23
	s_mul_hi_u32 s17, s16, s22
	v_readlane_b32 s21, v54, 15
	s_add_i32 s15, s17, s15
	s_mul_i32 s14, s14, s22
	s_add_i32 s15, s15, s14
	s_mul_i32 s14, s16, s22
	s_mul_i32 s16, s18, s21
	s_mul_hi_u32 s17, s18, s20
	s_add_i32 s16, s17, s16
	s_mul_i32 s17, s19, s20
	s_add_i32 s17, s16, s17
	s_mul_i32 s16, s18, s20
	s_lshl_b64 s[10:11], s[10:11], 2
	v_readlane_b32 s18, v54, 30
	v_readlane_b32 s19, v54, 31
	s_add_u32 s10, s18, s10
	s_addc_u32 s11, s19, s11
	s_lshl_b64 s[8:9], s[8:9], 2
	s_add_u32 s10, s10, s8
	s_addc_u32 s11, s11, s9
	s_lshl_b64 s[8:9], s[12:13], 2
	;; [unrolled: 3-line block ×3, first 2 shown]
	v_readlane_b32 s12, v54, 28
	v_mov_b32_e32 v2, 0
	v_readlane_b32 s13, v54, 29
	s_add_u32 s12, s12, s10
	ds_read_b32 v0, v2 offset:5140
	s_addc_u32 s13, s13, s11
	s_lshl_b64 s[10:11], s[14:15], 3
	s_add_u32 s10, s12, s10
	s_addc_u32 s11, s13, s11
	s_lshl_b64 s[6:7], s[6:7], 3
	s_add_u32 s6, s10, s6
	s_addc_u32 s7, s11, s7
	s_waitcnt lgkmcnt(0)
	v_ashrrev_i32_e32 v1, 31, v0
	global_store_dwordx2 v2, v[0:1], s[6:7]
	global_store_dword v2, v31, s[8:9]
.LBB54_328:
	s_or_b64 exec, exec, s[2:3]
.LBB54_329:
	s_or_saveexec_b64 s[2:3], s[4:5]
	s_mov_b64 s[4:5], 0
	s_xor_b64 exec, exec, s[2:3]
	s_cbranch_execnz .LBB54_332
.LBB54_330:
	s_or_b64 exec, exec, s[2:3]
	s_and_b64 s[2:3], s[4:5], exec
	s_andn2_saveexec_b64 s[0:1], s[0:1]
	s_cbranch_execz .LBB54_306
.LBB54_331:
	s_or_b64 s[2:3], s[2:3], exec
	s_trap 2
	s_or_b64 exec, exec, s[0:1]
	s_and_saveexec_b64 s[0:1], s[2:3]
	s_cbranch_execnz .LBB54_307
	s_branch .LBB54_308
.LBB54_332:
	s_mov_b64 s[4:5], exec
	s_trap 2
	s_branch .LBB54_330
	.section	.rodata,"a",@progbits
	.p2align	6, 0x0
	.amdhsa_kernel _ZN2at6native12_GLOBAL__N_114gatherKthValueIflLi3EEEvNS_4cuda6detail10TensorInfoIKT_T0_EES8_S8_S8_S8_NS5_IS6_S8_EENS5_IlS8_EE
		.amdhsa_group_segment_fixed_size 5144
		.amdhsa_private_segment_fixed_size 0
		.amdhsa_kernarg_size 1536
		.amdhsa_user_sgpr_count 6
		.amdhsa_user_sgpr_private_segment_buffer 1
		.amdhsa_user_sgpr_dispatch_ptr 0
		.amdhsa_user_sgpr_queue_ptr 0
		.amdhsa_user_sgpr_kernarg_segment_ptr 1
		.amdhsa_user_sgpr_dispatch_id 0
		.amdhsa_user_sgpr_flat_scratch_init 0
		.amdhsa_user_sgpr_kernarg_preload_length 0
		.amdhsa_user_sgpr_kernarg_preload_offset 0
		.amdhsa_user_sgpr_private_segment_size 0
		.amdhsa_uses_dynamic_stack 0
		.amdhsa_system_sgpr_private_segment_wavefront_offset 0
		.amdhsa_system_sgpr_workgroup_id_x 1
		.amdhsa_system_sgpr_workgroup_id_y 1
		.amdhsa_system_sgpr_workgroup_id_z 1
		.amdhsa_system_sgpr_workgroup_info 0
		.amdhsa_system_vgpr_workitem_id 0
		.amdhsa_next_free_vgpr 55
		.amdhsa_next_free_sgpr 96
		.amdhsa_accum_offset 56
		.amdhsa_reserve_vcc 1
		.amdhsa_reserve_flat_scratch 0
		.amdhsa_float_round_mode_32 0
		.amdhsa_float_round_mode_16_64 0
		.amdhsa_float_denorm_mode_32 3
		.amdhsa_float_denorm_mode_16_64 3
		.amdhsa_dx10_clamp 1
		.amdhsa_ieee_mode 1
		.amdhsa_fp16_overflow 0
		.amdhsa_tg_split 0
		.amdhsa_exception_fp_ieee_invalid_op 0
		.amdhsa_exception_fp_denorm_src 0
		.amdhsa_exception_fp_ieee_div_zero 0
		.amdhsa_exception_fp_ieee_overflow 0
		.amdhsa_exception_fp_ieee_underflow 0
		.amdhsa_exception_fp_ieee_inexact 0
		.amdhsa_exception_int_div_zero 0
	.end_amdhsa_kernel
	.section	.text._ZN2at6native12_GLOBAL__N_114gatherKthValueIflLi3EEEvNS_4cuda6detail10TensorInfoIKT_T0_EES8_S8_S8_S8_NS5_IS6_S8_EENS5_IlS8_EE,"axG",@progbits,_ZN2at6native12_GLOBAL__N_114gatherKthValueIflLi3EEEvNS_4cuda6detail10TensorInfoIKT_T0_EES8_S8_S8_S8_NS5_IS6_S8_EENS5_IlS8_EE,comdat
.Lfunc_end54:
	.size	_ZN2at6native12_GLOBAL__N_114gatherKthValueIflLi3EEEvNS_4cuda6detail10TensorInfoIKT_T0_EES8_S8_S8_S8_NS5_IS6_S8_EENS5_IlS8_EE, .Lfunc_end54-_ZN2at6native12_GLOBAL__N_114gatherKthValueIflLi3EEEvNS_4cuda6detail10TensorInfoIKT_T0_EES8_S8_S8_S8_NS5_IS6_S8_EENS5_IlS8_EE
                                        ; -- End function
	.section	.AMDGPU.csdata,"",@progbits
; Kernel info:
; codeLenInByte = 21276
; NumSgprs: 100
; NumVgprs: 55
; NumAgprs: 0
; TotalNumVgprs: 55
; ScratchSize: 0
; MemoryBound: 0
; FloatMode: 240
; IeeeMode: 1
; LDSByteSize: 5144 bytes/workgroup (compile time only)
; SGPRBlocks: 12
; VGPRBlocks: 6
; NumSGPRsForWavesPerEU: 100
; NumVGPRsForWavesPerEU: 55
; AccumOffset: 56
; Occupancy: 8
; WaveLimiterHint : 1
; COMPUTE_PGM_RSRC2:SCRATCH_EN: 0
; COMPUTE_PGM_RSRC2:USER_SGPR: 6
; COMPUTE_PGM_RSRC2:TRAP_HANDLER: 0
; COMPUTE_PGM_RSRC2:TGID_X_EN: 1
; COMPUTE_PGM_RSRC2:TGID_Y_EN: 1
; COMPUTE_PGM_RSRC2:TGID_Z_EN: 1
; COMPUTE_PGM_RSRC2:TIDIG_COMP_CNT: 0
; COMPUTE_PGM_RSRC3_GFX90A:ACCUM_OFFSET: 13
; COMPUTE_PGM_RSRC3_GFX90A:TG_SPLIT: 0
	.section	.text._ZN2at6native12_GLOBAL__N_114gatherKthValueIflLin1EEEvNS_4cuda6detail10TensorInfoIKT_T0_EES8_S8_S8_S8_NS5_IS6_S8_EENS5_IlS8_EE,"axG",@progbits,_ZN2at6native12_GLOBAL__N_114gatherKthValueIflLin1EEEvNS_4cuda6detail10TensorInfoIKT_T0_EES8_S8_S8_S8_NS5_IS6_S8_EENS5_IlS8_EE,comdat
	.globl	_ZN2at6native12_GLOBAL__N_114gatherKthValueIflLin1EEEvNS_4cuda6detail10TensorInfoIKT_T0_EES8_S8_S8_S8_NS5_IS6_S8_EENS5_IlS8_EE ; -- Begin function _ZN2at6native12_GLOBAL__N_114gatherKthValueIflLin1EEEvNS_4cuda6detail10TensorInfoIKT_T0_EES8_S8_S8_S8_NS5_IS6_S8_EENS5_IlS8_EE
	.p2align	8
	.type	_ZN2at6native12_GLOBAL__N_114gatherKthValueIflLin1EEEvNS_4cuda6detail10TensorInfoIKT_T0_EES8_S8_S8_S8_NS5_IS6_S8_EENS5_IlS8_EE,@function
_ZN2at6native12_GLOBAL__N_114gatherKthValueIflLin1EEEvNS_4cuda6detail10TensorInfoIKT_T0_EES8_S8_S8_S8_NS5_IS6_S8_EENS5_IlS8_EE: ; @_ZN2at6native12_GLOBAL__N_114gatherKthValueIflLin1EEEvNS_4cuda6detail10TensorInfoIKT_T0_EES8_S8_S8_S8_NS5_IS6_S8_EENS5_IlS8_EE
; %bb.0:
	s_load_dwordx8 s[56:63], s[4:5], 0x1a0
	s_load_dwordx2 s[12:13], s[4:5], 0x500
	s_add_u32 s10, s4, 0x500
	s_addc_u32 s11, s5, 0
	s_mov_b32 s9, 0
	s_waitcnt lgkmcnt(0)
	v_mov_b32_e32 v2, s60
	s_mul_i32 s0, s13, s8
	s_add_i32 s0, s0, s7
	s_mul_i32 s0, s0, s12
	v_mov_b32_e32 v3, s61
	s_add_i32 s8, s0, s6
	v_cmp_ge_i64_e32 vcc, s[8:9], v[2:3]
	s_cbranch_vccnz .LBB55_307
; %bb.1:
	s_load_dword s0, s[4:5], 0x198
	s_mov_b64 s[2:3], 0
	s_mov_b64 s[14:15], s[8:9]
	s_waitcnt lgkmcnt(0)
	s_cmp_lt_i32 s0, 2
	s_cbranch_scc1 .LBB55_9
; %bb.2:
	s_mov_b32 s16, 0
	s_add_i32 s7, s0, 1
	s_add_i32 s0, s0, -1
	s_mov_b32 s1, s16
	s_lshl_b64 s[0:1], s[0:1], 3
	s_add_u32 s0, s0, s4
	s_addc_u32 s1, s1, s5
	s_add_u32 s18, s0, 8
	s_addc_u32 s19, s1, 0
	s_mov_b64 s[20:21], s[8:9]
.LBB55_3:                               ; =>This Inner Loop Header: Depth=1
	s_load_dwordx2 s[22:23], s[18:19], 0x0
	s_waitcnt lgkmcnt(0)
	s_or_b64 s[0:1], s[20:21], s[22:23]
	s_mov_b32 s17, s1
	s_cmp_lg_u64 s[16:17], 0
	s_cbranch_scc0 .LBB55_8
; %bb.4:                                ;   in Loop: Header=BB55_3 Depth=1
	s_ashr_i32 s14, s23, 31
	s_add_u32 s0, s22, s14
	s_mov_b32 s15, s14
	s_addc_u32 s1, s23, s14
	s_xor_b64 s[24:25], s[0:1], s[14:15]
	v_cvt_f32_u32_e32 v1, s24
	v_cvt_f32_u32_e32 v2, s25
	s_sub_u32 s0, 0, s24
	s_subb_u32 s1, 0, s25
	v_mac_f32_e32 v1, 0x4f800000, v2
	v_rcp_f32_e32 v1, v1
	v_mul_f32_e32 v1, 0x5f7ffffc, v1
	v_mul_f32_e32 v2, 0x2f800000, v1
	v_trunc_f32_e32 v2, v2
	v_mac_f32_e32 v1, 0xcf800000, v2
	v_cvt_u32_f32_e32 v2, v2
	v_cvt_u32_f32_e32 v1, v1
	v_readfirstlane_b32 s13, v2
	v_readfirstlane_b32 s17, v1
	s_mul_i32 s26, s0, s13
	s_mul_hi_u32 s28, s0, s17
	s_mul_i32 s27, s1, s17
	s_add_i32 s26, s28, s26
	s_add_i32 s26, s26, s27
	s_mul_i32 s29, s0, s17
	s_mul_hi_u32 s27, s17, s26
	s_mul_i32 s28, s17, s26
	s_mul_hi_u32 s17, s17, s29
	s_add_u32 s17, s17, s28
	s_addc_u32 s27, 0, s27
	s_mul_hi_u32 s30, s13, s29
	s_mul_i32 s29, s13, s29
	s_add_u32 s17, s17, s29
	s_mul_hi_u32 s28, s13, s26
	s_addc_u32 s17, s27, s30
	s_addc_u32 s27, s28, 0
	s_mul_i32 s26, s13, s26
	s_add_u32 s17, s17, s26
	s_addc_u32 s26, 0, s27
	v_add_co_u32_e32 v1, vcc, s17, v1
	s_cmp_lg_u64 vcc, 0
	s_addc_u32 s13, s13, s26
	v_readfirstlane_b32 s26, v1
	s_mul_i32 s17, s0, s13
	s_mul_hi_u32 s27, s0, s26
	s_add_i32 s17, s27, s17
	s_mul_i32 s1, s1, s26
	s_add_i32 s17, s17, s1
	s_mul_i32 s0, s0, s26
	s_mul_hi_u32 s27, s13, s0
	s_mul_i32 s28, s13, s0
	s_mul_i32 s30, s26, s17
	s_mul_hi_u32 s0, s26, s0
	s_mul_hi_u32 s29, s26, s17
	s_add_u32 s0, s0, s30
	s_addc_u32 s26, 0, s29
	s_add_u32 s0, s0, s28
	s_mul_hi_u32 s1, s13, s17
	s_addc_u32 s0, s26, s27
	s_addc_u32 s1, s1, 0
	s_mul_i32 s17, s13, s17
	s_add_u32 s0, s0, s17
	s_addc_u32 s1, 0, s1
	v_add_co_u32_e32 v1, vcc, s0, v1
	s_cmp_lg_u64 vcc, 0
	s_addc_u32 s13, s13, s1
	s_ashr_i32 s26, s21, 31
	s_add_u32 s0, s20, s26
	s_mov_b32 s27, s26
	s_addc_u32 s1, s21, s26
	s_xor_b64 s[28:29], s[0:1], s[26:27]
	v_readfirstlane_b32 s17, v1
	s_mul_i32 s1, s28, s13
	s_mul_hi_u32 s30, s28, s17
	s_mul_hi_u32 s0, s28, s13
	s_add_u32 s1, s30, s1
	s_addc_u32 s0, 0, s0
	s_mul_hi_u32 s31, s29, s17
	s_mul_i32 s17, s29, s17
	s_add_u32 s1, s1, s17
	s_mul_hi_u32 s30, s29, s13
	s_addc_u32 s0, s0, s31
	s_addc_u32 s1, s30, 0
	s_mul_i32 s13, s29, s13
	s_add_u32 s13, s0, s13
	s_addc_u32 s17, 0, s1
	s_mul_i32 s0, s24, s17
	s_mul_hi_u32 s1, s24, s13
	s_add_i32 s0, s1, s0
	s_mul_i32 s1, s25, s13
	s_add_i32 s30, s0, s1
	s_mul_i32 s1, s24, s13
	v_mov_b32_e32 v1, s1
	s_sub_i32 s0, s29, s30
	v_sub_co_u32_e32 v1, vcc, s28, v1
	s_cmp_lg_u64 vcc, 0
	s_subb_u32 s28, s0, s25
	v_subrev_co_u32_e64 v2, s[0:1], s24, v1
	s_cmp_lg_u64 s[0:1], 0
	s_subb_u32 s0, s28, 0
	s_cmp_ge_u32 s0, s25
	v_readfirstlane_b32 s28, v2
	s_cselect_b32 s1, -1, 0
	s_cmp_ge_u32 s28, s24
	s_cselect_b32 s28, -1, 0
	s_cmp_eq_u32 s0, s25
	s_cselect_b32 s0, s28, s1
	s_add_u32 s1, s13, 1
	s_addc_u32 s28, s17, 0
	s_add_u32 s31, s13, 2
	s_addc_u32 s33, s17, 0
	s_cmp_lg_u32 s0, 0
	s_cselect_b32 s0, s31, s1
	s_cselect_b32 s1, s33, s28
	s_cmp_lg_u64 vcc, 0
	s_subb_u32 s28, s29, s30
	s_cmp_ge_u32 s28, s25
	v_readfirstlane_b32 s30, v1
	s_cselect_b32 s29, -1, 0
	s_cmp_ge_u32 s30, s24
	s_cselect_b32 s24, -1, 0
	s_cmp_eq_u32 s28, s25
	s_cselect_b32 s24, s24, s29
	s_cmp_lg_u32 s24, 0
	s_cselect_b32 s1, s1, s17
	s_cselect_b32 s0, s0, s13
	s_xor_b64 s[14:15], s[26:27], s[14:15]
	s_xor_b64 s[0:1], s[0:1], s[14:15]
	s_sub_u32 s14, s0, s14
	s_subb_u32 s15, s1, s15
	s_cbranch_execnz .LBB55_6
.LBB55_5:                               ;   in Loop: Header=BB55_3 Depth=1
	v_cvt_f32_u32_e32 v1, s22
	s_sub_i32 s0, 0, s22
	s_mov_b32 s15, s16
	v_rcp_iflag_f32_e32 v1, v1
	v_mul_f32_e32 v1, 0x4f7ffffe, v1
	v_cvt_u32_f32_e32 v1, v1
	v_readfirstlane_b32 s1, v1
	s_mul_i32 s0, s0, s1
	s_mul_hi_u32 s0, s1, s0
	s_add_i32 s1, s1, s0
	s_mul_hi_u32 s0, s20, s1
	s_mul_i32 s13, s0, s22
	s_sub_i32 s13, s20, s13
	s_add_i32 s1, s0, 1
	s_sub_i32 s14, s13, s22
	s_cmp_ge_u32 s13, s22
	s_cselect_b32 s0, s1, s0
	s_cselect_b32 s13, s14, s13
	s_add_i32 s1, s0, 1
	s_cmp_ge_u32 s13, s22
	s_cselect_b32 s14, s1, s0
.LBB55_6:                               ;   in Loop: Header=BB55_3 Depth=1
	s_mul_i32 s0, s14, s23
	s_mul_hi_u32 s1, s14, s22
	s_add_i32 s13, s1, s0
	s_load_dwordx2 s[0:1], s[18:19], 0xc8
	s_mul_i32 s17, s15, s22
	s_add_i32 s13, s13, s17
	s_mul_i32 s17, s14, s22
	s_sub_u32 s17, s20, s17
	s_subb_u32 s13, s21, s13
	s_waitcnt lgkmcnt(0)
	s_mul_i32 s13, s0, s13
	s_mul_hi_u32 s20, s0, s17
	s_add_i32 s13, s20, s13
	s_mul_i32 s1, s1, s17
	s_add_i32 s13, s13, s1
	s_mul_i32 s0, s0, s17
	s_add_u32 s2, s0, s2
	s_addc_u32 s3, s13, s3
	s_add_i32 s7, s7, -1
	s_add_u32 s18, s18, -8
	s_addc_u32 s19, s19, -1
	s_cmp_gt_u32 s7, 2
	s_cbranch_scc0 .LBB55_9
; %bb.7:                                ;   in Loop: Header=BB55_3 Depth=1
	s_mov_b64 s[20:21], s[14:15]
	s_branch .LBB55_3
.LBB55_8:                               ;   in Loop: Header=BB55_3 Depth=1
                                        ; implicit-def: $sgpr14_sgpr15
	s_branch .LBB55_5
.LBB55_9:
	s_load_dword s0, s[4:5], 0x358
	s_load_dwordx2 s[16:17], s[4:5], 0xd0
	s_add_u32 s18, s4, 0x1c0
	s_addc_u32 s19, s5, 0
	s_mov_b64 s[40:41], 0
	s_waitcnt lgkmcnt(0)
	s_cmp_lt_i32 s0, 2
	s_mov_b64 s[28:29], s[8:9]
	s_cbranch_scc1 .LBB55_17
; %bb.10:
	s_mov_b32 s20, 0
	s_add_i32 s7, s0, 1
	s_add_i32 s0, s0, -1
	s_mov_b32 s1, s20
	s_lshl_b64 s[0:1], s[0:1], 3
	s_add_u32 s0, s0, s18
	s_addc_u32 s1, s1, s19
	s_add_u32 s22, s0, 8
	s_addc_u32 s23, s1, 0
	s_mov_b64 s[24:25], s[8:9]
.LBB55_11:                              ; =>This Inner Loop Header: Depth=1
	s_load_dwordx2 s[26:27], s[22:23], 0x0
	s_waitcnt lgkmcnt(0)
	s_or_b64 s[0:1], s[24:25], s[26:27]
	s_mov_b32 s21, s1
	s_cmp_lg_u64 s[20:21], 0
	s_cbranch_scc0 .LBB55_16
; %bb.12:                               ;   in Loop: Header=BB55_11 Depth=1
	s_ashr_i32 s28, s27, 31
	s_add_u32 s0, s26, s28
	s_mov_b32 s29, s28
	s_addc_u32 s1, s27, s28
	s_xor_b64 s[30:31], s[0:1], s[28:29]
	v_cvt_f32_u32_e32 v1, s30
	v_cvt_f32_u32_e32 v2, s31
	s_sub_u32 s0, 0, s30
	s_subb_u32 s1, 0, s31
	v_mac_f32_e32 v1, 0x4f800000, v2
	v_rcp_f32_e32 v1, v1
	v_mul_f32_e32 v1, 0x5f7ffffc, v1
	v_mul_f32_e32 v2, 0x2f800000, v1
	v_trunc_f32_e32 v2, v2
	v_mac_f32_e32 v1, 0xcf800000, v2
	v_cvt_u32_f32_e32 v2, v2
	v_cvt_u32_f32_e32 v1, v1
	v_readfirstlane_b32 s13, v2
	v_readfirstlane_b32 s21, v1
	s_mul_i32 s33, s0, s13
	s_mul_hi_u32 s35, s0, s21
	s_mul_i32 s34, s1, s21
	s_add_i32 s33, s35, s33
	s_add_i32 s33, s33, s34
	s_mul_i32 s36, s0, s21
	s_mul_hi_u32 s34, s21, s33
	s_mul_i32 s35, s21, s33
	s_mul_hi_u32 s21, s21, s36
	s_add_u32 s21, s21, s35
	s_addc_u32 s34, 0, s34
	s_mul_hi_u32 s37, s13, s36
	s_mul_i32 s36, s13, s36
	s_add_u32 s21, s21, s36
	s_mul_hi_u32 s35, s13, s33
	s_addc_u32 s21, s34, s37
	s_addc_u32 s34, s35, 0
	s_mul_i32 s33, s13, s33
	s_add_u32 s21, s21, s33
	s_addc_u32 s33, 0, s34
	v_add_co_u32_e32 v1, vcc, s21, v1
	s_cmp_lg_u64 vcc, 0
	s_addc_u32 s13, s13, s33
	v_readfirstlane_b32 s33, v1
	s_mul_i32 s21, s0, s13
	s_mul_hi_u32 s34, s0, s33
	s_add_i32 s21, s34, s21
	s_mul_i32 s1, s1, s33
	s_add_i32 s21, s21, s1
	s_mul_i32 s0, s0, s33
	s_mul_hi_u32 s34, s13, s0
	s_mul_i32 s35, s13, s0
	s_mul_i32 s37, s33, s21
	s_mul_hi_u32 s0, s33, s0
	s_mul_hi_u32 s36, s33, s21
	s_add_u32 s0, s0, s37
	s_addc_u32 s33, 0, s36
	s_add_u32 s0, s0, s35
	s_mul_hi_u32 s1, s13, s21
	s_addc_u32 s0, s33, s34
	s_addc_u32 s1, s1, 0
	s_mul_i32 s21, s13, s21
	s_add_u32 s0, s0, s21
	s_addc_u32 s1, 0, s1
	v_add_co_u32_e32 v1, vcc, s0, v1
	s_cmp_lg_u64 vcc, 0
	s_addc_u32 s13, s13, s1
	s_ashr_i32 s34, s25, 31
	s_add_u32 s0, s24, s34
	s_mov_b32 s35, s34
	s_addc_u32 s1, s25, s34
	s_xor_b64 s[36:37], s[0:1], s[34:35]
	v_readfirstlane_b32 s21, v1
	s_mul_i32 s1, s36, s13
	s_mul_hi_u32 s33, s36, s21
	s_mul_hi_u32 s0, s36, s13
	s_add_u32 s1, s33, s1
	s_addc_u32 s0, 0, s0
	s_mul_hi_u32 s38, s37, s21
	s_mul_i32 s21, s37, s21
	s_add_u32 s1, s1, s21
	s_mul_hi_u32 s33, s37, s13
	s_addc_u32 s0, s0, s38
	s_addc_u32 s1, s33, 0
	s_mul_i32 s13, s37, s13
	s_add_u32 s13, s0, s13
	s_addc_u32 s21, 0, s1
	s_mul_i32 s0, s30, s21
	s_mul_hi_u32 s1, s30, s13
	s_add_i32 s0, s1, s0
	s_mul_i32 s1, s31, s13
	s_add_i32 s33, s0, s1
	s_mul_i32 s1, s30, s13
	v_mov_b32_e32 v1, s1
	s_sub_i32 s0, s37, s33
	v_sub_co_u32_e32 v1, vcc, s36, v1
	s_cmp_lg_u64 vcc, 0
	s_subb_u32 s36, s0, s31
	v_subrev_co_u32_e64 v2, s[0:1], s30, v1
	s_cmp_lg_u64 s[0:1], 0
	s_subb_u32 s0, s36, 0
	s_cmp_ge_u32 s0, s31
	v_readfirstlane_b32 s36, v2
	s_cselect_b32 s1, -1, 0
	s_cmp_ge_u32 s36, s30
	s_cselect_b32 s36, -1, 0
	s_cmp_eq_u32 s0, s31
	s_cselect_b32 s0, s36, s1
	s_add_u32 s1, s13, 1
	s_addc_u32 s36, s21, 0
	s_add_u32 s38, s13, 2
	s_addc_u32 s39, s21, 0
	s_cmp_lg_u32 s0, 0
	s_cselect_b32 s0, s38, s1
	s_cselect_b32 s1, s39, s36
	s_cmp_lg_u64 vcc, 0
	s_subb_u32 s33, s37, s33
	s_cmp_ge_u32 s33, s31
	v_readfirstlane_b32 s37, v1
	s_cselect_b32 s36, -1, 0
	s_cmp_ge_u32 s37, s30
	s_cselect_b32 s30, -1, 0
	s_cmp_eq_u32 s33, s31
	s_cselect_b32 s30, s30, s36
	s_cmp_lg_u32 s30, 0
	s_cselect_b32 s1, s1, s21
	s_cselect_b32 s0, s0, s13
	s_xor_b64 s[28:29], s[34:35], s[28:29]
	s_xor_b64 s[0:1], s[0:1], s[28:29]
	s_sub_u32 s28, s0, s28
	s_subb_u32 s29, s1, s29
	s_cbranch_execnz .LBB55_14
.LBB55_13:                              ;   in Loop: Header=BB55_11 Depth=1
	v_cvt_f32_u32_e32 v1, s26
	s_sub_i32 s0, 0, s26
	s_mov_b32 s29, s20
	v_rcp_iflag_f32_e32 v1, v1
	v_mul_f32_e32 v1, 0x4f7ffffe, v1
	v_cvt_u32_f32_e32 v1, v1
	v_readfirstlane_b32 s1, v1
	s_mul_i32 s0, s0, s1
	s_mul_hi_u32 s0, s1, s0
	s_add_i32 s1, s1, s0
	s_mul_hi_u32 s0, s24, s1
	s_mul_i32 s13, s0, s26
	s_sub_i32 s13, s24, s13
	s_add_i32 s1, s0, 1
	s_sub_i32 s21, s13, s26
	s_cmp_ge_u32 s13, s26
	s_cselect_b32 s0, s1, s0
	s_cselect_b32 s13, s21, s13
	s_add_i32 s1, s0, 1
	s_cmp_ge_u32 s13, s26
	s_cselect_b32 s28, s1, s0
.LBB55_14:                              ;   in Loop: Header=BB55_11 Depth=1
	s_mul_i32 s0, s28, s27
	s_mul_hi_u32 s1, s28, s26
	s_add_i32 s13, s1, s0
	s_load_dwordx2 s[0:1], s[22:23], 0xc8
	s_mul_i32 s21, s29, s26
	s_add_i32 s13, s13, s21
	s_mul_i32 s21, s28, s26
	s_sub_u32 s21, s24, s21
	s_subb_u32 s13, s25, s13
	s_waitcnt lgkmcnt(0)
	s_mul_i32 s13, s0, s13
	s_mul_hi_u32 s24, s0, s21
	s_add_i32 s13, s24, s13
	s_mul_i32 s1, s1, s21
	s_add_i32 s13, s13, s1
	s_mul_i32 s0, s0, s21
	s_add_u32 s40, s0, s40
	s_addc_u32 s41, s13, s41
	s_add_i32 s7, s7, -1
	s_add_u32 s22, s22, -8
	s_addc_u32 s23, s23, -1
	s_cmp_gt_u32 s7, 2
	s_cbranch_scc0 .LBB55_17
; %bb.15:                               ;   in Loop: Header=BB55_11 Depth=1
	s_mov_b64 s[24:25], s[28:29]
	s_branch .LBB55_11
.LBB55_16:                              ;   in Loop: Header=BB55_11 Depth=1
                                        ; implicit-def: $sgpr28_sgpr29
	s_branch .LBB55_13
.LBB55_17:
                                        ; implicit-def: $vgpr56 : SGPR spill to VGPR lane
	s_load_dword s13, s[4:5], 0x4f8
	s_load_dwordx2 s[0:1], s[18:19], 0xd0
	v_writelane_b32 v56, s40, 0
	v_writelane_b32 v56, s41, 1
	;; [unrolled: 1-line block ×4, first 2 shown]
	s_waitcnt lgkmcnt(0)
	v_writelane_b32 v56, s0, 4
	v_writelane_b32 v56, s1, 5
	s_add_u32 s0, s4, 0x360
	s_addc_u32 s1, s5, 0
	s_cmp_lt_i32 s13, 2
	s_mov_b64 s[64:65], 0
                                        ; kill: killed $sgpr18 killed $sgpr19
	s_cbranch_scc1 .LBB55_25
; %bb.18:
	s_mov_b32 s18, 0
	s_add_i32 s20, s13, -1
	s_mov_b32 s21, s18
	s_add_i32 s7, s13, 1
	s_lshl_b64 s[20:21], s[20:21], 3
	s_add_u32 s0, s20, s0
	s_addc_u32 s1, s21, s1
	s_add_u32 s20, s0, 8
	s_addc_u32 s21, s1, 0
.LBB55_19:                              ; =>This Inner Loop Header: Depth=1
	s_load_dwordx2 s[22:23], s[20:21], 0x0
	s_waitcnt lgkmcnt(0)
	s_or_b64 s[0:1], s[8:9], s[22:23]
	s_mov_b32 s19, s1
	s_cmp_lg_u64 s[18:19], 0
	s_cbranch_scc0 .LBB55_24
; %bb.20:                               ;   in Loop: Header=BB55_19 Depth=1
	s_ashr_i32 s24, s23, 31
	s_add_u32 s0, s22, s24
	s_mov_b32 s25, s24
	s_addc_u32 s1, s23, s24
	s_xor_b64 s[26:27], s[0:1], s[24:25]
	v_cvt_f32_u32_e32 v1, s26
	v_cvt_f32_u32_e32 v2, s27
	s_sub_u32 s0, 0, s26
	s_subb_u32 s1, 0, s27
	v_mac_f32_e32 v1, 0x4f800000, v2
	v_rcp_f32_e32 v1, v1
	v_mul_f32_e32 v1, 0x5f7ffffc, v1
	v_mul_f32_e32 v2, 0x2f800000, v1
	v_trunc_f32_e32 v2, v2
	v_mac_f32_e32 v1, 0xcf800000, v2
	v_cvt_u32_f32_e32 v2, v2
	v_cvt_u32_f32_e32 v1, v1
	v_readfirstlane_b32 s13, v2
	v_readfirstlane_b32 s19, v1
	s_mul_i32 s28, s0, s13
	s_mul_hi_u32 s30, s0, s19
	s_mul_i32 s29, s1, s19
	s_add_i32 s28, s30, s28
	s_add_i32 s28, s28, s29
	s_mul_i32 s31, s0, s19
	s_mul_hi_u32 s29, s19, s28
	s_mul_i32 s30, s19, s28
	s_mul_hi_u32 s19, s19, s31
	s_add_u32 s19, s19, s30
	s_addc_u32 s29, 0, s29
	s_mul_hi_u32 s33, s13, s31
	s_mul_i32 s31, s13, s31
	s_add_u32 s19, s19, s31
	s_mul_hi_u32 s30, s13, s28
	s_addc_u32 s19, s29, s33
	s_addc_u32 s29, s30, 0
	s_mul_i32 s28, s13, s28
	s_add_u32 s19, s19, s28
	s_addc_u32 s28, 0, s29
	v_add_co_u32_e32 v1, vcc, s19, v1
	s_cmp_lg_u64 vcc, 0
	s_addc_u32 s13, s13, s28
	v_readfirstlane_b32 s28, v1
	s_mul_i32 s19, s0, s13
	s_mul_hi_u32 s29, s0, s28
	s_add_i32 s19, s29, s19
	s_mul_i32 s1, s1, s28
	s_add_i32 s19, s19, s1
	s_mul_i32 s0, s0, s28
	s_mul_hi_u32 s29, s13, s0
	s_mul_i32 s30, s13, s0
	s_mul_i32 s33, s28, s19
	s_mul_hi_u32 s0, s28, s0
	s_mul_hi_u32 s31, s28, s19
	s_add_u32 s0, s0, s33
	s_addc_u32 s28, 0, s31
	s_add_u32 s0, s0, s30
	s_mul_hi_u32 s1, s13, s19
	s_addc_u32 s0, s28, s29
	s_addc_u32 s1, s1, 0
	s_mul_i32 s19, s13, s19
	s_add_u32 s0, s0, s19
	s_addc_u32 s1, 0, s1
	v_add_co_u32_e32 v1, vcc, s0, v1
	s_cmp_lg_u64 vcc, 0
	s_addc_u32 s13, s13, s1
	s_ashr_i32 s28, s9, 31
	s_add_u32 s0, s8, s28
	s_mov_b32 s29, s28
	s_addc_u32 s1, s9, s28
	s_xor_b64 s[30:31], s[0:1], s[28:29]
	v_readfirstlane_b32 s19, v1
	s_mul_i32 s1, s30, s13
	s_mul_hi_u32 s33, s30, s19
	s_mul_hi_u32 s0, s30, s13
	s_add_u32 s1, s33, s1
	s_addc_u32 s0, 0, s0
	s_mul_hi_u32 s34, s31, s19
	s_mul_i32 s19, s31, s19
	s_add_u32 s1, s1, s19
	s_mul_hi_u32 s33, s31, s13
	s_addc_u32 s0, s0, s34
	s_addc_u32 s1, s33, 0
	s_mul_i32 s13, s31, s13
	s_add_u32 s13, s0, s13
	s_addc_u32 s19, 0, s1
	s_mul_i32 s0, s26, s19
	s_mul_hi_u32 s1, s26, s13
	s_add_i32 s0, s1, s0
	s_mul_i32 s1, s27, s13
	s_add_i32 s33, s0, s1
	s_mul_i32 s1, s26, s13
	v_mov_b32_e32 v1, s1
	s_sub_i32 s0, s31, s33
	v_sub_co_u32_e32 v1, vcc, s30, v1
	s_cmp_lg_u64 vcc, 0
	s_subb_u32 s30, s0, s27
	v_subrev_co_u32_e64 v2, s[0:1], s26, v1
	s_cmp_lg_u64 s[0:1], 0
	s_subb_u32 s0, s30, 0
	s_cmp_ge_u32 s0, s27
	v_readfirstlane_b32 s30, v2
	s_cselect_b32 s1, -1, 0
	s_cmp_ge_u32 s30, s26
	s_cselect_b32 s30, -1, 0
	s_cmp_eq_u32 s0, s27
	s_cselect_b32 s0, s30, s1
	s_add_u32 s1, s13, 1
	s_addc_u32 s30, s19, 0
	s_add_u32 s34, s13, 2
	s_addc_u32 s35, s19, 0
	s_cmp_lg_u32 s0, 0
	s_cselect_b32 s0, s34, s1
	s_cselect_b32 s1, s35, s30
	s_cmp_lg_u64 vcc, 0
	s_subb_u32 s30, s31, s33
	s_cmp_ge_u32 s30, s27
	v_readfirstlane_b32 s33, v1
	s_cselect_b32 s31, -1, 0
	s_cmp_ge_u32 s33, s26
	s_cselect_b32 s26, -1, 0
	s_cmp_eq_u32 s30, s27
	s_cselect_b32 s26, s26, s31
	s_cmp_lg_u32 s26, 0
	s_cselect_b32 s1, s1, s19
	s_cselect_b32 s0, s0, s13
	s_xor_b64 s[24:25], s[28:29], s[24:25]
	s_xor_b64 s[0:1], s[0:1], s[24:25]
	s_sub_u32 s68, s0, s24
	s_subb_u32 s69, s1, s25
	s_cbranch_execnz .LBB55_22
.LBB55_21:                              ;   in Loop: Header=BB55_19 Depth=1
	v_cvt_f32_u32_e32 v1, s22
	s_sub_i32 s0, 0, s22
	s_mov_b32 s69, s18
	v_rcp_iflag_f32_e32 v1, v1
	v_mul_f32_e32 v1, 0x4f7ffffe, v1
	v_cvt_u32_f32_e32 v1, v1
	v_readfirstlane_b32 s1, v1
	s_mul_i32 s0, s0, s1
	s_mul_hi_u32 s0, s1, s0
	s_add_i32 s1, s1, s0
	s_mul_hi_u32 s0, s8, s1
	s_mul_i32 s13, s0, s22
	s_sub_i32 s13, s8, s13
	s_add_i32 s1, s0, 1
	s_sub_i32 s19, s13, s22
	s_cmp_ge_u32 s13, s22
	s_cselect_b32 s0, s1, s0
	s_cselect_b32 s13, s19, s13
	s_add_i32 s1, s0, 1
	s_cmp_ge_u32 s13, s22
	s_cselect_b32 s68, s1, s0
.LBB55_22:                              ;   in Loop: Header=BB55_19 Depth=1
	s_mul_i32 s0, s68, s23
	s_mul_hi_u32 s1, s68, s22
	s_add_i32 s13, s1, s0
	s_load_dwordx2 s[0:1], s[20:21], 0xc8
	s_mul_i32 s19, s69, s22
	s_add_i32 s13, s13, s19
	s_mul_i32 s19, s68, s22
	s_sub_u32 s8, s8, s19
	s_subb_u32 s9, s9, s13
	s_waitcnt lgkmcnt(0)
	s_mul_i32 s9, s0, s9
	s_mul_hi_u32 s13, s0, s8
	s_add_i32 s9, s13, s9
	s_mul_i32 s1, s1, s8
	s_add_i32 s9, s9, s1
	s_mul_i32 s0, s0, s8
	s_add_u32 s64, s0, s64
	s_addc_u32 s65, s9, s65
	s_add_i32 s7, s7, -1
	s_add_u32 s20, s20, -8
	s_addc_u32 s21, s21, -1
	s_cmp_gt_u32 s7, 2
	s_cbranch_scc0 .LBB55_26
; %bb.23:                               ;   in Loop: Header=BB55_19 Depth=1
	s_mov_b64 s[8:9], s[68:69]
	s_branch .LBB55_19
.LBB55_24:                              ;   in Loop: Header=BB55_19 Depth=1
                                        ; implicit-def: $sgpr68_sgpr69
	s_branch .LBB55_21
.LBB55_25:
	s_mov_b64 s[68:69], s[8:9]
.LBB55_26:
	s_load_dwordx2 s[0:1], s[4:5], 0x0
	s_load_dwordx2 s[8:9], s[4:5], 0x1c0
	s_mov_b32 s77, 0
                                        ; kill: killed $sgpr4 killed $sgpr5
	s_waitcnt lgkmcnt(0)
	v_writelane_b32 v56, s8, 6
	v_writelane_b32 v56, s9, 7
	s_load_dwordx2 s[8:9], s[4:5], 0x430
	s_waitcnt lgkmcnt(0)
	v_writelane_b32 v56, s8, 8
	v_writelane_b32 v56, s9, 9
	s_load_dwordx2 s[8:9], s[4:5], 0x360
	s_waitcnt lgkmcnt(0)
	v_writelane_b32 v56, s8, 10
	v_writelane_b32 v56, s9, 11
	v_cmp_eq_u32_e64 s[8:9], 0, v0
	s_mov_b64 s[4:5], exec
	v_writelane_b32 v56, s8, 12
	v_writelane_b32 v56, s9, 13
	s_and_b64 s[8:9], s[4:5], s[8:9]
	s_mov_b64 exec, s[8:9]
	s_cbranch_execz .LBB55_28
; %bb.27:
	v_mov_b32_e32 v2, 0
	v_mov_b32_e32 v4, s56
	;; [unrolled: 1-line block ×4, first 2 shown]
	ds_write_b32 v2, v2 offset:5136
	ds_write_b128 v2, v[2:5] offset:5120
.LBB55_28:
	s_or_b64 exec, exec, s[4:5]
	s_mul_i32 s4, s16, s15
	s_mul_hi_u32 s5, s16, s14
	s_add_i32 s4, s5, s4
	s_mul_i32 s5, s17, s14
	s_add_i32 s5, s4, s5
	s_mul_i32 s4, s16, s14
	s_lshl_b64 s[8:9], s[4:5], 2
	s_lshl_b64 s[80:81], s[2:3], 2
	s_add_u32 s14, s0, s8
	v_mbcnt_lo_u32_b32 v1, -1, 0
	s_addc_u32 s15, s1, s9
	v_mbcnt_hi_u32_b32 v46, -1, v1
	s_add_u32 s4, s14, s80
	v_cmp_gt_u32_e32 vcc, 64, v0
	v_cmp_gt_i32_e64 s[2:3], 4, v46
	s_addc_u32 s5, s15, s81
	s_and_b64 s[52:53], vcc, s[2:3]
	v_cmp_gt_u32_e64 s[2:3], 2, v0
	v_mov_b32_e32 v2, 0x300
	v_writelane_b32 v56, s2, 14
	v_mov_b32_e32 v3, 0
	v_mov_b32_e32 v13, 0
	v_writelane_b32 v56, s3, 15
	v_cmp_gt_i64_e64 s[2:3], s[56:57], v[2:3]
	v_mov_b32_e32 v1, v13
	v_writelane_b32 v56, s2, 16
	v_writelane_b32 v56, s3, 17
	v_cmp_gt_u64_e64 s[2:3], s[56:57], v[0:1]
	v_writelane_b32 v56, s2, 18
	v_writelane_b32 v56, s3, 19
	v_mad_u64_u32 v[2:3], s[2:3], v0, s62, 0
	v_mov_b32_e32 v4, v3
	v_mad_u64_u32 v[4:5], s[2:3], v0, s63, v[4:5]
	v_writelane_b32 v56, s5, 20
	v_writelane_b32 v56, s4, 21
	v_cmp_gt_i64_e64 s[2:3], s[56:57], v[0:1]
	v_writelane_b32 v56, s2, 22
	s_waitcnt lgkmcnt(0)
	s_barrier
	v_writelane_b32 v56, s3, 23
	s_load_dword s2, s[10:11], 0xc
	v_mov_b32_e32 v3, v4
	v_lshlrev_b64 v[4:5], 2, v[2:3]
	v_mov_b32_e32 v6, s5
	v_add_co_u32_e32 v16, vcc, s4, v4
	s_waitcnt lgkmcnt(0)
	s_and_b32 s33, s2, 0xffff
	s_bfe_u32 s3, s2, 0xa0006
	v_cmp_gt_u16_e64 s[4:5], s2, 63
	v_writelane_b32 v56, s4, 24
	s_add_u32 s2, s33, -1
	v_writelane_b32 v56, s5, 25
	s_addc_u32 s4, 0, -1
	s_add_u32 s61, s2, s56
	s_addc_u32 s49, s4, s57
	s_cmp_lt_u32 s6, s12
	v_writelane_b32 v56, s2, 26
	s_cselect_b32 s2, 12, 18
	s_add_u32 s72, s10, s2
	s_addc_u32 s73, s11, 0
	s_add_i32 s2, s3, -1
	s_bfe_u32 s6, s33, 0x30006
	s_cmp_gt_u32 s2, 6
	v_writelane_b32 v56, s4, 27
	s_cselect_b64 s[4:5], -1, 0
	v_writelane_b32 v56, s4, 28
	s_and_b32 s45, s3, 0x3f8
	v_writelane_b32 v56, s5, 29
	s_cmp_lg_u32 s6, 0
	v_writelane_b32 v56, s6, 30
	s_cselect_b64 s[2:3], -1, 0
	v_writelane_b32 v56, s2, 31
	v_writelane_b32 v56, s3, 32
	s_add_u32 s2, s8, s80
	s_addc_u32 s3, s9, s81
	s_add_u32 s2, s0, s2
	v_addc_co_u32_e32 v17, vcc, v6, v5, vcc
	v_lshrrev_b32_e32 v6, 4, v0
	s_addc_u32 s3, s1, s3
	v_and_b32_e32 v48, 60, v6
	v_lshlrev_b32_e32 v6, 2, v46
	v_writelane_b32 v56, s2, 33
	v_and_b32_e32 v49, 0x100, v6
	v_lshlrev_b64 v[6:7], v46, -1
	v_writelane_b32 v56, s3, 34
	s_lshl_b64 s[2:3], s[62:63], 2
	v_lshlrev_b32_e32 v50, 4, v0
	v_not_b32_e32 v19, v7
	v_not_b32_e32 v18, v6
	v_writelane_b32 v56, s2, 35
	v_or_b32_e32 v9, 12, v50
	v_pk_mov_b32 v[6:7], s[14:15], s[14:15] op_sel:[0,1]
	v_writelane_b32 v56, s3, 36
	v_mad_u64_u32 v[20:21], s[2:3], s62, v9, v[6:7]
	v_mov_b32_e32 v8, v21
	v_mad_u64_u32 v[8:9], s[2:3], s63, v9, v[8:9]
	s_lshl_b64 s[2:3], s[62:63], 4
	v_writelane_b32 v56, s2, 37
	v_or_b32_e32 v9, 8, v50
	v_writelane_b32 v56, s3, 38
	v_mad_u64_u32 v[22:23], s[2:3], s62, v9, v[6:7]
	v_mov_b32_e32 v21, v8
	v_mov_b32_e32 v8, v23
	v_mad_u64_u32 v[8:9], s[2:3], s63, v9, v[8:9]
	v_mov_b32_e32 v23, v8
	v_or_b32_e32 v8, 4, v50
	v_mad_u64_u32 v[24:25], s[2:3], s62, v8, v[6:7]
	v_cmp_eq_u32_e64 s[50:51], 0, v46
	v_mov_b32_e32 v6, v25
	v_mad_u64_u32 v[6:7], s[2:3], s63, v8, v[6:7]
	v_lshlrev_b64 v[2:3], 4, v[2:3]
	v_writelane_b32 v56, s50, 39
	v_mov_b32_e32 v25, v6
	v_mov_b32_e32 v6, s15
	v_add_co_u32_e32 v26, vcc, s14, v2
	s_add_u32 s0, s0, s80
	v_writelane_b32 v56, s51, 40
	v_addc_co_u32_e32 v27, vcc, v6, v3, vcc
	s_addc_u32 s1, s1, s81
	v_writelane_b32 v56, s52, 41
	v_mov_b32_e32 v2, s57
	v_add_co_u32_e32 v51, vcc, s56, v0
	s_add_u32 s0, s0, s8
	v_writelane_b32 v56, s53, 42
	v_addc_co_u32_e32 v52, vcc, 0, v2, vcc
	v_mov_b32_e32 v2, 0xc00
	s_addc_u32 s1, s1, s9
	v_writelane_b32 v56, s68, 43
	v_lshl_or_b32 v53, v46, 3, v2
	v_mov_b32_e32 v2, s1
	v_add_co_u32_e32 v10, vcc, s0, v4
	s_mul_i32 s0, s63, s33
	s_mul_hi_u32 s1, s62, s33
	v_writelane_b32 v56, s69, 44
	v_lshlrev_b32_e32 v14, 2, v0
	s_add_i32 s1, s1, s0
	s_mul_i32 s0, s62, s33
	v_writelane_b32 v56, s72, 45
	v_add_u32_e32 v47, 0xc00, v14
	v_mov_b32_e32 v15, v13
	s_mov_b32 s86, s77
	v_addc_co_u32_e32 v11, vcc, v2, v5, vcc
	s_lshl_b64 s[78:79], s[0:1], 2
	s_lshl_b32 s70, s33, 2
	s_mov_b32 s60, 30
	s_mov_b64 s[66:67], 0
	v_mov_b32_e32 v28, 1.0
	v_bfrev_b32_e32 v54, 1
	v_cvt_f32_ubyte0_e32 v55, 0
	v_mov_b32_e32 v31, 0
	s_mov_b32 s87, 0
	s_mov_b32 s4, 0
	s_mov_b32 s71, 0
	v_writelane_b32 v56, s73, 46
                                        ; implicit-def: $sgpr74_sgpr75
                                        ; implicit-def: $sgpr88_sgpr89
                                        ; implicit-def: $sgpr90_sgpr91
                                        ; implicit-def: $sgpr82_sgpr83
                                        ; implicit-def: $sgpr0_sgpr1
                                        ; implicit-def: $sgpr8_sgpr9
	v_writelane_b32 v56, s45, 47
	s_branch .LBB55_33
.LBB55_29:                              ;   in Loop: Header=BB55_33 Depth=1
	s_xor_b32 s87, s87, 1
	s_add_i32 s5, s60, -2
	s_cmp_eq_u32 s60, 0
	s_mov_b64 s[6:7], 0
	s_cselect_b64 s[12:13], -1, 0
	s_mov_b32 s60, s5
.LBB55_30:                              ;   in Loop: Header=BB55_33 Depth=1
	s_andn2_b64 s[16:17], s[22:23], exec
	s_and_b64 s[6:7], s[6:7], exec
	s_or_b64 s[22:23], s[16:17], s[6:7]
	s_andn2_b64 s[24:25], s[24:25], exec
	s_andn2_b64 s[20:21], s[20:21], exec
	s_orn2_b64 s[16:17], s[12:13], exec
.LBB55_31:                              ;   in Loop: Header=BB55_33 Depth=1
	s_or_b64 exec, exec, s[2:3]
	s_andn2_b64 s[2:3], s[8:9], exec
	s_and_b64 s[6:7], s[22:23], exec
	s_or_b64 s[8:9], s[2:3], s[6:7]
	s_andn2_b64 s[0:1], s[0:1], exec
	s_and_b64 s[2:3], s[24:25], exec
	s_or_b64 s[0:1], s[0:1], s[2:3]
	;; [unrolled: 3-line block ×3, first 2 shown]
	s_orn2_b64 s[20:21], s[16:17], exec
.LBB55_32:                              ;   in Loop: Header=BB55_33 Depth=1
	s_or_b64 exec, exec, s[14:15]
	s_and_b64 s[2:3], exec, s[20:21]
	s_or_b64 s[66:67], s[2:3], s[66:67]
	s_andn2_b64 s[2:3], s[90:91], exec
	s_and_b64 s[6:7], s[8:9], exec
	s_or_b64 s[90:91], s[2:3], s[6:7]
	s_andn2_b64 s[2:3], s[88:89], exec
	s_and_b64 s[6:7], s[0:1], exec
	;; [unrolled: 3-line block ×3, first 2 shown]
	v_mov_b32_e32 v2, s4
	s_or_b64 s[74:75], s[2:3], s[6:7]
	s_andn2_b64 exec, exec, s[66:67]
	s_cbranch_execz .LBB55_303
.LBB55_33:                              ; =>This Loop Header: Depth=1
                                        ;     Child Loop BB55_41 Depth 2
                                        ;     Child Loop BB55_60 Depth 2
                                        ;     Child Loop BB55_87 Depth 2
                                        ;     Child Loop BB55_91 Depth 2
                                        ;     Child Loop BB55_73 Depth 2
                                        ;     Child Loop BB55_80 Depth 2
                                        ;     Child Loop BB55_100 Depth 2
                                        ;     Child Loop BB55_106 Depth 2
                                        ;     Child Loop BB55_133 Depth 2
                                        ;     Child Loop BB55_118 Depth 2
                                        ;     Child Loop BB55_180 Depth 2
                                        ;     Child Loop BB55_163 Depth 2
                                        ;     Child Loop BB55_227 Depth 2
                                        ;     Child Loop BB55_210 Depth 2
                                        ;     Child Loop BB55_274 Depth 2
                                        ;     Child Loop BB55_257 Depth 2
	ds_read_b128 v[2:5], v13 offset:5120
	s_waitcnt lgkmcnt(0)
	v_readfirstlane_b32 s85, v3
	v_readfirstlane_b32 s84, v2
	v_cmp_gt_i64_e64 s[2:3], s[84:85], 0
	s_and_b64 vcc, exec, s[2:3]
	s_cbranch_vccnz .LBB55_67
; %bb.34:                               ;   in Loop: Header=BB55_33 Depth=1
	v_readlane_b32 s2, v56, 16
	v_readlane_b32 s3, v56, 17
	s_and_b64 vcc, exec, s[2:3]
	s_cbranch_vccz .LBB55_49
; %bb.35:                               ;   in Loop: Header=BB55_33 Depth=1
	s_mov_b64 s[2:3], 0x301
	v_cmp_gt_i64_e32 vcc, s[2:3], v[4:5]
	s_mov_b64 s[2:3], 0
	s_mov_b64 s[6:7], 0
	s_cbranch_vccz .LBB55_54
; %bb.36:                               ;   in Loop: Header=BB55_33 Depth=1
	v_mov_b32_e32 v6, 0
	s_mov_b64 s[6:7], exec
	v_readlane_b32 s12, v56, 18
	v_readlane_b32 s13, v56, 19
	s_and_b64 s[12:13], s[6:7], s[12:13]
	s_mov_b64 exec, s[12:13]
	s_cbranch_execz .LBB55_38
; %bb.37:                               ;   in Loop: Header=BB55_33 Depth=1
	global_load_dword v6, v[16:17], off
.LBB55_38:                              ;   in Loop: Header=BB55_33 Depth=1
	s_or_b64 exec, exec, s[6:7]
	s_mov_b64 s[14:15], exec
	v_readlane_b32 s6, v56, 18
	v_readlane_b32 s7, v56, 19
	s_and_b64 s[6:7], s[14:15], s[6:7]
	s_mov_b64 exec, s[6:7]
	s_cbranch_execz .LBB55_50
; %bb.39:                               ;   in Loop: Header=BB55_33 Depth=1
	global_load_ushort v7, v13, s[72:73]
	v_readlane_b32 s6, v56, 33
	v_readlane_b32 s7, v56, 34
	v_pk_mov_b32 v[2:3], s[6:7], s[6:7] op_sel:[0,1]
	v_readlane_b32 s18, v56, 35
	v_readlane_b32 s19, v56, 36
	s_mov_b64 s[16:17], 0
	s_waitcnt vmcnt(0)
	v_readfirstlane_b32 s5, v7
	s_and_b32 s5, 0xffff, s5
	v_add_u32_e32 v5, s5, v0
	v_mad_u64_u32 v[2:3], s[6:7], s18, v5, v[2:3]
	v_mov_b32_e32 v4, v3
	s_mul_i32 s12, s19, s5
	s_mul_hi_u32 s13, s18, s5
	v_mad_u64_u32 v[4:5], s[6:7], s19, v5, v[4:5]
	s_mul_i32 s5, s18, s5
	s_add_i32 s24, s13, s12
	v_mov_b32_e32 v3, v4
	v_pk_mov_b32 v[4:5], v[0:1], v[0:1] op_sel:[0,1]
	s_branch .LBB55_41
.LBB55_40:                              ;   in Loop: Header=BB55_41 Depth=2
	s_or_b64 exec, exec, s[6:7]
	v_mov_b32_e32 v6, s24
	v_add_co_u32_e32 v2, vcc, s5, v2
	v_addc_co_u32_e32 v3, vcc, v3, v6, vcc
	s_waitcnt vmcnt(0)
	v_mov_b32_e32 v6, v8
	s_andn2_b64 exec, exec, s[16:17]
	s_cbranch_execz .LBB55_50
.LBB55_41:                              ;   Parent Loop BB55_33 Depth=1
                                        ; =>  This Inner Loop Header: Depth=2
	v_add_co_u32_sdwa v4, vcc, v4, v7 dst_sel:DWORD dst_unused:UNUSED_PAD src0_sel:DWORD src1_sel:WORD_0
	v_addc_co_u32_e32 v5, vcc, 0, v5, vcc
	v_cmp_gt_i64_e64 s[6:7], s[56:57], v[4:5]
	v_cmp_le_i64_e32 vcc, s[56:57], v[4:5]
	s_waitcnt lgkmcnt(0)
	v_mov_b32_e32 v9, 0
	v_mov_b32_e32 v8, 0
	s_and_saveexec_b64 s[12:13], s[6:7]
	s_cbranch_execz .LBB55_43
; %bb.42:                               ;   in Loop: Header=BB55_41 Depth=2
	global_load_dword v8, v[2:3], off
.LBB55_43:                              ;   in Loop: Header=BB55_41 Depth=2
	s_or_b64 exec, exec, s[12:13]
	v_cmp_lt_i32_e64 s[6:7], -1, v6
	v_cndmask_b32_e64 v12, -1, v54, s[6:7]
	v_xor_b32_e32 v12, v12, v6
	v_cmp_o_f32_e64 s[6:7], v6, v6
	v_cndmask_b32_e64 v12, -1, v12, s[6:7]
	v_and_b32_e32 v12, s71, v12
	v_cmp_eq_u32_e64 s[12:13], s4, v12
	s_cmp_lg_u64 s[12:13], 0
	s_cselect_b64 s[6:7], -1, 0
	s_and_b64 s[6:7], s[50:51], s[6:7]
	s_and_saveexec_b64 s[18:19], s[6:7]
	s_cbranch_execz .LBB55_47
; %bb.44:                               ;   in Loop: Header=BB55_41 Depth=2
	s_mov_b64 s[22:23], exec
	v_mbcnt_lo_u32_b32 v9, s22, 0
	v_mbcnt_hi_u32_b32 v9, s23, v9
	s_bcnt1_i32_b64 s25, s[12:13]
	v_cmp_eq_u32_e64 s[6:7], 0, v9
                                        ; implicit-def: $vgpr12
	s_and_saveexec_b64 s[20:21], s[6:7]
	s_cbranch_execz .LBB55_46
; %bb.45:                               ;   in Loop: Header=BB55_41 Depth=2
	s_bcnt1_i32_b64 s6, s[22:23]
	s_mul_i32 s6, s25, s6
	v_mov_b32_e32 v12, s6
	ds_add_rtn_u32 v12, v13, v12 offset:5136
.LBB55_46:                              ;   in Loop: Header=BB55_41 Depth=2
	s_or_b64 exec, exec, s[20:21]
	s_waitcnt lgkmcnt(0)
	v_readfirstlane_b32 s6, v12
	v_mov_b32_e32 v12, s6
	v_mad_u32_u24 v9, s25, v9, v12
.LBB55_47:                              ;   in Loop: Header=BB55_41 Depth=2
	s_or_b64 exec, exec, s[18:19]
	ds_bpermute_b32 v9, v49, v9
	s_and_b64 s[6:7], exec, vcc
	s_or_b64 s[16:17], s[6:7], s[16:17]
	s_and_saveexec_b64 s[6:7], s[12:13]
	s_cbranch_execz .LBB55_40
; %bb.48:                               ;   in Loop: Header=BB55_41 Depth=2
	v_and_b32_e32 v29, s12, v18
	v_and_b32_e32 v12, s13, v19
	v_bcnt_u32_b32 v29, v29, 0
	v_bcnt_u32_b32 v12, v12, v29
	v_lshlrev_b32_e32 v12, 2, v12
	s_waitcnt lgkmcnt(0)
	v_lshl_add_u32 v9, v9, 2, v12
	ds_write_b32 v9, v6
	s_branch .LBB55_40
.LBB55_49:                              ;   in Loop: Header=BB55_33 Depth=1
	s_mov_b64 s[2:3], -1
	s_mov_b64 s[6:7], 0
	s_branch .LBB55_53
.LBB55_50:                              ;   in Loop: Header=BB55_33 Depth=1
	s_or_b64 exec, exec, s[14:15]
	s_waitcnt lgkmcnt(0)
	s_barrier
	s_mov_b64 s[6:7], exec
	v_readlane_b32 s12, v56, 12
	v_readlane_b32 s13, v56, 13
	s_and_b64 s[12:13], s[6:7], s[12:13]
	s_mov_b64 exec, s[12:13]
	s_cbranch_execz .LBB55_52
; %bb.51:                               ;   in Loop: Header=BB55_33 Depth=1
	ds_read_b32 v2, v13 offset:5136
	s_waitcnt lgkmcnt(0)
	v_ashrrev_i32_e32 v3, 31, v2
	ds_write_b64 v13, v[2:3] offset:5120
.LBB55_52:                              ;   in Loop: Header=BB55_33 Depth=1
	s_or_b64 exec, exec, s[6:7]
	s_waitcnt lgkmcnt(0)
	s_barrier
	s_mov_b64 s[6:7], -1
.LBB55_53:                              ;   in Loop: Header=BB55_33 Depth=1
                                        ; implicit-def: $sgpr84_sgpr85
.LBB55_54:                              ;   in Loop: Header=BB55_33 Depth=1
	s_and_b64 vcc, exec, s[2:3]
	s_cbranch_vccz .LBB55_65
; %bb.55:                               ;   in Loop: Header=BB55_33 Depth=1
	s_waitcnt vmcnt(0)
	v_mov_b32_e32 v6, 0
	s_mov_b64 s[2:3], exec
	v_readlane_b32 s6, v56, 22
	v_readlane_b32 s7, v56, 23
	s_and_b64 s[6:7], s[2:3], s[6:7]
	s_mov_b64 exec, s[6:7]
	s_cbranch_execz .LBB55_57
; %bb.56:                               ;   in Loop: Header=BB55_33 Depth=1
	global_load_dword v6, v[16:17], off
.LBB55_57:                              ;   in Loop: Header=BB55_33 Depth=1
	s_or_b64 exec, exec, s[2:3]
	s_mov_b64 s[2:3], exec
	v_readlane_b32 s6, v56, 22
	v_readlane_b32 s7, v56, 23
	s_and_b64 s[6:7], s[2:3], s[6:7]
	s_mov_b64 exec, s[6:7]
	s_cbranch_execz .LBB55_62
; %bb.58:                               ;   in Loop: Header=BB55_33 Depth=1
	global_load_ushort v7, v13, s[72:73]
	v_readlane_b32 s6, v56, 33
	v_readlane_b32 s7, v56, 34
	v_pk_mov_b32 v[2:3], s[6:7], s[6:7] op_sel:[0,1]
	v_readlane_b32 s18, v56, 35
	v_readlane_b32 s19, v56, 36
	s_mov_b64 s[12:13], 0
	v_mov_b32_e32 v8, v14
	s_waitcnt vmcnt(0)
	v_readfirstlane_b32 s5, v7
	s_and_b32 s6, 0xffff, s5
	v_add_u32_e32 v5, s6, v0
	s_lshl_b32 s5, s6, 2
	s_mul_i32 s14, s19, s6
	s_mul_hi_u32 s15, s18, s6
	s_mul_i32 s16, s18, s6
	v_mad_u64_u32 v[2:3], s[6:7], s18, v5, v[2:3]
	v_mov_b32_e32 v4, v3
	v_mad_u64_u32 v[4:5], s[6:7], s19, v5, v[4:5]
	s_add_i32 s17, s15, s14
	v_mov_b32_e32 v3, v4
	v_pk_mov_b32 v[4:5], v[0:1], v[0:1] op_sel:[0,1]
	s_branch .LBB55_60
.LBB55_59:                              ;   in Loop: Header=BB55_60 Depth=2
	s_or_b64 exec, exec, s[14:15]
	s_and_b64 s[6:7], exec, vcc
	ds_write_b32 v8, v6
	v_mov_b32_e32 v6, s17
	v_add_co_u32_e32 v2, vcc, s16, v2
	s_or_b64 s[12:13], s[6:7], s[12:13]
	v_add_u32_e32 v8, s5, v8
	v_addc_co_u32_e32 v3, vcc, v3, v6, vcc
	s_waitcnt vmcnt(0)
	v_mov_b32_e32 v6, v9
	s_andn2_b64 exec, exec, s[12:13]
	s_cbranch_execz .LBB55_62
.LBB55_60:                              ;   Parent Loop BB55_33 Depth=1
                                        ; =>  This Inner Loop Header: Depth=2
	v_add_co_u32_sdwa v4, vcc, v4, v7 dst_sel:DWORD dst_unused:UNUSED_PAD src0_sel:DWORD src1_sel:WORD_0
	v_addc_co_u32_e32 v5, vcc, 0, v5, vcc
	v_cmp_gt_i64_e64 s[6:7], s[56:57], v[4:5]
	v_cmp_le_i64_e32 vcc, s[56:57], v[4:5]
	v_mov_b32_e32 v9, 0
	s_and_saveexec_b64 s[14:15], s[6:7]
	s_cbranch_execz .LBB55_59
; %bb.61:                               ;   in Loop: Header=BB55_60 Depth=2
	global_load_dword v9, v[2:3], off
	s_branch .LBB55_59
.LBB55_62:                              ;   in Loop: Header=BB55_33 Depth=1
	s_or_b64 exec, exec, s[2:3]
	s_waitcnt lgkmcnt(0)
	s_barrier
	s_mov_b64 s[2:3], exec
	v_readlane_b32 s6, v56, 12
	v_readlane_b32 s7, v56, 13
	s_and_b64 s[6:7], s[2:3], s[6:7]
	s_mov_b64 exec, s[6:7]
	s_cbranch_execz .LBB55_64
; %bb.63:                               ;   in Loop: Header=BB55_33 Depth=1
	v_pk_mov_b32 v[2:3], s[56:57], s[56:57] op_sel:[0,1]
	ds_write_b64 v13, v[2:3] offset:5120
.LBB55_64:                              ;   in Loop: Header=BB55_33 Depth=1
	s_or_b64 exec, exec, s[2:3]
	s_mov_b64 s[6:7], -1
	s_waitcnt lgkmcnt(0)
	s_barrier
                                        ; implicit-def: $sgpr84_sgpr85
.LBB55_65:                              ;   in Loop: Header=BB55_33 Depth=1
	s_and_b64 vcc, exec, s[6:7]
	s_cbranch_vccz .LBB55_67
; %bb.66:                               ;   in Loop: Header=BB55_33 Depth=1
	ds_read_b64 v[2:3], v13 offset:5120
	s_waitcnt lgkmcnt(0)
	v_readfirstlane_b32 s84, v2
.LBB55_67:                              ;   in Loop: Header=BB55_33 Depth=1
	s_cmp_lt_i32 s84, 1
	s_cbranch_scc0 .LBB55_82
; %bb.68:                               ;   in Loop: Header=BB55_33 Depth=1
	global_load_ushort v2, v13, s[72:73]
	s_mov_b32 s2, s77
	s_waitcnt vmcnt(0)
	v_readfirstlane_b32 s3, v2
	s_and_b32 s5, s3, 0xffff
	s_lshl_b32 s76, s5, 2
	s_mov_b32 s3, s57
	s_cmp_lg_u64 s[2:3], 0
	s_cbranch_scc0 .LBB55_102
; %bb.69:                               ;   in Loop: Header=BB55_33 Depth=1
	v_cvt_f32_u32_e32 v2, s76
	s_sub_u32 s2, 0, s76
	s_subb_u32 s3, 0, 0
	v_mac_f32_e32 v2, 0x4f800000, v55
	v_rcp_f32_e32 v2, v2
	v_mul_f32_e32 v2, 0x5f7ffffc, v2
	v_mul_f32_e32 v3, 0x2f800000, v2
	v_trunc_f32_e32 v3, v3
	v_mac_f32_e32 v2, 0xcf800000, v3
	v_cvt_u32_f32_e32 v3, v3
	v_cvt_u32_f32_e32 v2, v2
	v_readfirstlane_b32 s6, v3
	v_readfirstlane_b32 s7, v2
	s_mul_i32 s12, s2, s6
	s_mul_hi_u32 s14, s2, s7
	s_mul_i32 s13, s3, s7
	s_add_i32 s12, s14, s12
	s_mul_i32 s15, s2, s7
	s_add_i32 s12, s12, s13
	s_mul_hi_u32 s14, s7, s15
	s_mul_hi_u32 s13, s7, s12
	s_mul_i32 s7, s7, s12
	s_add_u32 s7, s14, s7
	s_addc_u32 s13, 0, s13
	s_mul_hi_u32 s16, s6, s15
	s_mul_i32 s15, s6, s15
	s_add_u32 s7, s7, s15
	s_mul_hi_u32 s14, s6, s12
	s_addc_u32 s7, s13, s16
	s_addc_u32 s13, s14, 0
	s_mul_i32 s12, s6, s12
	s_add_u32 s7, s7, s12
	s_addc_u32 s12, 0, s13
	v_add_co_u32_e32 v2, vcc, s7, v2
	s_cmp_lg_u64 vcc, 0
	s_addc_u32 s6, s6, s12
	v_readfirstlane_b32 s12, v2
	s_mul_i32 s7, s2, s6
	s_mul_hi_u32 s13, s2, s12
	s_add_i32 s7, s13, s7
	s_mul_i32 s3, s3, s12
	s_add_i32 s7, s7, s3
	s_mul_i32 s2, s2, s12
	s_mul_hi_u32 s13, s6, s2
	s_mul_i32 s14, s6, s2
	s_mul_i32 s16, s12, s7
	s_mul_hi_u32 s2, s12, s2
	s_mul_hi_u32 s15, s12, s7
	s_add_u32 s2, s2, s16
	s_addc_u32 s12, 0, s15
	s_add_u32 s2, s2, s14
	s_mul_hi_u32 s3, s6, s7
	s_addc_u32 s2, s12, s13
	s_addc_u32 s3, s3, 0
	s_mul_i32 s7, s6, s7
	s_add_u32 s2, s2, s7
	s_addc_u32 s3, 0, s3
	v_add_co_u32_e32 v2, vcc, s2, v2
	s_cmp_lg_u64 vcc, 0
	s_addc_u32 s12, s6, s3
	s_ashr_i32 s2, s57, 31
	s_add_u32 s6, s56, s2
	s_mov_b32 s3, s2
	s_addc_u32 s7, s57, s2
	s_xor_b64 s[6:7], s[6:7], s[2:3]
	v_readfirstlane_b32 s14, v2
	s_mul_i32 s13, s6, s12
	s_mul_hi_u32 s15, s6, s14
	s_mul_hi_u32 s3, s6, s12
	s_add_u32 s13, s15, s13
	s_addc_u32 s3, 0, s3
	s_mul_hi_u32 s16, s7, s14
	s_mul_i32 s14, s7, s14
	s_add_u32 s13, s13, s14
	s_mul_hi_u32 s15, s7, s12
	s_addc_u32 s3, s3, s16
	s_addc_u32 s13, s15, 0
	s_mul_i32 s12, s7, s12
	s_add_u32 s3, s3, s12
	s_addc_u32 s12, 0, s13
	s_mul_hi_u32 s13, s76, s3
	s_mul_i32 s3, s76, s3
	s_mul_i32 s12, s76, s12
	v_mov_b32_e32 v2, s3
	s_add_i32 s13, s13, s12
	v_sub_co_u32_e32 v2, vcc, s6, v2
	s_cmp_lg_u64 vcc, 0
	s_subb_u32 s3, s7, s13
	v_subrev_co_u32_e32 v3, vcc, s76, v2
	s_cmp_lg_u64 vcc, 0
	s_subb_u32 s6, s3, 0
	v_subrev_co_u32_e32 v4, vcc, s76, v3
	s_cmp_lg_u64 vcc, 0
	s_subb_u32 s7, s6, 0
	v_cmp_le_u32_e32 vcc, s76, v3
	s_cmp_eq_u32 s6, 0
	v_cndmask_b32_e64 v5, 0, -1, vcc
	s_cselect_b64 vcc, -1, 0
	v_cndmask_b32_e32 v5, -1, v5, vcc
	v_mov_b32_e32 v6, s6
	v_mov_b32_e32 v7, s7
	v_cmp_ne_u32_e32 vcc, 0, v5
	v_cndmask_b32_e32 v5, v6, v7, vcc
	v_cndmask_b32_e32 v3, v3, v4, vcc
	v_cmp_le_u32_e32 vcc, s76, v2
	s_cmp_eq_u32 s3, 0
	v_cndmask_b32_e64 v4, 0, -1, vcc
	s_cselect_b64 vcc, -1, 0
	v_cndmask_b32_e32 v4, -1, v4, vcc
	v_cmp_ne_u32_e32 vcc, 0, v4
	v_mov_b32_e32 v6, s3
	v_cndmask_b32_e32 v2, v2, v3, vcc
	v_cndmask_b32_e32 v4, v6, v5, vcc
	v_xor_b32_e32 v2, s2, v2
	v_xor_b32_e32 v3, s2, v4
	v_mov_b32_e32 v4, s2
	v_subrev_co_u32_e32 v32, vcc, s2, v2
	v_subb_co_u32_e32 v33, vcc, v3, v4, vcc
	s_cbranch_execnz .LBB55_71
.LBB55_70:                              ;   in Loop: Header=BB55_33 Depth=1
	v_cvt_f32_u32_e32 v2, s76
	s_sub_i32 s2, 0, s76
	v_rcp_iflag_f32_e32 v2, v2
	v_mul_f32_e32 v2, 0x4f7ffffe, v2
	v_cvt_u32_f32_e32 v2, v2
	v_mul_lo_u32 v3, s2, v2
	v_mul_hi_u32 v3, v2, v3
	v_add_u32_e32 v2, v2, v3
	v_mul_hi_u32 v2, s56, v2
	v_mul_lo_u32 v2, v2, s76
	v_sub_u32_e32 v2, s56, v2
	v_subrev_u32_e32 v3, s76, v2
	v_cmp_le_u32_e32 vcc, s76, v2
	v_cndmask_b32_e32 v2, v2, v3, vcc
	v_subrev_u32_e32 v3, s76, v2
	v_cmp_le_u32_e32 vcc, s76, v2
	v_cndmask_b32_e32 v12, v2, v3, vcc
	v_pk_mov_b32 v[32:33], v[12:13], v[12:13] op_sel:[0,1]
.LBB55_71:                              ;   in Loop: Header=BB55_33 Depth=1
	v_mov_b32_e32 v2, s57
	v_sub_co_u32_e32 v34, vcc, s56, v32
	v_subb_co_u32_e32 v35, vcc, v2, v33, vcc
	v_pk_mov_b32 v[2:3], 0, 0
	v_cmp_gt_i64_e32 vcc, v[34:35], v[14:15]
	s_mov_b64 s[94:95], 0
	v_pk_mov_b32 v[4:5], v[2:3], v[2:3] op_sel:[0,1]
	v_pk_mov_b32 v[6:7], v[2:3], v[2:3] op_sel:[0,1]
	;; [unrolled: 1-line block ×3, first 2 shown]
	s_and_saveexec_b64 s[2:3], vcc
	s_cbranch_execz .LBB55_75
; %bb.72:                               ;   in Loop: Header=BB55_33 Depth=1
	v_readlane_b32 s12, v56, 37
	v_readlane_b32 s13, v56, 38
	s_mul_i32 s6, s13, s5
	s_mul_hi_u32 s7, s12, s5
	s_mov_b64 s[54:55], s[88:89]
	s_mov_b64 s[10:11], s[74:75]
	;; [unrolled: 1-line block ×5, first 2 shown]
	s_mov_b32 s93, s49
	s_mov_b32 s68, s61
	;; [unrolled: 1-line block ×3, first 2 shown]
	s_and_b32 s85, s60, 0xfe
	s_add_i32 s60, s7, s6
	s_mul_i32 s61, s12, s5
	v_pk_mov_b32 v[36:37], v[26:27], v[26:27] op_sel:[0,1]
	v_pk_mov_b32 v[38:39], v[24:25], v[24:25] op_sel:[0,1]
	;; [unrolled: 1-line block ×4, first 2 shown]
	s_mov_b64 s[28:29], 0
	s_mov_b64 s[72:73], 0
	;; [unrolled: 1-line block ×4, first 2 shown]
	v_pk_mov_b32 v[44:45], v[14:15], v[14:15] op_sel:[0,1]
.LBB55_73:                              ;   Parent Loop BB55_33 Depth=1
                                        ; =>  This Inner Loop Header: Depth=2
	v_mov_b32_e32 v7, s81
	v_add_co_u32_e32 v2, vcc, s80, v38
	v_add_co_u32_e64 v8, s[20:21], s80, v36
	v_add_co_u32_e64 v4, s[12:13], s80, v40
	;; [unrolled: 1-line block ×3, first 2 shown]
	v_addc_co_u32_e64 v9, s[20:21], v37, v7, s[20:21]
	v_addc_co_u32_e32 v3, vcc, v39, v7, vcc
	v_addc_co_u32_e64 v5, vcc, v41, v7, s[12:13]
	v_addc_co_u32_e64 v7, vcc, v43, v7, s[14:15]
	global_load_dword v8, v[8:9], off
	s_nop 0
	global_load_dword v2, v[2:3], off
	s_nop 0
	;; [unrolled: 2-line block ×3, first 2 shown]
	global_load_dword v4, v[6:7], off
	v_mov_b32_e32 v12, s60
	v_add_co_u32_e64 v42, s[6:7], s61, v42
	v_addc_co_u32_e64 v43, vcc, v43, v12, s[6:7]
	v_add_co_u32_e64 v40, s[16:17], s61, v40
	v_addc_co_u32_e64 v41, vcc, v41, v12, s[16:17]
	;; [unrolled: 2-line block ×4, first 2 shown]
	v_add_co_u32_e64 v44, s[24:25], s76, v44
	v_addc_co_u32_e64 v45, s[24:25], 0, v45, s[24:25]
	v_cmp_ge_i64_e32 vcc, v[44:45], v[34:35]
	s_waitcnt vmcnt(3)
	v_cmp_lt_i32_e64 s[6:7], -1, v8
	v_cndmask_b32_e64 v5, -1, v54, s[6:7]
	s_waitcnt vmcnt(2)
	v_cmp_lt_i32_e64 s[6:7], -1, v2
	v_cndmask_b32_e64 v6, -1, v54, s[6:7]
	;; [unrolled: 3-line block ×4, first 2 shown]
	v_xor_b32_e32 v6, v6, v2
	v_cmp_o_f32_e64 s[6:7], v2, v2
	v_xor_b32_e32 v2, v7, v3
	v_cmp_o_f32_e64 s[12:13], v3, v3
	;; [unrolled: 2-line block ×4, first 2 shown]
	v_cndmask_b32_e64 v4, -1, v4, s[16:17]
	v_cndmask_b32_e64 v5, -1, v6, s[6:7]
	v_and_b32_e32 v6, s71, v4
	v_bfe_u32 v4, v4, s85, 2
	v_cndmask_b32_e64 v2, -1, v2, s[12:13]
	v_and_b32_e32 v7, s71, v5
	v_bfe_u32 v5, v5, s85, 2
	v_cmp_eq_u32_e64 s[18:19], s4, v6
	v_cmp_eq_u32_e64 s[6:7], 0, v4
	v_cndmask_b32_e64 v3, -1, v3, s[14:15]
	v_and_b32_e32 v8, s71, v2
	v_bfe_u32 v2, v2, s85, 2
	v_cmp_eq_u32_e64 s[16:17], s4, v7
	v_cmp_eq_u32_e64 s[30:31], 0, v5
	s_and_b64 s[6:7], s[18:19], s[6:7]
	v_and_b32_e32 v9, s71, v3
	v_bfe_u32 v3, v3, s85, 2
	v_cmp_eq_u32_e64 s[14:15], s4, v8
	v_cmp_eq_u32_e64 s[34:35], 0, v2
	;; [unrolled: 1-line block ×5, first 2 shown]
	v_cndmask_b32_e64 v2, 0, 1, s[6:7]
	s_and_b64 s[6:7], s[16:17], s[30:31]
	v_cmp_eq_u32_e64 s[12:13], s4, v9
	v_cmp_eq_u32_e64 s[36:37], 0, v3
	;; [unrolled: 1-line block ×5, first 2 shown]
	v_cndmask_b32_e64 v3, 0, 1, s[6:7]
	s_and_b64 s[6:7], s[14:15], s[34:35]
	v_cmp_eq_u32_e64 s[38:39], 1, v4
	v_cmp_eq_u32_e64 s[46:47], 2, v4
	;; [unrolled: 1-line block ×3, first 2 shown]
	v_cndmask_b32_e64 v4, 0, 1, s[6:7]
	s_and_b64 s[6:7], s[12:13], s[36:37]
	v_cmp_eq_u32_e64 s[40:41], 1, v5
	v_cmp_eq_u32_e64 s[48:49], 2, v5
	;; [unrolled: 1-line block ×3, first 2 shown]
	v_cndmask_b32_e64 v5, 0, 1, s[6:7]
	v_cmp_ne_u32_e64 s[6:7], 0, v2
	v_cmp_ne_u32_e64 s[30:31], 0, v3
	v_cmp_ne_u32_e64 s[34:35], 0, v4
	v_cmp_ne_u32_e64 s[36:37], 0, v5
	s_bcnt1_i32_b64 s6, s[6:7]
	s_bcnt1_i32_b64 s7, s[30:31]
	s_bcnt1_i32_b64 s30, s[34:35]
	s_bcnt1_i32_b64 s31, s[36:37]
	s_add_u32 s6, s6, s88
	s_addc_u32 s34, 0, s89
	s_add_u32 s6, s6, s7
	s_addc_u32 s7, s34, 0
	s_add_u32 s6, s6, s30
	s_addc_u32 s7, s7, 0
	s_add_u32 s88, s6, s31
	s_addc_u32 s89, s7, 0
	s_and_b64 s[6:7], s[18:19], s[38:39]
	v_cndmask_b32_e64 v4, 0, 1, s[6:7]
	s_and_b64 s[6:7], s[16:17], s[40:41]
	v_cndmask_b32_e64 v5, 0, 1, s[6:7]
	s_and_b64 s[6:7], s[14:15], s[42:43]
	v_cndmask_b32_e64 v6, 0, 1, s[6:7]
	s_and_b64 s[6:7], s[12:13], s[44:45]
	v_cndmask_b32_e64 v7, 0, 1, s[6:7]
	v_cmp_ne_u32_e64 s[6:7], 0, v4
	v_cmp_ne_u32_e64 s[30:31], 0, v5
	v_cmp_ne_u32_e64 s[34:35], 0, v6
	v_cmp_ne_u32_e64 s[36:37], 0, v7
	s_bcnt1_i32_b64 s6, s[6:7]
	s_bcnt1_i32_b64 s7, s[30:31]
	s_bcnt1_i32_b64 s30, s[34:35]
	s_bcnt1_i32_b64 s31, s[36:37]
	s_add_u32 s6, s6, s82
	s_addc_u32 s34, 0, s83
	s_add_u32 s6, s6, s7
	s_addc_u32 s7, s34, 0
	s_add_u32 s6, s6, s30
	s_addc_u32 s7, s7, 0
	s_add_u32 s82, s6, s31
	s_addc_u32 s83, s7, 0
	s_and_b64 s[6:7], s[18:19], s[46:47]
	v_cndmask_b32_e64 v6, 0, 1, s[6:7]
	s_and_b64 s[6:7], s[16:17], s[48:49]
	v_cndmask_b32_e64 v7, 0, 1, s[6:7]
	s_and_b64 s[6:7], s[14:15], s[50:51]
	v_cndmask_b32_e64 v8, 0, 1, s[6:7]
	s_and_b64 s[6:7], s[12:13], s[52:53]
	;; [unrolled: 24-line block ×3, first 2 shown]
	v_cndmask_b32_e64 v29, 0, 1, s[6:7]
	v_cmp_ne_u32_e64 s[6:7], 0, v8
	v_cmp_ne_u32_e64 s[12:13], 0, v9
	;; [unrolled: 1-line block ×4, first 2 shown]
	s_bcnt1_i32_b64 s6, s[6:7]
	s_bcnt1_i32_b64 s7, s[12:13]
	;; [unrolled: 1-line block ×4, first 2 shown]
	s_add_u32 s6, s6, s28
	s_addc_u32 s14, 0, s29
	s_add_u32 s6, s6, s7
	s_addc_u32 s7, s14, 0
	;; [unrolled: 2-line block ×4, first 2 shown]
	v_pk_mov_b32 v[2:3], s[88:89], s[88:89] op_sel:[0,1]
	v_pk_mov_b32 v[4:5], s[82:83], s[82:83] op_sel:[0,1]
	v_pk_mov_b32 v[6:7], s[72:73], s[72:73] op_sel:[0,1]
	s_or_b64 s[94:95], vcc, s[94:95]
	v_pk_mov_b32 v[8:9], s[28:29], s[28:29] op_sel:[0,1]
	s_andn2_b64 exec, exec, s[94:95]
	s_cbranch_execnz .LBB55_73
; %bb.74:                               ;   in Loop: Header=BB55_33 Depth=1
	s_or_b64 exec, exec, s[94:95]
	v_readlane_b32 s50, v56, 39
	v_readlane_b32 s52, v56, 41
	s_mov_b32 s61, s68
	v_readlane_b32 s68, v56, 43
	v_readlane_b32 s72, v56, 45
	v_readlane_b32 s51, v56, 40
	v_readlane_b32 s53, v56, 42
	v_readlane_b32 s69, v56, 44
	s_mov_b32 s49, s93
	v_readlane_b32 s73, v56, 46
	s_mov_b32 s60, s92
	s_mov_b64 s[82:83], s[0:1]
	s_mov_b64 s[0:1], s[8:9]
	;; [unrolled: 1-line block ×5, first 2 shown]
	v_readlane_b32 s45, v56, 47
.LBB55_75:                              ;   in Loop: Header=BB55_33 Depth=1
	s_or_b64 exec, exec, s[2:3]
	v_add_co_u32_e32 v34, vcc, v34, v0
	v_addc_co_u32_e32 v35, vcc, 0, v35, vcc
	v_cmp_gt_i64_e32 vcc, s[56:57], v[34:35]
	v_mov_b32_e32 v12, 0
	s_and_saveexec_b64 s[2:3], vcc
	s_cbranch_execz .LBB55_77
; %bb.76:                               ;   in Loop: Header=BB55_33 Depth=1
	v_mul_lo_u32 v12, v35, s62
	v_mul_lo_u32 v29, v34, s63
	v_mad_u64_u32 v[36:37], s[6:7], v34, s62, 0
	v_add3_u32 v37, v37, v29, v12
	v_readlane_b32 s6, v56, 20
	v_lshlrev_b64 v[36:37], 2, v[36:37]
	v_mov_b32_e32 v12, s6
	v_readlane_b32 s6, v56, 21
	v_add_co_u32_e64 v36, s[6:7], s6, v36
	v_addc_co_u32_e64 v37, s[6:7], v12, v37, s[6:7]
	global_load_dword v12, v[36:37], off
.LBB55_77:                              ;   in Loop: Header=BB55_33 Depth=1
	s_or_b64 exec, exec, s[2:3]
	s_and_saveexec_b64 s[2:3], vcc
	s_cbranch_execz .LBB55_84
; %bb.78:                               ;   in Loop: Header=BB55_33 Depth=1
	v_mov_b32_e32 v29, s77
	v_add_co_u32_e32 v30, vcc, s5, v51
	v_addc_co_u32_e32 v29, vcc, v52, v29, vcc
	v_readlane_b32 s6, v56, 33
	v_sub_co_u32_e32 v30, vcc, v30, v32
	v_readlane_b32 s7, v56, 34
	v_subb_co_u32_e32 v29, vcc, v29, v33, vcc
	v_readlane_b32 s12, v56, 35
	v_pk_mov_b32 v[32:33], s[6:7], s[6:7] op_sel:[0,1]
	v_readlane_b32 s13, v56, 36
	v_mad_u64_u32 v[32:33], s[6:7], s12, v30, v[32:33]
	v_mul_lo_u32 v29, s12, v29
	v_mul_lo_u32 v36, s13, v30
	s_mul_i32 s6, s13, s5
	s_mul_hi_u32 s7, s12, s5
	s_and_b32 s16, s60, 0xfe
	v_add3_u32 v33, v36, v33, v29
	s_add_i32 s17, s7, s6
	s_mul_i32 s18, s12, s5
	s_mov_b64 s[12:13], 0
	s_branch .LBB55_80
.LBB55_79:                              ;   in Loop: Header=BB55_80 Depth=2
	s_or_b64 exec, exec, s[14:15]
	s_and_b64 s[6:7], exec, vcc
	s_waitcnt vmcnt(0)
	v_cmp_lt_i32_e32 vcc, -1, v12
	v_cndmask_b32_e32 v30, -1, v54, vcc
	v_xor_b32_e32 v30, v30, v12
	v_cmp_o_f32_e32 vcc, v12, v12
	v_cndmask_b32_e32 v12, -1, v30, vcc
	v_and_b32_e32 v30, s71, v12
	v_bfe_u32 v12, v12, s16, 2
	s_or_b64 s[12:13], s[6:7], s[12:13]
	v_cmp_eq_u32_e32 vcc, s4, v30
	v_cmp_eq_u32_e64 s[6:7], 0, v12
	s_and_b64 s[6:7], vcc, s[6:7]
	v_cndmask_b32_e64 v30, 0, 1, s[6:7]
	v_cmp_ne_u32_e64 s[6:7], 0, v30
	s_bcnt1_i32_b64 s6, s[6:7]
	v_add_co_u32_e64 v2, s[6:7], s6, v2
	v_addc_co_u32_e64 v3, s[6:7], 0, v3, s[6:7]
	v_cmp_eq_u32_e64 s[6:7], 1, v12
	s_and_b64 s[6:7], vcc, s[6:7]
	v_cndmask_b32_e64 v30, 0, 1, s[6:7]
	v_cmp_ne_u32_e64 s[6:7], 0, v30
	s_bcnt1_i32_b64 s6, s[6:7]
	v_add_co_u32_e64 v4, s[6:7], s6, v4
	v_addc_co_u32_e64 v5, s[6:7], 0, v5, s[6:7]
	;; [unrolled: 7-line block ×3, first 2 shown]
	v_cmp_eq_u32_e64 s[6:7], 3, v12
	s_and_b64 s[6:7], vcc, s[6:7]
	v_cndmask_b32_e64 v12, 0, 1, s[6:7]
	v_cmp_ne_u32_e32 vcc, 0, v12
	s_bcnt1_i32_b64 s6, vcc
	v_add_co_u32_e32 v8, vcc, s6, v8
	v_addc_co_u32_e32 v9, vcc, 0, v9, vcc
	v_mov_b32_e32 v12, s17
	v_add_co_u32_e32 v32, vcc, s18, v32
	v_addc_co_u32_e32 v33, vcc, v33, v12, vcc
	v_mov_b32_e32 v12, v29
	s_andn2_b64 exec, exec, s[12:13]
	s_cbranch_execz .LBB55_83
.LBB55_80:                              ;   Parent Loop BB55_33 Depth=1
                                        ; =>  This Inner Loop Header: Depth=2
	v_mov_b32_e32 v29, s77
	v_add_co_u32_e32 v34, vcc, s5, v34
	v_addc_co_u32_e32 v35, vcc, v35, v29, vcc
	v_cmp_gt_i64_e64 s[6:7], s[56:57], v[34:35]
	v_cmp_le_i64_e32 vcc, s[56:57], v[34:35]
	v_mov_b32_e32 v29, 0
	s_and_saveexec_b64 s[14:15], s[6:7]
	s_cbranch_execz .LBB55_79
; %bb.81:                               ;   in Loop: Header=BB55_80 Depth=2
	global_load_dword v29, v[32:33], off
	s_branch .LBB55_79
.LBB55_82:                              ;   in Loop: Header=BB55_33 Depth=1
                                        ; implicit-def: $vgpr8_vgpr9
                                        ; implicit-def: $vgpr4_vgpr5
	s_cbranch_execnz .LBB55_85
	s_branch .LBB55_94
.LBB55_83:                              ;   in Loop: Header=BB55_33 Depth=1
	s_or_b64 exec, exec, s[12:13]
.LBB55_84:                              ;   in Loop: Header=BB55_33 Depth=1
	s_or_b64 exec, exec, s[2:3]
	s_branch .LBB55_94
.LBB55_85:                              ;   in Loop: Header=BB55_33 Depth=1
	global_load_ushort v8, v13, s[72:73]
	s_waitcnt vmcnt(0)
	v_readfirstlane_b32 s2, v8
	s_and_b32 s2, 0xffff, s2
	s_lshl_b32 s5, s2, 2
	v_cvt_f32_u32_e32 v2, s5
	s_sub_i32 s6, 0, s5
	s_mov_b64 s[2:3], 0
	v_and_b32_e32 v29, 0xffff, v8
	v_rcp_iflag_f32_e32 v6, v2
	v_pk_mov_b32 v[2:3], 0, 0
	v_pk_mov_b32 v[4:5], v[2:3], v[2:3] op_sel:[0,1]
	v_mul_f32_e32 v6, 0x4f7ffffe, v6
	v_cvt_u32_f32_e32 v9, v6
	v_pk_mov_b32 v[6:7], v[2:3], v[2:3] op_sel:[0,1]
	v_readfirstlane_b32 s7, v9
	s_mul_i32 s6, s6, s7
	s_mul_hi_u32 s6, s7, s6
	s_add_i32 s7, s7, s6
	s_mul_hi_u32 s6, s84, s7
	s_mul_i32 s6, s6, s5
	s_sub_i32 s6, s84, s6
	s_sub_i32 s7, s6, s5
	s_cmp_ge_u32 s6, s5
	s_cselect_b32 s6, s7, s6
	s_sub_i32 s7, s6, s5
	s_cmp_ge_u32 s6, s5
	s_cselect_b32 s6, s7, s6
	s_sub_i32 s76, s84, s6
	v_cmp_gt_u32_e32 vcc, s76, v14
	v_pk_mov_b32 v[8:9], v[2:3], v[2:3] op_sel:[0,1]
	s_and_saveexec_b64 s[28:29], vcc
	s_cbranch_execz .LBB55_89
; %bb.86:                               ;   in Loop: Header=BB55_33 Depth=1
	s_mov_b64 s[54:55], s[88:89]
	s_mov_b64 s[10:11], s[74:75]
	s_mov_b64 s[74:75], s[8:9]
	s_mov_b64 s[8:9], s[0:1]
	s_mov_b64 s[0:1], s[82:83]
	s_mov_b32 s85, s49
	s_mov_b32 s92, s60
	s_and_b32 s60, s60, 0xfe
	v_lshlrev_b32_e32 v12, 4, v29
	v_mov_b32_e32 v30, v50
	s_mov_b64 s[72:73], 0
	s_mov_b64 s[82:83], 0
	;; [unrolled: 1-line block ×4, first 2 shown]
	v_pk_mov_b32 v[32:33], v[14:15], v[14:15] op_sel:[0,1]
.LBB55_87:                              ;   Parent Loop BB55_33 Depth=1
                                        ; =>  This Inner Loop Header: Depth=2
	ds_read_b128 v[2:5], v30
	v_add_co_u32_e32 v32, vcc, s5, v32
	v_addc_co_u32_e32 v33, vcc, 0, v33, vcc
	s_waitcnt lgkmcnt(0)
	v_cmp_lt_i32_e64 s[6:7], -1, v2
	v_cndmask_b32_e64 v6, -1, v54, s[6:7]
	v_cmp_lt_i32_e64 s[6:7], -1, v3
	v_cndmask_b32_e64 v7, -1, v54, s[6:7]
	;; [unrolled: 2-line block ×4, first 2 shown]
	v_xor_b32_e32 v7, v7, v3
	v_cmp_o_f32_e64 s[6:7], v3, v3
	v_xor_b32_e32 v3, v8, v4
	v_cmp_o_f32_e64 s[12:13], v4, v4
	;; [unrolled: 2-line block ×4, first 2 shown]
	v_cndmask_b32_e64 v2, -1, v5, s[16:17]
	v_cndmask_b32_e64 v5, -1, v7, s[6:7]
	v_and_b32_e32 v6, s71, v2
	v_bfe_u32 v2, v2, s60, 2
	v_cndmask_b32_e64 v3, -1, v3, s[12:13]
	v_and_b32_e32 v7, s71, v5
	v_bfe_u32 v5, v5, s60, 2
	v_cmp_eq_u32_e64 s[18:19], s4, v6
	v_cmp_eq_u32_e64 s[6:7], 0, v2
	v_cndmask_b32_e64 v4, -1, v4, s[14:15]
	v_and_b32_e32 v8, s71, v3
	v_bfe_u32 v3, v3, s60, 2
	v_cmp_eq_u32_e64 s[16:17], s4, v7
	v_cmp_eq_u32_e64 s[30:31], 0, v5
	s_and_b64 s[6:7], s[18:19], s[6:7]
	v_and_b32_e32 v9, s71, v4
	v_bfe_u32 v4, v4, s60, 2
	v_cmp_eq_u32_e64 s[14:15], s4, v8
	v_cmp_eq_u32_e64 s[34:35], 0, v3
	;; [unrolled: 1-line block ×5, first 2 shown]
	v_cndmask_b32_e64 v2, 0, 1, s[6:7]
	s_and_b64 s[6:7], s[16:17], s[30:31]
	v_cmp_eq_u32_e64 s[12:13], s4, v9
	v_cmp_eq_u32_e64 s[36:37], 0, v4
	;; [unrolled: 1-line block ×5, first 2 shown]
	v_cndmask_b32_e64 v3, 0, 1, s[6:7]
	s_and_b64 s[6:7], s[14:15], s[34:35]
	v_cmp_eq_u32_e64 s[44:45], 1, v4
	v_cmp_eq_u32_e64 s[52:53], 2, v4
	;; [unrolled: 1-line block ×3, first 2 shown]
	v_cndmask_b32_e64 v4, 0, 1, s[6:7]
	s_and_b64 s[6:7], s[12:13], s[36:37]
	v_cmp_eq_u32_e64 s[40:41], 1, v5
	v_cmp_eq_u32_e64 s[48:49], 2, v5
	;; [unrolled: 1-line block ×3, first 2 shown]
	v_cndmask_b32_e64 v5, 0, 1, s[6:7]
	v_cmp_ne_u32_e64 s[6:7], 0, v2
	v_cmp_ne_u32_e64 s[30:31], 0, v3
	v_cmp_ne_u32_e64 s[34:35], 0, v4
	v_cmp_ne_u32_e64 s[36:37], 0, v5
	s_bcnt1_i32_b64 s6, s[6:7]
	s_bcnt1_i32_b64 s7, s[30:31]
	s_bcnt1_i32_b64 s30, s[34:35]
	s_bcnt1_i32_b64 s31, s[36:37]
	s_add_u32 s6, s6, s94
	s_addc_u32 s34, 0, s95
	s_add_u32 s6, s6, s7
	s_addc_u32 s7, s34, 0
	s_add_u32 s6, s6, s30
	s_addc_u32 s7, s7, 0
	s_add_u32 s94, s6, s31
	s_addc_u32 s95, s7, 0
	s_and_b64 s[6:7], s[18:19], s[38:39]
	v_cndmask_b32_e64 v4, 0, 1, s[6:7]
	s_and_b64 s[6:7], s[16:17], s[40:41]
	v_cndmask_b32_e64 v5, 0, 1, s[6:7]
	s_and_b64 s[6:7], s[14:15], s[42:43]
	v_cndmask_b32_e64 v6, 0, 1, s[6:7]
	s_and_b64 s[6:7], s[12:13], s[44:45]
	v_cndmask_b32_e64 v7, 0, 1, s[6:7]
	v_cmp_ne_u32_e64 s[6:7], 0, v4
	v_cmp_ne_u32_e64 s[30:31], 0, v5
	v_cmp_ne_u32_e64 s[34:35], 0, v6
	v_cmp_ne_u32_e64 s[36:37], 0, v7
	s_bcnt1_i32_b64 s6, s[6:7]
	s_bcnt1_i32_b64 s7, s[30:31]
	s_bcnt1_i32_b64 s30, s[34:35]
	s_bcnt1_i32_b64 s31, s[36:37]
	s_add_u32 s6, s6, s88
	s_addc_u32 s34, 0, s89
	s_add_u32 s6, s6, s7
	s_addc_u32 s7, s34, 0
	s_add_u32 s6, s6, s30
	s_addc_u32 s7, s7, 0
	s_add_u32 s88, s6, s31
	s_addc_u32 s89, s7, 0
	s_and_b64 s[6:7], s[18:19], s[46:47]
	v_cndmask_b32_e64 v6, 0, 1, s[6:7]
	s_and_b64 s[6:7], s[16:17], s[48:49]
	v_cndmask_b32_e64 v7, 0, 1, s[6:7]
	s_and_b64 s[6:7], s[14:15], s[50:51]
	v_cndmask_b32_e64 v8, 0, 1, s[6:7]
	s_and_b64 s[6:7], s[12:13], s[52:53]
	;; [unrolled: 24-line block ×3, first 2 shown]
	v_cndmask_b32_e64 v35, 0, 1, s[6:7]
	v_cmp_ne_u32_e64 s[6:7], 0, v8
	v_cmp_ne_u32_e64 s[12:13], 0, v9
	;; [unrolled: 1-line block ×4, first 2 shown]
	s_bcnt1_i32_b64 s6, s[6:7]
	s_bcnt1_i32_b64 s7, s[12:13]
	;; [unrolled: 1-line block ×4, first 2 shown]
	s_add_u32 s6, s6, s72
	s_addc_u32 s14, 0, s73
	s_add_u32 s6, s6, s7
	s_addc_u32 s7, s14, 0
	;; [unrolled: 2-line block ×3, first 2 shown]
	s_add_u32 s72, s6, s13
	v_cmp_le_u64_e32 vcc, s[76:77], v[32:33]
	s_addc_u32 s73, s7, 0
	v_add_u32_e32 v30, v30, v12
	v_pk_mov_b32 v[2:3], s[94:95], s[94:95] op_sel:[0,1]
	v_pk_mov_b32 v[4:5], s[88:89], s[88:89] op_sel:[0,1]
	;; [unrolled: 1-line block ×3, first 2 shown]
	s_or_b64 s[2:3], vcc, s[2:3]
	v_pk_mov_b32 v[8:9], s[72:73], s[72:73] op_sel:[0,1]
	s_andn2_b64 exec, exec, s[2:3]
	s_cbranch_execnz .LBB55_87
; %bb.88:                               ;   in Loop: Header=BB55_33 Depth=1
	s_or_b64 exec, exec, s[2:3]
	v_readlane_b32 s50, v56, 39
	v_readlane_b32 s52, v56, 41
	;; [unrolled: 1-line block ×7, first 2 shown]
	s_mov_b32 s49, s85
	v_readlane_b32 s73, v56, 46
	s_mov_b32 s60, s92
	s_mov_b64 s[82:83], s[0:1]
	s_mov_b64 s[0:1], s[8:9]
	;; [unrolled: 1-line block ×5, first 2 shown]
	v_readlane_b32 s45, v56, 47
.LBB55_89:                              ;   in Loop: Header=BB55_33 Depth=1
	s_or_b64 exec, exec, s[28:29]
	v_add_u32_e32 v12, s76, v0
	v_cmp_gt_u32_e32 vcc, s84, v12
	s_and_saveexec_b64 s[2:3], vcc
	s_cbranch_execz .LBB55_93
; %bb.90:                               ;   in Loop: Header=BB55_33 Depth=1
	s_and_b32 s76, s84, 0x7fffffff
	s_and_b32 s22, s60, 0xfe
	v_lshlrev_b32_e32 v30, 2, v12
	s_mov_b64 s[20:21], 0
	v_pk_mov_b32 v[32:33], v[12:13], v[12:13] op_sel:[0,1]
.LBB55_91:                              ;   Parent Loop BB55_33 Depth=1
                                        ; =>  This Inner Loop Header: Depth=2
	ds_read_b32 v12, v30
	v_add_co_u32_e32 v32, vcc, v32, v29
	v_addc_co_u32_e32 v33, vcc, 0, v33, vcc
	s_waitcnt lgkmcnt(0)
	v_cmp_lt_i32_e64 s[6:7], -1, v12
	v_cndmask_b32_e64 v34, -1, v54, s[6:7]
	v_xor_b32_e32 v34, v34, v12
	v_cmp_o_f32_e64 s[6:7], v12, v12
	v_cndmask_b32_e64 v12, -1, v34, s[6:7]
	v_and_b32_e32 v34, s71, v12
	v_bfe_u32 v12, v12, s22, 2
	v_cmp_eq_u32_e64 s[6:7], s4, v34
	v_cmp_eq_u32_e64 s[12:13], 0, v12
	;; [unrolled: 1-line block ×3, first 2 shown]
	s_and_b64 s[12:13], s[6:7], s[12:13]
	v_cmp_eq_u32_e64 s[16:17], 2, v12
	v_cmp_eq_u32_e64 s[18:19], 3, v12
	v_cndmask_b32_e64 v12, 0, 1, s[12:13]
	s_and_b64 s[12:13], s[6:7], s[14:15]
	v_cndmask_b32_e64 v34, 0, 1, s[12:13]
	s_and_b64 s[12:13], s[6:7], s[16:17]
	s_and_b64 s[6:7], s[6:7], s[18:19]
	v_cndmask_b32_e64 v35, 0, 1, s[12:13]
	v_cndmask_b32_e64 v36, 0, 1, s[6:7]
	v_cmp_ne_u32_e64 s[6:7], 0, v12
	v_cmp_ne_u32_e64 s[12:13], 0, v34
	;; [unrolled: 1-line block ×4, first 2 shown]
	v_cmp_le_u64_e32 vcc, s[76:77], v[32:33]
	s_bcnt1_i32_b64 s6, s[6:7]
	s_bcnt1_i32_b64 s7, s[12:13]
	s_bcnt1_i32_b64 s12, s[14:15]
	s_bcnt1_i32_b64 s13, s[16:17]
	s_or_b64 s[20:21], vcc, s[20:21]
	v_add_co_u32_e32 v2, vcc, s6, v2
	v_addc_co_u32_e32 v3, vcc, 0, v3, vcc
	v_add_co_u32_e32 v4, vcc, s7, v4
	v_addc_co_u32_e32 v5, vcc, 0, v5, vcc
	;; [unrolled: 2-line block ×3, first 2 shown]
	v_add_co_u32_e32 v8, vcc, s13, v8
	v_add_u32_e32 v30, s5, v30
	v_addc_co_u32_e32 v9, vcc, 0, v9, vcc
	s_andn2_b64 exec, exec, s[20:21]
	s_cbranch_execnz .LBB55_91
; %bb.92:                               ;   in Loop: Header=BB55_33 Depth=1
	s_or_b64 exec, exec, s[20:21]
.LBB55_93:                              ;   in Loop: Header=BB55_33 Depth=1
	s_or_b64 exec, exec, s[2:3]
.LBB55_94:                              ;   in Loop: Header=BB55_33 Depth=1
	s_lshl_b32 s5, s87, 6
	s_and_saveexec_b64 s[2:3], s[50:51]
	s_cbranch_execz .LBB55_96
; %bb.95:                               ;   in Loop: Header=BB55_33 Depth=1
	s_waitcnt vmcnt(0)
	v_or_b32_e32 v12, s5, v48
	v_lshlrev_b32_e32 v12, 3, v12
	ds_write_b128 v12, v[2:5] offset:3072
	ds_write_b128 v12, v[6:9] offset:3088
.LBB55_96:                              ;   in Loop: Header=BB55_33 Depth=1
	s_or_b64 exec, exec, s[2:3]
	s_waitcnt lgkmcnt(0)
	s_barrier
	s_and_saveexec_b64 s[2:3], s[52:53]
	s_cbranch_execz .LBB55_108
; %bb.97:                               ;   in Loop: Header=BB55_33 Depth=1
	v_readlane_b32 s6, v56, 24
	v_readlane_b32 s7, v56, 25
	s_andn2_b64 vcc, exec, s[6:7]
	v_pk_mov_b32 v[2:3], 0, 0
	s_cbranch_vccnz .LBB55_107
; %bb.98:                               ;   in Loop: Header=BB55_33 Depth=1
	v_readlane_b32 s6, v56, 28
	v_readlane_b32 s7, v56, 29
	s_andn2_b64 vcc, exec, s[6:7]
	s_cbranch_vccnz .LBB55_103
; %bb.99:                               ;   in Loop: Header=BB55_33 Depth=1
	v_lshl_add_u32 v4, s87, 9, v53
	s_mov_b32 s6, 0
	v_pk_mov_b32 v[2:3], 0, 0
.LBB55_100:                             ;   Parent Loop BB55_33 Depth=1
                                        ; =>  This Inner Loop Header: Depth=2
	s_waitcnt vmcnt(0)
	ds_read2_b64 v[6:9], v4 offset1:4
	ds_read2_b64 v[32:35], v4 offset0:8 offset1:12
	ds_read2_b64 v[36:39], v4 offset0:16 offset1:20
	;; [unrolled: 1-line block ×3, first 2 shown]
	s_add_i32 s6, s6, 8
	s_waitcnt lgkmcnt(3)
	v_add_co_u32_e32 v2, vcc, v6, v2
	v_addc_co_u32_e32 v3, vcc, v7, v3, vcc
	v_add_co_u32_e32 v2, vcc, v8, v2
	v_addc_co_u32_e32 v3, vcc, v9, v3, vcc
	s_waitcnt lgkmcnt(2)
	v_add_co_u32_e32 v2, vcc, v32, v2
	v_addc_co_u32_e32 v3, vcc, v33, v3, vcc
	v_add_co_u32_e32 v2, vcc, v34, v2
	v_addc_co_u32_e32 v3, vcc, v35, v3, vcc
	;; [unrolled: 5-line block ×3, first 2 shown]
	s_waitcnt lgkmcnt(0)
	v_add_co_u32_e32 v2, vcc, v40, v2
	v_addc_co_u32_e32 v3, vcc, v41, v3, vcc
	v_add_co_u32_e32 v2, vcc, v42, v2
	v_add_u32_e32 v4, 0x100, v4
	s_cmp_eq_u32 s45, s6
	v_addc_co_u32_e32 v3, vcc, v43, v3, vcc
	s_cbranch_scc0 .LBB55_100
; %bb.101:                              ;   in Loop: Header=BB55_33 Depth=1
	s_mov_b32 s6, s45
	s_branch .LBB55_104
.LBB55_102:                             ;   in Loop: Header=BB55_33 Depth=1
                                        ; implicit-def: $vgpr32_vgpr33
	s_branch .LBB55_70
.LBB55_103:                             ;   in Loop: Header=BB55_33 Depth=1
	s_mov_b32 s6, 0
	v_pk_mov_b32 v[2:3], 0, 0
.LBB55_104:                             ;   in Loop: Header=BB55_33 Depth=1
	v_readlane_b32 s12, v56, 31
	v_readlane_b32 s13, v56, 32
	s_andn2_b64 vcc, exec, s[12:13]
	s_cbranch_vccnz .LBB55_107
; %bb.105:                              ;   in Loop: Header=BB55_33 Depth=1
	s_lshl_b32 s7, s87, 9
	s_lshl_b32 s6, s6, 5
	s_add_i32 s7, s7, s6
	v_add_u32_e32 v4, s7, v53
	v_readlane_b32 s6, v56, 30
.LBB55_106:                             ;   Parent Loop BB55_33 Depth=1
                                        ; =>  This Inner Loop Header: Depth=2
	s_waitcnt vmcnt(0)
	ds_read_b64 v[6:7], v4
	s_add_i32 s6, s6, -1
	v_add_u32_e32 v4, 32, v4
	s_cmp_lg_u32 s6, 0
	s_waitcnt lgkmcnt(0)
	v_add_co_u32_e32 v2, vcc, v6, v2
	v_addc_co_u32_e32 v3, vcc, v7, v3, vcc
	s_cbranch_scc1 .LBB55_106
.LBB55_107:                             ;   in Loop: Header=BB55_33 Depth=1
	v_add_lshl_u32 v4, s5, v46, 3
	ds_write_b64 v4, v[2:3] offset:3072
.LBB55_108:                             ;   in Loop: Header=BB55_33 Depth=1
	s_or_b64 exec, exec, s[2:3]
	s_lshl_b32 s2, s5, 3
	s_waitcnt vmcnt(0)
	v_mov_b32_e32 v6, s2
	s_waitcnt lgkmcnt(0)
	s_barrier
	ds_read_b128 v[2:5], v6 offset:3072
	ds_read_b128 v[6:9], v6 offset:3088
	s_and_b32 s42, s60, 0xfe
	s_lshl_b32 s5, 3, s42
	s_not_b32 s43, s5
	s_waitcnt lgkmcnt(1)
	v_readfirstlane_b32 s17, v3
	v_readfirstlane_b32 s16, v2
	s_cmp_eq_u64 s[16:17], 1
	s_cselect_b64 s[2:3], -1, 0
	s_cmp_eq_u64 s[58:59], 1
	s_cselect_b64 s[6:7], -1, 0
	s_and_b64 s[22:23], s[2:3], s[6:7]
	v_readfirstlane_b32 s30, v4
	v_readfirstlane_b32 s31, v5
	s_waitcnt lgkmcnt(0)
	v_readfirstlane_b32 s18, v6
	v_readfirstlane_b32 s19, v7
	;; [unrolled: 1-line block ×4, first 2 shown]
	s_mov_b64 s[20:21], -1
	s_and_b64 vcc, exec, s[22:23]
	s_cbranch_vccz .LBB55_123
; %bb.109:                              ;   in Loop: Header=BB55_33 Depth=1
	ds_read_b64 v[2:3], v13 offset:5120
	s_waitcnt lgkmcnt(0)
	s_barrier
	v_readfirstlane_b32 s14, v2
	v_readfirstlane_b32 s15, v3
	s_mov_b64 s[2:3], exec
	v_readlane_b32 s6, v56, 14
	v_readlane_b32 s7, v56, 15
	s_and_b64 s[6:7], s[2:3], s[6:7]
	s_mov_b64 exec, s[6:7]
	s_cbranch_execz .LBB55_111
; %bb.110:                              ;   in Loop: Header=BB55_33 Depth=1
	ds_write_b32 v47, v13
.LBB55_111:                             ;   in Loop: Header=BB55_33 Depth=1
	s_or_b64 exec, exec, s[2:3]
	v_cmp_lt_i64_e64 s[2:3], s[14:15], 1
	s_and_b32 s4, s4, s43
	s_or_b32 s71, s71, s5
	s_and_b64 vcc, exec, s[2:3]
	s_waitcnt lgkmcnt(0)
	s_barrier
	s_cbranch_vccz .LBB55_124
; %bb.112:                              ;   in Loop: Header=BB55_33 Depth=1
	s_mov_b32 s48, s77
	s_cmp_lg_u64 s[48:49], 0
	s_cbranch_scc0 .LBB55_169
; %bb.113:                              ;   in Loop: Header=BB55_33 Depth=1
	v_cvt_f32_u32_e32 v2, s33
	s_sub_u32 s2, 0, s33
	s_subb_u32 s3, 0, 0
	v_mac_f32_e32 v2, 0x4f800000, v55
	v_rcp_f32_e32 v2, v2
	v_mul_f32_e32 v2, 0x5f7ffffc, v2
	v_mul_f32_e32 v3, 0x2f800000, v2
	v_trunc_f32_e32 v3, v3
	v_mac_f32_e32 v2, 0xcf800000, v3
	v_cvt_u32_f32_e32 v3, v3
	v_cvt_u32_f32_e32 v2, v2
	v_readfirstlane_b32 s6, v3
	v_readfirstlane_b32 s7, v2
	s_mul_i32 s24, s2, s6
	s_mul_hi_u32 s26, s2, s7
	s_mul_i32 s25, s3, s7
	s_add_i32 s24, s26, s24
	s_mul_i32 s27, s2, s7
	s_add_i32 s24, s24, s25
	s_mul_hi_u32 s26, s7, s27
	s_mul_hi_u32 s25, s7, s24
	s_mul_i32 s7, s7, s24
	s_add_u32 s7, s26, s7
	s_addc_u32 s25, 0, s25
	s_mul_hi_u32 s28, s6, s27
	s_mul_i32 s27, s6, s27
	s_add_u32 s7, s7, s27
	s_mul_hi_u32 s26, s6, s24
	s_addc_u32 s7, s25, s28
	s_addc_u32 s25, s26, 0
	s_mul_i32 s24, s6, s24
	s_add_u32 s7, s7, s24
	s_addc_u32 s24, 0, s25
	v_add_co_u32_e32 v2, vcc, s7, v2
	s_cmp_lg_u64 vcc, 0
	s_addc_u32 s6, s6, s24
	v_readfirstlane_b32 s24, v2
	s_mul_i32 s7, s2, s6
	s_mul_hi_u32 s25, s2, s24
	s_add_i32 s7, s25, s7
	s_mul_i32 s3, s3, s24
	s_add_i32 s7, s7, s3
	s_mul_i32 s2, s2, s24
	s_mul_hi_u32 s25, s6, s2
	s_mul_i32 s26, s6, s2
	s_mul_i32 s28, s24, s7
	s_mul_hi_u32 s2, s24, s2
	s_mul_hi_u32 s27, s24, s7
	s_add_u32 s2, s2, s28
	s_addc_u32 s24, 0, s27
	s_add_u32 s2, s2, s26
	s_mul_hi_u32 s3, s6, s7
	s_addc_u32 s2, s24, s25
	s_addc_u32 s3, s3, 0
	s_mul_i32 s7, s6, s7
	s_add_u32 s2, s2, s7
	s_addc_u32 s3, 0, s3
	v_add_co_u32_e32 v2, vcc, s2, v2
	s_cmp_lg_u64 vcc, 0
	s_addc_u32 s24, s6, s3
	s_ashr_i32 s2, s49, 31
	s_add_u32 s6, s61, s2
	s_mov_b32 s3, s2
	s_addc_u32 s7, s49, s2
	s_xor_b64 s[6:7], s[6:7], s[2:3]
	v_readfirstlane_b32 s26, v2
	s_mul_i32 s25, s6, s24
	s_mul_hi_u32 s27, s6, s26
	s_mul_hi_u32 s3, s6, s24
	s_add_u32 s25, s27, s25
	s_addc_u32 s3, 0, s3
	s_mul_hi_u32 s28, s7, s26
	s_mul_i32 s26, s7, s26
	s_add_u32 s25, s25, s26
	s_mul_hi_u32 s27, s7, s24
	s_addc_u32 s3, s3, s28
	s_addc_u32 s25, s27, 0
	s_mul_i32 s24, s7, s24
	s_add_u32 s3, s3, s24
	s_addc_u32 s24, 0, s25
	s_mul_hi_u32 s25, s33, s3
	s_mul_i32 s3, s33, s3
	s_mul_i32 s24, s33, s24
	v_mov_b32_e32 v2, s3
	s_add_i32 s25, s25, s24
	v_sub_co_u32_e32 v2, vcc, s6, v2
	s_cmp_lg_u64 vcc, 0
	s_subb_u32 s3, s7, s25
	v_subrev_co_u32_e32 v3, vcc, s33, v2
	s_cmp_lg_u64 vcc, 0
	s_subb_u32 s6, s3, 0
	v_subrev_co_u32_e32 v4, vcc, s33, v3
	s_cmp_lg_u64 vcc, 0
	s_subb_u32 s7, s6, 0
	v_cmp_le_u32_e32 vcc, s33, v3
	s_cmp_eq_u32 s6, 0
	v_cndmask_b32_e64 v5, 0, -1, vcc
	s_cselect_b64 vcc, -1, 0
	v_cndmask_b32_e32 v5, -1, v5, vcc
	v_mov_b32_e32 v6, s6
	v_mov_b32_e32 v7, s7
	v_cmp_ne_u32_e32 vcc, 0, v5
	v_cndmask_b32_e32 v5, v6, v7, vcc
	v_cndmask_b32_e32 v3, v3, v4, vcc
	v_cmp_le_u32_e32 vcc, s33, v2
	s_cmp_eq_u32 s3, 0
	v_cndmask_b32_e64 v4, 0, -1, vcc
	s_cselect_b64 vcc, -1, 0
	v_cndmask_b32_e32 v4, -1, v4, vcc
	v_cmp_ne_u32_e32 vcc, 0, v4
	v_mov_b32_e32 v6, s3
	v_cndmask_b32_e32 v2, v2, v3, vcc
	v_cndmask_b32_e32 v4, v6, v5, vcc
	v_xor_b32_e32 v2, s2, v2
	v_xor_b32_e32 v3, s2, v4
	v_mov_b32_e32 v4, s2
	v_subrev_co_u32_e32 v2, vcc, s2, v2
	v_subb_co_u32_e32 v3, vcc, v3, v4, vcc
	s_cbranch_execnz .LBB55_115
.LBB55_114:                             ;   in Loop: Header=BB55_33 Depth=1
	v_cvt_f32_u32_e32 v2, s33
	s_sub_i32 s2, 0, s33
	v_rcp_iflag_f32_e32 v2, v2
	v_mul_f32_e32 v2, 0x4f7ffffe, v2
	v_cvt_u32_f32_e32 v2, v2
	v_mul_lo_u32 v3, s2, v2
	v_mul_hi_u32 v3, v2, v3
	v_add_u32_e32 v2, v2, v3
	v_mul_hi_u32 v2, s61, v2
	v_mul_lo_u32 v2, v2, s33
	v_sub_u32_e32 v2, s61, v2
	v_subrev_u32_e32 v3, s33, v2
	v_cmp_le_u32_e32 vcc, s33, v2
	v_cndmask_b32_e32 v2, v2, v3, vcc
	v_subrev_u32_e32 v3, s33, v2
	v_cmp_le_u32_e32 vcc, s33, v2
	v_cndmask_b32_e32 v12, v2, v3, vcc
	v_pk_mov_b32 v[2:3], v[12:13], v[12:13] op_sel:[0,1]
.LBB55_115:                             ;   in Loop: Header=BB55_33 Depth=1
	v_mov_b32_e32 v4, s49
	v_sub_co_u32_e32 v2, vcc, s61, v2
	v_subb_co_u32_e32 v3, vcc, v4, v3, vcc
	v_cmp_gt_i64_e32 vcc, v[2:3], v[0:1]
	s_mov_b64 s[2:3], 0
                                        ; implicit-def: $vgpr31
	s_and_saveexec_b64 s[24:25], vcc
	s_cbranch_execz .LBB55_126
; %bb.116:                              ;   in Loop: Header=BB55_33 Depth=1
	v_pk_mov_b32 v[4:5], v[10:11], v[10:11] op_sel:[0,1]
	v_pk_mov_b32 v[6:7], v[0:1], v[0:1] op_sel:[0,1]
                                        ; implicit-def: $sgpr26_sgpr27
	s_branch .LBB55_118
.LBB55_117:                             ;   in Loop: Header=BB55_118 Depth=2
	s_or_b64 exec, exec, s[6:7]
	s_waitcnt lgkmcnt(0)
	s_barrier
	ds_read_b64 v[30:31], v13 offset:3072
	v_mov_b32_e32 v8, s86
	v_add_co_u32_e64 v6, s[6:7], s33, v6
	v_addc_co_u32_e64 v7, s[6:7], v7, v8, s[6:7]
	s_waitcnt lgkmcnt(0)
	v_cmp_neq_f32_e32 vcc, 0, v30
	v_cmp_ge_i64_e64 s[6:7], v[6:7], v[2:3]
	s_or_b64 s[28:29], vcc, s[6:7]
	v_mov_b32_e32 v8, s79
	v_add_co_u32_e64 v4, s[6:7], s78, v4
	v_addc_co_u32_e64 v5, s[6:7], v5, v8, s[6:7]
	s_and_b64 s[6:7], exec, s[28:29]
	s_or_b64 s[2:3], s[6:7], s[2:3]
	s_andn2_b64 s[6:7], s[26:27], exec
	s_and_b64 s[26:27], vcc, exec
	s_or_b64 s[26:27], s[6:7], s[26:27]
	s_barrier
	s_andn2_b64 exec, exec, s[2:3]
	s_cbranch_execz .LBB55_125
.LBB55_118:                             ;   Parent Loop BB55_33 Depth=1
                                        ; =>  This Inner Loop Header: Depth=2
	v_cmp_gt_i64_e32 vcc, s[56:57], v[6:7]
	s_waitcnt vmcnt(0)
	v_mov_b32_e32 v29, 0
	s_and_saveexec_b64 s[6:7], vcc
	s_cbranch_execz .LBB55_120
; %bb.119:                              ;   in Loop: Header=BB55_118 Depth=2
	global_load_dword v29, v[4:5], off
.LBB55_120:                             ;   in Loop: Header=BB55_118 Depth=2
	s_or_b64 exec, exec, s[6:7]
	s_and_saveexec_b64 s[6:7], vcc
	s_cbranch_execz .LBB55_117
; %bb.121:                              ;   in Loop: Header=BB55_118 Depth=2
	s_waitcnt vmcnt(0)
	v_cmp_lt_i32_e32 vcc, -1, v29
	v_cndmask_b32_e32 v8, -1, v54, vcc
	v_xor_b32_e32 v8, v8, v29
	v_cmp_o_f32_e32 vcc, v29, v29
	v_cndmask_b32_e32 v8, -1, v8, vcc
	v_and_b32_e32 v8, s71, v8
	v_cmp_eq_u32_e32 vcc, s4, v8
	s_and_b64 exec, exec, vcc
	s_cbranch_execz .LBB55_117
; %bb.122:                              ;   in Loop: Header=BB55_118 Depth=2
	ds_write_b64 v13, v[28:29] offset:3072
	s_branch .LBB55_117
.LBB55_123:                             ;   in Loop: Header=BB55_33 Depth=1
	s_mov_b64 s[2:3], -1
                                        ; implicit-def: $sgpr6_sgpr7
                                        ; implicit-def: $sgpr26_sgpr27
                                        ; implicit-def: $sgpr24_sgpr25
	s_branch .LBB55_140
.LBB55_124:                             ;   in Loop: Header=BB55_33 Depth=1
	s_mov_b64 s[6:7], -1
	s_mov_b64 s[2:3], 0
                                        ; implicit-def: $sgpr24_sgpr25
                                        ; implicit-def: $vgpr31
	s_mov_b64 s[26:27], s[6:7]
	s_cbranch_execnz .LBB55_127
	s_branch .LBB55_140
.LBB55_125:                             ;   in Loop: Header=BB55_33 Depth=1
	s_or_b64 exec, exec, s[2:3]
	s_and_b64 s[2:3], s[26:27], exec
.LBB55_126:                             ;   in Loop: Header=BB55_33 Depth=1
	s_or_b64 exec, exec, s[24:25]
	s_mov_b64 s[24:25], -1
	s_mov_b64 s[6:7], 0
	s_mov_b64 s[26:27], s[6:7]
	s_branch .LBB55_140
.LBB55_127:                             ;   in Loop: Header=BB55_33 Depth=1
	v_readlane_b32 s2, v56, 26
	s_add_u32 s24, s2, s14
	v_readlane_b32 s2, v56, 27
	s_addc_u32 s3, s2, s15
	s_mov_b32 s2, s77
	s_cmp_lg_u64 s[2:3], 0
	s_cbranch_scc0 .LBB55_170
; %bb.128:                              ;   in Loop: Header=BB55_33 Depth=1
	v_cvt_f32_u32_e32 v2, s33
	s_sub_u32 s2, 0, s33
	s_subb_u32 s6, 0, 0
	v_mac_f32_e32 v2, 0x4f800000, v55
	v_rcp_f32_e32 v2, v2
	v_mul_f32_e32 v2, 0x5f7ffffc, v2
	v_mul_f32_e32 v3, 0x2f800000, v2
	v_trunc_f32_e32 v3, v3
	v_mac_f32_e32 v2, 0xcf800000, v3
	v_cvt_u32_f32_e32 v3, v3
	v_cvt_u32_f32_e32 v2, v2
	v_readfirstlane_b32 s7, v3
	v_readfirstlane_b32 s25, v2
	s_mul_i32 s26, s2, s7
	s_mul_hi_u32 s28, s2, s25
	s_mul_i32 s27, s6, s25
	s_add_i32 s26, s28, s26
	s_mul_i32 s29, s2, s25
	s_add_i32 s26, s26, s27
	s_mul_hi_u32 s28, s25, s29
	s_mul_hi_u32 s27, s25, s26
	s_mul_i32 s25, s25, s26
	s_add_u32 s25, s28, s25
	s_addc_u32 s27, 0, s27
	s_mul_hi_u32 s34, s7, s29
	s_mul_i32 s29, s7, s29
	s_add_u32 s25, s25, s29
	s_mul_hi_u32 s28, s7, s26
	s_addc_u32 s25, s27, s34
	s_addc_u32 s27, s28, 0
	s_mul_i32 s26, s7, s26
	s_add_u32 s25, s25, s26
	s_addc_u32 s26, 0, s27
	v_add_co_u32_e32 v2, vcc, s25, v2
	s_cmp_lg_u64 vcc, 0
	s_addc_u32 s7, s7, s26
	v_readfirstlane_b32 s26, v2
	s_mul_i32 s25, s2, s7
	s_mul_hi_u32 s27, s2, s26
	s_add_i32 s25, s27, s25
	s_mul_i32 s6, s6, s26
	s_add_i32 s25, s25, s6
	s_mul_i32 s2, s2, s26
	s_mul_hi_u32 s27, s7, s2
	s_mul_i32 s28, s7, s2
	s_mul_i32 s34, s26, s25
	s_mul_hi_u32 s2, s26, s2
	s_mul_hi_u32 s29, s26, s25
	s_add_u32 s2, s2, s34
	s_addc_u32 s26, 0, s29
	s_add_u32 s2, s2, s28
	s_mul_hi_u32 s6, s7, s25
	s_addc_u32 s2, s26, s27
	s_addc_u32 s6, s6, 0
	s_mul_i32 s25, s7, s25
	s_add_u32 s2, s2, s25
	s_addc_u32 s6, 0, s6
	v_add_co_u32_e32 v2, vcc, s2, v2
	s_cmp_lg_u64 vcc, 0
	s_addc_u32 s2, s7, s6
	s_ashr_i32 s6, s3, 31
	s_add_u32 s26, s24, s6
	s_mov_b32 s7, s6
	s_addc_u32 s27, s3, s6
	s_xor_b64 s[26:27], s[26:27], s[6:7]
	v_readfirstlane_b32 s28, v2
	s_mul_i32 s25, s26, s2
	s_mul_hi_u32 s29, s26, s28
	s_mul_hi_u32 s7, s26, s2
	s_add_u32 s25, s29, s25
	s_addc_u32 s7, 0, s7
	s_mul_hi_u32 s34, s27, s28
	s_mul_i32 s28, s27, s28
	s_add_u32 s25, s25, s28
	s_mul_hi_u32 s29, s27, s2
	s_addc_u32 s7, s7, s34
	s_addc_u32 s25, s29, 0
	s_mul_i32 s2, s27, s2
	s_add_u32 s2, s7, s2
	s_addc_u32 s7, 0, s25
	s_mul_hi_u32 s25, s33, s2
	s_mul_i32 s2, s33, s2
	s_mul_i32 s7, s33, s7
	v_mov_b32_e32 v2, s2
	s_add_i32 s25, s25, s7
	v_sub_co_u32_e32 v2, vcc, s26, v2
	s_cmp_lg_u64 vcc, 0
	s_subb_u32 s2, s27, s25
	v_subrev_co_u32_e32 v3, vcc, s33, v2
	s_cmp_lg_u64 vcc, 0
	s_subb_u32 s7, s2, 0
	v_subrev_co_u32_e32 v4, vcc, s33, v3
	s_cmp_lg_u64 vcc, 0
	s_subb_u32 s25, s7, 0
	v_cmp_le_u32_e32 vcc, s33, v3
	s_cmp_eq_u32 s7, 0
	v_cndmask_b32_e64 v5, 0, -1, vcc
	s_cselect_b64 vcc, -1, 0
	v_cndmask_b32_e32 v5, -1, v5, vcc
	v_mov_b32_e32 v6, s7
	v_mov_b32_e32 v7, s25
	v_cmp_ne_u32_e32 vcc, 0, v5
	v_cndmask_b32_e32 v5, v6, v7, vcc
	v_cndmask_b32_e32 v3, v3, v4, vcc
	v_cmp_le_u32_e32 vcc, s33, v2
	s_cmp_eq_u32 s2, 0
	v_cndmask_b32_e64 v4, 0, -1, vcc
	s_cselect_b64 vcc, -1, 0
	v_cndmask_b32_e32 v4, -1, v4, vcc
	v_cmp_ne_u32_e32 vcc, 0, v4
	v_mov_b32_e32 v6, s2
	v_cndmask_b32_e32 v2, v2, v3, vcc
	v_cndmask_b32_e32 v4, v6, v5, vcc
	v_xor_b32_e32 v2, s6, v2
	v_xor_b32_e32 v3, s6, v4
	v_mov_b32_e32 v4, s6
	v_subrev_co_u32_e32 v2, vcc, s6, v2
	v_subb_co_u32_e32 v3, vcc, v3, v4, vcc
	s_cbranch_execnz .LBB55_130
.LBB55_129:                             ;   in Loop: Header=BB55_33 Depth=1
	v_cvt_f32_u32_e32 v2, s33
	s_sub_i32 s2, 0, s33
	v_rcp_iflag_f32_e32 v2, v2
	v_mul_f32_e32 v2, 0x4f7ffffe, v2
	v_cvt_u32_f32_e32 v2, v2
	v_mul_lo_u32 v3, s2, v2
	v_mul_hi_u32 v3, v2, v3
	v_add_u32_e32 v2, v2, v3
	v_mul_hi_u32 v2, s24, v2
	v_mul_lo_u32 v2, v2, s33
	v_sub_u32_e32 v2, s24, v2
	v_subrev_u32_e32 v3, s33, v2
	v_cmp_le_u32_e32 vcc, s33, v2
	v_cndmask_b32_e32 v2, v2, v3, vcc
	v_subrev_u32_e32 v3, s33, v2
	v_cmp_le_u32_e32 vcc, s33, v2
	v_cndmask_b32_e32 v12, v2, v3, vcc
	v_pk_mov_b32 v[2:3], v[12:13], v[12:13] op_sel:[0,1]
.LBB55_130:                             ;   in Loop: Header=BB55_33 Depth=1
	v_mov_b32_e32 v4, s3
	v_sub_co_u32_e32 v2, vcc, s24, v2
	v_subb_co_u32_e32 v3, vcc, v4, v3, vcc
	v_cmp_gt_i64_e32 vcc, v[2:3], v[0:1]
	s_mov_b64 s[2:3], 0
                                        ; implicit-def: $vgpr31
	s_and_saveexec_b64 s[24:25], vcc
	s_cbranch_execz .LBB55_139
; %bb.131:                              ;   in Loop: Header=BB55_33 Depth=1
	v_mov_b32_e32 v6, v14
	v_pk_mov_b32 v[4:5], v[0:1], v[0:1] op_sel:[0,1]
                                        ; implicit-def: $sgpr26_sgpr27
	s_branch .LBB55_133
.LBB55_132:                             ;   in Loop: Header=BB55_133 Depth=2
	s_or_b64 exec, exec, s[6:7]
	s_waitcnt lgkmcnt(0)
	s_barrier
	ds_read_b64 v[30:31], v13 offset:3072
	v_mov_b32_e32 v7, s86
	v_add_co_u32_e64 v4, s[6:7], s33, v4
	v_addc_co_u32_e64 v5, s[6:7], v5, v7, s[6:7]
	s_waitcnt lgkmcnt(0)
	v_cmp_neq_f32_e32 vcc, 0, v30
	v_cmp_ge_i64_e64 s[6:7], v[4:5], v[2:3]
	s_or_b64 s[6:7], vcc, s[6:7]
	s_and_b64 s[6:7], exec, s[6:7]
	s_or_b64 s[2:3], s[6:7], s[2:3]
	s_andn2_b64 s[6:7], s[26:27], exec
	s_and_b64 s[26:27], vcc, exec
	v_add_u32_e32 v6, s70, v6
	s_or_b64 s[26:27], s[6:7], s[26:27]
	s_barrier
	s_andn2_b64 exec, exec, s[2:3]
	s_cbranch_execz .LBB55_138
.LBB55_133:                             ;   Parent Loop BB55_33 Depth=1
                                        ; =>  This Inner Loop Header: Depth=2
	v_cmp_gt_i64_e32 vcc, s[14:15], v[4:5]
	s_waitcnt vmcnt(0)
	v_mov_b32_e32 v29, 0
	s_and_saveexec_b64 s[6:7], vcc
	s_cbranch_execz .LBB55_135
; %bb.134:                              ;   in Loop: Header=BB55_133 Depth=2
	ds_read_b32 v29, v6
.LBB55_135:                             ;   in Loop: Header=BB55_133 Depth=2
	s_or_b64 exec, exec, s[6:7]
	s_and_saveexec_b64 s[6:7], vcc
	s_cbranch_execz .LBB55_132
; %bb.136:                              ;   in Loop: Header=BB55_133 Depth=2
	s_waitcnt lgkmcnt(0)
	v_cmp_lt_i32_e32 vcc, -1, v29
	v_cndmask_b32_e32 v7, -1, v54, vcc
	v_xor_b32_e32 v7, v7, v29
	v_cmp_o_f32_e32 vcc, v29, v29
	v_cndmask_b32_e32 v7, -1, v7, vcc
	v_and_b32_e32 v7, s71, v7
	v_cmp_eq_u32_e32 vcc, s4, v7
	s_and_b64 exec, exec, vcc
	s_cbranch_execz .LBB55_132
; %bb.137:                              ;   in Loop: Header=BB55_133 Depth=2
	ds_write_b64 v13, v[28:29] offset:3072
	s_branch .LBB55_132
.LBB55_138:                             ;   in Loop: Header=BB55_33 Depth=1
	s_or_b64 exec, exec, s[2:3]
	s_and_b64 s[2:3], s[26:27], exec
.LBB55_139:                             ;   in Loop: Header=BB55_33 Depth=1
	s_or_b64 exec, exec, s[24:25]
	s_mov_b64 s[26:27], -1
	s_mov_b64 s[6:7], 0
	s_mov_b64 s[24:25], 0
.LBB55_140:                             ;   in Loop: Header=BB55_33 Depth=1
	s_andn2_b64 s[8:9], s[8:9], exec
	s_and_b64 s[6:7], s[6:7], exec
	s_or_b64 s[8:9], s[8:9], s[6:7]
	s_andn2_b64 s[0:1], s[0:1], exec
	s_and_b64 s[6:7], s[26:27], exec
	s_or_b64 s[0:1], s[0:1], s[6:7]
	;; [unrolled: 3-line block ×3, first 2 shown]
	s_and_saveexec_b64 s[14:15], s[2:3]
	s_cbranch_execz .LBB55_32
; %bb.141:                              ;   in Loop: Header=BB55_33 Depth=1
	s_xor_b64 s[2:3], s[22:23], -1
	s_andn2_b64 vcc, exec, s[2:3]
	s_mov_b32 s48, 1
	s_cbranch_vccnz .LBB55_152
; %bb.142:                              ;   in Loop: Header=BB55_33 Depth=1
	v_pk_mov_b32 v[2:3], s[16:17], s[16:17] op_sel:[0,1]
	v_cmp_gt_i64_e32 vcc, s[58:59], v[2:3]
	s_mov_b64 s[2:3], -1
                                        ; implicit-def: $sgpr48
                                        ; implicit-def: $sgpr6
                                        ; implicit-def: $sgpr7
	s_cbranch_vccnz .LBB55_148
; %bb.143:                              ;   in Loop: Header=BB55_33 Depth=1
	ds_read_b64 v[2:3], v13 offset:5120
	s_waitcnt lgkmcnt(0)
	v_cmp_ne_u64_e32 vcc, 0, v[2:3]
	s_cbranch_vccnz .LBB55_147
; %bb.144:                              ;   in Loop: Header=BB55_33 Depth=1
	s_mov_b64 s[2:3], exec
	v_readlane_b32 s6, v56, 12
	v_readlane_b32 s7, v56, 13
	s_and_b64 s[6:7], s[2:3], s[6:7]
	s_mov_b64 exec, s[6:7]
	s_cbranch_execz .LBB55_146
; %bb.145:                              ;   in Loop: Header=BB55_33 Depth=1
	v_pk_mov_b32 v[2:3], s[16:17], s[16:17] op_sel:[0,1]
	ds_write_b64 v13, v[2:3] offset:5128
.LBB55_146:                             ;   in Loop: Header=BB55_33 Depth=1
	s_or_b64 exec, exec, s[2:3]
	s_waitcnt lgkmcnt(0)
	s_barrier
.LBB55_147:                             ;   in Loop: Header=BB55_33 Depth=1
	s_and_b32 s6, s4, s43
	s_or_b32 s7, s71, s5
	s_mov_b64 s[2:3], 0
	s_mov_b32 s48, 8
.LBB55_148:                             ;   in Loop: Header=BB55_33 Depth=1
	s_andn2_b64 vcc, exec, s[2:3]
	s_cbranch_vccnz .LBB55_150
; %bb.149:                              ;   in Loop: Header=BB55_33 Depth=1
	s_sub_u32 s58, s58, s16
	s_subb_u32 s59, s59, s17
	s_mov_b64 s[2:3], -1
	s_mov_b32 s48, 0
	s_mov_b32 s6, s4
	;; [unrolled: 1-line block ×3, first 2 shown]
.LBB55_150:                             ;   in Loop: Header=BB55_33 Depth=1
	s_mov_b32 s71, s7
	s_mov_b32 s4, s6
	s_mov_b64 s[16:17], -1
	s_and_b64 vcc, exec, s[2:3]
	s_cbranch_vccnz .LBB55_153
.LBB55_151:                             ;   in Loop: Header=BB55_33 Depth=1
	s_mov_b64 s[6:7], -1
                                        ; implicit-def: $sgpr20_sgpr21
                                        ; implicit-def: $sgpr24_sgpr25
                                        ; implicit-def: $sgpr22_sgpr23
	s_and_saveexec_b64 s[2:3], s[6:7]
	s_xor_b64 s[2:3], exec, s[2:3]
	s_cbranch_execz .LBB55_31
	s_branch .LBB55_299
.LBB55_152:                             ;   in Loop: Header=BB55_33 Depth=1
	s_mov_b64 s[58:59], 1
	s_mov_b64 s[16:17], -1
	s_branch .LBB55_151
.LBB55_153:                             ;   in Loop: Header=BB55_33 Depth=1
	s_cmp_eq_u64 s[30:31], 1
	s_cselect_b64 s[2:3], -1, 0
	s_cmp_eq_u64 s[58:59], 1
	s_cselect_b64 s[6:7], -1, 0
	s_and_b64 s[34:35], s[2:3], s[6:7]
	s_mov_b64 s[2:3], -1
	s_and_b64 vcc, exec, s[34:35]
	s_cbranch_vccz .LBB55_168
; %bb.154:                              ;   in Loop: Header=BB55_33 Depth=1
	ds_read_b64 v[2:3], v13 offset:5120
	s_waitcnt lgkmcnt(0)
	s_barrier
	v_readfirstlane_b32 s26, v2
	v_readfirstlane_b32 s27, v3
	s_mov_b64 s[2:3], exec
	v_readlane_b32 s6, v56, 14
	v_readlane_b32 s7, v56, 15
	s_and_b64 s[6:7], s[2:3], s[6:7]
	s_mov_b64 exec, s[6:7]
	s_cbranch_execz .LBB55_156
; %bb.155:                              ;   in Loop: Header=BB55_33 Depth=1
	ds_write_b32 v47, v13
.LBB55_156:                             ;   in Loop: Header=BB55_33 Depth=1
	s_or_b64 exec, exec, s[2:3]
	s_lshl_b32 s2, 1, s42
	s_and_b32 s3, s4, s43
	s_or_b32 s4, s3, s2
	v_cmp_gt_i64_e64 s[2:3], s[26:27], 0
	s_or_b32 s71, s71, s5
	s_and_b64 vcc, exec, s[2:3]
	s_waitcnt lgkmcnt(0)
	s_barrier
	s_cbranch_vccnz .LBB55_171
; %bb.157:                              ;   in Loop: Header=BB55_33 Depth=1
	s_mov_b32 s48, s77
	s_cmp_lg_u64 s[48:49], 0
	s_cbranch_scc0 .LBB55_216
; %bb.158:                              ;   in Loop: Header=BB55_33 Depth=1
	v_cvt_f32_u32_e32 v2, s33
	s_sub_u32 s2, 0, s33
	s_subb_u32 s3, 0, 0
	v_mac_f32_e32 v2, 0x4f800000, v55
	v_rcp_f32_e32 v2, v2
	v_mul_f32_e32 v2, 0x5f7ffffc, v2
	v_mul_f32_e32 v3, 0x2f800000, v2
	v_trunc_f32_e32 v3, v3
	v_mac_f32_e32 v2, 0xcf800000, v3
	v_cvt_u32_f32_e32 v3, v3
	v_cvt_u32_f32_e32 v2, v2
	v_readfirstlane_b32 s6, v3
	v_readfirstlane_b32 s7, v2
	s_mul_i32 s20, s2, s6
	s_mul_hi_u32 s22, s2, s7
	s_mul_i32 s21, s3, s7
	s_add_i32 s20, s22, s20
	s_mul_i32 s23, s2, s7
	s_add_i32 s20, s20, s21
	s_mul_hi_u32 s22, s7, s23
	s_mul_hi_u32 s21, s7, s20
	s_mul_i32 s7, s7, s20
	s_add_u32 s7, s22, s7
	s_addc_u32 s21, 0, s21
	s_mul_hi_u32 s24, s6, s23
	s_mul_i32 s23, s6, s23
	s_add_u32 s7, s7, s23
	s_mul_hi_u32 s22, s6, s20
	s_addc_u32 s7, s21, s24
	s_addc_u32 s21, s22, 0
	s_mul_i32 s20, s6, s20
	s_add_u32 s7, s7, s20
	s_addc_u32 s20, 0, s21
	v_add_co_u32_e32 v2, vcc, s7, v2
	s_cmp_lg_u64 vcc, 0
	s_addc_u32 s6, s6, s20
	v_readfirstlane_b32 s20, v2
	s_mul_i32 s7, s2, s6
	s_mul_hi_u32 s21, s2, s20
	s_add_i32 s7, s21, s7
	s_mul_i32 s3, s3, s20
	s_add_i32 s7, s7, s3
	s_mul_i32 s2, s2, s20
	s_mul_hi_u32 s21, s6, s2
	s_mul_i32 s22, s6, s2
	s_mul_i32 s24, s20, s7
	s_mul_hi_u32 s2, s20, s2
	s_mul_hi_u32 s23, s20, s7
	s_add_u32 s2, s2, s24
	s_addc_u32 s20, 0, s23
	s_add_u32 s2, s2, s22
	s_mul_hi_u32 s3, s6, s7
	s_addc_u32 s2, s20, s21
	s_addc_u32 s3, s3, 0
	s_mul_i32 s7, s6, s7
	s_add_u32 s2, s2, s7
	s_addc_u32 s3, 0, s3
	v_add_co_u32_e32 v2, vcc, s2, v2
	s_cmp_lg_u64 vcc, 0
	s_addc_u32 s20, s6, s3
	s_ashr_i32 s2, s49, 31
	s_add_u32 s6, s61, s2
	s_mov_b32 s3, s2
	s_addc_u32 s7, s49, s2
	s_xor_b64 s[6:7], s[6:7], s[2:3]
	v_readfirstlane_b32 s22, v2
	s_mul_i32 s21, s6, s20
	s_mul_hi_u32 s23, s6, s22
	s_mul_hi_u32 s3, s6, s20
	s_add_u32 s21, s23, s21
	s_addc_u32 s3, 0, s3
	s_mul_hi_u32 s24, s7, s22
	s_mul_i32 s22, s7, s22
	s_add_u32 s21, s21, s22
	s_mul_hi_u32 s23, s7, s20
	s_addc_u32 s3, s3, s24
	s_addc_u32 s21, s23, 0
	s_mul_i32 s20, s7, s20
	s_add_u32 s3, s3, s20
	s_addc_u32 s20, 0, s21
	s_mul_hi_u32 s21, s33, s3
	s_mul_i32 s3, s33, s3
	s_mul_i32 s20, s33, s20
	v_mov_b32_e32 v2, s3
	s_add_i32 s21, s21, s20
	v_sub_co_u32_e32 v2, vcc, s6, v2
	s_cmp_lg_u64 vcc, 0
	s_subb_u32 s3, s7, s21
	v_subrev_co_u32_e32 v3, vcc, s33, v2
	s_cmp_lg_u64 vcc, 0
	s_subb_u32 s6, s3, 0
	v_subrev_co_u32_e32 v4, vcc, s33, v3
	s_cmp_lg_u64 vcc, 0
	s_subb_u32 s7, s6, 0
	v_cmp_le_u32_e32 vcc, s33, v3
	s_cmp_eq_u32 s6, 0
	v_cndmask_b32_e64 v5, 0, -1, vcc
	s_cselect_b64 vcc, -1, 0
	v_cndmask_b32_e32 v5, -1, v5, vcc
	v_mov_b32_e32 v6, s6
	v_mov_b32_e32 v7, s7
	v_cmp_ne_u32_e32 vcc, 0, v5
	v_cndmask_b32_e32 v5, v6, v7, vcc
	v_cndmask_b32_e32 v3, v3, v4, vcc
	v_cmp_le_u32_e32 vcc, s33, v2
	s_cmp_eq_u32 s3, 0
	v_cndmask_b32_e64 v4, 0, -1, vcc
	s_cselect_b64 vcc, -1, 0
	v_cndmask_b32_e32 v4, -1, v4, vcc
	v_cmp_ne_u32_e32 vcc, 0, v4
	v_mov_b32_e32 v6, s3
	v_cndmask_b32_e32 v2, v2, v3, vcc
	v_cndmask_b32_e32 v4, v6, v5, vcc
	v_xor_b32_e32 v2, s2, v2
	v_xor_b32_e32 v3, s2, v4
	v_mov_b32_e32 v4, s2
	v_subrev_co_u32_e32 v2, vcc, s2, v2
	v_subb_co_u32_e32 v3, vcc, v3, v4, vcc
	s_cbranch_execnz .LBB55_160
.LBB55_159:                             ;   in Loop: Header=BB55_33 Depth=1
	v_cvt_f32_u32_e32 v2, s33
	s_sub_i32 s2, 0, s33
	v_rcp_iflag_f32_e32 v2, v2
	v_mul_f32_e32 v2, 0x4f7ffffe, v2
	v_cvt_u32_f32_e32 v2, v2
	v_mul_lo_u32 v3, s2, v2
	v_mul_hi_u32 v3, v2, v3
	v_add_u32_e32 v2, v2, v3
	v_mul_hi_u32 v2, s61, v2
	v_mul_lo_u32 v2, v2, s33
	v_sub_u32_e32 v2, s61, v2
	v_subrev_u32_e32 v3, s33, v2
	v_cmp_le_u32_e32 vcc, s33, v2
	v_cndmask_b32_e32 v2, v2, v3, vcc
	v_subrev_u32_e32 v3, s33, v2
	v_cmp_le_u32_e32 vcc, s33, v2
	v_cndmask_b32_e32 v12, v2, v3, vcc
	v_pk_mov_b32 v[2:3], v[12:13], v[12:13] op_sel:[0,1]
.LBB55_160:                             ;   in Loop: Header=BB55_33 Depth=1
	v_mov_b32_e32 v4, s49
	v_sub_co_u32_e32 v2, vcc, s61, v2
	v_subb_co_u32_e32 v3, vcc, v4, v3, vcc
	v_cmp_gt_i64_e32 vcc, v[2:3], v[0:1]
	s_mov_b64 s[2:3], 0
                                        ; implicit-def: $vgpr31
	s_and_saveexec_b64 s[20:21], vcc
	s_cbranch_execz .LBB55_173
; %bb.161:                              ;   in Loop: Header=BB55_33 Depth=1
	v_pk_mov_b32 v[4:5], v[10:11], v[10:11] op_sel:[0,1]
	v_pk_mov_b32 v[6:7], v[0:1], v[0:1] op_sel:[0,1]
                                        ; implicit-def: $sgpr22_sgpr23
	s_branch .LBB55_163
.LBB55_162:                             ;   in Loop: Header=BB55_163 Depth=2
	s_or_b64 exec, exec, s[6:7]
	s_waitcnt lgkmcnt(0)
	s_barrier
	ds_read_b64 v[30:31], v13 offset:3072
	v_mov_b32_e32 v8, s86
	v_add_co_u32_e64 v6, s[6:7], s33, v6
	v_addc_co_u32_e64 v7, s[6:7], v7, v8, s[6:7]
	s_waitcnt lgkmcnt(0)
	v_cmp_neq_f32_e32 vcc, 0, v30
	v_cmp_ge_i64_e64 s[6:7], v[6:7], v[2:3]
	s_or_b64 s[24:25], vcc, s[6:7]
	v_mov_b32_e32 v8, s79
	v_add_co_u32_e64 v4, s[6:7], s78, v4
	v_addc_co_u32_e64 v5, s[6:7], v5, v8, s[6:7]
	s_and_b64 s[6:7], exec, s[24:25]
	s_or_b64 s[2:3], s[6:7], s[2:3]
	s_andn2_b64 s[6:7], s[22:23], exec
	s_and_b64 s[22:23], vcc, exec
	s_or_b64 s[22:23], s[6:7], s[22:23]
	s_barrier
	s_andn2_b64 exec, exec, s[2:3]
	s_cbranch_execz .LBB55_172
.LBB55_163:                             ;   Parent Loop BB55_33 Depth=1
                                        ; =>  This Inner Loop Header: Depth=2
	v_cmp_gt_i64_e32 vcc, s[56:57], v[6:7]
	s_waitcnt vmcnt(0)
	v_mov_b32_e32 v29, 0
	s_and_saveexec_b64 s[6:7], vcc
	s_cbranch_execz .LBB55_165
; %bb.164:                              ;   in Loop: Header=BB55_163 Depth=2
	global_load_dword v29, v[4:5], off
.LBB55_165:                             ;   in Loop: Header=BB55_163 Depth=2
	s_or_b64 exec, exec, s[6:7]
	s_and_saveexec_b64 s[6:7], vcc
	s_cbranch_execz .LBB55_162
; %bb.166:                              ;   in Loop: Header=BB55_163 Depth=2
	s_waitcnt vmcnt(0)
	v_cmp_lt_i32_e32 vcc, -1, v29
	v_cndmask_b32_e32 v8, -1, v54, vcc
	v_xor_b32_e32 v8, v8, v29
	v_cmp_o_f32_e32 vcc, v29, v29
	v_cndmask_b32_e32 v8, -1, v8, vcc
	v_and_b32_e32 v8, s71, v8
	v_cmp_eq_u32_e32 vcc, s4, v8
	s_and_b64 exec, exec, vcc
	s_cbranch_execz .LBB55_162
; %bb.167:                              ;   in Loop: Header=BB55_163 Depth=2
	ds_write_b64 v13, v[28:29] offset:3072
	s_branch .LBB55_162
.LBB55_168:                             ;   in Loop: Header=BB55_33 Depth=1
                                        ; implicit-def: $sgpr22_sgpr23
                                        ; implicit-def: $sgpr24_sgpr25
                                        ; implicit-def: $sgpr20_sgpr21
	s_branch .LBB55_187
.LBB55_169:                             ;   in Loop: Header=BB55_33 Depth=1
                                        ; implicit-def: $vgpr2_vgpr3
	s_branch .LBB55_114
.LBB55_170:                             ;   in Loop: Header=BB55_33 Depth=1
                                        ; implicit-def: $vgpr2_vgpr3
	s_branch .LBB55_129
.LBB55_171:                             ;   in Loop: Header=BB55_33 Depth=1
	s_mov_b64 s[22:23], -1
	s_mov_b64 s[2:3], 0
                                        ; implicit-def: $sgpr20_sgpr21
                                        ; implicit-def: $vgpr31
	s_mov_b64 s[24:25], s[22:23]
	s_cbranch_execnz .LBB55_174
	s_branch .LBB55_187
.LBB55_172:                             ;   in Loop: Header=BB55_33 Depth=1
	s_or_b64 exec, exec, s[2:3]
	s_and_b64 s[2:3], s[22:23], exec
.LBB55_173:                             ;   in Loop: Header=BB55_33 Depth=1
	s_or_b64 exec, exec, s[20:21]
	s_mov_b64 s[20:21], -1
	s_mov_b64 s[22:23], 0
	s_mov_b64 s[24:25], s[22:23]
	s_branch .LBB55_187
.LBB55_174:                             ;   in Loop: Header=BB55_33 Depth=1
	v_readlane_b32 s2, v56, 26
	s_add_u32 s20, s2, s26
	v_readlane_b32 s2, v56, 27
	s_addc_u32 s3, s2, s27
	s_mov_b32 s2, s77
	s_cmp_lg_u64 s[2:3], 0
	s_cbranch_scc0 .LBB55_217
; %bb.175:                              ;   in Loop: Header=BB55_33 Depth=1
	v_cvt_f32_u32_e32 v2, s33
	s_sub_u32 s2, 0, s33
	s_subb_u32 s6, 0, 0
	v_mac_f32_e32 v2, 0x4f800000, v55
	v_rcp_f32_e32 v2, v2
	v_mul_f32_e32 v2, 0x5f7ffffc, v2
	v_mul_f32_e32 v3, 0x2f800000, v2
	v_trunc_f32_e32 v3, v3
	v_mac_f32_e32 v2, 0xcf800000, v3
	v_cvt_u32_f32_e32 v3, v3
	v_cvt_u32_f32_e32 v2, v2
	v_readfirstlane_b32 s7, v3
	v_readfirstlane_b32 s21, v2
	s_mul_i32 s22, s2, s7
	s_mul_hi_u32 s24, s2, s21
	s_mul_i32 s23, s6, s21
	s_add_i32 s22, s24, s22
	s_mul_i32 s25, s2, s21
	s_add_i32 s22, s22, s23
	s_mul_hi_u32 s24, s21, s25
	s_mul_hi_u32 s23, s21, s22
	s_mul_i32 s21, s21, s22
	s_add_u32 s21, s24, s21
	s_addc_u32 s23, 0, s23
	s_mul_hi_u32 s28, s7, s25
	s_mul_i32 s25, s7, s25
	s_add_u32 s21, s21, s25
	s_mul_hi_u32 s24, s7, s22
	s_addc_u32 s21, s23, s28
	s_addc_u32 s23, s24, 0
	s_mul_i32 s22, s7, s22
	s_add_u32 s21, s21, s22
	s_addc_u32 s22, 0, s23
	v_add_co_u32_e32 v2, vcc, s21, v2
	s_cmp_lg_u64 vcc, 0
	s_addc_u32 s7, s7, s22
	v_readfirstlane_b32 s22, v2
	s_mul_i32 s21, s2, s7
	s_mul_hi_u32 s23, s2, s22
	s_add_i32 s21, s23, s21
	s_mul_i32 s6, s6, s22
	s_add_i32 s21, s21, s6
	s_mul_i32 s2, s2, s22
	s_mul_hi_u32 s23, s7, s2
	s_mul_i32 s24, s7, s2
	s_mul_i32 s28, s22, s21
	s_mul_hi_u32 s2, s22, s2
	s_mul_hi_u32 s25, s22, s21
	s_add_u32 s2, s2, s28
	s_addc_u32 s22, 0, s25
	s_add_u32 s2, s2, s24
	s_mul_hi_u32 s6, s7, s21
	s_addc_u32 s2, s22, s23
	s_addc_u32 s6, s6, 0
	s_mul_i32 s21, s7, s21
	s_add_u32 s2, s2, s21
	s_addc_u32 s6, 0, s6
	v_add_co_u32_e32 v2, vcc, s2, v2
	s_cmp_lg_u64 vcc, 0
	s_addc_u32 s2, s7, s6
	s_ashr_i32 s6, s3, 31
	s_add_u32 s22, s20, s6
	s_mov_b32 s7, s6
	s_addc_u32 s23, s3, s6
	s_xor_b64 s[22:23], s[22:23], s[6:7]
	v_readfirstlane_b32 s24, v2
	s_mul_i32 s21, s22, s2
	s_mul_hi_u32 s25, s22, s24
	s_mul_hi_u32 s7, s22, s2
	s_add_u32 s21, s25, s21
	s_addc_u32 s7, 0, s7
	s_mul_hi_u32 s28, s23, s24
	s_mul_i32 s24, s23, s24
	s_add_u32 s21, s21, s24
	s_mul_hi_u32 s25, s23, s2
	s_addc_u32 s7, s7, s28
	s_addc_u32 s21, s25, 0
	s_mul_i32 s2, s23, s2
	s_add_u32 s2, s7, s2
	s_addc_u32 s7, 0, s21
	s_mul_hi_u32 s21, s33, s2
	s_mul_i32 s2, s33, s2
	s_mul_i32 s7, s33, s7
	v_mov_b32_e32 v2, s2
	s_add_i32 s21, s21, s7
	v_sub_co_u32_e32 v2, vcc, s22, v2
	s_cmp_lg_u64 vcc, 0
	s_subb_u32 s2, s23, s21
	v_subrev_co_u32_e32 v3, vcc, s33, v2
	s_cmp_lg_u64 vcc, 0
	s_subb_u32 s7, s2, 0
	v_subrev_co_u32_e32 v4, vcc, s33, v3
	s_cmp_lg_u64 vcc, 0
	s_subb_u32 s21, s7, 0
	v_cmp_le_u32_e32 vcc, s33, v3
	s_cmp_eq_u32 s7, 0
	v_cndmask_b32_e64 v5, 0, -1, vcc
	s_cselect_b64 vcc, -1, 0
	v_cndmask_b32_e32 v5, -1, v5, vcc
	v_mov_b32_e32 v6, s7
	v_mov_b32_e32 v7, s21
	v_cmp_ne_u32_e32 vcc, 0, v5
	v_cndmask_b32_e32 v5, v6, v7, vcc
	v_cndmask_b32_e32 v3, v3, v4, vcc
	v_cmp_le_u32_e32 vcc, s33, v2
	s_cmp_eq_u32 s2, 0
	v_cndmask_b32_e64 v4, 0, -1, vcc
	s_cselect_b64 vcc, -1, 0
	v_cndmask_b32_e32 v4, -1, v4, vcc
	v_cmp_ne_u32_e32 vcc, 0, v4
	v_mov_b32_e32 v6, s2
	v_cndmask_b32_e32 v2, v2, v3, vcc
	v_cndmask_b32_e32 v4, v6, v5, vcc
	v_xor_b32_e32 v2, s6, v2
	v_xor_b32_e32 v3, s6, v4
	v_mov_b32_e32 v4, s6
	v_subrev_co_u32_e32 v2, vcc, s6, v2
	v_subb_co_u32_e32 v3, vcc, v3, v4, vcc
	s_cbranch_execnz .LBB55_177
.LBB55_176:                             ;   in Loop: Header=BB55_33 Depth=1
	v_cvt_f32_u32_e32 v2, s33
	s_sub_i32 s2, 0, s33
	v_rcp_iflag_f32_e32 v2, v2
	v_mul_f32_e32 v2, 0x4f7ffffe, v2
	v_cvt_u32_f32_e32 v2, v2
	v_mul_lo_u32 v3, s2, v2
	v_mul_hi_u32 v3, v2, v3
	v_add_u32_e32 v2, v2, v3
	v_mul_hi_u32 v2, s20, v2
	v_mul_lo_u32 v2, v2, s33
	v_sub_u32_e32 v2, s20, v2
	v_subrev_u32_e32 v3, s33, v2
	v_cmp_le_u32_e32 vcc, s33, v2
	v_cndmask_b32_e32 v2, v2, v3, vcc
	v_subrev_u32_e32 v3, s33, v2
	v_cmp_le_u32_e32 vcc, s33, v2
	v_cndmask_b32_e32 v12, v2, v3, vcc
	v_pk_mov_b32 v[2:3], v[12:13], v[12:13] op_sel:[0,1]
.LBB55_177:                             ;   in Loop: Header=BB55_33 Depth=1
	v_mov_b32_e32 v4, s3
	v_sub_co_u32_e32 v2, vcc, s20, v2
	v_subb_co_u32_e32 v3, vcc, v4, v3, vcc
	v_cmp_gt_i64_e32 vcc, v[2:3], v[0:1]
	s_mov_b64 s[2:3], 0
                                        ; implicit-def: $vgpr31
	s_and_saveexec_b64 s[20:21], vcc
	s_cbranch_execz .LBB55_186
; %bb.178:                              ;   in Loop: Header=BB55_33 Depth=1
	v_mov_b32_e32 v6, v14
	v_pk_mov_b32 v[4:5], v[0:1], v[0:1] op_sel:[0,1]
                                        ; implicit-def: $sgpr22_sgpr23
	s_branch .LBB55_180
.LBB55_179:                             ;   in Loop: Header=BB55_180 Depth=2
	s_or_b64 exec, exec, s[6:7]
	s_waitcnt lgkmcnt(0)
	s_barrier
	ds_read_b64 v[30:31], v13 offset:3072
	v_mov_b32_e32 v7, s86
	v_add_co_u32_e64 v4, s[6:7], s33, v4
	v_addc_co_u32_e64 v5, s[6:7], v5, v7, s[6:7]
	s_waitcnt lgkmcnt(0)
	v_cmp_neq_f32_e32 vcc, 0, v30
	v_cmp_ge_i64_e64 s[6:7], v[4:5], v[2:3]
	s_or_b64 s[6:7], vcc, s[6:7]
	s_and_b64 s[6:7], exec, s[6:7]
	s_or_b64 s[2:3], s[6:7], s[2:3]
	s_andn2_b64 s[6:7], s[22:23], exec
	s_and_b64 s[22:23], vcc, exec
	v_add_u32_e32 v6, s70, v6
	s_or_b64 s[22:23], s[6:7], s[22:23]
	s_barrier
	s_andn2_b64 exec, exec, s[2:3]
	s_cbranch_execz .LBB55_185
.LBB55_180:                             ;   Parent Loop BB55_33 Depth=1
                                        ; =>  This Inner Loop Header: Depth=2
	v_cmp_gt_i64_e32 vcc, s[26:27], v[4:5]
	s_waitcnt vmcnt(0)
	v_mov_b32_e32 v29, 0
	s_and_saveexec_b64 s[6:7], vcc
	s_cbranch_execz .LBB55_182
; %bb.181:                              ;   in Loop: Header=BB55_180 Depth=2
	ds_read_b32 v29, v6
.LBB55_182:                             ;   in Loop: Header=BB55_180 Depth=2
	s_or_b64 exec, exec, s[6:7]
	s_and_saveexec_b64 s[6:7], vcc
	s_cbranch_execz .LBB55_179
; %bb.183:                              ;   in Loop: Header=BB55_180 Depth=2
	s_waitcnt lgkmcnt(0)
	v_cmp_lt_i32_e32 vcc, -1, v29
	v_cndmask_b32_e32 v7, -1, v54, vcc
	v_xor_b32_e32 v7, v7, v29
	v_cmp_o_f32_e32 vcc, v29, v29
	v_cndmask_b32_e32 v7, -1, v7, vcc
	v_and_b32_e32 v7, s71, v7
	v_cmp_eq_u32_e32 vcc, s4, v7
	s_and_b64 exec, exec, vcc
	s_cbranch_execz .LBB55_179
; %bb.184:                              ;   in Loop: Header=BB55_180 Depth=2
	ds_write_b64 v13, v[28:29] offset:3072
	s_branch .LBB55_179
.LBB55_185:                             ;   in Loop: Header=BB55_33 Depth=1
	s_or_b64 exec, exec, s[2:3]
	s_and_b64 s[2:3], s[22:23], exec
.LBB55_186:                             ;   in Loop: Header=BB55_33 Depth=1
	s_or_b64 exec, exec, s[20:21]
	s_mov_b64 s[24:25], -1
	s_mov_b64 s[22:23], 0
	s_mov_b64 s[20:21], 0
.LBB55_187:                             ;   in Loop: Header=BB55_33 Depth=1
	s_mov_b64 s[6:7], 0
                                        ; implicit-def: $sgpr48
	s_and_saveexec_b64 s[26:27], s[2:3]
	s_cbranch_execz .LBB55_298
; %bb.188:                              ;   in Loop: Header=BB55_33 Depth=1
	s_xor_b64 s[2:3], s[34:35], -1
	s_andn2_b64 vcc, exec, s[2:3]
	s_mov_b32 s48, 1
	s_cbranch_vccnz .LBB55_199
; %bb.189:                              ;   in Loop: Header=BB55_33 Depth=1
	v_pk_mov_b32 v[2:3], s[30:31], s[30:31] op_sel:[0,1]
	v_cmp_gt_i64_e32 vcc, s[58:59], v[2:3]
	s_mov_b64 s[2:3], -1
                                        ; implicit-def: $sgpr48
                                        ; implicit-def: $sgpr6
                                        ; implicit-def: $sgpr7
	s_cbranch_vccnz .LBB55_195
; %bb.190:                              ;   in Loop: Header=BB55_33 Depth=1
	ds_read_b64 v[2:3], v13 offset:5120
	s_waitcnt lgkmcnt(0)
	v_cmp_ne_u64_e32 vcc, 0, v[2:3]
	s_cbranch_vccnz .LBB55_194
; %bb.191:                              ;   in Loop: Header=BB55_33 Depth=1
	s_mov_b64 s[2:3], exec
	v_readlane_b32 s6, v56, 12
	v_readlane_b32 s7, v56, 13
	s_and_b64 s[6:7], s[2:3], s[6:7]
	s_mov_b64 exec, s[6:7]
	s_cbranch_execz .LBB55_193
; %bb.192:                              ;   in Loop: Header=BB55_33 Depth=1
	v_pk_mov_b32 v[2:3], s[30:31], s[30:31] op_sel:[0,1]
	ds_write_b64 v13, v[2:3] offset:5128
.LBB55_193:                             ;   in Loop: Header=BB55_33 Depth=1
	s_or_b64 exec, exec, s[2:3]
	s_waitcnt lgkmcnt(0)
	s_barrier
.LBB55_194:                             ;   in Loop: Header=BB55_33 Depth=1
	s_lshl_b32 s2, 1, s42
	s_and_b32 s3, s4, s43
	s_or_b32 s6, s3, s2
	s_or_b32 s7, s71, s5
	s_mov_b64 s[2:3], 0
	s_mov_b32 s48, 8
.LBB55_195:                             ;   in Loop: Header=BB55_33 Depth=1
	s_andn2_b64 vcc, exec, s[2:3]
	s_cbranch_vccnz .LBB55_197
; %bb.196:                              ;   in Loop: Header=BB55_33 Depth=1
	s_sub_u32 s58, s58, s30
	s_subb_u32 s59, s59, s31
	s_mov_b64 s[2:3], -1
	s_mov_b32 s48, 0
	s_mov_b32 s6, s4
	s_mov_b32 s7, s71
.LBB55_197:                             ;   in Loop: Header=BB55_33 Depth=1
	s_mov_b32 s71, s7
	s_mov_b32 s4, s6
	s_andn2_b64 vcc, exec, s[2:3]
	s_mov_b64 s[6:7], -1
	s_cbranch_vccz .LBB55_200
.LBB55_198:                             ;   in Loop: Header=BB55_33 Depth=1
                                        ; implicit-def: $sgpr34_sgpr35
                                        ; implicit-def: $sgpr36_sgpr37
                                        ; implicit-def: $sgpr30_sgpr31
	s_branch .LBB55_297
.LBB55_199:                             ;   in Loop: Header=BB55_33 Depth=1
	s_mov_b64 s[58:59], 1
	s_mov_b64 s[6:7], -1
	s_cbranch_execnz .LBB55_198
.LBB55_200:                             ;   in Loop: Header=BB55_33 Depth=1
	s_cmp_eq_u64 s[18:19], 1
	s_cselect_b64 s[2:3], -1, 0
	s_cmp_eq_u64 s[58:59], 1
	s_cselect_b64 s[6:7], -1, 0
	s_and_b64 s[40:41], s[2:3], s[6:7]
	s_mov_b64 s[2:3], -1
	s_and_b64 vcc, exec, s[40:41]
	s_cbranch_vccz .LBB55_215
; %bb.201:                              ;   in Loop: Header=BB55_33 Depth=1
	ds_read_b64 v[2:3], v13 offset:5120
	s_waitcnt lgkmcnt(0)
	s_barrier
	v_readfirstlane_b32 s38, v2
	v_readfirstlane_b32 s39, v3
	s_mov_b64 s[2:3], exec
	v_readlane_b32 s6, v56, 14
	v_readlane_b32 s7, v56, 15
	s_and_b64 s[6:7], s[2:3], s[6:7]
	s_mov_b64 exec, s[6:7]
	s_cbranch_execz .LBB55_203
; %bb.202:                              ;   in Loop: Header=BB55_33 Depth=1
	ds_write_b32 v47, v13
.LBB55_203:                             ;   in Loop: Header=BB55_33 Depth=1
	s_or_b64 exec, exec, s[2:3]
	s_lshl_b32 s2, 2, s42
	s_and_b32 s3, s4, s43
	s_or_b32 s4, s3, s2
	v_cmp_gt_i64_e64 s[2:3], s[38:39], 0
	s_or_b32 s71, s71, s5
	s_and_b64 vcc, exec, s[2:3]
	s_waitcnt lgkmcnt(0)
	s_barrier
	s_cbranch_vccnz .LBB55_218
; %bb.204:                              ;   in Loop: Header=BB55_33 Depth=1
	s_mov_b32 s48, s77
	s_cmp_lg_u64 s[48:49], 0
	s_cbranch_scc0 .LBB55_263
; %bb.205:                              ;   in Loop: Header=BB55_33 Depth=1
	v_cvt_f32_u32_e32 v2, s33
	s_sub_u32 s2, 0, s33
	s_subb_u32 s3, 0, 0
	v_mac_f32_e32 v2, 0x4f800000, v55
	v_rcp_f32_e32 v2, v2
	v_mul_f32_e32 v2, 0x5f7ffffc, v2
	v_mul_f32_e32 v3, 0x2f800000, v2
	v_trunc_f32_e32 v3, v3
	v_mac_f32_e32 v2, 0xcf800000, v3
	v_cvt_u32_f32_e32 v3, v3
	v_cvt_u32_f32_e32 v2, v2
	v_readfirstlane_b32 s6, v3
	v_readfirstlane_b32 s7, v2
	s_mul_i32 s28, s2, s6
	s_mul_hi_u32 s30, s2, s7
	s_mul_i32 s29, s3, s7
	s_add_i32 s28, s30, s28
	s_mul_i32 s31, s2, s7
	s_add_i32 s28, s28, s29
	s_mul_hi_u32 s30, s7, s31
	s_mul_hi_u32 s29, s7, s28
	s_mul_i32 s7, s7, s28
	s_add_u32 s7, s30, s7
	s_addc_u32 s29, 0, s29
	s_mul_hi_u32 s34, s6, s31
	s_mul_i32 s31, s6, s31
	s_add_u32 s7, s7, s31
	s_mul_hi_u32 s30, s6, s28
	s_addc_u32 s7, s29, s34
	s_addc_u32 s29, s30, 0
	s_mul_i32 s28, s6, s28
	s_add_u32 s7, s7, s28
	s_addc_u32 s28, 0, s29
	v_add_co_u32_e32 v2, vcc, s7, v2
	s_cmp_lg_u64 vcc, 0
	s_addc_u32 s6, s6, s28
	v_readfirstlane_b32 s28, v2
	s_mul_i32 s7, s2, s6
	s_mul_hi_u32 s29, s2, s28
	s_add_i32 s7, s29, s7
	s_mul_i32 s3, s3, s28
	s_add_i32 s7, s7, s3
	s_mul_i32 s2, s2, s28
	s_mul_hi_u32 s29, s6, s2
	s_mul_i32 s30, s6, s2
	s_mul_i32 s34, s28, s7
	s_mul_hi_u32 s2, s28, s2
	s_mul_hi_u32 s31, s28, s7
	s_add_u32 s2, s2, s34
	s_addc_u32 s28, 0, s31
	s_add_u32 s2, s2, s30
	s_mul_hi_u32 s3, s6, s7
	s_addc_u32 s2, s28, s29
	s_addc_u32 s3, s3, 0
	s_mul_i32 s7, s6, s7
	s_add_u32 s2, s2, s7
	s_addc_u32 s3, 0, s3
	v_add_co_u32_e32 v2, vcc, s2, v2
	s_cmp_lg_u64 vcc, 0
	s_addc_u32 s28, s6, s3
	s_ashr_i32 s2, s49, 31
	s_add_u32 s6, s61, s2
	s_mov_b32 s3, s2
	s_addc_u32 s7, s49, s2
	s_xor_b64 s[6:7], s[6:7], s[2:3]
	v_readfirstlane_b32 s30, v2
	s_mul_i32 s29, s6, s28
	s_mul_hi_u32 s31, s6, s30
	s_mul_hi_u32 s3, s6, s28
	s_add_u32 s29, s31, s29
	s_addc_u32 s3, 0, s3
	s_mul_hi_u32 s34, s7, s30
	s_mul_i32 s30, s7, s30
	s_add_u32 s29, s29, s30
	s_mul_hi_u32 s31, s7, s28
	s_addc_u32 s3, s3, s34
	s_addc_u32 s29, s31, 0
	s_mul_i32 s28, s7, s28
	s_add_u32 s3, s3, s28
	s_addc_u32 s28, 0, s29
	s_mul_hi_u32 s29, s33, s3
	s_mul_i32 s3, s33, s3
	s_mul_i32 s28, s33, s28
	v_mov_b32_e32 v2, s3
	s_add_i32 s29, s29, s28
	v_sub_co_u32_e32 v2, vcc, s6, v2
	s_cmp_lg_u64 vcc, 0
	s_subb_u32 s3, s7, s29
	v_subrev_co_u32_e32 v3, vcc, s33, v2
	s_cmp_lg_u64 vcc, 0
	s_subb_u32 s6, s3, 0
	v_subrev_co_u32_e32 v4, vcc, s33, v3
	s_cmp_lg_u64 vcc, 0
	s_subb_u32 s7, s6, 0
	v_cmp_le_u32_e32 vcc, s33, v3
	s_cmp_eq_u32 s6, 0
	v_cndmask_b32_e64 v5, 0, -1, vcc
	s_cselect_b64 vcc, -1, 0
	v_cndmask_b32_e32 v5, -1, v5, vcc
	v_mov_b32_e32 v6, s6
	v_mov_b32_e32 v7, s7
	v_cmp_ne_u32_e32 vcc, 0, v5
	v_cndmask_b32_e32 v5, v6, v7, vcc
	v_cndmask_b32_e32 v3, v3, v4, vcc
	v_cmp_le_u32_e32 vcc, s33, v2
	s_cmp_eq_u32 s3, 0
	v_cndmask_b32_e64 v4, 0, -1, vcc
	s_cselect_b64 vcc, -1, 0
	v_cndmask_b32_e32 v4, -1, v4, vcc
	v_cmp_ne_u32_e32 vcc, 0, v4
	v_mov_b32_e32 v6, s3
	v_cndmask_b32_e32 v2, v2, v3, vcc
	v_cndmask_b32_e32 v4, v6, v5, vcc
	v_xor_b32_e32 v2, s2, v2
	v_xor_b32_e32 v3, s2, v4
	v_mov_b32_e32 v4, s2
	v_subrev_co_u32_e32 v2, vcc, s2, v2
	v_subb_co_u32_e32 v3, vcc, v3, v4, vcc
	s_cbranch_execnz .LBB55_207
.LBB55_206:                             ;   in Loop: Header=BB55_33 Depth=1
	v_cvt_f32_u32_e32 v2, s33
	s_sub_i32 s2, 0, s33
	v_rcp_iflag_f32_e32 v2, v2
	v_mul_f32_e32 v2, 0x4f7ffffe, v2
	v_cvt_u32_f32_e32 v2, v2
	v_mul_lo_u32 v3, s2, v2
	v_mul_hi_u32 v3, v2, v3
	v_add_u32_e32 v2, v2, v3
	v_mul_hi_u32 v2, s61, v2
	v_mul_lo_u32 v2, v2, s33
	v_sub_u32_e32 v2, s61, v2
	v_subrev_u32_e32 v3, s33, v2
	v_cmp_le_u32_e32 vcc, s33, v2
	v_cndmask_b32_e32 v2, v2, v3, vcc
	v_subrev_u32_e32 v3, s33, v2
	v_cmp_le_u32_e32 vcc, s33, v2
	v_cndmask_b32_e32 v12, v2, v3, vcc
	v_pk_mov_b32 v[2:3], v[12:13], v[12:13] op_sel:[0,1]
.LBB55_207:                             ;   in Loop: Header=BB55_33 Depth=1
	v_mov_b32_e32 v4, s49
	v_sub_co_u32_e32 v2, vcc, s61, v2
	v_subb_co_u32_e32 v3, vcc, v4, v3, vcc
	v_cmp_gt_i64_e32 vcc, v[2:3], v[0:1]
	s_mov_b64 s[2:3], 0
                                        ; implicit-def: $vgpr31
	s_and_saveexec_b64 s[28:29], vcc
	s_cbranch_execz .LBB55_220
; %bb.208:                              ;   in Loop: Header=BB55_33 Depth=1
	v_pk_mov_b32 v[4:5], v[10:11], v[10:11] op_sel:[0,1]
	v_pk_mov_b32 v[6:7], v[0:1], v[0:1] op_sel:[0,1]
                                        ; implicit-def: $sgpr30_sgpr31
	s_branch .LBB55_210
.LBB55_209:                             ;   in Loop: Header=BB55_210 Depth=2
	s_or_b64 exec, exec, s[6:7]
	s_waitcnt lgkmcnt(0)
	s_barrier
	ds_read_b64 v[30:31], v13 offset:3072
	v_mov_b32_e32 v8, s86
	v_add_co_u32_e64 v6, s[6:7], s33, v6
	v_addc_co_u32_e64 v7, s[6:7], v7, v8, s[6:7]
	s_waitcnt lgkmcnt(0)
	v_cmp_neq_f32_e32 vcc, 0, v30
	v_cmp_ge_i64_e64 s[6:7], v[6:7], v[2:3]
	s_or_b64 s[34:35], vcc, s[6:7]
	v_mov_b32_e32 v8, s79
	v_add_co_u32_e64 v4, s[6:7], s78, v4
	v_addc_co_u32_e64 v5, s[6:7], v5, v8, s[6:7]
	s_and_b64 s[6:7], exec, s[34:35]
	s_or_b64 s[2:3], s[6:7], s[2:3]
	s_andn2_b64 s[6:7], s[30:31], exec
	s_and_b64 s[30:31], vcc, exec
	s_or_b64 s[30:31], s[6:7], s[30:31]
	s_barrier
	s_andn2_b64 exec, exec, s[2:3]
	s_cbranch_execz .LBB55_219
.LBB55_210:                             ;   Parent Loop BB55_33 Depth=1
                                        ; =>  This Inner Loop Header: Depth=2
	v_cmp_gt_i64_e32 vcc, s[56:57], v[6:7]
	s_waitcnt vmcnt(0)
	v_mov_b32_e32 v29, 0
	s_and_saveexec_b64 s[6:7], vcc
	s_cbranch_execz .LBB55_212
; %bb.211:                              ;   in Loop: Header=BB55_210 Depth=2
	global_load_dword v29, v[4:5], off
.LBB55_212:                             ;   in Loop: Header=BB55_210 Depth=2
	s_or_b64 exec, exec, s[6:7]
	s_and_saveexec_b64 s[6:7], vcc
	s_cbranch_execz .LBB55_209
; %bb.213:                              ;   in Loop: Header=BB55_210 Depth=2
	s_waitcnt vmcnt(0)
	v_cmp_lt_i32_e32 vcc, -1, v29
	v_cndmask_b32_e32 v8, -1, v54, vcc
	v_xor_b32_e32 v8, v8, v29
	v_cmp_o_f32_e32 vcc, v29, v29
	v_cndmask_b32_e32 v8, -1, v8, vcc
	v_and_b32_e32 v8, s71, v8
	v_cmp_eq_u32_e32 vcc, s4, v8
	s_and_b64 exec, exec, vcc
	s_cbranch_execz .LBB55_209
; %bb.214:                              ;   in Loop: Header=BB55_210 Depth=2
	ds_write_b64 v13, v[28:29] offset:3072
	s_branch .LBB55_209
.LBB55_215:                             ;   in Loop: Header=BB55_33 Depth=1
                                        ; implicit-def: $sgpr30_sgpr31
                                        ; implicit-def: $sgpr36_sgpr37
                                        ; implicit-def: $sgpr34_sgpr35
	s_branch .LBB55_234
.LBB55_216:                             ;   in Loop: Header=BB55_33 Depth=1
                                        ; implicit-def: $vgpr2_vgpr3
	s_branch .LBB55_159
.LBB55_217:                             ;   in Loop: Header=BB55_33 Depth=1
                                        ; implicit-def: $vgpr2_vgpr3
	s_branch .LBB55_176
.LBB55_218:                             ;   in Loop: Header=BB55_33 Depth=1
	s_mov_b64 s[30:31], -1
	s_mov_b64 s[2:3], 0
                                        ; implicit-def: $sgpr34_sgpr35
                                        ; implicit-def: $vgpr31
	s_mov_b64 s[36:37], s[30:31]
	s_cbranch_execnz .LBB55_221
	s_branch .LBB55_234
.LBB55_219:                             ;   in Loop: Header=BB55_33 Depth=1
	s_or_b64 exec, exec, s[2:3]
	s_and_b64 s[2:3], s[30:31], exec
.LBB55_220:                             ;   in Loop: Header=BB55_33 Depth=1
	s_or_b64 exec, exec, s[28:29]
	s_mov_b64 s[34:35], -1
	s_mov_b64 s[30:31], 0
	s_mov_b64 s[36:37], s[30:31]
	s_branch .LBB55_234
.LBB55_221:                             ;   in Loop: Header=BB55_33 Depth=1
	v_readlane_b32 s2, v56, 26
	s_add_u32 s28, s2, s38
	v_readlane_b32 s2, v56, 27
	s_addc_u32 s3, s2, s39
	s_mov_b32 s2, s77
	s_cmp_lg_u64 s[2:3], 0
	s_cbranch_scc0 .LBB55_264
; %bb.222:                              ;   in Loop: Header=BB55_33 Depth=1
	v_cvt_f32_u32_e32 v2, s33
	s_sub_u32 s2, 0, s33
	s_subb_u32 s6, 0, 0
	v_mac_f32_e32 v2, 0x4f800000, v55
	v_rcp_f32_e32 v2, v2
	v_mul_f32_e32 v2, 0x5f7ffffc, v2
	v_mul_f32_e32 v3, 0x2f800000, v2
	v_trunc_f32_e32 v3, v3
	v_mac_f32_e32 v2, 0xcf800000, v3
	v_cvt_u32_f32_e32 v3, v3
	v_cvt_u32_f32_e32 v2, v2
	v_readfirstlane_b32 s7, v3
	v_readfirstlane_b32 s29, v2
	s_mul_i32 s30, s2, s7
	s_mul_hi_u32 s34, s2, s29
	s_mul_i32 s31, s6, s29
	s_add_i32 s30, s34, s30
	s_mul_i32 s35, s2, s29
	s_add_i32 s30, s30, s31
	s_mul_hi_u32 s34, s29, s35
	s_mul_hi_u32 s31, s29, s30
	s_mul_i32 s29, s29, s30
	s_add_u32 s29, s34, s29
	s_addc_u32 s31, 0, s31
	s_mul_hi_u32 s36, s7, s35
	s_mul_i32 s35, s7, s35
	s_add_u32 s29, s29, s35
	s_mul_hi_u32 s34, s7, s30
	s_addc_u32 s29, s31, s36
	s_addc_u32 s31, s34, 0
	s_mul_i32 s30, s7, s30
	s_add_u32 s29, s29, s30
	s_addc_u32 s30, 0, s31
	v_add_co_u32_e32 v2, vcc, s29, v2
	s_cmp_lg_u64 vcc, 0
	s_addc_u32 s7, s7, s30
	v_readfirstlane_b32 s30, v2
	s_mul_i32 s29, s2, s7
	s_mul_hi_u32 s31, s2, s30
	s_add_i32 s29, s31, s29
	s_mul_i32 s6, s6, s30
	s_add_i32 s29, s29, s6
	s_mul_i32 s2, s2, s30
	s_mul_hi_u32 s31, s7, s2
	s_mul_i32 s34, s7, s2
	s_mul_i32 s36, s30, s29
	s_mul_hi_u32 s2, s30, s2
	s_mul_hi_u32 s35, s30, s29
	s_add_u32 s2, s2, s36
	s_addc_u32 s30, 0, s35
	s_add_u32 s2, s2, s34
	s_mul_hi_u32 s6, s7, s29
	s_addc_u32 s2, s30, s31
	s_addc_u32 s6, s6, 0
	s_mul_i32 s29, s7, s29
	s_add_u32 s2, s2, s29
	s_addc_u32 s6, 0, s6
	v_add_co_u32_e32 v2, vcc, s2, v2
	s_cmp_lg_u64 vcc, 0
	s_addc_u32 s2, s7, s6
	s_ashr_i32 s6, s3, 31
	s_add_u32 s30, s28, s6
	s_mov_b32 s7, s6
	s_addc_u32 s31, s3, s6
	s_xor_b64 s[30:31], s[30:31], s[6:7]
	v_readfirstlane_b32 s34, v2
	s_mul_i32 s29, s30, s2
	s_mul_hi_u32 s35, s30, s34
	s_mul_hi_u32 s7, s30, s2
	s_add_u32 s29, s35, s29
	s_addc_u32 s7, 0, s7
	s_mul_hi_u32 s36, s31, s34
	s_mul_i32 s34, s31, s34
	s_add_u32 s29, s29, s34
	s_mul_hi_u32 s35, s31, s2
	s_addc_u32 s7, s7, s36
	s_addc_u32 s29, s35, 0
	s_mul_i32 s2, s31, s2
	s_add_u32 s2, s7, s2
	s_addc_u32 s7, 0, s29
	s_mul_hi_u32 s29, s33, s2
	s_mul_i32 s2, s33, s2
	s_mul_i32 s7, s33, s7
	v_mov_b32_e32 v2, s2
	s_add_i32 s29, s29, s7
	v_sub_co_u32_e32 v2, vcc, s30, v2
	s_cmp_lg_u64 vcc, 0
	s_subb_u32 s2, s31, s29
	v_subrev_co_u32_e32 v3, vcc, s33, v2
	s_cmp_lg_u64 vcc, 0
	s_subb_u32 s7, s2, 0
	v_subrev_co_u32_e32 v4, vcc, s33, v3
	s_cmp_lg_u64 vcc, 0
	s_subb_u32 s29, s7, 0
	v_cmp_le_u32_e32 vcc, s33, v3
	s_cmp_eq_u32 s7, 0
	v_cndmask_b32_e64 v5, 0, -1, vcc
	s_cselect_b64 vcc, -1, 0
	v_cndmask_b32_e32 v5, -1, v5, vcc
	v_mov_b32_e32 v6, s7
	v_mov_b32_e32 v7, s29
	v_cmp_ne_u32_e32 vcc, 0, v5
	v_cndmask_b32_e32 v5, v6, v7, vcc
	v_cndmask_b32_e32 v3, v3, v4, vcc
	v_cmp_le_u32_e32 vcc, s33, v2
	s_cmp_eq_u32 s2, 0
	v_cndmask_b32_e64 v4, 0, -1, vcc
	s_cselect_b64 vcc, -1, 0
	v_cndmask_b32_e32 v4, -1, v4, vcc
	v_cmp_ne_u32_e32 vcc, 0, v4
	v_mov_b32_e32 v6, s2
	v_cndmask_b32_e32 v2, v2, v3, vcc
	v_cndmask_b32_e32 v4, v6, v5, vcc
	v_xor_b32_e32 v2, s6, v2
	v_xor_b32_e32 v3, s6, v4
	v_mov_b32_e32 v4, s6
	v_subrev_co_u32_e32 v2, vcc, s6, v2
	v_subb_co_u32_e32 v3, vcc, v3, v4, vcc
	s_cbranch_execnz .LBB55_224
.LBB55_223:                             ;   in Loop: Header=BB55_33 Depth=1
	v_cvt_f32_u32_e32 v2, s33
	s_sub_i32 s2, 0, s33
	v_rcp_iflag_f32_e32 v2, v2
	v_mul_f32_e32 v2, 0x4f7ffffe, v2
	v_cvt_u32_f32_e32 v2, v2
	v_mul_lo_u32 v3, s2, v2
	v_mul_hi_u32 v3, v2, v3
	v_add_u32_e32 v2, v2, v3
	v_mul_hi_u32 v2, s28, v2
	v_mul_lo_u32 v2, v2, s33
	v_sub_u32_e32 v2, s28, v2
	v_subrev_u32_e32 v3, s33, v2
	v_cmp_le_u32_e32 vcc, s33, v2
	v_cndmask_b32_e32 v2, v2, v3, vcc
	v_subrev_u32_e32 v3, s33, v2
	v_cmp_le_u32_e32 vcc, s33, v2
	v_cndmask_b32_e32 v12, v2, v3, vcc
	v_pk_mov_b32 v[2:3], v[12:13], v[12:13] op_sel:[0,1]
.LBB55_224:                             ;   in Loop: Header=BB55_33 Depth=1
	v_mov_b32_e32 v4, s3
	v_sub_co_u32_e32 v2, vcc, s28, v2
	v_subb_co_u32_e32 v3, vcc, v4, v3, vcc
	v_cmp_gt_i64_e32 vcc, v[2:3], v[0:1]
	s_mov_b64 s[2:3], 0
                                        ; implicit-def: $vgpr31
	s_and_saveexec_b64 s[28:29], vcc
	s_cbranch_execz .LBB55_233
; %bb.225:                              ;   in Loop: Header=BB55_33 Depth=1
	v_mov_b32_e32 v6, v14
	v_pk_mov_b32 v[4:5], v[0:1], v[0:1] op_sel:[0,1]
                                        ; implicit-def: $sgpr30_sgpr31
	s_branch .LBB55_227
.LBB55_226:                             ;   in Loop: Header=BB55_227 Depth=2
	s_or_b64 exec, exec, s[6:7]
	s_waitcnt lgkmcnt(0)
	s_barrier
	ds_read_b64 v[30:31], v13 offset:3072
	v_mov_b32_e32 v7, s86
	v_add_co_u32_e64 v4, s[6:7], s33, v4
	v_addc_co_u32_e64 v5, s[6:7], v5, v7, s[6:7]
	s_waitcnt lgkmcnt(0)
	v_cmp_neq_f32_e32 vcc, 0, v30
	v_cmp_ge_i64_e64 s[6:7], v[4:5], v[2:3]
	s_or_b64 s[6:7], vcc, s[6:7]
	s_and_b64 s[6:7], exec, s[6:7]
	s_or_b64 s[2:3], s[6:7], s[2:3]
	s_andn2_b64 s[6:7], s[30:31], exec
	s_and_b64 s[30:31], vcc, exec
	v_add_u32_e32 v6, s70, v6
	s_or_b64 s[30:31], s[6:7], s[30:31]
	s_barrier
	s_andn2_b64 exec, exec, s[2:3]
	s_cbranch_execz .LBB55_232
.LBB55_227:                             ;   Parent Loop BB55_33 Depth=1
                                        ; =>  This Inner Loop Header: Depth=2
	v_cmp_gt_i64_e32 vcc, s[38:39], v[4:5]
	s_waitcnt vmcnt(0)
	v_mov_b32_e32 v29, 0
	s_and_saveexec_b64 s[6:7], vcc
	s_cbranch_execz .LBB55_229
; %bb.228:                              ;   in Loop: Header=BB55_227 Depth=2
	ds_read_b32 v29, v6
.LBB55_229:                             ;   in Loop: Header=BB55_227 Depth=2
	s_or_b64 exec, exec, s[6:7]
	s_and_saveexec_b64 s[6:7], vcc
	s_cbranch_execz .LBB55_226
; %bb.230:                              ;   in Loop: Header=BB55_227 Depth=2
	s_waitcnt lgkmcnt(0)
	v_cmp_lt_i32_e32 vcc, -1, v29
	v_cndmask_b32_e32 v7, -1, v54, vcc
	v_xor_b32_e32 v7, v7, v29
	v_cmp_o_f32_e32 vcc, v29, v29
	v_cndmask_b32_e32 v7, -1, v7, vcc
	v_and_b32_e32 v7, s71, v7
	v_cmp_eq_u32_e32 vcc, s4, v7
	s_and_b64 exec, exec, vcc
	s_cbranch_execz .LBB55_226
; %bb.231:                              ;   in Loop: Header=BB55_227 Depth=2
	ds_write_b64 v13, v[28:29] offset:3072
	s_branch .LBB55_226
.LBB55_232:                             ;   in Loop: Header=BB55_33 Depth=1
	s_or_b64 exec, exec, s[2:3]
	s_and_b64 s[2:3], s[30:31], exec
.LBB55_233:                             ;   in Loop: Header=BB55_33 Depth=1
	s_or_b64 exec, exec, s[28:29]
	s_mov_b64 s[36:37], -1
	s_mov_b64 s[30:31], 0
	s_mov_b64 s[34:35], 0
.LBB55_234:                             ;   in Loop: Header=BB55_33 Depth=1
	s_mov_b64 s[6:7], 0
                                        ; implicit-def: $sgpr48
	s_and_saveexec_b64 s[38:39], s[2:3]
	s_cbranch_execz .LBB55_296
; %bb.235:                              ;   in Loop: Header=BB55_33 Depth=1
	s_xor_b64 s[2:3], s[40:41], -1
	s_andn2_b64 vcc, exec, s[2:3]
	s_mov_b32 s48, 1
	s_cbranch_vccnz .LBB55_246
; %bb.236:                              ;   in Loop: Header=BB55_33 Depth=1
	v_pk_mov_b32 v[2:3], s[18:19], s[18:19] op_sel:[0,1]
	v_cmp_gt_i64_e32 vcc, s[58:59], v[2:3]
	s_mov_b64 s[2:3], -1
                                        ; implicit-def: $sgpr48
                                        ; implicit-def: $sgpr6
                                        ; implicit-def: $sgpr7
	s_cbranch_vccnz .LBB55_242
; %bb.237:                              ;   in Loop: Header=BB55_33 Depth=1
	ds_read_b64 v[2:3], v13 offset:5120
	s_waitcnt lgkmcnt(0)
	v_cmp_ne_u64_e32 vcc, 0, v[2:3]
	s_cbranch_vccnz .LBB55_241
; %bb.238:                              ;   in Loop: Header=BB55_33 Depth=1
	s_mov_b64 s[2:3], exec
	v_readlane_b32 s6, v56, 12
	v_readlane_b32 s7, v56, 13
	s_and_b64 s[6:7], s[2:3], s[6:7]
	s_mov_b64 exec, s[6:7]
	s_cbranch_execz .LBB55_240
; %bb.239:                              ;   in Loop: Header=BB55_33 Depth=1
	v_pk_mov_b32 v[2:3], s[18:19], s[18:19] op_sel:[0,1]
	ds_write_b64 v13, v[2:3] offset:5128
.LBB55_240:                             ;   in Loop: Header=BB55_33 Depth=1
	s_or_b64 exec, exec, s[2:3]
	s_waitcnt lgkmcnt(0)
	s_barrier
.LBB55_241:                             ;   in Loop: Header=BB55_33 Depth=1
	s_lshl_b32 s2, 2, s42
	s_and_b32 s3, s4, s43
	s_or_b32 s6, s3, s2
	s_or_b32 s7, s71, s5
	s_mov_b64 s[2:3], 0
	s_mov_b32 s48, 8
.LBB55_242:                             ;   in Loop: Header=BB55_33 Depth=1
	s_andn2_b64 vcc, exec, s[2:3]
	s_cbranch_vccnz .LBB55_244
; %bb.243:                              ;   in Loop: Header=BB55_33 Depth=1
	s_sub_u32 s58, s58, s18
	s_subb_u32 s59, s59, s19
	s_mov_b64 s[2:3], -1
	s_mov_b32 s48, 0
	s_mov_b32 s6, s4
	;; [unrolled: 1-line block ×3, first 2 shown]
.LBB55_244:                             ;   in Loop: Header=BB55_33 Depth=1
	s_mov_b32 s71, s7
	s_mov_b32 s4, s6
	s_andn2_b64 vcc, exec, s[2:3]
	s_mov_b64 s[44:45], -1
	s_cbranch_vccz .LBB55_247
.LBB55_245:                             ;   in Loop: Header=BB55_33 Depth=1
                                        ; implicit-def: $sgpr2_sgpr3
                                        ; implicit-def: $sgpr28_sgpr29
                                        ; implicit-def: $sgpr6_sgpr7
	s_branch .LBB55_295
.LBB55_246:                             ;   in Loop: Header=BB55_33 Depth=1
	s_mov_b64 s[58:59], 1
	s_mov_b64 s[44:45], -1
	s_cbranch_execnz .LBB55_245
.LBB55_247:                             ;   in Loop: Header=BB55_33 Depth=1
	s_cmp_eq_u64 s[12:13], 1
	s_cselect_b64 s[2:3], -1, 0
	s_cmp_eq_u64 s[58:59], 1
	s_cselect_b64 s[6:7], -1, 0
	s_and_b64 s[18:19], s[2:3], s[6:7]
	s_mov_b64 s[42:43], -1
	s_and_b64 vcc, exec, s[18:19]
	s_cbranch_vccz .LBB55_262
; %bb.248:                              ;   in Loop: Header=BB55_33 Depth=1
	ds_read_b64 v[2:3], v13 offset:5120
	s_waitcnt lgkmcnt(0)
	s_barrier
	v_readfirstlane_b32 s40, v2
	v_readfirstlane_b32 s41, v3
	s_mov_b64 s[2:3], exec
	v_readlane_b32 s6, v56, 14
	v_readlane_b32 s7, v56, 15
	s_and_b64 s[6:7], s[2:3], s[6:7]
	s_mov_b64 exec, s[6:7]
	s_cbranch_execz .LBB55_250
; %bb.249:                              ;   in Loop: Header=BB55_33 Depth=1
	ds_write_b32 v47, v13
.LBB55_250:                             ;   in Loop: Header=BB55_33 Depth=1
	s_or_b64 exec, exec, s[2:3]
	v_cmp_gt_i64_e64 s[2:3], s[40:41], 0
	s_or_b32 s4, s4, s5
	s_or_b32 s71, s71, s5
	s_and_b64 vcc, exec, s[2:3]
	s_waitcnt lgkmcnt(0)
	s_barrier
	s_cbranch_vccnz .LBB55_265
; %bb.251:                              ;   in Loop: Header=BB55_33 Depth=1
	s_mov_b32 s48, s77
	s_cmp_lg_u64 s[48:49], 0
	s_cbranch_scc0 .LBB55_301
; %bb.252:                              ;   in Loop: Header=BB55_33 Depth=1
	v_cvt_f32_u32_e32 v2, s33
	s_sub_u32 s2, 0, s33
	s_subb_u32 s3, 0, 0
	v_mac_f32_e32 v2, 0x4f800000, v55
	v_rcp_f32_e32 v2, v2
	v_mul_f32_e32 v2, 0x5f7ffffc, v2
	v_mul_f32_e32 v3, 0x2f800000, v2
	v_trunc_f32_e32 v3, v3
	v_mac_f32_e32 v2, 0xcf800000, v3
	v_cvt_u32_f32_e32 v3, v3
	v_cvt_u32_f32_e32 v2, v2
	v_readfirstlane_b32 s6, v3
	v_readfirstlane_b32 s7, v2
	s_mul_i32 s28, s2, s6
	s_mul_hi_u32 s42, s2, s7
	s_mul_i32 s29, s3, s7
	s_add_i32 s28, s42, s28
	s_mul_i32 s43, s2, s7
	s_add_i32 s28, s28, s29
	s_mul_hi_u32 s42, s7, s43
	s_mul_hi_u32 s29, s7, s28
	s_mul_i32 s7, s7, s28
	s_add_u32 s7, s42, s7
	s_addc_u32 s29, 0, s29
	s_mul_hi_u32 s44, s6, s43
	s_mul_i32 s43, s6, s43
	s_add_u32 s7, s7, s43
	s_mul_hi_u32 s42, s6, s28
	s_addc_u32 s7, s29, s44
	s_addc_u32 s29, s42, 0
	s_mul_i32 s28, s6, s28
	s_add_u32 s7, s7, s28
	s_addc_u32 s28, 0, s29
	v_add_co_u32_e32 v2, vcc, s7, v2
	s_cmp_lg_u64 vcc, 0
	s_addc_u32 s6, s6, s28
	v_readfirstlane_b32 s28, v2
	s_mul_i32 s7, s2, s6
	s_mul_hi_u32 s29, s2, s28
	s_add_i32 s7, s29, s7
	s_mul_i32 s3, s3, s28
	s_add_i32 s7, s7, s3
	s_mul_i32 s2, s2, s28
	s_mul_hi_u32 s29, s6, s2
	s_mul_i32 s42, s6, s2
	s_mul_i32 s44, s28, s7
	s_mul_hi_u32 s2, s28, s2
	s_mul_hi_u32 s43, s28, s7
	s_add_u32 s2, s2, s44
	s_addc_u32 s28, 0, s43
	s_add_u32 s2, s2, s42
	s_mul_hi_u32 s3, s6, s7
	s_addc_u32 s2, s28, s29
	s_addc_u32 s3, s3, 0
	s_mul_i32 s7, s6, s7
	s_add_u32 s2, s2, s7
	s_addc_u32 s3, 0, s3
	v_add_co_u32_e32 v2, vcc, s2, v2
	s_cmp_lg_u64 vcc, 0
	s_addc_u32 s28, s6, s3
	s_ashr_i32 s2, s49, 31
	s_add_u32 s6, s61, s2
	s_mov_b32 s3, s2
	s_addc_u32 s7, s49, s2
	s_xor_b64 s[6:7], s[6:7], s[2:3]
	v_readfirstlane_b32 s42, v2
	s_mul_i32 s29, s6, s28
	s_mul_hi_u32 s43, s6, s42
	s_mul_hi_u32 s3, s6, s28
	s_add_u32 s29, s43, s29
	s_addc_u32 s3, 0, s3
	s_mul_hi_u32 s44, s7, s42
	s_mul_i32 s42, s7, s42
	s_add_u32 s29, s29, s42
	s_mul_hi_u32 s43, s7, s28
	s_addc_u32 s3, s3, s44
	s_addc_u32 s29, s43, 0
	s_mul_i32 s28, s7, s28
	s_add_u32 s3, s3, s28
	s_addc_u32 s28, 0, s29
	s_mul_hi_u32 s29, s33, s3
	s_mul_i32 s3, s33, s3
	s_mul_i32 s28, s33, s28
	v_mov_b32_e32 v2, s3
	s_add_i32 s29, s29, s28
	v_sub_co_u32_e32 v2, vcc, s6, v2
	s_cmp_lg_u64 vcc, 0
	s_subb_u32 s3, s7, s29
	v_subrev_co_u32_e32 v3, vcc, s33, v2
	s_cmp_lg_u64 vcc, 0
	s_subb_u32 s6, s3, 0
	v_subrev_co_u32_e32 v4, vcc, s33, v3
	s_cmp_lg_u64 vcc, 0
	s_subb_u32 s7, s6, 0
	v_cmp_le_u32_e32 vcc, s33, v3
	s_cmp_eq_u32 s6, 0
	v_cndmask_b32_e64 v5, 0, -1, vcc
	s_cselect_b64 vcc, -1, 0
	v_cndmask_b32_e32 v5, -1, v5, vcc
	v_mov_b32_e32 v6, s6
	v_mov_b32_e32 v7, s7
	v_cmp_ne_u32_e32 vcc, 0, v5
	v_cndmask_b32_e32 v5, v6, v7, vcc
	v_cndmask_b32_e32 v3, v3, v4, vcc
	v_cmp_le_u32_e32 vcc, s33, v2
	s_cmp_eq_u32 s3, 0
	v_cndmask_b32_e64 v4, 0, -1, vcc
	s_cselect_b64 vcc, -1, 0
	v_cndmask_b32_e32 v4, -1, v4, vcc
	v_cmp_ne_u32_e32 vcc, 0, v4
	v_mov_b32_e32 v6, s3
	v_cndmask_b32_e32 v2, v2, v3, vcc
	v_cndmask_b32_e32 v4, v6, v5, vcc
	v_xor_b32_e32 v2, s2, v2
	v_xor_b32_e32 v3, s2, v4
	v_mov_b32_e32 v4, s2
	v_subrev_co_u32_e32 v2, vcc, s2, v2
	v_subb_co_u32_e32 v3, vcc, v3, v4, vcc
	s_cbranch_execnz .LBB55_254
.LBB55_253:                             ;   in Loop: Header=BB55_33 Depth=1
	v_cvt_f32_u32_e32 v2, s33
	s_sub_i32 s2, 0, s33
	v_rcp_iflag_f32_e32 v2, v2
	v_mul_f32_e32 v2, 0x4f7ffffe, v2
	v_cvt_u32_f32_e32 v2, v2
	v_mul_lo_u32 v3, s2, v2
	v_mul_hi_u32 v3, v2, v3
	v_add_u32_e32 v2, v2, v3
	v_mul_hi_u32 v2, s61, v2
	v_mul_lo_u32 v2, v2, s33
	v_sub_u32_e32 v2, s61, v2
	v_subrev_u32_e32 v3, s33, v2
	v_cmp_le_u32_e32 vcc, s33, v2
	v_cndmask_b32_e32 v2, v2, v3, vcc
	v_subrev_u32_e32 v3, s33, v2
	v_cmp_le_u32_e32 vcc, s33, v2
	v_cndmask_b32_e32 v12, v2, v3, vcc
	v_pk_mov_b32 v[2:3], v[12:13], v[12:13] op_sel:[0,1]
.LBB55_254:                             ;   in Loop: Header=BB55_33 Depth=1
	v_mov_b32_e32 v4, s49
	v_sub_co_u32_e32 v2, vcc, s61, v2
	v_subb_co_u32_e32 v3, vcc, v4, v3, vcc
	v_cmp_gt_i64_e32 vcc, v[2:3], v[0:1]
	s_mov_b64 s[42:43], 0
                                        ; implicit-def: $vgpr31
	s_and_saveexec_b64 s[2:3], vcc
	s_cbranch_execz .LBB55_267
; %bb.255:                              ;   in Loop: Header=BB55_33 Depth=1
	s_mov_b64 s[28:29], 0
	v_pk_mov_b32 v[4:5], v[10:11], v[10:11] op_sel:[0,1]
	v_pk_mov_b32 v[6:7], v[0:1], v[0:1] op_sel:[0,1]
                                        ; implicit-def: $sgpr42_sgpr43
	s_branch .LBB55_257
.LBB55_256:                             ;   in Loop: Header=BB55_257 Depth=2
	s_or_b64 exec, exec, s[6:7]
	s_waitcnt lgkmcnt(0)
	s_barrier
	ds_read_b64 v[30:31], v13 offset:3072
	v_mov_b32_e32 v8, s86
	v_add_co_u32_e64 v6, s[6:7], s33, v6
	v_addc_co_u32_e64 v7, s[6:7], v7, v8, s[6:7]
	s_waitcnt lgkmcnt(0)
	v_cmp_neq_f32_e32 vcc, 0, v30
	v_cmp_ge_i64_e64 s[6:7], v[6:7], v[2:3]
	s_or_b64 s[44:45], vcc, s[6:7]
	v_mov_b32_e32 v8, s79
	v_add_co_u32_e64 v4, s[6:7], s78, v4
	v_addc_co_u32_e64 v5, s[6:7], v5, v8, s[6:7]
	s_and_b64 s[6:7], exec, s[44:45]
	s_or_b64 s[28:29], s[6:7], s[28:29]
	s_andn2_b64 s[6:7], s[42:43], exec
	s_and_b64 s[42:43], vcc, exec
	s_or_b64 s[42:43], s[6:7], s[42:43]
	s_barrier
	s_andn2_b64 exec, exec, s[28:29]
	s_cbranch_execz .LBB55_266
.LBB55_257:                             ;   Parent Loop BB55_33 Depth=1
                                        ; =>  This Inner Loop Header: Depth=2
	v_cmp_gt_i64_e32 vcc, s[56:57], v[6:7]
	s_waitcnt vmcnt(0)
	v_mov_b32_e32 v29, 0
	s_and_saveexec_b64 s[6:7], vcc
	s_cbranch_execz .LBB55_259
; %bb.258:                              ;   in Loop: Header=BB55_257 Depth=2
	global_load_dword v29, v[4:5], off
.LBB55_259:                             ;   in Loop: Header=BB55_257 Depth=2
	s_or_b64 exec, exec, s[6:7]
	s_and_saveexec_b64 s[6:7], vcc
	s_cbranch_execz .LBB55_256
; %bb.260:                              ;   in Loop: Header=BB55_257 Depth=2
	s_waitcnt vmcnt(0)
	v_cmp_lt_i32_e32 vcc, -1, v29
	v_cndmask_b32_e32 v8, -1, v54, vcc
	v_xor_b32_e32 v8, v8, v29
	v_cmp_o_f32_e32 vcc, v29, v29
	v_cndmask_b32_e32 v8, -1, v8, vcc
	v_and_b32_e32 v8, s71, v8
	v_cmp_eq_u32_e32 vcc, s4, v8
	s_and_b64 exec, exec, vcc
	s_cbranch_execz .LBB55_256
; %bb.261:                              ;   in Loop: Header=BB55_257 Depth=2
	ds_write_b64 v13, v[28:29] offset:3072
	s_branch .LBB55_256
.LBB55_262:                             ;   in Loop: Header=BB55_33 Depth=1
                                        ; implicit-def: $sgpr2_sgpr3
                                        ; implicit-def: $sgpr28_sgpr29
                                        ; implicit-def: $sgpr6_sgpr7
	s_branch .LBB55_281
.LBB55_263:                             ;   in Loop: Header=BB55_33 Depth=1
                                        ; implicit-def: $vgpr2_vgpr3
	s_branch .LBB55_206
.LBB55_264:                             ;   in Loop: Header=BB55_33 Depth=1
                                        ; implicit-def: $vgpr2_vgpr3
	s_branch .LBB55_223
.LBB55_265:                             ;   in Loop: Header=BB55_33 Depth=1
	s_mov_b64 s[2:3], -1
	s_mov_b64 s[42:43], 0
                                        ; implicit-def: $sgpr6_sgpr7
                                        ; implicit-def: $vgpr31
	s_mov_b64 s[28:29], s[2:3]
	s_cbranch_execnz .LBB55_268
	s_branch .LBB55_281
.LBB55_266:                             ;   in Loop: Header=BB55_33 Depth=1
	s_or_b64 exec, exec, s[28:29]
	s_and_b64 s[42:43], s[42:43], exec
.LBB55_267:                             ;   in Loop: Header=BB55_33 Depth=1
	s_or_b64 exec, exec, s[2:3]
	s_mov_b64 s[6:7], -1
	s_mov_b64 s[2:3], 0
	s_mov_b64 s[28:29], s[2:3]
	s_branch .LBB55_281
.LBB55_268:                             ;   in Loop: Header=BB55_33 Depth=1
	v_readlane_b32 s2, v56, 26
	s_add_u32 s28, s2, s40
	v_readlane_b32 s2, v56, 27
	s_addc_u32 s3, s2, s41
	s_mov_b32 s2, s77
	s_cmp_lg_u64 s[2:3], 0
	s_cbranch_scc0 .LBB55_302
; %bb.269:                              ;   in Loop: Header=BB55_33 Depth=1
	v_cvt_f32_u32_e32 v2, s33
	s_sub_u32 s2, 0, s33
	s_subb_u32 s6, 0, 0
	v_mac_f32_e32 v2, 0x4f800000, v55
	v_rcp_f32_e32 v2, v2
	v_mul_f32_e32 v2, 0x5f7ffffc, v2
	v_mul_f32_e32 v3, 0x2f800000, v2
	v_trunc_f32_e32 v3, v3
	v_mac_f32_e32 v2, 0xcf800000, v3
	v_cvt_u32_f32_e32 v3, v3
	v_cvt_u32_f32_e32 v2, v2
	v_readfirstlane_b32 s7, v3
	v_readfirstlane_b32 s29, v2
	s_mul_i32 s42, s2, s7
	s_mul_hi_u32 s44, s2, s29
	s_mul_i32 s43, s6, s29
	s_add_i32 s42, s44, s42
	s_mul_i32 s45, s2, s29
	s_add_i32 s42, s42, s43
	s_mul_hi_u32 s44, s29, s45
	s_mul_hi_u32 s43, s29, s42
	s_mul_i32 s29, s29, s42
	s_add_u32 s29, s44, s29
	s_addc_u32 s43, 0, s43
	s_mul_hi_u32 s46, s7, s45
	s_mul_i32 s45, s7, s45
	s_add_u32 s29, s29, s45
	s_mul_hi_u32 s44, s7, s42
	s_addc_u32 s29, s43, s46
	s_addc_u32 s43, s44, 0
	s_mul_i32 s42, s7, s42
	s_add_u32 s29, s29, s42
	s_addc_u32 s42, 0, s43
	v_add_co_u32_e32 v2, vcc, s29, v2
	s_cmp_lg_u64 vcc, 0
	s_addc_u32 s7, s7, s42
	v_readfirstlane_b32 s42, v2
	s_mul_i32 s29, s2, s7
	s_mul_hi_u32 s43, s2, s42
	s_add_i32 s29, s43, s29
	s_mul_i32 s6, s6, s42
	s_add_i32 s29, s29, s6
	s_mul_i32 s2, s2, s42
	s_mul_hi_u32 s43, s7, s2
	s_mul_i32 s44, s7, s2
	s_mul_i32 s46, s42, s29
	s_mul_hi_u32 s2, s42, s2
	s_mul_hi_u32 s45, s42, s29
	s_add_u32 s2, s2, s46
	s_addc_u32 s42, 0, s45
	s_add_u32 s2, s2, s44
	s_mul_hi_u32 s6, s7, s29
	s_addc_u32 s2, s42, s43
	s_addc_u32 s6, s6, 0
	s_mul_i32 s29, s7, s29
	s_add_u32 s2, s2, s29
	s_addc_u32 s6, 0, s6
	v_add_co_u32_e32 v2, vcc, s2, v2
	s_cmp_lg_u64 vcc, 0
	s_addc_u32 s2, s7, s6
	s_ashr_i32 s6, s3, 31
	s_add_u32 s42, s28, s6
	s_mov_b32 s7, s6
	s_addc_u32 s43, s3, s6
	s_xor_b64 s[42:43], s[42:43], s[6:7]
	v_readfirstlane_b32 s44, v2
	s_mul_i32 s29, s42, s2
	s_mul_hi_u32 s45, s42, s44
	s_mul_hi_u32 s7, s42, s2
	s_add_u32 s29, s45, s29
	s_addc_u32 s7, 0, s7
	s_mul_hi_u32 s46, s43, s44
	s_mul_i32 s44, s43, s44
	s_add_u32 s29, s29, s44
	s_mul_hi_u32 s45, s43, s2
	s_addc_u32 s7, s7, s46
	s_addc_u32 s29, s45, 0
	s_mul_i32 s2, s43, s2
	s_add_u32 s2, s7, s2
	s_addc_u32 s7, 0, s29
	s_mul_hi_u32 s29, s33, s2
	s_mul_i32 s2, s33, s2
	s_mul_i32 s7, s33, s7
	v_mov_b32_e32 v2, s2
	s_add_i32 s29, s29, s7
	v_sub_co_u32_e32 v2, vcc, s42, v2
	s_cmp_lg_u64 vcc, 0
	s_subb_u32 s2, s43, s29
	v_subrev_co_u32_e32 v3, vcc, s33, v2
	s_cmp_lg_u64 vcc, 0
	s_subb_u32 s7, s2, 0
	v_subrev_co_u32_e32 v4, vcc, s33, v3
	s_cmp_lg_u64 vcc, 0
	s_subb_u32 s29, s7, 0
	v_cmp_le_u32_e32 vcc, s33, v3
	s_cmp_eq_u32 s7, 0
	v_cndmask_b32_e64 v5, 0, -1, vcc
	s_cselect_b64 vcc, -1, 0
	v_cndmask_b32_e32 v5, -1, v5, vcc
	v_mov_b32_e32 v6, s7
	v_mov_b32_e32 v7, s29
	v_cmp_ne_u32_e32 vcc, 0, v5
	v_cndmask_b32_e32 v5, v6, v7, vcc
	v_cndmask_b32_e32 v3, v3, v4, vcc
	v_cmp_le_u32_e32 vcc, s33, v2
	s_cmp_eq_u32 s2, 0
	v_cndmask_b32_e64 v4, 0, -1, vcc
	s_cselect_b64 vcc, -1, 0
	v_cndmask_b32_e32 v4, -1, v4, vcc
	v_cmp_ne_u32_e32 vcc, 0, v4
	v_mov_b32_e32 v6, s2
	v_cndmask_b32_e32 v2, v2, v3, vcc
	v_cndmask_b32_e32 v4, v6, v5, vcc
	v_xor_b32_e32 v2, s6, v2
	v_xor_b32_e32 v3, s6, v4
	v_mov_b32_e32 v4, s6
	v_subrev_co_u32_e32 v2, vcc, s6, v2
	v_subb_co_u32_e32 v3, vcc, v3, v4, vcc
	s_cbranch_execnz .LBB55_271
.LBB55_270:                             ;   in Loop: Header=BB55_33 Depth=1
	v_cvt_f32_u32_e32 v2, s33
	s_sub_i32 s2, 0, s33
	v_rcp_iflag_f32_e32 v2, v2
	v_mul_f32_e32 v2, 0x4f7ffffe, v2
	v_cvt_u32_f32_e32 v2, v2
	v_mul_lo_u32 v3, s2, v2
	v_mul_hi_u32 v3, v2, v3
	v_add_u32_e32 v2, v2, v3
	v_mul_hi_u32 v2, s28, v2
	v_mul_lo_u32 v2, v2, s33
	v_sub_u32_e32 v2, s28, v2
	v_subrev_u32_e32 v3, s33, v2
	v_cmp_le_u32_e32 vcc, s33, v2
	v_cndmask_b32_e32 v2, v2, v3, vcc
	v_subrev_u32_e32 v3, s33, v2
	v_cmp_le_u32_e32 vcc, s33, v2
	v_cndmask_b32_e32 v12, v2, v3, vcc
	v_pk_mov_b32 v[2:3], v[12:13], v[12:13] op_sel:[0,1]
.LBB55_271:                             ;   in Loop: Header=BB55_33 Depth=1
	v_mov_b32_e32 v4, s3
	v_sub_co_u32_e32 v2, vcc, s28, v2
	v_subb_co_u32_e32 v3, vcc, v4, v3, vcc
	v_cmp_gt_i64_e32 vcc, v[2:3], v[0:1]
	s_mov_b64 s[42:43], 0
                                        ; implicit-def: $vgpr31
	s_and_saveexec_b64 s[2:3], vcc
	s_cbranch_execz .LBB55_280
; %bb.272:                              ;   in Loop: Header=BB55_33 Depth=1
	s_mov_b64 s[28:29], 0
	v_mov_b32_e32 v6, v14
	v_pk_mov_b32 v[4:5], v[0:1], v[0:1] op_sel:[0,1]
                                        ; implicit-def: $sgpr42_sgpr43
	s_branch .LBB55_274
.LBB55_273:                             ;   in Loop: Header=BB55_274 Depth=2
	s_or_b64 exec, exec, s[6:7]
	s_waitcnt lgkmcnt(0)
	s_barrier
	ds_read_b64 v[30:31], v13 offset:3072
	v_mov_b32_e32 v7, s86
	v_add_co_u32_e64 v4, s[6:7], s33, v4
	v_addc_co_u32_e64 v5, s[6:7], v5, v7, s[6:7]
	s_waitcnt lgkmcnt(0)
	v_cmp_neq_f32_e32 vcc, 0, v30
	v_cmp_ge_i64_e64 s[6:7], v[4:5], v[2:3]
	s_or_b64 s[6:7], vcc, s[6:7]
	s_and_b64 s[6:7], exec, s[6:7]
	s_or_b64 s[28:29], s[6:7], s[28:29]
	s_andn2_b64 s[6:7], s[42:43], exec
	s_and_b64 s[42:43], vcc, exec
	v_add_u32_e32 v6, s70, v6
	s_or_b64 s[42:43], s[6:7], s[42:43]
	s_barrier
	s_andn2_b64 exec, exec, s[28:29]
	s_cbranch_execz .LBB55_279
.LBB55_274:                             ;   Parent Loop BB55_33 Depth=1
                                        ; =>  This Inner Loop Header: Depth=2
	v_cmp_gt_i64_e32 vcc, s[40:41], v[4:5]
	s_waitcnt vmcnt(0)
	v_mov_b32_e32 v29, 0
	s_and_saveexec_b64 s[6:7], vcc
	s_cbranch_execz .LBB55_276
; %bb.275:                              ;   in Loop: Header=BB55_274 Depth=2
	ds_read_b32 v29, v6
.LBB55_276:                             ;   in Loop: Header=BB55_274 Depth=2
	s_or_b64 exec, exec, s[6:7]
	s_and_saveexec_b64 s[6:7], vcc
	s_cbranch_execz .LBB55_273
; %bb.277:                              ;   in Loop: Header=BB55_274 Depth=2
	s_waitcnt lgkmcnt(0)
	v_cmp_lt_i32_e32 vcc, -1, v29
	v_cndmask_b32_e32 v7, -1, v54, vcc
	v_xor_b32_e32 v7, v7, v29
	v_cmp_o_f32_e32 vcc, v29, v29
	v_cndmask_b32_e32 v7, -1, v7, vcc
	v_and_b32_e32 v7, s71, v7
	v_cmp_eq_u32_e32 vcc, s4, v7
	s_and_b64 exec, exec, vcc
	s_cbranch_execz .LBB55_273
; %bb.278:                              ;   in Loop: Header=BB55_274 Depth=2
	ds_write_b64 v13, v[28:29] offset:3072
	s_branch .LBB55_273
.LBB55_279:                             ;   in Loop: Header=BB55_33 Depth=1
	s_or_b64 exec, exec, s[28:29]
	s_and_b64 s[42:43], s[42:43], exec
.LBB55_280:                             ;   in Loop: Header=BB55_33 Depth=1
	s_or_b64 exec, exec, s[2:3]
	s_mov_b64 s[28:29], -1
	s_mov_b64 s[2:3], 0
	s_mov_b64 s[6:7], 0
.LBB55_281:                             ;   in Loop: Header=BB55_33 Depth=1
	s_mov_b64 s[44:45], 0
                                        ; implicit-def: $sgpr48
                                        ; implicit-def: $sgpr46_sgpr47
	s_and_saveexec_b64 s[40:41], s[42:43]
	s_cbranch_execz .LBB55_294
; %bb.282:                              ;   in Loop: Header=BB55_33 Depth=1
	s_xor_b64 s[18:19], s[18:19], -1
	s_mov_b64 s[46:47], 1
	s_andn2_b64 vcc, exec, s[18:19]
	s_mov_b32 s48, 1
	s_cbranch_vccnz .LBB55_293
; %bb.283:                              ;   in Loop: Header=BB55_33 Depth=1
	v_pk_mov_b32 v[2:3], s[12:13], s[12:13] op_sel:[0,1]
	v_cmp_gt_i64_e32 vcc, s[58:59], v[2:3]
	s_cbranch_vccnz .LBB55_289
; %bb.284:                              ;   in Loop: Header=BB55_33 Depth=1
	ds_read_b64 v[2:3], v13 offset:5120
	s_waitcnt lgkmcnt(0)
	v_cmp_ne_u64_e32 vcc, 0, v[2:3]
	s_cbranch_vccnz .LBB55_288
; %bb.285:                              ;   in Loop: Header=BB55_33 Depth=1
	s_mov_b64 s[18:19], exec
	v_readlane_b32 s42, v56, 12
	v_readlane_b32 s43, v56, 13
	s_and_b64 s[42:43], s[18:19], s[42:43]
	s_mov_b64 exec, s[42:43]
	s_cbranch_execz .LBB55_287
; %bb.286:                              ;   in Loop: Header=BB55_33 Depth=1
	v_pk_mov_b32 v[2:3], s[12:13], s[12:13] op_sel:[0,1]
	ds_write_b64 v13, v[2:3] offset:5128
.LBB55_287:                             ;   in Loop: Header=BB55_33 Depth=1
	s_or_b64 exec, exec, s[18:19]
	s_waitcnt lgkmcnt(0)
	s_barrier
.LBB55_288:                             ;   in Loop: Header=BB55_33 Depth=1
	s_or_b32 s42, s4, s5
	s_or_b32 s5, s71, s5
	s_mov_b64 s[18:19], 0
	s_mov_b32 s48, 8
	s_branch .LBB55_290
.LBB55_289:                             ;   in Loop: Header=BB55_33 Depth=1
	s_mov_b64 s[18:19], -1
                                        ; implicit-def: $sgpr48
                                        ; implicit-def: $sgpr42
                                        ; implicit-def: $sgpr5
.LBB55_290:                             ;   in Loop: Header=BB55_33 Depth=1
	s_andn2_b64 vcc, exec, s[18:19]
	s_cbranch_vccnz .LBB55_292
; %bb.291:                              ;   in Loop: Header=BB55_33 Depth=1
	s_sub_u32 s58, s58, s12
	s_subb_u32 s59, s59, s13
	s_mov_b32 s48, 8
	s_mov_b32 s42, s4
	;; [unrolled: 1-line block ×3, first 2 shown]
.LBB55_292:                             ;   in Loop: Header=BB55_33 Depth=1
	s_mov_b64 s[46:47], s[58:59]
	s_mov_b32 s4, s42
	s_mov_b32 s71, s5
.LBB55_293:                             ;   in Loop: Header=BB55_33 Depth=1
	s_mov_b64 s[44:45], exec
.LBB55_294:                             ;   in Loop: Header=BB55_33 Depth=1
	s_or_b64 exec, exec, s[40:41]
	s_mov_b64 s[58:59], s[46:47]
.LBB55_295:                             ;   in Loop: Header=BB55_33 Depth=1
	s_andn2_b64 s[12:13], s[30:31], exec
	s_and_b64 s[2:3], s[2:3], exec
	s_or_b64 s[30:31], s[12:13], s[2:3]
	s_andn2_b64 s[2:3], s[36:37], exec
	s_and_b64 s[12:13], s[28:29], exec
	s_or_b64 s[36:37], s[2:3], s[12:13]
	;; [unrolled: 3-line block ×3, first 2 shown]
	s_and_b64 s[6:7], s[44:45], exec
	v_readlane_b32 s45, v56, 47
.LBB55_296:                             ;   in Loop: Header=BB55_33 Depth=1
	s_or_b64 exec, exec, s[38:39]
.LBB55_297:                             ;   in Loop: Header=BB55_33 Depth=1
	s_andn2_b64 s[2:3], s[22:23], exec
	s_and_b64 s[12:13], s[30:31], exec
	s_or_b64 s[22:23], s[2:3], s[12:13]
	s_andn2_b64 s[2:3], s[24:25], exec
	s_and_b64 s[12:13], s[36:37], exec
	s_or_b64 s[24:25], s[2:3], s[12:13]
	;; [unrolled: 3-line block ×3, first 2 shown]
	s_and_b64 s[6:7], s[6:7], exec
.LBB55_298:                             ;   in Loop: Header=BB55_33 Depth=1
	s_or_b64 exec, exec, s[26:27]
	s_and_saveexec_b64 s[2:3], s[6:7]
	s_xor_b64 s[2:3], exec, s[2:3]
	s_cbranch_execz .LBB55_31
.LBB55_299:                             ;   in Loop: Header=BB55_33 Depth=1
	s_and_b32 s5, s48, -9
	s_cmp_eq_u32 s5, 0
	s_cbranch_scc1 .LBB55_29
; %bb.300:                              ;   in Loop: Header=BB55_33 Depth=1
	s_mov_b64 s[6:7], -1
                                        ; implicit-def: $sgpr71
                                        ; implicit-def: $sgpr60
                                        ; implicit-def: $sgpr87
	s_mov_b64 s[12:13], -1
	s_branch .LBB55_30
.LBB55_301:                             ;   in Loop: Header=BB55_33 Depth=1
                                        ; implicit-def: $vgpr2_vgpr3
	s_branch .LBB55_253
.LBB55_302:                             ;   in Loop: Header=BB55_33 Depth=1
                                        ; implicit-def: $vgpr2_vgpr3
	s_branch .LBB55_270
.LBB55_303:
	s_or_b64 exec, exec, s[66:67]
	s_xor_b64 s[4:5], s[88:89], -1
	s_xor_b64 s[0:1], s[74:75], -1
	;; [unrolled: 1-line block ×3, first 2 shown]
	s_mov_b64 s[2:3], 0
	s_and_saveexec_b64 s[8:9], s[0:1]
	s_xor_b64 s[0:1], exec, s[8:9]
	s_cbranch_execnz .LBB55_308
; %bb.304:
	s_andn2_saveexec_b64 s[0:1], s[0:1]
	s_cbranch_execnz .LBB55_330
.LBB55_305:
	s_or_b64 exec, exec, s[0:1]
	s_and_saveexec_b64 s[0:1], s[2:3]
.LBB55_306:
	; divergent unreachable
.LBB55_307:
	s_endpgm
.LBB55_308:
	s_and_saveexec_b64 s[2:3], s[4:5]
	s_xor_b64 s[4:5], exec, s[2:3]
	s_cbranch_execz .LBB55_328
; %bb.309:
	s_and_saveexec_b64 s[2:3], s[6:7]
	s_xor_b64 s[2:3], exec, s[2:3]
; %bb.310:
	v_bfrev_b32_e32 v3, 1
	v_cmp_lt_i32_e32 vcc, -1, v2
	v_cndmask_b32_e64 v3, v3, -1, vcc
	v_xor_b32_e32 v31, v3, v2
; %bb.311:
	s_or_b64 exec, exec, s[2:3]
	s_mov_b64 s[2:3], exec
	v_readlane_b32 s6, v56, 12
	v_readlane_b32 s7, v56, 13
	s_and_b64 s[6:7], s[2:3], s[6:7]
	s_mov_b64 exec, s[6:7]
	s_cbranch_execz .LBB55_313
; %bb.312:
	v_mov_b32_e32 v2, 0
	v_mov_b32_e32 v3, s56
	ds_write_b32 v2, v3 offset:5140
.LBB55_313:
	s_or_b64 exec, exec, s[2:3]
	s_waitcnt lgkmcnt(0)
	s_barrier
	s_mov_b64 s[6:7], exec
	v_readlane_b32 s2, v56, 22
	v_readlane_b32 s3, v56, 23
	s_and_b64 s[2:3], s[6:7], s[2:3]
	s_mov_b64 exec, s[2:3]
	s_cbranch_execz .LBB55_325
; %bb.314:
	v_mov_b32_e32 v2, 0
	ds_read_b32 v4, v2 offset:5140
	v_cmp_u_f32_e32 vcc, v31, v31
	s_mov_b64 s[8:9], 0
	s_xor_b64 s[10:11], vcc, -1
                                        ; implicit-def: $sgpr12_sgpr13
                                        ; implicit-def: $sgpr14_sgpr15
                                        ; implicit-def: $sgpr16_sgpr17
	s_waitcnt lgkmcnt(0)
	v_ashrrev_i32_e32 v5, 31, v4
	s_branch .LBB55_317
.LBB55_315:                             ;   in Loop: Header=BB55_317 Depth=1
	s_or_b64 exec, exec, s[22:23]
	s_andn2_b64 s[16:17], s[16:17], exec
	s_and_b64 s[2:3], s[2:3], exec
	s_or_b64 s[16:17], s[16:17], s[2:3]
	s_andn2_b64 s[2:3], s[14:15], exec
	s_and_b64 s[14:15], s[20:21], exec
	s_or_b64 s[14:15], s[2:3], s[14:15]
.LBB55_316:                             ;   in Loop: Header=BB55_317 Depth=1
	s_or_b64 exec, exec, s[18:19]
	s_and_b64 s[2:3], exec, s[14:15]
	s_or_b64 s[8:9], s[2:3], s[8:9]
	s_andn2_b64 s[2:3], s[12:13], exec
	s_and_b64 s[12:13], s[16:17], exec
	s_or_b64 s[12:13], s[2:3], s[12:13]
	s_andn2_b64 exec, exec, s[8:9]
	s_cbranch_execz .LBB55_320
.LBB55_317:                             ; =>This Inner Loop Header: Depth=1
	v_pk_mov_b32 v[2:3], v[0:1], v[0:1] op_sel:[0,1]
	v_cmp_lt_i64_e32 vcc, v[2:3], v[4:5]
	s_or_b64 s[16:17], s[16:17], exec
	s_or_b64 s[14:15], s[14:15], exec
                                        ; implicit-def: $vgpr0_vgpr1
	s_and_saveexec_b64 s[18:19], vcc
	s_cbranch_execz .LBB55_316
; %bb.318:                              ;   in Loop: Header=BB55_317 Depth=1
	global_load_dword v0, v[10:11], off
	s_mov_b64 s[20:21], -1
	s_waitcnt vmcnt(0)
	v_cmp_o_f32_e64 s[2:3], v0, v0
	v_cmp_neq_f32_e32 vcc, v0, v31
	s_or_b64 s[2:3], s[2:3], s[10:11]
	s_and_b64 s[24:25], vcc, s[2:3]
	s_mov_b64 s[2:3], 0
                                        ; implicit-def: $vgpr0_vgpr1
	s_and_saveexec_b64 s[22:23], s[24:25]
	s_cbranch_execz .LBB55_315
; %bb.319:                              ;   in Loop: Header=BB55_317 Depth=1
	v_mov_b32_e32 v1, s86
	v_add_co_u32_e32 v0, vcc, s33, v2
	v_addc_co_u32_e32 v1, vcc, v3, v1, vcc
	v_mov_b32_e32 v3, s79
	v_add_co_u32_e32 v10, vcc, s78, v10
	v_addc_co_u32_e32 v11, vcc, v11, v3, vcc
	v_cmp_le_i64_e32 vcc, s[56:57], v[0:1]
	s_mov_b64 s[2:3], exec
	s_orn2_b64 s[20:21], vcc, exec
	s_branch .LBB55_315
.LBB55_320:
	s_or_b64 exec, exec, s[8:9]
	s_xor_b64 s[2:3], s[12:13], -1
	s_and_saveexec_b64 s[8:9], s[2:3]
	s_xor_b64 s[8:9], exec, s[8:9]
	s_cbranch_execz .LBB55_325
; %bb.321:
	s_mov_b64 s[2:3], exec
	s_brev_b32 s8, -2
.LBB55_322:                             ; =>This Inner Loop Header: Depth=1
	s_ff1_i32_b64 s9, s[2:3]
	v_readlane_b32 s12, v2, s9
	s_lshl_b64 s[10:11], 1, s9
	s_min_i32 s8, s8, s12
	s_andn2_b64 s[2:3], s[2:3], s[10:11]
	s_cmp_lg_u64 s[2:3], 0
	s_cbranch_scc1 .LBB55_322
; %bb.323:
	v_mbcnt_lo_u32_b32 v0, exec_lo, 0
	v_mbcnt_hi_u32_b32 v0, exec_hi, v0
	v_cmp_eq_u32_e32 vcc, 0, v0
	s_and_saveexec_b64 s[2:3], vcc
	s_xor_b64 s[2:3], exec, s[2:3]
	s_cbranch_execz .LBB55_325
; %bb.324:
	v_mov_b32_e32 v0, 0
	v_mov_b32_e32 v1, s8
	ds_min_i32 v0, v1 offset:5140
.LBB55_325:
	s_or_b64 exec, exec, s[6:7]
	s_waitcnt lgkmcnt(0)
	s_barrier
	s_mov_b64 s[2:3], exec
	v_readlane_b32 s6, v56, 12
	v_readlane_b32 s7, v56, 13
	s_and_b64 s[6:7], s[2:3], s[6:7]
	s_mov_b64 exec, s[6:7]
	s_cbranch_execz .LBB55_327
; %bb.326:
	v_readlane_b32 s8, v56, 2
	v_readlane_b32 s9, v56, 3
	;; [unrolled: 1-line block ×4, first 2 shown]
	s_mul_i32 s6, s10, s9
	s_mul_hi_u32 s7, s10, s8
	s_add_i32 s6, s7, s6
	s_mul_i32 s7, s11, s8
	s_add_i32 s7, s6, s7
	s_mul_i32 s6, s10, s8
	v_readlane_b32 s10, v56, 8
	v_readlane_b32 s11, v56, 9
	s_mul_i32 s8, s10, s69
	s_mul_hi_u32 s9, s10, s68
	s_add_i32 s8, s9, s8
	s_mul_i32 s9, s11, s68
	s_add_i32 s9, s8, s9
	s_mul_i32 s8, s10, s68
	s_lshl_b64 s[6:7], s[6:7], 2
	v_readlane_b32 s10, v56, 6
	v_readlane_b32 s11, v56, 7
	s_add_u32 s10, s10, s6
	s_addc_u32 s11, s11, s7
	v_readlane_b32 s6, v56, 0
	v_readlane_b32 s7, v56, 1
	s_lshl_b64 s[6:7], s[6:7], 2
	v_mov_b32_e32 v2, 0
	s_add_u32 s6, s10, s6
	ds_read_b32 v0, v2 offset:5140
	s_addc_u32 s7, s11, s7
	s_lshl_b64 s[8:9], s[8:9], 3
	v_readlane_b32 s10, v56, 10
	v_readlane_b32 s11, v56, 11
	s_add_u32 s10, s10, s8
	s_addc_u32 s11, s11, s9
	s_lshl_b64 s[8:9], s[64:65], 3
	s_add_u32 s8, s10, s8
	s_addc_u32 s9, s11, s9
	s_waitcnt lgkmcnt(0)
	v_ashrrev_i32_e32 v1, 31, v0
	global_store_dwordx2 v2, v[0:1], s[8:9]
	global_store_dword v2, v31, s[6:7]
.LBB55_327:
	s_or_b64 exec, exec, s[2:3]
.LBB55_328:
	s_or_saveexec_b64 s[2:3], s[4:5]
	s_mov_b64 s[4:5], 0
	s_xor_b64 exec, exec, s[2:3]
	s_cbranch_execnz .LBB55_331
.LBB55_329:
	s_or_b64 exec, exec, s[2:3]
	s_and_b64 s[2:3], s[4:5], exec
	s_andn2_saveexec_b64 s[0:1], s[0:1]
	s_cbranch_execz .LBB55_305
.LBB55_330:
	s_or_b64 s[2:3], s[2:3], exec
	s_trap 2
	s_or_b64 exec, exec, s[0:1]
	s_and_saveexec_b64 s[0:1], s[2:3]
	s_cbranch_execnz .LBB55_306
	s_branch .LBB55_307
.LBB55_331:
	s_mov_b64 s[4:5], exec
	s_trap 2
	s_branch .LBB55_329
	.section	.rodata,"a",@progbits
	.p2align	6, 0x0
	.amdhsa_kernel _ZN2at6native12_GLOBAL__N_114gatherKthValueIflLin1EEEvNS_4cuda6detail10TensorInfoIKT_T0_EES8_S8_S8_S8_NS5_IS6_S8_EENS5_IlS8_EE
		.amdhsa_group_segment_fixed_size 5144
		.amdhsa_private_segment_fixed_size 0
		.amdhsa_kernarg_size 1536
		.amdhsa_user_sgpr_count 6
		.amdhsa_user_sgpr_private_segment_buffer 1
		.amdhsa_user_sgpr_dispatch_ptr 0
		.amdhsa_user_sgpr_queue_ptr 0
		.amdhsa_user_sgpr_kernarg_segment_ptr 1
		.amdhsa_user_sgpr_dispatch_id 0
		.amdhsa_user_sgpr_flat_scratch_init 0
		.amdhsa_user_sgpr_kernarg_preload_length 0
		.amdhsa_user_sgpr_kernarg_preload_offset 0
		.amdhsa_user_sgpr_private_segment_size 0
		.amdhsa_uses_dynamic_stack 0
		.amdhsa_system_sgpr_private_segment_wavefront_offset 0
		.amdhsa_system_sgpr_workgroup_id_x 1
		.amdhsa_system_sgpr_workgroup_id_y 1
		.amdhsa_system_sgpr_workgroup_id_z 1
		.amdhsa_system_sgpr_workgroup_info 0
		.amdhsa_system_vgpr_workitem_id 0
		.amdhsa_next_free_vgpr 57
		.amdhsa_next_free_sgpr 96
		.amdhsa_accum_offset 60
		.amdhsa_reserve_vcc 1
		.amdhsa_reserve_flat_scratch 0
		.amdhsa_float_round_mode_32 0
		.amdhsa_float_round_mode_16_64 0
		.amdhsa_float_denorm_mode_32 3
		.amdhsa_float_denorm_mode_16_64 3
		.amdhsa_dx10_clamp 1
		.amdhsa_ieee_mode 1
		.amdhsa_fp16_overflow 0
		.amdhsa_tg_split 0
		.amdhsa_exception_fp_ieee_invalid_op 0
		.amdhsa_exception_fp_denorm_src 0
		.amdhsa_exception_fp_ieee_div_zero 0
		.amdhsa_exception_fp_ieee_overflow 0
		.amdhsa_exception_fp_ieee_underflow 0
		.amdhsa_exception_fp_ieee_inexact 0
		.amdhsa_exception_int_div_zero 0
	.end_amdhsa_kernel
	.section	.text._ZN2at6native12_GLOBAL__N_114gatherKthValueIflLin1EEEvNS_4cuda6detail10TensorInfoIKT_T0_EES8_S8_S8_S8_NS5_IS6_S8_EENS5_IlS8_EE,"axG",@progbits,_ZN2at6native12_GLOBAL__N_114gatherKthValueIflLin1EEEvNS_4cuda6detail10TensorInfoIKT_T0_EES8_S8_S8_S8_NS5_IS6_S8_EENS5_IlS8_EE,comdat
.Lfunc_end55:
	.size	_ZN2at6native12_GLOBAL__N_114gatherKthValueIflLin1EEEvNS_4cuda6detail10TensorInfoIKT_T0_EES8_S8_S8_S8_NS5_IS6_S8_EENS5_IlS8_EE, .Lfunc_end55-_ZN2at6native12_GLOBAL__N_114gatherKthValueIflLin1EEEvNS_4cuda6detail10TensorInfoIKT_T0_EES8_S8_S8_S8_NS5_IS6_S8_EENS5_IlS8_EE
                                        ; -- End function
	.section	.AMDGPU.csdata,"",@progbits
; Kernel info:
; codeLenInByte = 19388
; NumSgprs: 100
; NumVgprs: 57
; NumAgprs: 0
; TotalNumVgprs: 57
; ScratchSize: 0
; MemoryBound: 0
; FloatMode: 240
; IeeeMode: 1
; LDSByteSize: 5144 bytes/workgroup (compile time only)
; SGPRBlocks: 12
; VGPRBlocks: 7
; NumSGPRsForWavesPerEU: 100
; NumVGPRsForWavesPerEU: 57
; AccumOffset: 60
; Occupancy: 8
; WaveLimiterHint : 1
; COMPUTE_PGM_RSRC2:SCRATCH_EN: 0
; COMPUTE_PGM_RSRC2:USER_SGPR: 6
; COMPUTE_PGM_RSRC2:TRAP_HANDLER: 0
; COMPUTE_PGM_RSRC2:TGID_X_EN: 1
; COMPUTE_PGM_RSRC2:TGID_Y_EN: 1
; COMPUTE_PGM_RSRC2:TGID_Z_EN: 1
; COMPUTE_PGM_RSRC2:TIDIG_COMP_CNT: 0
; COMPUTE_PGM_RSRC3_GFX90A:ACCUM_OFFSET: 14
; COMPUTE_PGM_RSRC3_GFX90A:TG_SPLIT: 0
	.section	.text._ZN2at6native12_GLOBAL__N_114gatherKthValueIN3c104HalfEiLi1EEEvNS_4cuda6detail10TensorInfoIKT_T0_EESA_SA_SA_SA_NS7_IS8_SA_EENS7_IlSA_EE,"axG",@progbits,_ZN2at6native12_GLOBAL__N_114gatherKthValueIN3c104HalfEiLi1EEEvNS_4cuda6detail10TensorInfoIKT_T0_EESA_SA_SA_SA_NS7_IS8_SA_EENS7_IlSA_EE,comdat
	.globl	_ZN2at6native12_GLOBAL__N_114gatherKthValueIN3c104HalfEiLi1EEEvNS_4cuda6detail10TensorInfoIKT_T0_EESA_SA_SA_SA_NS7_IS8_SA_EENS7_IlSA_EE ; -- Begin function _ZN2at6native12_GLOBAL__N_114gatherKthValueIN3c104HalfEiLi1EEEvNS_4cuda6detail10TensorInfoIKT_T0_EESA_SA_SA_SA_NS7_IS8_SA_EENS7_IlSA_EE
	.p2align	8
	.type	_ZN2at6native12_GLOBAL__N_114gatherKthValueIN3c104HalfEiLi1EEEvNS_4cuda6detail10TensorInfoIKT_T0_EESA_SA_SA_SA_NS7_IS8_SA_EENS7_IlSA_EE,@function
_ZN2at6native12_GLOBAL__N_114gatherKthValueIN3c104HalfEiLi1EEEvNS_4cuda6detail10TensorInfoIKT_T0_EESA_SA_SA_SA_NS7_IS8_SA_EENS7_IlSA_EE: ; @_ZN2at6native12_GLOBAL__N_114gatherKthValueIN3c104HalfEiLi1EEEvNS_4cuda6detail10TensorInfoIKT_T0_EESA_SA_SA_SA_NS7_IS8_SA_EENS7_IlSA_EE
; %bb.0:
	s_load_dwordx2 s[12:13], s[4:5], 0x298
	s_load_dwordx4 s[60:63], s[4:5], 0xd8
	s_add_u32 s10, s4, 0x298
	s_addc_u32 s11, s5, 0
	s_waitcnt lgkmcnt(0)
	s_mul_i32 s0, s13, s8
	s_add_i32 s0, s0, s7
	s_mul_i32 s0, s0, s12
	s_add_i32 s7, s0, s6
	s_cmp_ge_i32 s7, s62
	s_cbranch_scc1 .LBB56_247
; %bb.1:
	s_load_dwordx2 s[0:1], s[4:5], 0x1c0
                                        ; implicit-def: $vgpr52 : SGPR spill to VGPR lane
	s_mov_b32 s68, 0
	v_cmp_eq_u32_e64 s[14:15], 0, v0
	s_waitcnt lgkmcnt(0)
	v_writelane_b32 v52, s0, 0
	v_writelane_b32 v52, s1, 1
	s_load_dwordx2 s[0:1], s[4:5], 0xe8
	s_waitcnt lgkmcnt(0)
	v_writelane_b32 v52, s0, 2
	v_writelane_b32 v52, s1, 3
	s_load_dword s0, s[4:5], 0x6c
	s_load_dwordx2 s[2:3], s[4:5], 0x0
	s_mov_b64 s[8:9], exec
	v_writelane_b32 v52, s14, 4
	v_writelane_b32 v52, s15, 5
	s_and_b64 s[14:15], s[8:9], s[14:15]
	s_mov_b64 exec, s[14:15]
	s_cbranch_execz .LBB56_3
; %bb.2:
	v_mov_b32_e32 v2, 0
	v_mov_b32_e32 v3, s60
	v_mov_b32_e32 v4, v2
	ds_write_b96 v2, v[2:4] offset:4096
.LBB56_3:
	s_or_b64 exec, exec, s[8:9]
	s_load_dword s1, s[4:5], 0x22c
                                        ; kill: killed $sgpr4 killed $sgpr5
	s_waitcnt lgkmcnt(0)
	s_barrier
	s_mul_i32 s0, s0, s7
	v_writelane_b32 v52, s1, 6
	s_load_dword s1, s[4:5], 0x154
	v_mbcnt_lo_u32_b32 v1, -1, 0
	s_load_dword s4, s[10:11], 0xc
	v_mbcnt_hi_u32_b32 v13, -1, v1
	v_cmp_gt_u32_e32 vcc, 64, v0
	s_waitcnt lgkmcnt(0)
	v_writelane_b32 v52, s1, 7
	s_ashr_i32 s1, s0, 31
	s_lshl_b64 s[0:1], s[0:1], 1
	s_add_u32 s62, s2, s0
	s_addc_u32 s78, s3, s1
	s_and_b32 s33, s4, 0xffff
	v_cmp_gt_i32_e64 s[2:3], 4, v13
	s_add_i32 s0, s33, -1
	v_writelane_b32 v52, s7, 8
	s_lshl_b32 s7, s33, 2
	s_bfe_u32 s8, s4, 0xa0006
	s_and_b64 s[70:71], vcc, s[2:3]
	s_add_i32 s77, s0, s60
	s_cmpk_gt_i32 s60, 0x600
	v_writelane_b32 v52, s0, 9
	s_cselect_b64 s[0:1], -1, 0
	v_writelane_b32 v52, s0, 10
	s_cmp_gt_u32 s33, 63
	v_writelane_b32 v52, s1, 11
	s_cselect_b64 s[0:1], -1, 0
	v_writelane_b32 v52, s0, 12
	s_cmp_lt_u32 s6, s12
	v_writelane_b32 v52, s1, 13
	s_cselect_b32 s0, 12, 18
	s_add_u32 s0, s10, s0
	s_addc_u32 s1, s11, 0
	v_writelane_b32 v52, s0, 14
	v_writelane_b32 v52, s1, 15
	s_add_i32 s0, s8, -2
	s_lshr_b32 s1, s0, 1
	v_mov_b32_e32 v9, 0
	s_add_i32 s1, s1, 1
	s_cmpk_gt_u32 s33, 0x7f
	v_mul_lo_u32 v6, v0, s63
	v_mov_b32_e32 v7, v9
	s_cselect_b64 s[2:3], -1, 0
	v_lshlrev_b64 v[2:3], 1, v[6:7]
	v_writelane_b32 v52, s2, 16
	v_mov_b32_e32 v7, s78
	v_add_co_u32_e32 v10, vcc, s62, v2
	v_writelane_b32 v52, s3, 17
	v_addc_co_u32_e32 v11, vcc, v7, v3, vcc
	v_cmp_gt_u32_e64 s[10:11], s60, v0
	v_lshlrev_b64 v[2:3], v13, -1
	v_writelane_b32 v52, s10, 18
	v_not_b32_e32 v12, v2
	v_cvt_f32_u32_e32 v2, s7
	v_writelane_b32 v52, s11, 19
	v_cmp_gt_i32_e64 s[10:11], s60, v0
	s_and_b32 s6, s8, 0x3fe
	s_and_b32 s9, s1, 7
	v_writelane_b32 v52, s10, 20
	s_cmp_gt_u32 s0, 13
	v_writelane_b32 v52, s11, 21
	s_cselect_b64 s[10:11], -1, 0
	v_writelane_b32 v52, s10, 22
	v_rcp_iflag_f32_e32 v2, v2
	v_writelane_b32 v52, s11, 23
	s_and_b32 s0, s1, -8
	v_writelane_b32 v52, s0, 24
	s_cmp_lg_u32 s9, 0
	v_writelane_b32 v52, s9, 25
	s_cselect_b64 s[0:1], -1, 0
	v_writelane_b32 v52, s0, 26
	v_mul_f32_e32 v2, 0x4f7ffffe, v2
	v_writelane_b32 v52, s1, 27
	v_cvt_u32_f32_e32 v2, v2
	v_writelane_b32 v52, s8, 28
	s_cmp_lg_u32 s6, s8
	v_writelane_b32 v52, s6, 29
	s_cselect_b64 s[0:1], -1, 0
	v_writelane_b32 v52, s0, 30
	v_writelane_b32 v52, s1, 31
	s_sub_i32 s0, 0, s7
	v_readfirstlane_b32 s1, v2
	s_mul_i32 s0, s0, s1
	s_mul_hi_u32 s0, s1, s0
	s_add_i32 s6, s1, s0
	s_mul_hi_u32 s0, s60, s6
	s_mul_i32 s0, s0, s7
	s_sub_i32 s0, s60, s0
	s_sub_i32 s1, s0, s7
	s_cmp_ge_u32 s0, s7
	s_cselect_b32 s0, s1, s0
	s_sub_i32 s1, s0, s7
	v_cvt_f32_u32_e32 v5, s33
	s_cmp_ge_u32 s0, s7
	s_cselect_b32 s0, s1, s0
	s_sub_i32 s9, s60, s0
	v_add_u32_e32 v25, s9, v0
	v_rcp_iflag_f32_e32 v5, v5
	v_lshrrev_b32_e32 v1, 4, v0
	v_mul_lo_u32 v2, v25, s63
	v_and_b32_e32 v23, 60, v1
	v_not_b32_e32 v1, v3
	v_ashrrev_i32_e32 v3, 31, v2
	v_lshlrev_b64 v[2:3], 1, v[2:3]
	v_lshlrev_b32_e32 v20, 2, v0
	v_add_co_u32_e32 v14, vcc, s62, v2
	v_mul_f32_e32 v2, 0x4f7ffffe, v5
	v_cmp_gt_i32_e64 s[10:11], s9, v20
	v_cvt_u32_f32_e32 v2, v2
	v_writelane_b32 v52, s10, 32
	v_writelane_b32 v52, s11, 33
	v_cmp_gt_u32_e64 s[10:11], s60, v25
	v_writelane_b32 v52, s10, 34
	v_writelane_b32 v52, s11, 35
	s_sub_i32 s10, 0, s33
	v_readfirstlane_b32 s11, v2
	s_mul_i32 s10, s10, s11
	s_mul_hi_u32 s10, s11, s10
	s_abs_i32 s8, s77
	s_add_i32 s10, s11, s10
	v_writelane_b32 v52, s10, 36
	s_mul_hi_u32 s10, s8, s10
	s_mul_i32 s10, s10, s33
	s_sub_i32 s8, s8, s10
	s_ashr_i32 s1, s77, 31
	s_sub_i32 s10, s8, s33
	s_cmp_ge_u32 s8, s33
	s_cselect_b32 s8, s10, s8
	s_sub_i32 s10, s8, s33
	s_cmp_ge_u32 s8, s33
	s_cselect_b32 s8, s10, s8
	s_xor_b32 s8, s8, s1
	v_mul_lo_u32 v2, s63, v20
	s_sub_i32 s1, s1, s8
	v_add_u32_e32 v26, s63, v2
	v_or_b32_e32 v2, 2, v20
	s_add_i32 s77, s77, s1
	v_mul_lo_u32 v27, s63, v2
	v_or_b32_e32 v2, 3, v20
	s_add_i32 s1, s33, s60
	v_mul_lo_u32 v28, s63, v2
	v_add_u32_e32 v2, s1, v0
	v_lshlrev_b32_e32 v21, 1, v0
	v_lshlrev_b32_e32 v4, 2, v13
	v_mov_b32_e32 v8, s78
	v_cmp_gt_i32_e64 s[10:11], s77, v0
	s_mul_i32 s79, s63, s33
	v_subrev_u32_e32 v2, s0, v2
	v_cmp_eq_u32_e64 s[2:3], 0, v13
	v_cmp_gt_u32_e64 s[4:5], 2, v0
	v_add_u32_e32 v22, 0xc00, v21
	v_and_b32_e32 v24, 0x100, v4
	v_addc_co_u32_e32 v15, vcc, v8, v3, vcc
	v_cmp_gt_i32_e64 s[14:15], s60, v25
	v_writelane_b32 v52, s10, 37
	s_lshl_b32 s16, s79, 2
	v_lshlrev_b32_e32 v29, 2, v6
	v_mul_lo_u32 v30, s63, v2
	v_lshlrev_b32_e32 v31, 3, v0
	s_lshl_b32 s17, s33, 3
	s_lshl_b32 s8, s33, 1
	v_or_b32_e32 v32, 0xc00, v4
	s_mov_b32 s0, 14
	s_mov_b64 s[86:87], 0
	s_movk_i32 s76, 0x3c00
	v_mov_b32_e32 v33, 0xffff
	v_mov_b32_e32 v34, 0x8000
	v_mov_b32_e32 v35, -1
	v_mov_b32_e32 v36, 0xc00
	v_mov_b32_e32 v37, 0x5040100
	;; [unrolled: 1-line block ×3, first 2 shown]
	s_mov_b32 s1, 0
	s_mov_b32 s73, 0
	;; [unrolled: 1-line block ×3, first 2 shown]
	v_writelane_b32 v52, s11, 38
                                        ; implicit-def: $sgpr88_sgpr89
                                        ; implicit-def: $sgpr92_sgpr93
                                        ; implicit-def: $sgpr90_sgpr91
                                        ; implicit-def: $sgpr94_sgpr95
                                        ; implicit-def: $sgpr64_sgpr65
                                        ; implicit-def: $sgpr66_sgpr67
	s_branch .LBB56_8
.LBB56_4:                               ;   in Loop: Header=BB56_8 Depth=1
	s_xor_b32 s1, s1, 1
	s_add_i32 s10, s0, -2
	s_cmp_eq_u32 s0, 0
	s_mov_b64 s[22:23], 0
	s_cselect_b64 s[30:31], -1, 0
	s_mov_b32 s0, s10
.LBB56_5:                               ;   in Loop: Header=BB56_8 Depth=1
	s_andn2_b64 s[10:11], s[26:27], exec
	s_and_b64 s[12:13], s[22:23], exec
	s_or_b64 s[26:27], s[10:11], s[12:13]
	s_andn2_b64 s[28:29], s[28:29], exec
	s_andn2_b64 s[24:25], s[24:25], exec
	s_orn2_b64 s[22:23], s[30:31], exec
	s_mov_b32 s61, s39
.LBB56_6:                               ;   in Loop: Header=BB56_8 Depth=1
	s_or_b64 exec, exec, s[18:19]
	s_andn2_b64 s[10:11], s[66:67], exec
	s_and_b64 s[12:13], s[26:27], exec
	s_or_b64 s[66:67], s[10:11], s[12:13]
	s_andn2_b64 s[10:11], s[64:65], exec
	s_and_b64 s[12:13], s[28:29], exec
	s_or_b64 s[64:65], s[10:11], s[12:13]
	;; [unrolled: 3-line block ×3, first 2 shown]
	s_orn2_b64 s[22:23], s[22:23], exec
.LBB56_7:                               ;   in Loop: Header=BB56_8 Depth=1
	s_or_b64 exec, exec, s[20:21]
	s_and_b64 s[10:11], exec, s[22:23]
	s_or_b64 s[86:87], s[10:11], s[86:87]
	s_andn2_b64 s[10:11], s[90:91], exec
	s_and_b64 s[12:13], s[66:67], exec
	s_or_b64 s[90:91], s[10:11], s[12:13]
	s_andn2_b64 s[10:11], s[92:93], exec
	s_and_b64 s[12:13], s[64:65], exec
	;; [unrolled: 3-line block ×3, first 2 shown]
	v_mov_b32_e32 v2, s73
	s_or_b64 s[88:89], s[10:11], s[12:13]
	s_andn2_b64 exec, exec, s[86:87]
	s_cbranch_execz .LBB56_243
.LBB56_8:                               ; =>This Loop Header: Depth=1
                                        ;     Child Loop BB56_13 Depth 2
                                        ;     Child Loop BB56_32 Depth 2
	;; [unrolled: 1-line block ×17, first 2 shown]
	ds_read_b64 v[2:3], v9 offset:4096
	s_waitcnt lgkmcnt(0)
	v_readfirstlane_b32 s69, v2
	s_cmp_gt_i32 s69, 0
	s_cbranch_scc1 .LBB56_39
; %bb.9:                                ;   in Loop: Header=BB56_8 Depth=1
	v_readlane_b32 s10, v52, 10
	v_readlane_b32 s11, v52, 11
	s_and_b64 vcc, exec, s[10:11]
	s_cbranch_vccz .LBB56_21
; %bb.10:                               ;   in Loop: Header=BB56_8 Depth=1
	s_movk_i32 s10, 0x601
	v_cmp_gt_i32_e32 vcc, s10, v3
	s_mov_b64 s[20:21], 0
	s_mov_b64 s[18:19], 0
	s_cbranch_vccz .LBB56_26
; %bb.11:                               ;   in Loop: Header=BB56_8 Depth=1
	v_readlane_b32 s10, v52, 14
	v_readlane_b32 s11, v52, 15
	s_nop 4
	global_load_ushort v2, v9, s[10:11]
	global_load_ushort v4, v[10:11], off
	s_mov_b64 s[22:23], 0
	s_waitcnt vmcnt(1)
	v_add_u32_e32 v5, v0, v2
	v_mul_lo_u32 v3, s63, v2
	v_mul_lo_u32 v8, s63, v5
	v_mov_b32_e32 v5, v0
	s_branch .LBB56_13
.LBB56_12:                              ;   in Loop: Header=BB56_13 Depth=2
	s_or_b64 exec, exec, s[18:19]
	v_cmp_le_i32_e32 vcc, s60, v5
	v_add_u32_e32 v8, v8, v3
	s_or_b64 s[22:23], vcc, s[22:23]
	v_mov_b32_e32 v4, v16
	s_andn2_b64 exec, exec, s[22:23]
	s_cbranch_execz .LBB56_22
.LBB56_13:                              ;   Parent Loop BB56_8 Depth=1
                                        ; =>  This Inner Loop Header: Depth=2
	v_add_u32_e32 v5, v5, v2
	v_cmp_gt_u32_e32 vcc, s60, v5
	s_waitcnt lgkmcnt(0)
	v_mov_b32_e32 v17, 0
	v_mov_b32_e32 v16, 0
	s_and_saveexec_b64 s[18:19], vcc
	s_cbranch_execz .LBB56_15
; %bb.14:                               ;   in Loop: Header=BB56_13 Depth=2
	v_lshlrev_b64 v[18:19], 1, v[8:9]
	v_add_co_u32_e32 v18, vcc, s62, v18
	v_addc_co_u32_e32 v19, vcc, v7, v19, vcc
	global_load_ushort v16, v[18:19], off
.LBB56_15:                              ;   in Loop: Header=BB56_13 Depth=2
	s_or_b64 exec, exec, s[18:19]
	s_waitcnt vmcnt(0)
	v_cmp_lt_i16_e32 vcc, -1, v4
	v_cndmask_b32_e32 v18, v33, v34, vcc
	v_xor_b32_sdwa v18, v18, v4 dst_sel:DWORD dst_unused:UNUSED_PAD src0_sel:DWORD src1_sel:WORD_0
	v_cmp_o_f16_e32 vcc, v4, v4
	v_cndmask_b32_e32 v18, v33, v18, vcc
	v_and_b32_e32 v18, s72, v18
	v_cmp_eq_u32_e32 vcc, s73, v18
	s_cmp_lg_u64 vcc, 0
	s_cselect_b64 s[10:11], -1, 0
	s_and_b64 s[10:11], s[2:3], s[10:11]
	s_and_saveexec_b64 s[24:25], s[10:11]
	s_cbranch_execz .LBB56_19
; %bb.16:                               ;   in Loop: Header=BB56_13 Depth=2
	s_mov_b64 s[28:29], exec
	v_mbcnt_lo_u32_b32 v17, s28, 0
	v_mbcnt_hi_u32_b32 v17, s29, v17
	s_bcnt1_i32_b64 s10, vcc
	v_cmp_eq_u32_e64 s[18:19], 0, v17
                                        ; implicit-def: $vgpr18
	s_and_saveexec_b64 s[26:27], s[18:19]
	s_cbranch_execz .LBB56_18
; %bb.17:                               ;   in Loop: Header=BB56_13 Depth=2
	s_bcnt1_i32_b64 s11, s[28:29]
	s_mul_i32 s11, s10, s11
	v_mov_b32_e32 v18, s11
	ds_add_rtn_u32 v18, v9, v18 offset:4104
.LBB56_18:                              ;   in Loop: Header=BB56_13 Depth=2
	s_or_b64 exec, exec, s[26:27]
	s_waitcnt lgkmcnt(0)
	v_readfirstlane_b32 s11, v18
	v_mov_b32_e32 v18, s11
	v_mad_u32_u24 v17, s10, v17, v18
.LBB56_19:                              ;   in Loop: Header=BB56_13 Depth=2
	s_or_b64 exec, exec, s[24:25]
	ds_bpermute_b32 v17, v24, v17
	s_and_saveexec_b64 s[18:19], vcc
	s_cbranch_execz .LBB56_12
; %bb.20:                               ;   in Loop: Header=BB56_13 Depth=2
	v_and_b32_e32 v19, vcc_lo, v12
	v_and_b32_e32 v18, vcc_hi, v1
	v_bcnt_u32_b32 v19, v19, 0
	v_bcnt_u32_b32 v18, v18, v19
	v_lshlrev_b32_e32 v18, 1, v18
	s_waitcnt lgkmcnt(0)
	v_lshl_add_u32 v17, v17, 1, v18
	ds_write_b16 v17, v4
	s_branch .LBB56_12
.LBB56_21:                              ;   in Loop: Header=BB56_8 Depth=1
	s_mov_b64 s[20:21], -1
	s_mov_b64 s[18:19], 0
	s_branch .LBB56_25
.LBB56_22:                              ;   in Loop: Header=BB56_8 Depth=1
	s_or_b64 exec, exec, s[22:23]
	s_waitcnt lgkmcnt(0)
	s_barrier
	s_mov_b64 s[18:19], exec
	v_readlane_b32 s10, v52, 4
	v_readlane_b32 s11, v52, 5
	s_and_b64 s[10:11], s[18:19], s[10:11]
	s_mov_b64 exec, s[10:11]
	s_cbranch_execz .LBB56_24
; %bb.23:                               ;   in Loop: Header=BB56_8 Depth=1
	ds_read_b32 v2, v9 offset:4104
	s_waitcnt lgkmcnt(0)
	ds_write_b32 v9, v2 offset:4096
.LBB56_24:                              ;   in Loop: Header=BB56_8 Depth=1
	s_or_b64 exec, exec, s[18:19]
	s_waitcnt lgkmcnt(0)
	s_barrier
	s_mov_b64 s[18:19], -1
.LBB56_25:                              ;   in Loop: Header=BB56_8 Depth=1
                                        ; implicit-def: $sgpr69
.LBB56_26:                              ;   in Loop: Header=BB56_8 Depth=1
	s_and_b64 vcc, exec, s[20:21]
	s_cbranch_vccz .LBB56_37
; %bb.27:                               ;   in Loop: Header=BB56_8 Depth=1
	v_mov_b32_e32 v2, 0
	s_mov_b64 s[18:19], exec
	v_readlane_b32 s10, v52, 18
	v_readlane_b32 s11, v52, 19
	s_and_b64 s[10:11], s[18:19], s[10:11]
	s_mov_b64 exec, s[10:11]
	s_cbranch_execz .LBB56_29
; %bb.28:                               ;   in Loop: Header=BB56_8 Depth=1
	global_load_ushort v2, v[10:11], off
.LBB56_29:                              ;   in Loop: Header=BB56_8 Depth=1
	s_or_b64 exec, exec, s[18:19]
	s_mov_b64 s[18:19], exec
	v_readlane_b32 s10, v52, 20
	v_readlane_b32 s11, v52, 21
	s_and_b64 s[10:11], s[18:19], s[10:11]
	s_mov_b64 exec, s[10:11]
	s_cbranch_execz .LBB56_34
; %bb.30:                               ;   in Loop: Header=BB56_8 Depth=1
	v_readlane_b32 s10, v52, 14
	v_readlane_b32 s11, v52, 15
	s_mov_b64 s[20:21], 0
	v_mov_b32_e32 v4, v21
	v_mov_b32_e32 v17, v0
	s_nop 1
	global_load_ushort v3, v9, s[10:11]
	s_waitcnt vmcnt(0)
	v_add_u32_e32 v8, v0, v3
	v_lshlrev_b32_e32 v5, 1, v3
	v_mul_lo_u32 v16, s63, v3
	v_mul_lo_u32 v8, s63, v8
	s_branch .LBB56_32
.LBB56_31:                              ;   in Loop: Header=BB56_32 Depth=2
	s_or_b64 exec, exec, s[22:23]
	v_cmp_le_i32_e32 vcc, s60, v17
	ds_write_b16 v4, v2
	v_add_u32_e32 v4, v4, v5
	v_add_u32_e32 v8, v8, v16
	s_or_b64 s[20:21], vcc, s[20:21]
	s_waitcnt vmcnt(0)
	v_mov_b32_e32 v2, v18
	s_andn2_b64 exec, exec, s[20:21]
	s_cbranch_execz .LBB56_34
.LBB56_32:                              ;   Parent Loop BB56_8 Depth=1
                                        ; =>  This Inner Loop Header: Depth=2
	v_add_u32_e32 v17, v17, v3
	v_cmp_gt_u32_e32 vcc, s60, v17
	v_mov_b32_e32 v18, 0
	s_and_saveexec_b64 s[22:23], vcc
	s_cbranch_execz .LBB56_31
; %bb.33:                               ;   in Loop: Header=BB56_32 Depth=2
	v_lshlrev_b64 v[18:19], 1, v[8:9]
	v_mov_b32_e32 v39, s78
	v_add_co_u32_e32 v18, vcc, s62, v18
	v_addc_co_u32_e32 v19, vcc, v39, v19, vcc
	global_load_ushort v18, v[18:19], off
	s_branch .LBB56_31
.LBB56_34:                              ;   in Loop: Header=BB56_8 Depth=1
	s_or_b64 exec, exec, s[18:19]
	s_waitcnt lgkmcnt(0)
	s_barrier
	s_mov_b64 s[18:19], exec
	v_readlane_b32 s10, v52, 4
	v_readlane_b32 s11, v52, 5
	s_and_b64 s[10:11], s[18:19], s[10:11]
	s_mov_b64 exec, s[10:11]
	s_cbranch_execz .LBB56_36
; %bb.35:                               ;   in Loop: Header=BB56_8 Depth=1
	s_waitcnt vmcnt(0)
	v_mov_b32_e32 v2, s60
	ds_write_b32 v9, v2 offset:4096
.LBB56_36:                              ;   in Loop: Header=BB56_8 Depth=1
	s_or_b64 exec, exec, s[18:19]
	s_mov_b64 s[18:19], -1
	s_waitcnt lgkmcnt(0)
	s_barrier
                                        ; implicit-def: $sgpr69
.LBB56_37:                              ;   in Loop: Header=BB56_8 Depth=1
	s_and_b64 vcc, exec, s[18:19]
	s_cbranch_vccz .LBB56_39
; %bb.38:                               ;   in Loop: Header=BB56_8 Depth=1
	s_waitcnt vmcnt(0)
	ds_read_b32 v2, v9 offset:4096
	s_waitcnt lgkmcnt(0)
	v_readfirstlane_b32 s69, v2
.LBB56_39:                              ;   in Loop: Header=BB56_8 Depth=1
	s_cmp_lt_i32 s69, 1
	s_cbranch_scc0 .LBB56_51
; %bb.40:                               ;   in Loop: Header=BB56_8 Depth=1
	s_waitcnt vmcnt(0)
	v_mov_b32_e32 v2, 0
	s_mov_b32 s84, 0
	v_mov_b32_e32 v3, 0
	v_mov_b32_e32 v4, v2
	;; [unrolled: 1-line block ×3, first 2 shown]
	s_mov_b64 s[80:81], exec
	v_readlane_b32 s10, v52, 32
	v_readlane_b32 s11, v52, 33
	s_and_b64 s[10:11], s[80:81], s[10:11]
	s_mov_b64 exec, s[10:11]
	s_cbranch_execz .LBB56_44
; %bb.41:                               ;   in Loop: Header=BB56_8 Depth=1
	s_and_b32 s85, s0, 0xfe
	s_mov_b64 s[82:83], 0
	s_mov_b32 s74, 0
	s_mov_b32 s75, 0
	;; [unrolled: 1-line block ×4, first 2 shown]
	v_mov_b32_e32 v8, v20
.LBB56_42:                              ;   Parent Loop BB56_8 Depth=1
                                        ; =>  This Inner Loop Header: Depth=2
	v_add_u32_e32 v2, s84, v29
	v_ashrrev_i32_e32 v3, 31, v2
	v_add_u32_e32 v4, s84, v26
	v_lshlrev_b64 v[2:3], 1, v[2:3]
	v_mov_b32_e32 v39, s78
	v_ashrrev_i32_e32 v5, 31, v4
	v_add_co_u32_e64 v2, s[18:19], s62, v2
	v_add_u32_e32 v16, s84, v27
	v_lshlrev_b64 v[4:5], 1, v[4:5]
	v_addc_co_u32_e64 v3, s[18:19], v39, v3, s[18:19]
	v_ashrrev_i32_e32 v17, 31, v16
	v_add_co_u32_e64 v4, s[18:19], s62, v4
	v_add_u32_e32 v18, s84, v28
	v_lshlrev_b64 v[16:17], 1, v[16:17]
	v_addc_co_u32_e64 v5, s[18:19], v39, v5, s[18:19]
	v_ashrrev_i32_e32 v19, 31, v18
	v_add_co_u32_e64 v16, s[18:19], s62, v16
	v_lshlrev_b64 v[18:19], 1, v[18:19]
	v_addc_co_u32_e64 v17, s[18:19], v39, v17, s[18:19]
	v_add_co_u32_e64 v18, s[18:19], s62, v18
	v_addc_co_u32_e64 v19, s[18:19], v39, v19, s[18:19]
	global_load_ushort v2, v[2:3], off
	s_nop 0
	global_load_ushort v3, v[4:5], off
	s_nop 0
	global_load_ushort v4, v[16:17], off
	global_load_ushort v5, v[18:19], off
	v_add_u32_e32 v8, s7, v8
	s_add_i32 s84, s84, s16
	v_cmp_le_i32_e32 vcc, s9, v8
	s_waitcnt vmcnt(3)
	v_cmp_lt_i16_e64 s[18:19], -1, v2
	v_cndmask_b32_e64 v16, v33, v34, s[18:19]
	s_waitcnt vmcnt(2)
	v_cmp_lt_i16_e64 s[18:19], -1, v3
	v_cndmask_b32_e64 v17, v33, v34, s[18:19]
	;; [unrolled: 3-line block ×4, first 2 shown]
	v_xor_b32_sdwa v17, v17, v3 dst_sel:DWORD dst_unused:UNUSED_PAD src0_sel:DWORD src1_sel:WORD_0
	v_cmp_o_f16_e64 s[18:19], v3, v3
	v_xor_b32_sdwa v3, v18, v4 dst_sel:DWORD dst_unused:UNUSED_PAD src0_sel:DWORD src1_sel:WORD_0
	v_cmp_o_f16_e64 s[20:21], v4, v4
	;; [unrolled: 2-line block ×4, first 2 shown]
	v_cndmask_b32_e64 v2, v33, v5, s[24:25]
	v_cndmask_b32_e64 v5, v33, v17, s[18:19]
	v_and_b32_e32 v16, s72, v2
	v_bfe_u32 v2, v2, s85, 2
	v_cndmask_b32_e64 v3, v33, v3, s[20:21]
	v_and_b32_e32 v17, s72, v5
	v_bfe_u32 v5, v5, s85, 2
	v_cmp_eq_u32_e64 s[18:19], s73, v16
	v_cmp_eq_u32_e64 s[26:27], 0, v2
	v_cndmask_b32_e64 v4, v33, v4, s[22:23]
	v_and_b32_e32 v18, s72, v3
	v_bfe_u32 v3, v3, s85, 2
	v_cmp_eq_u32_e64 s[20:21], s73, v17
	v_cmp_eq_u32_e64 s[28:29], 0, v5
	s_and_b64 s[12:13], s[18:19], s[26:27]
	v_and_b32_e32 v19, s72, v4
	v_bfe_u32 v4, v4, s85, 2
	v_cmp_eq_u32_e64 s[22:23], s73, v18
	v_cmp_eq_u32_e64 s[30:31], 0, v3
	;; [unrolled: 1-line block ×5, first 2 shown]
	v_cndmask_b32_e64 v2, 0, 1, s[12:13]
	s_and_b64 s[12:13], s[20:21], s[28:29]
	v_cmp_eq_u32_e64 s[24:25], s73, v19
	v_cmp_eq_u32_e64 s[34:35], 0, v4
	;; [unrolled: 1-line block ×5, first 2 shown]
	v_cndmask_b32_e64 v3, 0, 1, s[12:13]
	s_and_b64 s[12:13], s[22:23], s[30:31]
	v_cmp_eq_u32_e64 s[42:43], 1, v4
	v_cmp_eq_u32_e64 s[50:51], 2, v4
	;; [unrolled: 1-line block ×3, first 2 shown]
	v_cndmask_b32_e64 v4, 0, 1, s[12:13]
	s_and_b64 s[12:13], s[24:25], s[34:35]
	v_cmp_eq_u32_e64 s[38:39], 1, v5
	v_cmp_eq_u32_e64 s[46:47], 2, v5
	;; [unrolled: 1-line block ×3, first 2 shown]
	v_cndmask_b32_e64 v5, 0, 1, s[12:13]
	s_and_b64 s[12:13], s[18:19], s[36:37]
	v_cndmask_b32_e64 v16, 0, 1, s[12:13]
	s_and_b64 s[12:13], s[20:21], s[38:39]
	;; [unrolled: 2-line block ×12, first 2 shown]
	v_cmp_ne_u32_e64 s[18:19], 0, v2
	v_cmp_ne_u32_e64 s[20:21], 0, v3
	;; [unrolled: 1-line block ×7, first 2 shown]
	v_cndmask_b32_e64 v46, 0, 1, s[12:13]
	v_cmp_ne_u32_e64 s[38:39], 0, v40
	v_cmp_ne_u32_e64 s[46:47], 0, v44
	s_bcnt1_i32_b64 s12, s[18:19]
	s_bcnt1_i32_b64 s13, s[20:21]
	;; [unrolled: 1-line block ×7, first 2 shown]
	v_cmp_ne_u32_e64 s[22:23], 0, v4
	v_cmp_ne_u32_e64 s[30:31], 0, v18
	;; [unrolled: 1-line block ×4, first 2 shown]
	s_bcnt1_i32_b64 s25, s[38:39]
	s_bcnt1_i32_b64 s29, s[46:47]
	s_add_i32 s11, s11, s12
	s_add_i32 s10, s10, s20
	s_add_i32 s12, s75, s24
	s_add_i32 s20, s74, s28
	v_cmp_ne_u32_e64 s[34:35], 0, v19
	v_cmp_ne_u32_e64 s[42:43], 0, v42
	;; [unrolled: 1-line block ×3, first 2 shown]
	s_bcnt1_i32_b64 s18, s[22:23]
	s_bcnt1_i32_b64 s22, s[30:31]
	;; [unrolled: 1-line block ×4, first 2 shown]
	s_add_i32 s11, s11, s13
	s_add_i32 s10, s10, s21
	;; [unrolled: 1-line block ×4, first 2 shown]
	s_bcnt1_i32_b64 s23, s[34:35]
	s_bcnt1_i32_b64 s27, s[42:43]
	;; [unrolled: 1-line block ×3, first 2 shown]
	s_add_i32 s11, s11, s18
	s_add_i32 s10, s10, s22
	;; [unrolled: 1-line block ×8, first 2 shown]
	s_or_b64 s[82:83], vcc, s[82:83]
	v_mov_b32_e32 v2, s11
	v_mov_b32_e32 v3, s10
	;; [unrolled: 1-line block ×4, first 2 shown]
	s_andn2_b64 exec, exec, s[82:83]
	s_cbranch_execnz .LBB56_42
; %bb.43:                               ;   in Loop: Header=BB56_8 Depth=1
	s_or_b64 exec, exec, s[82:83]
.LBB56_44:                              ;   in Loop: Header=BB56_8 Depth=1
	s_or_b64 exec, exec, s[80:81]
	v_mov_b32_e32 v8, 0
	s_mov_b64 s[18:19], exec
	v_readlane_b32 s10, v52, 34
	v_readlane_b32 s11, v52, 35
	s_and_b64 s[10:11], s[18:19], s[10:11]
	s_mov_b64 exec, s[10:11]
	s_cbranch_execz .LBB56_46
; %bb.45:                               ;   in Loop: Header=BB56_8 Depth=1
	global_load_ushort v8, v[14:15], off
.LBB56_46:                              ;   in Loop: Header=BB56_8 Depth=1
	s_or_b64 exec, exec, s[18:19]
	s_mov_b64 s[20:21], 0
	s_mov_b64 s[80:81], 0
	s_and_saveexec_b64 s[22:23], s[14:15]
	s_cbranch_execz .LBB56_53
; %bb.47:                               ;   in Loop: Header=BB56_8 Depth=1
	s_and_b32 s10, s0, 0xfe
	s_mov_b64 s[24:25], 0
	v_mov_b32_e32 v16, v30
	v_mov_b32_e32 v18, v25
	s_branch .LBB56_49
.LBB56_48:                              ;   in Loop: Header=BB56_49 Depth=2
	s_or_b64 exec, exec, s[18:19]
	s_waitcnt vmcnt(0)
	v_cmp_lt_i16_e32 vcc, -1, v8
	v_cndmask_b32_e32 v19, v33, v34, vcc
	v_xor_b32_sdwa v19, v19, v8 dst_sel:DWORD dst_unused:UNUSED_PAD src0_sel:DWORD src1_sel:WORD_0
	v_cmp_o_f16_e32 vcc, v8, v8
	v_cndmask_b32_e32 v8, v33, v19, vcc
	v_and_b32_e32 v19, s72, v8
	v_bfe_u32 v8, v8, s10, 2
	v_cmp_eq_u32_e32 vcc, s73, v19
	v_cmp_eq_u32_e64 s[18:19], 0, v8
	s_and_b64 s[12:13], vcc, s[18:19]
	v_cndmask_b32_e64 v19, 0, 1, s[12:13]
	v_cmp_ne_u32_e64 s[18:19], 0, v19
	s_bcnt1_i32_b64 s11, s[18:19]
	v_cmp_eq_u32_e64 s[18:19], 1, v8
	s_and_b64 s[12:13], vcc, s[18:19]
	v_cndmask_b32_e64 v19, 0, 1, s[12:13]
	v_cmp_ne_u32_e64 s[18:19], 0, v19
	v_add_u32_e32 v2, s11, v2
	s_bcnt1_i32_b64 s11, s[18:19]
	v_cmp_eq_u32_e64 s[18:19], 2, v8
	s_and_b64 s[12:13], vcc, s[18:19]
	v_cndmask_b32_e64 v19, 0, 1, s[12:13]
	v_cmp_ne_u32_e64 s[18:19], 0, v19
	v_add_u32_e32 v3, s11, v3
	s_bcnt1_i32_b64 s11, s[18:19]
	v_cmp_eq_u32_e64 s[18:19], 3, v8
	s_and_b64 s[12:13], vcc, s[18:19]
	v_cndmask_b32_e64 v8, 0, 1, s[12:13]
	v_cmp_ne_u32_e32 vcc, 0, v8
	v_add_u32_e32 v4, s11, v4
	s_bcnt1_i32_b64 s11, vcc
	v_cmp_le_i32_e32 vcc, s60, v18
	v_add_u32_e32 v5, s11, v5
	v_add_u32_e32 v16, s79, v16
	s_or_b64 s[24:25], vcc, s[24:25]
	v_mov_b32_e32 v8, v17
	s_andn2_b64 exec, exec, s[24:25]
	s_cbranch_execz .LBB56_52
.LBB56_49:                              ;   Parent Loop BB56_8 Depth=1
                                        ; =>  This Inner Loop Header: Depth=2
	v_add_u32_e32 v18, s33, v18
	v_cmp_gt_u32_e32 vcc, s60, v18
	v_mov_b32_e32 v17, 0
	s_and_saveexec_b64 s[18:19], vcc
	s_cbranch_execz .LBB56_48
; %bb.50:                               ;   in Loop: Header=BB56_49 Depth=2
	v_ashrrev_i32_e32 v17, 31, v16
	v_lshlrev_b64 v[40:41], 1, v[16:17]
	v_mov_b32_e32 v17, s78
	v_add_co_u32_e32 v40, vcc, s62, v40
	v_addc_co_u32_e32 v41, vcc, v17, v41, vcc
	global_load_ushort v17, v[40:41], off
	s_branch .LBB56_48
.LBB56_51:                              ;   in Loop: Header=BB56_8 Depth=1
	s_mov_b64 s[80:81], 0
                                        ; implicit-def: $vgpr5
	s_cbranch_execnz .LBB56_54
	s_branch .LBB56_63
.LBB56_52:                              ;   in Loop: Header=BB56_8 Depth=1
	s_or_b64 exec, exec, s[24:25]
	s_mov_b64 s[80:81], exec
.LBB56_53:                              ;   in Loop: Header=BB56_8 Depth=1
	s_or_b64 exec, exec, s[22:23]
	s_and_b64 vcc, exec, s[20:21]
	s_cbranch_vccz .LBB56_63
.LBB56_54:                              ;   in Loop: Header=BB56_8 Depth=1
	s_mul_hi_u32 s10, s69, s6
	s_mul_i32 s10, s10, s7
	s_sub_i32 s10, s69, s10
	s_sub_i32 s11, s10, s7
	s_cmp_ge_u32 s10, s7
	s_cselect_b32 s10, s11, s10
	s_sub_i32 s11, s10, s7
	s_cmp_ge_u32 s10, s7
	s_cselect_b32 s10, s11, s10
	s_sub_i32 s10, s69, s10
	v_cmp_gt_u32_e32 vcc, s10, v20
	s_mov_b32 s74, 0
	s_waitcnt vmcnt(0)
	v_mov_b32_e32 v2, 0
	v_mov_b32_e32 v3, 0
	;; [unrolled: 1-line block ×4, first 2 shown]
	s_and_saveexec_b64 s[82:83], vcc
	s_cbranch_execz .LBB56_58
; %bb.55:                               ;   in Loop: Header=BB56_8 Depth=1
	s_and_b32 s11, s0, 0xfe
	s_mov_b64 s[84:85], 0
	v_mov_b32_e32 v8, v31
	s_mov_b32 s75, 0
	s_mov_b32 s12, 0
	;; [unrolled: 1-line block ×3, first 2 shown]
	v_mov_b32_e32 v16, v20
.LBB56_56:                              ;   Parent Loop BB56_8 Depth=1
                                        ; =>  This Inner Loop Header: Depth=2
	ds_read_b64 v[2:3], v8
	v_add_u32_e32 v16, s7, v16
	v_cmp_le_i32_e32 vcc, s10, v16
	v_add_u32_e32 v8, s17, v8
	s_waitcnt lgkmcnt(0)
	v_cmp_lt_i16_e64 s[18:19], -1, v2
	v_cndmask_b32_e64 v4, v33, v34, s[18:19]
	v_cmp_gt_i16_sdwa s[18:19], v2, v35 src0_sel:WORD_1 src1_sel:DWORD
	v_cndmask_b32_e64 v5, v33, v34, s[18:19]
	v_cmp_lt_i16_e64 s[18:19], -1, v3
	v_cndmask_b32_e64 v17, v33, v34, s[18:19]
	v_cmp_gt_i16_sdwa s[18:19], v3, v35 src0_sel:WORD_1 src1_sel:DWORD
	v_cndmask_b32_e64 v18, v33, v34, s[18:19]
	v_xor_b32_sdwa v17, v17, v3 dst_sel:DWORD dst_unused:UNUSED_PAD src0_sel:DWORD src1_sel:WORD_0
	v_cmp_o_f16_e64 s[20:21], v3, v3
	v_xor_b32_sdwa v18, v18, v3 dst_sel:DWORD dst_unused:UNUSED_PAD src0_sel:DWORD src1_sel:WORD_1
	v_cmp_o_f16_sdwa s[22:23], v3, v3 src0_sel:WORD_1 src1_sel:WORD_1
	v_xor_b32_sdwa v3, v4, v2 dst_sel:DWORD dst_unused:UNUSED_PAD src0_sel:DWORD src1_sel:WORD_0
	v_cmp_o_f16_e64 s[24:25], v2, v2
	v_xor_b32_sdwa v5, v5, v2 dst_sel:DWORD dst_unused:UNUSED_PAD src0_sel:DWORD src1_sel:WORD_1
	v_cmp_o_f16_sdwa s[18:19], v2, v2 src0_sel:WORD_1 src1_sel:WORD_1
	v_cndmask_b32_e64 v2, v33, v3, s[24:25]
	v_cndmask_b32_e64 v3, v33, v5, s[18:19]
	;; [unrolled: 1-line block ×3, first 2 shown]
	v_and_b32_e32 v17, s72, v2
	v_bfe_u32 v2, v2, s11, 2
	v_cndmask_b32_e64 v5, v33, v18, s[22:23]
	v_and_b32_e32 v18, s72, v3
	v_bfe_u32 v3, v3, s11, 2
	v_cmp_eq_u32_e64 s[18:19], s73, v17
	v_cmp_eq_u32_e64 s[26:27], 0, v2
	v_and_b32_e32 v19, s72, v4
	v_bfe_u32 v4, v4, s11, 2
	v_cmp_eq_u32_e64 s[20:21], s73, v18
	v_cmp_eq_u32_e64 s[28:29], 0, v3
	s_and_b64 s[26:27], s[18:19], s[26:27]
	v_and_b32_e32 v39, s72, v5
	v_bfe_u32 v5, v5, s11, 2
	v_cmp_eq_u32_e64 s[22:23], s73, v19
	v_cmp_eq_u32_e64 s[30:31], 0, v4
	;; [unrolled: 1-line block ×5, first 2 shown]
	v_cndmask_b32_e64 v2, 0, 1, s[26:27]
	s_and_b64 s[26:27], s[20:21], s[28:29]
	v_cmp_eq_u32_e64 s[24:25], s73, v39
	v_cmp_eq_u32_e64 s[34:35], 0, v5
	;; [unrolled: 1-line block ×5, first 2 shown]
	v_cndmask_b32_e64 v3, 0, 1, s[26:27]
	s_and_b64 s[26:27], s[22:23], s[30:31]
	v_cmp_eq_u32_e64 s[40:41], 1, v4
	v_cmp_eq_u32_e64 s[48:49], 2, v4
	v_cmp_eq_u32_e64 s[56:57], 3, v4
	v_cndmask_b32_e64 v4, 0, 1, s[26:27]
	s_and_b64 s[26:27], s[24:25], s[34:35]
	v_cmp_eq_u32_e64 s[42:43], 1, v5
	v_cmp_eq_u32_e64 s[50:51], 2, v5
	;; [unrolled: 1-line block ×3, first 2 shown]
	v_cndmask_b32_e64 v5, 0, 1, s[26:27]
	s_and_b64 s[26:27], s[18:19], s[36:37]
	v_cndmask_b32_e64 v17, 0, 1, s[26:27]
	s_and_b64 s[26:27], s[20:21], s[38:39]
	;; [unrolled: 2-line block ×5, first 2 shown]
	s_and_b64 s[18:19], s[18:19], s[52:53]
	v_cndmask_b32_e64 v40, 0, 1, s[26:27]
	s_and_b64 s[26:27], s[20:21], s[46:47]
	v_cndmask_b32_e64 v44, 0, 1, s[18:19]
	;; [unrolled: 2-line block ×7, first 2 shown]
	v_cndmask_b32_e64 v47, 0, 1, s[18:19]
	v_cmp_ne_u32_e64 s[18:19], 0, v2
	v_cmp_ne_u32_e64 s[20:21], 0, v3
	;; [unrolled: 1-line block ×11, first 2 shown]
	s_bcnt1_i32_b64 s18, s[18:19]
	s_bcnt1_i32_b64 s19, s[20:21]
	;; [unrolled: 1-line block ×8, first 2 shown]
	v_cmp_ne_u32_e64 s[34:35], 0, v39
	v_cmp_ne_u32_e64 s[40:41], 0, v42
	;; [unrolled: 1-line block ×3, first 2 shown]
	s_bcnt1_i32_b64 s23, s[28:29]
	s_bcnt1_i32_b64 s27, s[38:39]
	;; [unrolled: 1-line block ×3, first 2 shown]
	s_add_i32 s13, s13, s18
	s_add_i32 s12, s12, s22
	s_add_i32 s18, s75, s26
	s_add_i32 s22, s74, s30
	v_cmp_ne_u32_e64 s[42:43], 0, v43
	v_cmp_ne_u32_e64 s[50:51], 0, v47
	s_bcnt1_i32_b64 s25, s[34:35]
	s_bcnt1_i32_b64 s28, s[40:41]
	;; [unrolled: 1-line block ×3, first 2 shown]
	s_add_i32 s13, s13, s19
	s_add_i32 s12, s12, s23
	;; [unrolled: 1-line block ×4, first 2 shown]
	s_bcnt1_i32_b64 s29, s[42:43]
	s_bcnt1_i32_b64 s35, s[50:51]
	s_add_i32 s13, s13, s20
	s_add_i32 s12, s12, s24
	;; [unrolled: 1-line block ×8, first 2 shown]
	s_or_b64 s[84:85], vcc, s[84:85]
	v_mov_b32_e32 v2, s13
	v_mov_b32_e32 v3, s12
	;; [unrolled: 1-line block ×4, first 2 shown]
	s_andn2_b64 exec, exec, s[84:85]
	s_cbranch_execnz .LBB56_56
; %bb.57:                               ;   in Loop: Header=BB56_8 Depth=1
	s_or_b64 exec, exec, s[84:85]
.LBB56_58:                              ;   in Loop: Header=BB56_8 Depth=1
	s_or_b64 exec, exec, s[82:83]
	v_add_u32_e32 v8, s10, v0
	v_cmp_gt_i32_e32 vcc, s69, v8
	s_and_saveexec_b64 s[28:29], vcc
	s_cbranch_execz .LBB56_62
; %bb.59:                               ;   in Loop: Header=BB56_8 Depth=1
	s_and_b32 s10, s0, 0xfe
	v_lshlrev_b32_e32 v16, 1, v8
	s_mov_b64 s[30:31], 0
.LBB56_60:                              ;   Parent Loop BB56_8 Depth=1
                                        ; =>  This Inner Loop Header: Depth=2
	ds_read_u16 v17, v16
	v_add_u32_e32 v8, s33, v8
	v_cmp_le_i32_e32 vcc, s69, v8
	v_add_u32_e32 v16, s8, v16
	s_waitcnt lgkmcnt(0)
	v_cmp_lt_i16_e64 s[18:19], -1, v17
	v_cndmask_b32_e64 v18, v33, v34, s[18:19]
	v_xor_b32_sdwa v18, v18, v17 dst_sel:DWORD dst_unused:UNUSED_PAD src0_sel:DWORD src1_sel:WORD_0
	v_cmp_o_f16_e64 s[18:19], v17, v17
	v_cndmask_b32_e64 v17, v33, v18, s[18:19]
	v_and_b32_e32 v18, s72, v17
	v_bfe_u32 v17, v17, s10, 2
	v_cmp_eq_u32_e64 s[18:19], s73, v18
	v_cmp_eq_u32_e64 s[20:21], 0, v17
	;; [unrolled: 1-line block ×3, first 2 shown]
	s_and_b64 s[12:13], s[18:19], s[20:21]
	v_cmp_eq_u32_e64 s[24:25], 2, v17
	v_cmp_eq_u32_e64 s[26:27], 3, v17
	v_cndmask_b32_e64 v17, 0, 1, s[12:13]
	s_and_b64 s[12:13], s[18:19], s[22:23]
	v_cndmask_b32_e64 v18, 0, 1, s[12:13]
	s_and_b64 s[12:13], s[18:19], s[24:25]
	;; [unrolled: 2-line block ×3, first 2 shown]
	v_cndmask_b32_e64 v39, 0, 1, s[12:13]
	v_cmp_ne_u32_e64 s[18:19], 0, v17
	v_cmp_ne_u32_e64 s[20:21], 0, v18
	;; [unrolled: 1-line block ×4, first 2 shown]
	s_bcnt1_i32_b64 s11, s[18:19]
	s_bcnt1_i32_b64 s12, s[20:21]
	;; [unrolled: 1-line block ×4, first 2 shown]
	v_add_u32_e32 v2, s11, v2
	v_add_u32_e32 v3, s12, v3
	;; [unrolled: 1-line block ×3, first 2 shown]
	s_or_b64 s[30:31], vcc, s[30:31]
	v_add_u32_e32 v5, s18, v5
	s_andn2_b64 exec, exec, s[30:31]
	s_cbranch_execnz .LBB56_60
; %bb.61:                               ;   in Loop: Header=BB56_8 Depth=1
	s_or_b64 exec, exec, s[30:31]
	s_or_b64 s[80:81], s[80:81], exec
.LBB56_62:                              ;   in Loop: Header=BB56_8 Depth=1
	s_or_b64 exec, exec, s[28:29]
.LBB56_63:                              ;   in Loop: Header=BB56_8 Depth=1
	s_and_saveexec_b64 s[18:19], s[80:81]
	s_or_b64 exec, exec, s[18:19]
	s_lshl_b32 s10, s1, 6
	s_and_saveexec_b64 s[18:19], s[2:3]
	s_cbranch_execz .LBB56_65
; %bb.64:                               ;   in Loop: Header=BB56_8 Depth=1
	s_waitcnt vmcnt(0)
	v_or_b32_e32 v8, s10, v23
	v_lshlrev_b32_e32 v8, 2, v8
	ds_write_b128 v8, v[2:5] offset:3072
.LBB56_65:                              ;   in Loop: Header=BB56_8 Depth=1
	s_or_b64 exec, exec, s[18:19]
	s_waitcnt lgkmcnt(0)
	s_barrier
	s_and_saveexec_b64 s[18:19], s[70:71]
	s_cbranch_execz .LBB56_79
; %bb.66:                               ;   in Loop: Header=BB56_8 Depth=1
	v_readlane_b32 s12, v52, 12
	v_readlane_b32 s13, v52, 13
	v_add_u32_e32 v4, s10, v13
	s_andn2_b64 vcc, exec, s[12:13]
	s_waitcnt vmcnt(0)
	v_mov_b32_e32 v2, 0
	s_cbranch_vccnz .LBB56_78
; %bb.67:                               ;   in Loop: Header=BB56_8 Depth=1
	v_readlane_b32 s12, v52, 16
	v_readlane_b32 s13, v52, 17
	s_mov_b32 s11, 0
	s_and_b64 vcc, exec, s[12:13]
	v_mov_b32_e32 v2, 0
	s_cbranch_vccz .LBB56_71
; %bb.68:                               ;   in Loop: Header=BB56_8 Depth=1
	v_readlane_b32 s12, v52, 22
	v_readlane_b32 s13, v52, 23
	v_lshl_add_u32 v5, v4, 2, v36
	s_andn2_b64 vcc, exec, s[12:13]
	s_cbranch_vccnz .LBB56_72
; %bb.69:                               ;   in Loop: Header=BB56_8 Depth=1
	s_mov_b32 s21, 1
	s_mov_b32 s20, 0
	v_mov_b32_e32 v2, 0
	v_readlane_b32 s11, v52, 24
	v_mov_b32_e32 v3, 0
.LBB56_70:                              ;   Parent Loop BB56_8 Depth=1
                                        ; =>  This Inner Loop Header: Depth=2
	v_lshl_add_u32 v8, s20, 4, v5
	v_lshl_add_u32 v39, s21, 4, v5
	ds_read2_b32 v[16:17], v8 offset1:8
	ds_read2_b32 v[18:19], v39 offset1:8
	ds_read2_b32 v[40:41], v8 offset0:16 offset1:24
	ds_read2_b32 v[42:43], v39 offset0:16 offset1:24
	;; [unrolled: 1-line block ×6, first 2 shown]
	s_waitcnt lgkmcnt(7)
	v_add3_u32 v2, v16, v2, v17
	s_waitcnt lgkmcnt(6)
	v_add3_u32 v3, v18, v3, v19
	;; [unrolled: 2-line block ×3, first 2 shown]
	v_add3_u32 v2, v40, v2, v41
	s_add_i32 s21, s21, 16
	s_add_i32 s20, s20, 16
	s_add_i32 s11, s11, -8
	s_waitcnt lgkmcnt(3)
	v_add3_u32 v2, v44, v2, v45
	s_waitcnt lgkmcnt(2)
	v_add3_u32 v3, v46, v3, v47
	s_cmp_lg_u32 s11, 0
	s_waitcnt lgkmcnt(0)
	v_add3_u32 v3, v50, v3, v51
	v_add3_u32 v2, v48, v2, v49
	s_cbranch_scc1 .LBB56_70
	s_branch .LBB56_73
.LBB56_71:                              ;   in Loop: Header=BB56_8 Depth=1
	s_cbranch_execnz .LBB56_76
	s_branch .LBB56_78
.LBB56_72:                              ;   in Loop: Header=BB56_8 Depth=1
	s_mov_b32 s69, s68
	v_pk_mov_b32 v[2:3], s[68:69], s[68:69] op_sel:[0,1]
	s_mov_b32 s69, 1
	s_mov_b64 s[20:21], s[68:69]
.LBB56_73:                              ;   in Loop: Header=BB56_8 Depth=1
	v_readlane_b32 s12, v52, 26
	v_readlane_b32 s13, v52, 27
	s_andn2_b64 vcc, exec, s[12:13]
	v_readlane_b32 s11, v52, 25
	s_cbranch_vccnz .LBB56_75
.LBB56_74:                              ;   Parent Loop BB56_8 Depth=1
                                        ; =>  This Inner Loop Header: Depth=2
	v_lshl_add_u32 v8, s20, 4, v5
	v_lshl_add_u32 v16, s21, 4, v5
	ds_read_b32 v16, v16
	ds_read_b32 v8, v8
	s_add_i32 s21, s21, 2
	s_add_i32 s20, s20, 2
	s_add_i32 s11, s11, -1
	s_cmp_lg_u32 s11, 0
	s_waitcnt lgkmcnt(1)
	v_add_u32_e32 v3, v16, v3
	s_waitcnt lgkmcnt(0)
	v_add_u32_e32 v2, v8, v2
	s_cbranch_scc1 .LBB56_74
.LBB56_75:                              ;   in Loop: Header=BB56_8 Depth=1
	v_readlane_b32 s20, v52, 30
	v_add_u32_e32 v2, v2, v3
	v_readlane_b32 s11, v52, 29
	v_readlane_b32 s21, v52, 31
	s_and_b64 vcc, exec, s[20:21]
	s_cbranch_vccz .LBB56_78
.LBB56_76:                              ;   in Loop: Header=BB56_8 Depth=1
	s_lshl_b32 s12, s1, 8
	s_lshl_b32 s13, s11, 4
	s_add_i32 s12, s12, s13
	v_add_u32_e32 v3, s12, v32
	v_readlane_b32 s12, v52, 28
	s_sub_i32 s11, s12, s11
.LBB56_77:                              ;   Parent Loop BB56_8 Depth=1
                                        ; =>  This Inner Loop Header: Depth=2
	ds_read_b32 v5, v3
	s_add_i32 s11, s11, -1
	v_add_u32_e32 v3, 16, v3
	s_cmp_eq_u32 s11, 0
	s_waitcnt lgkmcnt(0)
	v_add_u32_e32 v2, v5, v2
	s_cbranch_scc0 .LBB56_77
.LBB56_78:                              ;   in Loop: Header=BB56_8 Depth=1
	v_lshlrev_b32_e32 v3, 2, v4
	ds_write_b32 v3, v2 offset:3072
.LBB56_79:                              ;   in Loop: Header=BB56_8 Depth=1
	s_or_b64 exec, exec, s[18:19]
	s_lshl_b32 s10, s10, 2
	s_waitcnt vmcnt(0)
	v_mov_b32_e32 v2, s10
	s_waitcnt lgkmcnt(0)
	s_barrier
	ds_read_b128 v[2:5], v2 offset:3072
	s_and_b32 s47, s0, 0xfe
	s_lshl_b32 s55, 3, s47
	s_not_b32 s48, s55
	s_mov_b64 s[22:23], -1
	s_waitcnt lgkmcnt(0)
	v_readfirstlane_b32 s34, v2
	s_cmp_eq_u32 s34, 1
	s_cselect_b64 s[10:11], -1, 0
	s_cmp_eq_u32 s61, 1
	s_cselect_b64 s[12:13], -1, 0
	s_and_b64 s[24:25], s[10:11], s[12:13]
	v_readfirstlane_b32 s38, v3
	v_readfirstlane_b32 s46, v4
	;; [unrolled: 1-line block ×3, first 2 shown]
	s_and_b64 vcc, exec, s[24:25]
	s_cbranch_vccz .LBB56_91
; %bb.80:                               ;   in Loop: Header=BB56_8 Depth=1
	ds_read_b32 v2, v9 offset:4096
	s_waitcnt lgkmcnt(0)
	s_barrier
	v_readfirstlane_b32 s10, v2
	s_and_saveexec_b64 s[18:19], s[4:5]
	s_cbranch_execz .LBB56_82
; %bb.81:                               ;   in Loop: Header=BB56_8 Depth=1
	ds_write_b16 v22, v9
.LBB56_82:                              ;   in Loop: Header=BB56_8 Depth=1
	s_or_b64 exec, exec, s[18:19]
	s_and_b32 s73, s73, s48
	s_or_b32 s72, s72, s55
	s_cmp_lt_i32 s10, 1
	s_waitcnt lgkmcnt(0)
	s_barrier
	s_cbranch_scc0 .LBB56_92
; %bb.83:                               ;   in Loop: Header=BB56_8 Depth=1
	s_mov_b64 s[18:19], 0
                                        ; implicit-def: $vgpr38
	s_mov_b64 s[20:21], exec
	v_readlane_b32 s12, v52, 37
	v_readlane_b32 s13, v52, 38
	s_and_b64 s[12:13], s[20:21], s[12:13]
	s_mov_b64 exec, s[12:13]
	s_cbranch_execz .LBB56_94
; %bb.84:                               ;   in Loop: Header=BB56_8 Depth=1
	s_mov_b64 s[26:27], 0
	v_mov_b32_e32 v2, v6
	v_mov_b32_e32 v4, v0
                                        ; implicit-def: $sgpr28_sgpr29
	s_branch .LBB56_86
.LBB56_85:                              ;   in Loop: Header=BB56_86 Depth=2
	s_or_b64 exec, exec, s[18:19]
	s_waitcnt lgkmcnt(0)
	s_barrier
	s_waitcnt vmcnt(0)
	ds_read_b32 v3, v9 offset:3072
	v_add_u32_e32 v4, s33, v4
	v_cmp_le_i32_e64 s[18:19], s77, v4
	v_add_u32_e32 v2, s79, v2
	s_waitcnt lgkmcnt(0)
	v_cmp_neq_f16_e32 vcc, 0, v3
	s_or_b64 s[12:13], s[18:19], vcc
	s_and_b64 s[12:13], exec, s[12:13]
	s_or_b64 s[26:27], s[12:13], s[26:27]
	s_andn2_b64 s[12:13], s[28:29], exec
	s_and_b64 s[18:19], vcc, exec
	s_or_b64 s[28:29], s[12:13], s[18:19]
	s_barrier
	s_andn2_b64 exec, exec, s[26:27]
	s_cbranch_execz .LBB56_93
.LBB56_86:                              ;   Parent Loop BB56_8 Depth=1
                                        ; =>  This Inner Loop Header: Depth=2
	v_cmp_gt_i32_e32 vcc, s60, v4
	v_mov_b32_e32 v3, 0
	s_and_saveexec_b64 s[30:31], vcc
	s_cbranch_execz .LBB56_88
; %bb.87:                               ;   in Loop: Header=BB56_86 Depth=2
	v_ashrrev_i32_e32 v3, 31, v2
	v_lshlrev_b64 v[16:17], 1, v[2:3]
	v_mov_b32_e32 v3, s78
	v_add_co_u32_e64 v16, s[18:19], s62, v16
	v_addc_co_u32_e64 v17, s[18:19], v3, v17, s[18:19]
	global_load_ushort v3, v[16:17], off
.LBB56_88:                              ;   in Loop: Header=BB56_86 Depth=2
	s_or_b64 exec, exec, s[30:31]
	s_and_saveexec_b64 s[18:19], vcc
	s_cbranch_execz .LBB56_85
; %bb.89:                               ;   in Loop: Header=BB56_86 Depth=2
	s_waitcnt vmcnt(0)
	v_cmp_lt_i16_e32 vcc, -1, v3
	v_cndmask_b32_e32 v5, v33, v34, vcc
	v_xor_b32_sdwa v5, v5, v3 dst_sel:DWORD dst_unused:UNUSED_PAD src0_sel:DWORD src1_sel:WORD_0
	v_cmp_o_f16_e32 vcc, v3, v3
	v_cndmask_b32_e32 v5, v33, v5, vcc
	v_and_b32_e32 v5, s72, v5
	v_cmp_eq_u32_e32 vcc, s73, v5
	s_and_b64 exec, exec, vcc
	s_cbranch_execz .LBB56_85
; %bb.90:                               ;   in Loop: Header=BB56_86 Depth=2
	v_perm_b32 v3, v3, s76, v37
	ds_write_b32 v9, v3 offset:3072
	s_branch .LBB56_85
.LBB56_91:                              ;   in Loop: Header=BB56_8 Depth=1
	s_mov_b64 s[18:19], -1
                                        ; implicit-def: $sgpr20_sgpr21
                                        ; implicit-def: $sgpr28_sgpr29
                                        ; implicit-def: $sgpr26_sgpr27
	s_branch .LBB56_105
.LBB56_92:                              ;   in Loop: Header=BB56_8 Depth=1
	s_mov_b64 s[20:21], -1
	s_mov_b64 s[18:19], 0
                                        ; implicit-def: $sgpr26_sgpr27
                                        ; implicit-def: $vgpr38
	s_mov_b64 s[28:29], s[20:21]
	s_cbranch_execnz .LBB56_95
	s_branch .LBB56_105
.LBB56_93:                              ;   in Loop: Header=BB56_8 Depth=1
	s_or_b64 exec, exec, s[26:27]
	v_lshrrev_b32_e32 v38, 16, v3
	s_and_b64 s[18:19], s[28:29], exec
.LBB56_94:                              ;   in Loop: Header=BB56_8 Depth=1
	s_or_b64 exec, exec, s[20:21]
	s_mov_b64 s[26:27], -1
	s_mov_b64 s[20:21], 0
	s_mov_b64 s[28:29], s[20:21]
	s_branch .LBB56_105
.LBB56_95:                              ;   in Loop: Header=BB56_8 Depth=1
	v_readlane_b32 s11, v52, 9
	s_add_i32 s11, s10, s11
	s_abs_i32 s13, s11
	v_readlane_b32 s18, v52, 36
	s_mul_hi_u32 s18, s13, s18
	s_mul_i32 s18, s18, s33
	s_sub_i32 s13, s13, s18
	s_ashr_i32 s12, s11, 31
	s_sub_i32 s18, s13, s33
	s_cmp_ge_u32 s13, s33
	s_cselect_b32 s13, s18, s13
	s_sub_i32 s18, s13, s33
	s_cmp_ge_u32 s13, s33
	s_cselect_b32 s13, s18, s13
	s_xor_b32 s13, s13, s12
	s_sub_i32 s12, s12, s13
	s_add_i32 s11, s11, s12
	v_cmp_gt_i32_e32 vcc, s11, v0
	s_mov_b64 s[18:19], 0
                                        ; implicit-def: $vgpr38
	s_and_saveexec_b64 s[20:21], vcc
	s_cbranch_execz .LBB56_104
; %bb.96:                               ;   in Loop: Header=BB56_8 Depth=1
	s_mov_b64 s[26:27], 0
	v_mov_b32_e32 v2, v21
	v_mov_b32_e32 v3, v0
                                        ; implicit-def: $sgpr28_sgpr29
	s_branch .LBB56_98
.LBB56_97:                              ;   in Loop: Header=BB56_98 Depth=2
	s_or_b64 exec, exec, s[18:19]
	s_waitcnt lgkmcnt(0)
	s_barrier
	ds_read_b32 v4, v9 offset:3072
	v_add_u32_e32 v3, s33, v3
	v_cmp_le_i32_e64 s[18:19], s11, v3
	v_add_u32_e32 v2, s8, v2
	s_waitcnt lgkmcnt(0)
	v_cmp_neq_f16_e32 vcc, 0, v4
	s_or_b64 s[12:13], s[18:19], vcc
	s_and_b64 s[12:13], exec, s[12:13]
	s_or_b64 s[26:27], s[12:13], s[26:27]
	s_andn2_b64 s[12:13], s[28:29], exec
	s_and_b64 s[18:19], vcc, exec
	s_or_b64 s[28:29], s[12:13], s[18:19]
	s_barrier
	s_andn2_b64 exec, exec, s[26:27]
	s_cbranch_execz .LBB56_103
.LBB56_98:                              ;   Parent Loop BB56_8 Depth=1
                                        ; =>  This Inner Loop Header: Depth=2
	v_cmp_gt_i32_e32 vcc, s10, v3
	v_mov_b32_e32 v4, 0
	s_and_saveexec_b64 s[18:19], vcc
	s_cbranch_execz .LBB56_100
; %bb.99:                               ;   in Loop: Header=BB56_98 Depth=2
	ds_read_u16 v4, v2
.LBB56_100:                             ;   in Loop: Header=BB56_98 Depth=2
	s_or_b64 exec, exec, s[18:19]
	s_and_saveexec_b64 s[18:19], vcc
	s_cbranch_execz .LBB56_97
; %bb.101:                              ;   in Loop: Header=BB56_98 Depth=2
	s_waitcnt lgkmcnt(0)
	v_cmp_lt_i16_e32 vcc, -1, v4
	v_cndmask_b32_e32 v5, v33, v34, vcc
	v_xor_b32_sdwa v5, v5, v4 dst_sel:DWORD dst_unused:UNUSED_PAD src0_sel:DWORD src1_sel:WORD_0
	v_cmp_o_f16_e32 vcc, v4, v4
	v_cndmask_b32_e32 v5, v33, v5, vcc
	v_and_b32_e32 v5, s72, v5
	v_cmp_eq_u32_e32 vcc, s73, v5
	s_and_b64 exec, exec, vcc
	s_cbranch_execz .LBB56_97
; %bb.102:                              ;   in Loop: Header=BB56_98 Depth=2
	v_perm_b32 v4, v4, s76, v37
	ds_write_b32 v9, v4 offset:3072
	s_branch .LBB56_97
.LBB56_103:                             ;   in Loop: Header=BB56_8 Depth=1
	s_or_b64 exec, exec, s[26:27]
	v_lshrrev_b32_e32 v38, 16, v4
	s_and_b64 s[18:19], s[28:29], exec
.LBB56_104:                             ;   in Loop: Header=BB56_8 Depth=1
	s_or_b64 exec, exec, s[20:21]
	s_mov_b64 s[28:29], -1
	s_mov_b64 s[20:21], 0
	s_mov_b64 s[26:27], 0
.LBB56_105:                             ;   in Loop: Header=BB56_8 Depth=1
	s_andn2_b64 s[10:11], s[66:67], exec
	s_and_b64 s[12:13], s[20:21], exec
	s_or_b64 s[66:67], s[10:11], s[12:13]
	s_andn2_b64 s[10:11], s[64:65], exec
	s_and_b64 s[12:13], s[28:29], exec
	s_or_b64 s[64:65], s[10:11], s[12:13]
	;; [unrolled: 3-line block ×3, first 2 shown]
	s_and_saveexec_b64 s[20:21], s[18:19]
	s_cbranch_execz .LBB56_7
; %bb.106:                              ;   in Loop: Header=BB56_8 Depth=1
	s_xor_b64 s[10:11], s[24:25], -1
	s_mov_b64 s[18:19], 0
	s_andn2_b64 vcc, exec, s[10:11]
	s_mov_b32 s39, 1
	s_cbranch_vccnz .LBB56_117
; %bb.107:                              ;   in Loop: Header=BB56_8 Depth=1
	s_cmp_gt_i32 s61, s34
	s_mov_b64 s[18:19], -1
                                        ; implicit-def: $sgpr57
                                        ; implicit-def: $sgpr10
                                        ; implicit-def: $sgpr11
	s_cbranch_scc1 .LBB56_113
; %bb.108:                              ;   in Loop: Header=BB56_8 Depth=1
	ds_read_b32 v2, v9 offset:4096
	s_waitcnt lgkmcnt(0)
	v_cmp_ne_u32_e32 vcc, 0, v2
	s_cbranch_vccnz .LBB56_112
; %bb.109:                              ;   in Loop: Header=BB56_8 Depth=1
	s_mov_b64 s[18:19], exec
	v_readlane_b32 s10, v52, 4
	v_readlane_b32 s11, v52, 5
	s_and_b64 s[10:11], s[18:19], s[10:11]
	s_mov_b64 exec, s[10:11]
	s_cbranch_execz .LBB56_111
; %bb.110:                              ;   in Loop: Header=BB56_8 Depth=1
	v_mov_b32_e32 v2, s34
	ds_write_b32 v9, v2 offset:4100
.LBB56_111:                             ;   in Loop: Header=BB56_8 Depth=1
	s_or_b64 exec, exec, s[18:19]
	s_waitcnt lgkmcnt(0)
	s_barrier
.LBB56_112:                             ;   in Loop: Header=BB56_8 Depth=1
	s_and_b32 s10, s73, s48
	s_or_b32 s11, s72, s55
	s_mov_b64 s[18:19], 0
	s_mov_b32 s57, 8
.LBB56_113:                             ;   in Loop: Header=BB56_8 Depth=1
	s_andn2_b64 vcc, exec, s[18:19]
	s_cbranch_vccnz .LBB56_115
; %bb.114:                              ;   in Loop: Header=BB56_8 Depth=1
	s_sub_i32 s61, s61, s34
	s_mov_b64 s[18:19], -1
	s_mov_b32 s57, 0
	s_mov_b32 s10, s73
	;; [unrolled: 1-line block ×3, first 2 shown]
.LBB56_115:                             ;   in Loop: Header=BB56_8 Depth=1
	s_mov_b32 s72, s11
	s_mov_b32 s73, s10
	;; [unrolled: 1-line block ×3, first 2 shown]
	s_mov_b64 s[22:23], -1
	s_and_b64 vcc, exec, s[18:19]
	s_cbranch_vccnz .LBB56_118
.LBB56_116:                             ;   in Loop: Header=BB56_8 Depth=1
	s_mov_b64 s[36:37], -1
                                        ; implicit-def: $sgpr24_sgpr25
                                        ; implicit-def: $sgpr28_sgpr29
                                        ; implicit-def: $sgpr26_sgpr27
	s_and_saveexec_b64 s[10:11], s[36:37]
	s_xor_b64 s[18:19], exec, s[10:11]
	s_cbranch_execz .LBB56_6
	s_branch .LBB56_241
.LBB56_117:                             ;   in Loop: Header=BB56_8 Depth=1
	s_mov_b32 s57, 1
	s_mov_b64 s[22:23], -1
	s_and_b64 vcc, exec, s[18:19]
	s_cbranch_vccz .LBB56_116
.LBB56_118:                             ;   in Loop: Header=BB56_8 Depth=1
	s_cmp_eq_u32 s38, 1
	s_cselect_b64 s[10:11], -1, 0
	s_cmp_eq_u32 s39, 1
	s_cselect_b64 s[12:13], -1, 0
	s_and_b64 s[34:35], s[10:11], s[12:13]
	s_mov_b64 s[18:19], -1
	s_and_b64 vcc, exec, s[34:35]
	s_cbranch_vccz .LBB56_130
; %bb.119:                              ;   in Loop: Header=BB56_8 Depth=1
	ds_read_b32 v2, v9 offset:4096
	s_waitcnt lgkmcnt(0)
	s_barrier
	v_readfirstlane_b32 s10, v2
	s_and_saveexec_b64 s[18:19], s[4:5]
	s_cbranch_execz .LBB56_121
; %bb.120:                              ;   in Loop: Header=BB56_8 Depth=1
	ds_write_b16 v22, v9
.LBB56_121:                             ;   in Loop: Header=BB56_8 Depth=1
	s_or_b64 exec, exec, s[18:19]
	s_lshl_b32 s11, 1, s47
	s_and_b32 s12, s73, s48
	s_or_b32 s73, s12, s11
	s_or_b32 s72, s72, s55
	s_cmp_gt_i32 s10, 0
	s_waitcnt lgkmcnt(0)
	s_barrier
	s_cbranch_scc1 .LBB56_131
; %bb.122:                              ;   in Loop: Header=BB56_8 Depth=1
	s_mov_b64 s[18:19], 0
                                        ; implicit-def: $vgpr38
	s_mov_b64 s[24:25], exec
	v_readlane_b32 s12, v52, 37
	v_readlane_b32 s13, v52, 38
	s_and_b64 s[12:13], s[24:25], s[12:13]
	s_mov_b64 exec, s[12:13]
	s_cbranch_execz .LBB56_133
; %bb.123:                              ;   in Loop: Header=BB56_8 Depth=1
	s_mov_b64 s[26:27], 0
	v_mov_b32_e32 v2, v6
	v_mov_b32_e32 v4, v0
                                        ; implicit-def: $sgpr28_sgpr29
	s_branch .LBB56_125
.LBB56_124:                             ;   in Loop: Header=BB56_125 Depth=2
	s_or_b64 exec, exec, s[18:19]
	s_waitcnt lgkmcnt(0)
	s_barrier
	s_waitcnt vmcnt(0)
	ds_read_b32 v3, v9 offset:3072
	v_add_u32_e32 v4, s33, v4
	v_cmp_le_i32_e64 s[18:19], s77, v4
	v_add_u32_e32 v2, s79, v2
	s_waitcnt lgkmcnt(0)
	v_cmp_neq_f16_e32 vcc, 0, v3
	s_or_b64 s[12:13], s[18:19], vcc
	s_and_b64 s[12:13], exec, s[12:13]
	s_or_b64 s[26:27], s[12:13], s[26:27]
	s_andn2_b64 s[12:13], s[28:29], exec
	s_and_b64 s[18:19], vcc, exec
	s_or_b64 s[28:29], s[12:13], s[18:19]
	s_barrier
	s_andn2_b64 exec, exec, s[26:27]
	s_cbranch_execz .LBB56_132
.LBB56_125:                             ;   Parent Loop BB56_8 Depth=1
                                        ; =>  This Inner Loop Header: Depth=2
	v_cmp_gt_i32_e32 vcc, s60, v4
	v_mov_b32_e32 v3, 0
	s_and_saveexec_b64 s[30:31], vcc
	s_cbranch_execz .LBB56_127
; %bb.126:                              ;   in Loop: Header=BB56_125 Depth=2
	v_ashrrev_i32_e32 v3, 31, v2
	v_lshlrev_b64 v[16:17], 1, v[2:3]
	v_mov_b32_e32 v3, s78
	v_add_co_u32_e64 v16, s[18:19], s62, v16
	v_addc_co_u32_e64 v17, s[18:19], v3, v17, s[18:19]
	global_load_ushort v3, v[16:17], off
.LBB56_127:                             ;   in Loop: Header=BB56_125 Depth=2
	s_or_b64 exec, exec, s[30:31]
	s_and_saveexec_b64 s[18:19], vcc
	s_cbranch_execz .LBB56_124
; %bb.128:                              ;   in Loop: Header=BB56_125 Depth=2
	s_waitcnt vmcnt(0)
	v_cmp_lt_i16_e32 vcc, -1, v3
	v_cndmask_b32_e32 v5, v33, v34, vcc
	v_xor_b32_sdwa v5, v5, v3 dst_sel:DWORD dst_unused:UNUSED_PAD src0_sel:DWORD src1_sel:WORD_0
	v_cmp_o_f16_e32 vcc, v3, v3
	v_cndmask_b32_e32 v5, v33, v5, vcc
	v_and_b32_e32 v5, s72, v5
	v_cmp_eq_u32_e32 vcc, s73, v5
	s_and_b64 exec, exec, vcc
	s_cbranch_execz .LBB56_124
; %bb.129:                              ;   in Loop: Header=BB56_125 Depth=2
	v_perm_b32 v3, v3, s76, v37
	ds_write_b32 v9, v3 offset:3072
	s_branch .LBB56_124
.LBB56_130:                             ;   in Loop: Header=BB56_8 Depth=1
                                        ; implicit-def: $sgpr26_sgpr27
                                        ; implicit-def: $sgpr28_sgpr29
                                        ; implicit-def: $sgpr24_sgpr25
	s_branch .LBB56_144
.LBB56_131:                             ;   in Loop: Header=BB56_8 Depth=1
	s_mov_b64 s[26:27], -1
	s_mov_b64 s[18:19], 0
                                        ; implicit-def: $sgpr24_sgpr25
                                        ; implicit-def: $vgpr38
	s_mov_b64 s[28:29], s[26:27]
	s_cbranch_execnz .LBB56_134
	s_branch .LBB56_144
.LBB56_132:                             ;   in Loop: Header=BB56_8 Depth=1
	s_or_b64 exec, exec, s[26:27]
	v_lshrrev_b32_e32 v38, 16, v3
	s_and_b64 s[18:19], s[28:29], exec
.LBB56_133:                             ;   in Loop: Header=BB56_8 Depth=1
	s_or_b64 exec, exec, s[24:25]
	s_mov_b64 s[24:25], -1
	s_mov_b64 s[26:27], 0
	s_mov_b64 s[28:29], s[26:27]
	s_branch .LBB56_144
.LBB56_134:                             ;   in Loop: Header=BB56_8 Depth=1
	v_readlane_b32 s11, v52, 9
	s_add_i32 s11, s10, s11
	s_abs_i32 s13, s11
	v_readlane_b32 s18, v52, 36
	s_mul_hi_u32 s18, s13, s18
	s_mul_i32 s18, s18, s33
	s_sub_i32 s13, s13, s18
	s_ashr_i32 s12, s11, 31
	s_sub_i32 s18, s13, s33
	s_cmp_ge_u32 s13, s33
	s_cselect_b32 s13, s18, s13
	s_sub_i32 s18, s13, s33
	s_cmp_ge_u32 s13, s33
	s_cselect_b32 s13, s18, s13
	s_xor_b32 s13, s13, s12
	s_sub_i32 s12, s12, s13
	s_add_i32 s11, s11, s12
	v_cmp_gt_i32_e32 vcc, s11, v0
	s_mov_b64 s[18:19], 0
                                        ; implicit-def: $vgpr38
	s_and_saveexec_b64 s[24:25], vcc
	s_cbranch_execz .LBB56_143
; %bb.135:                              ;   in Loop: Header=BB56_8 Depth=1
	s_mov_b64 s[26:27], 0
	v_mov_b32_e32 v2, v21
	v_mov_b32_e32 v3, v0
                                        ; implicit-def: $sgpr28_sgpr29
	s_branch .LBB56_137
.LBB56_136:                             ;   in Loop: Header=BB56_137 Depth=2
	s_or_b64 exec, exec, s[18:19]
	s_waitcnt lgkmcnt(0)
	s_barrier
	ds_read_b32 v4, v9 offset:3072
	v_add_u32_e32 v3, s33, v3
	v_cmp_le_i32_e64 s[18:19], s11, v3
	v_add_u32_e32 v2, s8, v2
	s_waitcnt lgkmcnt(0)
	v_cmp_neq_f16_e32 vcc, 0, v4
	s_or_b64 s[12:13], s[18:19], vcc
	s_and_b64 s[12:13], exec, s[12:13]
	s_or_b64 s[26:27], s[12:13], s[26:27]
	s_andn2_b64 s[12:13], s[28:29], exec
	s_and_b64 s[18:19], vcc, exec
	s_or_b64 s[28:29], s[12:13], s[18:19]
	s_barrier
	s_andn2_b64 exec, exec, s[26:27]
	s_cbranch_execz .LBB56_142
.LBB56_137:                             ;   Parent Loop BB56_8 Depth=1
                                        ; =>  This Inner Loop Header: Depth=2
	v_cmp_gt_i32_e32 vcc, s10, v3
	v_mov_b32_e32 v4, 0
	s_and_saveexec_b64 s[18:19], vcc
	s_cbranch_execz .LBB56_139
; %bb.138:                              ;   in Loop: Header=BB56_137 Depth=2
	ds_read_u16 v4, v2
.LBB56_139:                             ;   in Loop: Header=BB56_137 Depth=2
	s_or_b64 exec, exec, s[18:19]
	s_and_saveexec_b64 s[18:19], vcc
	s_cbranch_execz .LBB56_136
; %bb.140:                              ;   in Loop: Header=BB56_137 Depth=2
	s_waitcnt lgkmcnt(0)
	v_cmp_lt_i16_e32 vcc, -1, v4
	v_cndmask_b32_e32 v5, v33, v34, vcc
	v_xor_b32_sdwa v5, v5, v4 dst_sel:DWORD dst_unused:UNUSED_PAD src0_sel:DWORD src1_sel:WORD_0
	v_cmp_o_f16_e32 vcc, v4, v4
	v_cndmask_b32_e32 v5, v33, v5, vcc
	v_and_b32_e32 v5, s72, v5
	v_cmp_eq_u32_e32 vcc, s73, v5
	s_and_b64 exec, exec, vcc
	s_cbranch_execz .LBB56_136
; %bb.141:                              ;   in Loop: Header=BB56_137 Depth=2
	v_perm_b32 v4, v4, s76, v37
	ds_write_b32 v9, v4 offset:3072
	s_branch .LBB56_136
.LBB56_142:                             ;   in Loop: Header=BB56_8 Depth=1
	s_or_b64 exec, exec, s[26:27]
	v_lshrrev_b32_e32 v38, 16, v4
	s_and_b64 s[18:19], s[28:29], exec
.LBB56_143:                             ;   in Loop: Header=BB56_8 Depth=1
	s_or_b64 exec, exec, s[24:25]
	s_mov_b64 s[28:29], -1
	s_mov_b64 s[26:27], 0
	s_mov_b64 s[24:25], 0
.LBB56_144:                             ;   in Loop: Header=BB56_8 Depth=1
	s_mov_b64 s[36:37], 0
                                        ; implicit-def: $sgpr57
	s_and_saveexec_b64 s[30:31], s[18:19]
	s_cbranch_execz .LBB56_240
; %bb.145:                              ;   in Loop: Header=BB56_8 Depth=1
	s_xor_b64 s[10:11], s[34:35], -1
	s_mov_b64 s[18:19], 0
	s_andn2_b64 vcc, exec, s[10:11]
	s_mov_b32 s49, 1
	s_cbranch_vccnz .LBB56_156
; %bb.146:                              ;   in Loop: Header=BB56_8 Depth=1
	s_cmp_gt_i32 s39, s38
	s_mov_b64 s[18:19], -1
                                        ; implicit-def: $sgpr57
                                        ; implicit-def: $sgpr10
                                        ; implicit-def: $sgpr11
	s_cbranch_scc1 .LBB56_152
; %bb.147:                              ;   in Loop: Header=BB56_8 Depth=1
	ds_read_b32 v2, v9 offset:4096
	s_waitcnt lgkmcnt(0)
	v_cmp_ne_u32_e32 vcc, 0, v2
	s_cbranch_vccnz .LBB56_151
; %bb.148:                              ;   in Loop: Header=BB56_8 Depth=1
	s_mov_b64 s[18:19], exec
	v_readlane_b32 s10, v52, 4
	v_readlane_b32 s11, v52, 5
	s_and_b64 s[10:11], s[18:19], s[10:11]
	s_mov_b64 exec, s[10:11]
	s_cbranch_execz .LBB56_150
; %bb.149:                              ;   in Loop: Header=BB56_8 Depth=1
	v_mov_b32_e32 v2, s38
	ds_write_b32 v9, v2 offset:4100
.LBB56_150:                             ;   in Loop: Header=BB56_8 Depth=1
	s_or_b64 exec, exec, s[18:19]
	s_waitcnt lgkmcnt(0)
	s_barrier
.LBB56_151:                             ;   in Loop: Header=BB56_8 Depth=1
	s_lshl_b32 s10, 1, s47
	s_and_b32 s11, s73, s48
	s_or_b32 s10, s11, s10
	s_or_b32 s11, s72, s55
	s_mov_b64 s[18:19], 0
	s_mov_b32 s57, 8
.LBB56_152:                             ;   in Loop: Header=BB56_8 Depth=1
	s_andn2_b64 vcc, exec, s[18:19]
	s_cbranch_vccnz .LBB56_154
; %bb.153:                              ;   in Loop: Header=BB56_8 Depth=1
	s_sub_i32 s39, s39, s38
	s_mov_b64 s[18:19], -1
	s_mov_b32 s57, 0
	s_mov_b32 s10, s73
	;; [unrolled: 1-line block ×3, first 2 shown]
.LBB56_154:                             ;   in Loop: Header=BB56_8 Depth=1
	s_mov_b32 s72, s11
	s_mov_b32 s73, s10
	;; [unrolled: 1-line block ×3, first 2 shown]
	s_andn2_b64 vcc, exec, s[18:19]
	s_mov_b64 s[44:45], -1
	s_cbranch_vccz .LBB56_157
.LBB56_155:                             ;   in Loop: Header=BB56_8 Depth=1
                                        ; implicit-def: $sgpr36_sgpr37
                                        ; implicit-def: $sgpr38_sgpr39
                                        ; implicit-def: $sgpr34_sgpr35
	s_branch .LBB56_239
.LBB56_156:                             ;   in Loop: Header=BB56_8 Depth=1
	s_mov_b32 s57, 1
	s_andn2_b64 vcc, exec, s[18:19]
	s_mov_b64 s[44:45], -1
	s_cbranch_vccnz .LBB56_155
.LBB56_157:                             ;   in Loop: Header=BB56_8 Depth=1
	s_cmp_eq_u32 s46, 1
	s_cselect_b64 s[10:11], -1, 0
	s_cmp_eq_u32 s49, 1
	s_cselect_b64 s[12:13], -1, 0
	s_and_b64 s[42:43], s[10:11], s[12:13]
	s_mov_b64 s[18:19], -1
	s_and_b64 vcc, exec, s[42:43]
	s_cbranch_vccz .LBB56_169
; %bb.158:                              ;   in Loop: Header=BB56_8 Depth=1
	ds_read_b32 v2, v9 offset:4096
	s_waitcnt lgkmcnt(0)
	s_barrier
	v_readfirstlane_b32 s10, v2
	s_and_saveexec_b64 s[18:19], s[4:5]
	s_cbranch_execz .LBB56_160
; %bb.159:                              ;   in Loop: Header=BB56_8 Depth=1
	ds_write_b16 v22, v9
.LBB56_160:                             ;   in Loop: Header=BB56_8 Depth=1
	s_or_b64 exec, exec, s[18:19]
	s_lshl_b32 s11, 2, s47
	s_and_b32 s12, s73, s48
	s_or_b32 s73, s12, s11
	s_or_b32 s72, s72, s55
	s_cmp_gt_i32 s10, 0
	s_waitcnt lgkmcnt(0)
	s_barrier
	s_cbranch_scc1 .LBB56_170
; %bb.161:                              ;   in Loop: Header=BB56_8 Depth=1
	s_mov_b64 s[18:19], 0
                                        ; implicit-def: $vgpr38
	s_mov_b64 s[34:35], exec
	v_readlane_b32 s12, v52, 37
	v_readlane_b32 s13, v52, 38
	s_and_b64 s[12:13], s[34:35], s[12:13]
	s_mov_b64 exec, s[12:13]
	s_cbranch_execz .LBB56_172
; %bb.162:                              ;   in Loop: Header=BB56_8 Depth=1
	v_mov_b32_e32 v2, v6
	v_mov_b32_e32 v4, v0
                                        ; implicit-def: $sgpr38_sgpr39
	s_branch .LBB56_164
.LBB56_163:                             ;   in Loop: Header=BB56_164 Depth=2
	s_or_b64 exec, exec, s[18:19]
	s_waitcnt lgkmcnt(0)
	s_barrier
	s_waitcnt vmcnt(0)
	ds_read_b32 v3, v9 offset:3072
	v_add_u32_e32 v4, s33, v4
	v_cmp_le_i32_e64 s[18:19], s77, v4
	v_add_u32_e32 v2, s79, v2
	s_waitcnt lgkmcnt(0)
	v_cmp_neq_f16_e32 vcc, 0, v3
	s_or_b64 s[12:13], s[18:19], vcc
	s_and_b64 s[12:13], exec, s[12:13]
	s_or_b64 s[36:37], s[12:13], s[36:37]
	s_andn2_b64 s[12:13], s[38:39], exec
	s_and_b64 s[18:19], vcc, exec
	s_or_b64 s[38:39], s[12:13], s[18:19]
	s_barrier
	s_andn2_b64 exec, exec, s[36:37]
	s_cbranch_execz .LBB56_171
.LBB56_164:                             ;   Parent Loop BB56_8 Depth=1
                                        ; =>  This Inner Loop Header: Depth=2
	v_cmp_gt_i32_e32 vcc, s60, v4
	v_mov_b32_e32 v3, 0
	s_and_saveexec_b64 s[40:41], vcc
	s_cbranch_execz .LBB56_166
; %bb.165:                              ;   in Loop: Header=BB56_164 Depth=2
	v_ashrrev_i32_e32 v3, 31, v2
	v_lshlrev_b64 v[16:17], 1, v[2:3]
	v_mov_b32_e32 v3, s78
	v_add_co_u32_e64 v16, s[18:19], s62, v16
	v_addc_co_u32_e64 v17, s[18:19], v3, v17, s[18:19]
	global_load_ushort v3, v[16:17], off
.LBB56_166:                             ;   in Loop: Header=BB56_164 Depth=2
	s_or_b64 exec, exec, s[40:41]
	s_and_saveexec_b64 s[18:19], vcc
	s_cbranch_execz .LBB56_163
; %bb.167:                              ;   in Loop: Header=BB56_164 Depth=2
	s_waitcnt vmcnt(0)
	v_cmp_lt_i16_e32 vcc, -1, v3
	v_cndmask_b32_e32 v5, v33, v34, vcc
	v_xor_b32_sdwa v5, v5, v3 dst_sel:DWORD dst_unused:UNUSED_PAD src0_sel:DWORD src1_sel:WORD_0
	v_cmp_o_f16_e32 vcc, v3, v3
	v_cndmask_b32_e32 v5, v33, v5, vcc
	v_and_b32_e32 v5, s72, v5
	v_cmp_eq_u32_e32 vcc, s73, v5
	s_and_b64 exec, exec, vcc
	s_cbranch_execz .LBB56_163
; %bb.168:                              ;   in Loop: Header=BB56_164 Depth=2
	v_perm_b32 v3, v3, s76, v37
	ds_write_b32 v9, v3 offset:3072
	s_branch .LBB56_163
.LBB56_169:                             ;   in Loop: Header=BB56_8 Depth=1
                                        ; implicit-def: $sgpr34_sgpr35
                                        ; implicit-def: $sgpr38_sgpr39
                                        ; implicit-def: $sgpr36_sgpr37
	s_branch .LBB56_183
.LBB56_170:                             ;   in Loop: Header=BB56_8 Depth=1
	s_mov_b64 s[34:35], -1
	s_mov_b64 s[18:19], 0
                                        ; implicit-def: $sgpr36_sgpr37
                                        ; implicit-def: $vgpr38
	s_mov_b64 s[38:39], s[34:35]
	s_cbranch_execnz .LBB56_173
	s_branch .LBB56_183
.LBB56_171:                             ;   in Loop: Header=BB56_8 Depth=1
	s_or_b64 exec, exec, s[36:37]
	v_lshrrev_b32_e32 v38, 16, v3
	s_and_b64 s[18:19], s[38:39], exec
.LBB56_172:                             ;   in Loop: Header=BB56_8 Depth=1
	s_or_b64 exec, exec, s[34:35]
	s_mov_b64 s[36:37], -1
	s_mov_b64 s[34:35], 0
	s_mov_b64 s[38:39], s[34:35]
	s_branch .LBB56_183
.LBB56_173:                             ;   in Loop: Header=BB56_8 Depth=1
	v_readlane_b32 s11, v52, 9
	s_add_i32 s11, s10, s11
	s_abs_i32 s13, s11
	v_readlane_b32 s18, v52, 36
	s_mul_hi_u32 s18, s13, s18
	s_mul_i32 s18, s18, s33
	s_sub_i32 s13, s13, s18
	s_ashr_i32 s12, s11, 31
	s_sub_i32 s18, s13, s33
	s_cmp_ge_u32 s13, s33
	s_cselect_b32 s13, s18, s13
	s_sub_i32 s18, s13, s33
	s_cmp_ge_u32 s13, s33
	s_cselect_b32 s13, s18, s13
	s_xor_b32 s13, s13, s12
	s_sub_i32 s12, s12, s13
	s_add_i32 s11, s11, s12
	v_cmp_gt_i32_e32 vcc, s11, v0
	s_mov_b64 s[18:19], 0
                                        ; implicit-def: $vgpr38
	s_and_saveexec_b64 s[34:35], vcc
	s_cbranch_execz .LBB56_182
; %bb.174:                              ;   in Loop: Header=BB56_8 Depth=1
	s_mov_b64 s[36:37], 0
	v_mov_b32_e32 v2, v21
	v_mov_b32_e32 v3, v0
                                        ; implicit-def: $sgpr38_sgpr39
	s_branch .LBB56_176
.LBB56_175:                             ;   in Loop: Header=BB56_176 Depth=2
	s_or_b64 exec, exec, s[18:19]
	s_waitcnt lgkmcnt(0)
	s_barrier
	ds_read_b32 v4, v9 offset:3072
	v_add_u32_e32 v3, s33, v3
	v_cmp_le_i32_e64 s[18:19], s11, v3
	v_add_u32_e32 v2, s8, v2
	s_waitcnt lgkmcnt(0)
	v_cmp_neq_f16_e32 vcc, 0, v4
	s_or_b64 s[12:13], s[18:19], vcc
	s_and_b64 s[12:13], exec, s[12:13]
	s_or_b64 s[36:37], s[12:13], s[36:37]
	s_andn2_b64 s[12:13], s[38:39], exec
	s_and_b64 s[18:19], vcc, exec
	s_or_b64 s[38:39], s[12:13], s[18:19]
	s_barrier
	s_andn2_b64 exec, exec, s[36:37]
	s_cbranch_execz .LBB56_181
.LBB56_176:                             ;   Parent Loop BB56_8 Depth=1
                                        ; =>  This Inner Loop Header: Depth=2
	v_cmp_gt_i32_e32 vcc, s10, v3
	v_mov_b32_e32 v4, 0
	s_and_saveexec_b64 s[18:19], vcc
	s_cbranch_execz .LBB56_178
; %bb.177:                              ;   in Loop: Header=BB56_176 Depth=2
	ds_read_u16 v4, v2
.LBB56_178:                             ;   in Loop: Header=BB56_176 Depth=2
	s_or_b64 exec, exec, s[18:19]
	s_and_saveexec_b64 s[18:19], vcc
	s_cbranch_execz .LBB56_175
; %bb.179:                              ;   in Loop: Header=BB56_176 Depth=2
	s_waitcnt lgkmcnt(0)
	v_cmp_lt_i16_e32 vcc, -1, v4
	v_cndmask_b32_e32 v5, v33, v34, vcc
	v_xor_b32_sdwa v5, v5, v4 dst_sel:DWORD dst_unused:UNUSED_PAD src0_sel:DWORD src1_sel:WORD_0
	v_cmp_o_f16_e32 vcc, v4, v4
	v_cndmask_b32_e32 v5, v33, v5, vcc
	v_and_b32_e32 v5, s72, v5
	v_cmp_eq_u32_e32 vcc, s73, v5
	s_and_b64 exec, exec, vcc
	s_cbranch_execz .LBB56_175
; %bb.180:                              ;   in Loop: Header=BB56_176 Depth=2
	v_perm_b32 v4, v4, s76, v37
	ds_write_b32 v9, v4 offset:3072
	s_branch .LBB56_175
.LBB56_181:                             ;   in Loop: Header=BB56_8 Depth=1
	s_or_b64 exec, exec, s[36:37]
	v_lshrrev_b32_e32 v38, 16, v4
	s_and_b64 s[18:19], s[38:39], exec
.LBB56_182:                             ;   in Loop: Header=BB56_8 Depth=1
	s_or_b64 exec, exec, s[34:35]
	s_mov_b64 s[38:39], -1
	s_mov_b64 s[34:35], 0
	s_mov_b64 s[36:37], 0
.LBB56_183:                             ;   in Loop: Header=BB56_8 Depth=1
	s_mov_b64 s[44:45], 0
                                        ; implicit-def: $sgpr57
	s_and_saveexec_b64 s[40:41], s[18:19]
	s_cbranch_execz .LBB56_238
; %bb.184:                              ;   in Loop: Header=BB56_8 Depth=1
	s_xor_b64 s[10:11], s[42:43], -1
	s_mov_b64 s[18:19], 0
	s_andn2_b64 vcc, exec, s[10:11]
	s_mov_b32 s56, 1
	s_cbranch_vccnz .LBB56_195
; %bb.185:                              ;   in Loop: Header=BB56_8 Depth=1
	s_cmp_gt_i32 s49, s46
	s_mov_b64 s[18:19], -1
                                        ; implicit-def: $sgpr57
                                        ; implicit-def: $sgpr10
                                        ; implicit-def: $sgpr11
	s_cbranch_scc1 .LBB56_191
; %bb.186:                              ;   in Loop: Header=BB56_8 Depth=1
	ds_read_b32 v2, v9 offset:4096
	s_waitcnt lgkmcnt(0)
	v_cmp_ne_u32_e32 vcc, 0, v2
	s_cbranch_vccnz .LBB56_190
; %bb.187:                              ;   in Loop: Header=BB56_8 Depth=1
	s_mov_b64 s[18:19], exec
	v_readlane_b32 s10, v52, 4
	v_readlane_b32 s11, v52, 5
	s_and_b64 s[10:11], s[18:19], s[10:11]
	s_mov_b64 exec, s[10:11]
	s_cbranch_execz .LBB56_189
; %bb.188:                              ;   in Loop: Header=BB56_8 Depth=1
	v_mov_b32_e32 v2, s46
	ds_write_b32 v9, v2 offset:4100
.LBB56_189:                             ;   in Loop: Header=BB56_8 Depth=1
	s_or_b64 exec, exec, s[18:19]
	s_waitcnt lgkmcnt(0)
	s_barrier
.LBB56_190:                             ;   in Loop: Header=BB56_8 Depth=1
	s_lshl_b32 s10, 2, s47
	s_and_b32 s11, s73, s48
	s_or_b32 s10, s11, s10
	s_or_b32 s11, s72, s55
	s_mov_b64 s[18:19], 0
	s_mov_b32 s57, 8
.LBB56_191:                             ;   in Loop: Header=BB56_8 Depth=1
	s_andn2_b64 vcc, exec, s[18:19]
	s_cbranch_vccnz .LBB56_193
; %bb.192:                              ;   in Loop: Header=BB56_8 Depth=1
	s_sub_i32 s49, s49, s46
	s_mov_b64 s[18:19], -1
	s_mov_b32 s57, 0
	s_mov_b32 s10, s73
	;; [unrolled: 1-line block ×3, first 2 shown]
.LBB56_193:                             ;   in Loop: Header=BB56_8 Depth=1
	s_mov_b32 s72, s11
	s_mov_b32 s73, s10
	s_mov_b32 s56, s49
	s_andn2_b64 vcc, exec, s[18:19]
	s_mov_b64 s[52:53], -1
	s_cbranch_vccz .LBB56_196
.LBB56_194:                             ;   in Loop: Header=BB56_8 Depth=1
                                        ; implicit-def: $sgpr18_sgpr19
                                        ; implicit-def: $sgpr46_sgpr47
                                        ; implicit-def: $sgpr44_sgpr45
	s_branch .LBB56_237
.LBB56_195:                             ;   in Loop: Header=BB56_8 Depth=1
	s_mov_b32 s57, 1
	s_andn2_b64 vcc, exec, s[18:19]
	s_mov_b64 s[52:53], -1
	s_cbranch_vccnz .LBB56_194
.LBB56_196:                             ;   in Loop: Header=BB56_8 Depth=1
	s_cmp_eq_u32 s54, 1
	s_cselect_b64 s[10:11], -1, 0
	s_cmp_eq_u32 s56, 1
	s_cselect_b64 s[12:13], -1, 0
	s_and_b64 s[42:43], s[10:11], s[12:13]
	s_mov_b64 s[48:49], -1
	s_and_b64 vcc, exec, s[42:43]
	s_cbranch_vccz .LBB56_208
; %bb.197:                              ;   in Loop: Header=BB56_8 Depth=1
	ds_read_b32 v2, v9 offset:4096
	s_waitcnt lgkmcnt(0)
	s_barrier
	v_readfirstlane_b32 s10, v2
	s_and_saveexec_b64 s[18:19], s[4:5]
	s_cbranch_execz .LBB56_199
; %bb.198:                              ;   in Loop: Header=BB56_8 Depth=1
	ds_write_b16 v22, v9
.LBB56_199:                             ;   in Loop: Header=BB56_8 Depth=1
	s_or_b64 exec, exec, s[18:19]
	s_or_b32 s73, s73, s55
	s_or_b32 s72, s72, s55
	s_cmp_gt_i32 s10, 0
	s_waitcnt lgkmcnt(0)
	s_barrier
	s_cbranch_scc1 .LBB56_209
; %bb.200:                              ;   in Loop: Header=BB56_8 Depth=1
	s_mov_b64 s[48:49], 0
                                        ; implicit-def: $vgpr38
	s_mov_b64 s[44:45], exec
	v_readlane_b32 s12, v52, 37
	v_readlane_b32 s13, v52, 38
	s_and_b64 s[12:13], s[44:45], s[12:13]
	s_mov_b64 exec, s[12:13]
	s_cbranch_execz .LBB56_211
; %bb.201:                              ;   in Loop: Header=BB56_8 Depth=1
	s_mov_b64 s[46:47], 0
	v_mov_b32_e32 v2, v6
	v_mov_b32_e32 v4, v0
                                        ; implicit-def: $sgpr48_sgpr49
	s_branch .LBB56_203
.LBB56_202:                             ;   in Loop: Header=BB56_203 Depth=2
	s_or_b64 exec, exec, s[18:19]
	s_waitcnt lgkmcnt(0)
	s_barrier
	s_waitcnt vmcnt(0)
	ds_read_b32 v3, v9 offset:3072
	v_add_u32_e32 v4, s33, v4
	v_cmp_le_i32_e64 s[18:19], s77, v4
	v_add_u32_e32 v2, s79, v2
	s_waitcnt lgkmcnt(0)
	v_cmp_neq_f16_e32 vcc, 0, v3
	s_or_b64 s[12:13], s[18:19], vcc
	s_and_b64 s[12:13], exec, s[12:13]
	s_or_b64 s[46:47], s[12:13], s[46:47]
	s_andn2_b64 s[12:13], s[48:49], exec
	s_and_b64 s[18:19], vcc, exec
	s_or_b64 s[48:49], s[12:13], s[18:19]
	s_barrier
	s_andn2_b64 exec, exec, s[46:47]
	s_cbranch_execz .LBB56_210
.LBB56_203:                             ;   Parent Loop BB56_8 Depth=1
                                        ; =>  This Inner Loop Header: Depth=2
	v_cmp_gt_i32_e32 vcc, s60, v4
	v_mov_b32_e32 v3, 0
	s_and_saveexec_b64 s[50:51], vcc
	s_cbranch_execz .LBB56_205
; %bb.204:                              ;   in Loop: Header=BB56_203 Depth=2
	v_ashrrev_i32_e32 v3, 31, v2
	v_lshlrev_b64 v[16:17], 1, v[2:3]
	v_mov_b32_e32 v3, s78
	v_add_co_u32_e64 v16, s[18:19], s62, v16
	v_addc_co_u32_e64 v17, s[18:19], v3, v17, s[18:19]
	global_load_ushort v3, v[16:17], off
.LBB56_205:                             ;   in Loop: Header=BB56_203 Depth=2
	s_or_b64 exec, exec, s[50:51]
	s_and_saveexec_b64 s[18:19], vcc
	s_cbranch_execz .LBB56_202
; %bb.206:                              ;   in Loop: Header=BB56_203 Depth=2
	s_waitcnt vmcnt(0)
	v_cmp_lt_i16_e32 vcc, -1, v3
	v_cndmask_b32_e32 v5, v33, v34, vcc
	v_xor_b32_sdwa v5, v5, v3 dst_sel:DWORD dst_unused:UNUSED_PAD src0_sel:DWORD src1_sel:WORD_0
	v_cmp_o_f16_e32 vcc, v3, v3
	v_cndmask_b32_e32 v5, v33, v5, vcc
	v_and_b32_e32 v5, s72, v5
	v_cmp_eq_u32_e32 vcc, s73, v5
	s_and_b64 exec, exec, vcc
	s_cbranch_execz .LBB56_202
; %bb.207:                              ;   in Loop: Header=BB56_203 Depth=2
	v_perm_b32 v3, v3, s76, v37
	ds_write_b32 v9, v3 offset:3072
	s_branch .LBB56_202
.LBB56_208:                             ;   in Loop: Header=BB56_8 Depth=1
                                        ; implicit-def: $sgpr18_sgpr19
                                        ; implicit-def: $sgpr46_sgpr47
                                        ; implicit-def: $sgpr44_sgpr45
	s_branch .LBB56_222
.LBB56_209:                             ;   in Loop: Header=BB56_8 Depth=1
	s_mov_b64 s[18:19], -1
	s_mov_b64 s[48:49], 0
                                        ; implicit-def: $sgpr44_sgpr45
                                        ; implicit-def: $vgpr38
	s_mov_b64 s[46:47], s[18:19]
	s_cbranch_execnz .LBB56_212
	s_branch .LBB56_222
.LBB56_210:                             ;   in Loop: Header=BB56_8 Depth=1
	s_or_b64 exec, exec, s[46:47]
	v_lshrrev_b32_e32 v38, 16, v3
	s_and_b64 s[48:49], s[48:49], exec
.LBB56_211:                             ;   in Loop: Header=BB56_8 Depth=1
	s_or_b64 exec, exec, s[44:45]
	s_mov_b64 s[44:45], -1
	s_mov_b64 s[18:19], 0
	s_mov_b64 s[46:47], s[18:19]
	s_branch .LBB56_222
.LBB56_212:                             ;   in Loop: Header=BB56_8 Depth=1
	v_readlane_b32 s11, v52, 9
	s_add_i32 s11, s10, s11
	s_abs_i32 s13, s11
	v_readlane_b32 s18, v52, 36
	s_mul_hi_u32 s18, s13, s18
	s_mul_i32 s18, s18, s33
	s_sub_i32 s13, s13, s18
	s_ashr_i32 s12, s11, 31
	s_sub_i32 s18, s13, s33
	s_cmp_ge_u32 s13, s33
	s_cselect_b32 s13, s18, s13
	s_sub_i32 s18, s13, s33
	s_cmp_ge_u32 s13, s33
	s_cselect_b32 s13, s18, s13
	s_xor_b32 s13, s13, s12
	s_sub_i32 s12, s12, s13
	s_add_i32 s11, s11, s12
	v_cmp_gt_i32_e32 vcc, s11, v0
	s_mov_b64 s[48:49], 0
                                        ; implicit-def: $vgpr38
	s_and_saveexec_b64 s[44:45], vcc
	s_cbranch_execz .LBB56_221
; %bb.213:                              ;   in Loop: Header=BB56_8 Depth=1
	s_mov_b64 s[46:47], 0
	v_mov_b32_e32 v2, v21
	v_mov_b32_e32 v3, v0
                                        ; implicit-def: $sgpr48_sgpr49
	s_branch .LBB56_215
.LBB56_214:                             ;   in Loop: Header=BB56_215 Depth=2
	s_or_b64 exec, exec, s[18:19]
	s_waitcnt lgkmcnt(0)
	s_barrier
	ds_read_b32 v4, v9 offset:3072
	v_add_u32_e32 v3, s33, v3
	v_cmp_le_i32_e64 s[18:19], s11, v3
	v_add_u32_e32 v2, s8, v2
	s_waitcnt lgkmcnt(0)
	v_cmp_neq_f16_e32 vcc, 0, v4
	s_or_b64 s[12:13], s[18:19], vcc
	s_and_b64 s[12:13], exec, s[12:13]
	s_or_b64 s[46:47], s[12:13], s[46:47]
	s_andn2_b64 s[12:13], s[48:49], exec
	s_and_b64 s[18:19], vcc, exec
	s_or_b64 s[48:49], s[12:13], s[18:19]
	s_barrier
	s_andn2_b64 exec, exec, s[46:47]
	s_cbranch_execz .LBB56_220
.LBB56_215:                             ;   Parent Loop BB56_8 Depth=1
                                        ; =>  This Inner Loop Header: Depth=2
	v_cmp_gt_i32_e32 vcc, s10, v3
	v_mov_b32_e32 v4, 0
	s_and_saveexec_b64 s[18:19], vcc
	s_cbranch_execz .LBB56_217
; %bb.216:                              ;   in Loop: Header=BB56_215 Depth=2
	ds_read_u16 v4, v2
.LBB56_217:                             ;   in Loop: Header=BB56_215 Depth=2
	s_or_b64 exec, exec, s[18:19]
	s_and_saveexec_b64 s[18:19], vcc
	s_cbranch_execz .LBB56_214
; %bb.218:                              ;   in Loop: Header=BB56_215 Depth=2
	s_waitcnt lgkmcnt(0)
	v_cmp_lt_i16_e32 vcc, -1, v4
	v_cndmask_b32_e32 v5, v33, v34, vcc
	v_xor_b32_sdwa v5, v5, v4 dst_sel:DWORD dst_unused:UNUSED_PAD src0_sel:DWORD src1_sel:WORD_0
	v_cmp_o_f16_e32 vcc, v4, v4
	v_cndmask_b32_e32 v5, v33, v5, vcc
	v_and_b32_e32 v5, s72, v5
	v_cmp_eq_u32_e32 vcc, s73, v5
	s_and_b64 exec, exec, vcc
	s_cbranch_execz .LBB56_214
; %bb.219:                              ;   in Loop: Header=BB56_215 Depth=2
	v_perm_b32 v4, v4, s76, v37
	ds_write_b32 v9, v4 offset:3072
	s_branch .LBB56_214
.LBB56_220:                             ;   in Loop: Header=BB56_8 Depth=1
	s_or_b64 exec, exec, s[46:47]
	v_lshrrev_b32_e32 v38, 16, v4
	s_and_b64 s[48:49], s[48:49], exec
.LBB56_221:                             ;   in Loop: Header=BB56_8 Depth=1
	s_or_b64 exec, exec, s[44:45]
	s_mov_b64 s[46:47], -1
	s_mov_b64 s[18:19], 0
	s_mov_b64 s[44:45], 0
.LBB56_222:                             ;   in Loop: Header=BB56_8 Depth=1
	s_mov_b64 s[52:53], 0
                                        ; implicit-def: $sgpr57
	s_and_saveexec_b64 s[50:51], s[48:49]
	s_cbranch_execz .LBB56_236
; %bb.223:                              ;   in Loop: Header=BB56_8 Depth=1
	s_xor_b64 s[10:11], s[42:43], -1
	s_andn2_b64 vcc, exec, s[10:11]
	s_mov_b32 s57, 1
	s_cbranch_vccnz .LBB56_230
; %bb.224:                              ;   in Loop: Header=BB56_8 Depth=1
	s_cmp_gt_i32 s56, s54
	s_cbranch_scc1 .LBB56_231
; %bb.225:                              ;   in Loop: Header=BB56_8 Depth=1
	ds_read_b32 v2, v9 offset:4096
	s_waitcnt lgkmcnt(0)
	v_cmp_ne_u32_e32 vcc, 0, v2
	s_cbranch_vccnz .LBB56_229
; %bb.226:                              ;   in Loop: Header=BB56_8 Depth=1
	s_mov_b64 s[42:43], exec
	v_readlane_b32 s10, v52, 4
	v_readlane_b32 s11, v52, 5
	s_and_b64 s[10:11], s[42:43], s[10:11]
	s_mov_b64 exec, s[10:11]
	s_cbranch_execz .LBB56_228
; %bb.227:                              ;   in Loop: Header=BB56_8 Depth=1
	v_mov_b32_e32 v2, s54
	ds_write_b32 v9, v2 offset:4100
.LBB56_228:                             ;   in Loop: Header=BB56_8 Depth=1
	s_or_b64 exec, exec, s[42:43]
	s_waitcnt lgkmcnt(0)
	s_barrier
.LBB56_229:                             ;   in Loop: Header=BB56_8 Depth=1
	s_or_b32 s10, s73, s55
	s_or_b32 s11, s72, s55
	s_mov_b64 s[42:43], 0
	s_mov_b32 s57, 8
	s_branch .LBB56_232
.LBB56_230:                             ;   in Loop: Header=BB56_8 Depth=1
	s_mov_b32 s56, 1
	s_branch .LBB56_235
.LBB56_231:                             ;   in Loop: Header=BB56_8 Depth=1
	s_mov_b64 s[42:43], -1
                                        ; implicit-def: $sgpr57
                                        ; implicit-def: $sgpr10
                                        ; implicit-def: $sgpr11
.LBB56_232:                             ;   in Loop: Header=BB56_8 Depth=1
	s_andn2_b64 vcc, exec, s[42:43]
	s_cbranch_vccnz .LBB56_234
; %bb.233:                              ;   in Loop: Header=BB56_8 Depth=1
	s_sub_i32 s56, s56, s54
	s_mov_b32 s57, 8
	s_mov_b32 s10, s73
	;; [unrolled: 1-line block ×3, first 2 shown]
.LBB56_234:                             ;   in Loop: Header=BB56_8 Depth=1
	s_mov_b32 s73, s10
	s_mov_b32 s72, s11
.LBB56_235:                             ;   in Loop: Header=BB56_8 Depth=1
	s_mov_b64 s[52:53], exec
.LBB56_236:                             ;   in Loop: Header=BB56_8 Depth=1
	s_or_b64 exec, exec, s[50:51]
.LBB56_237:                             ;   in Loop: Header=BB56_8 Depth=1
	s_andn2_b64 s[10:11], s[34:35], exec
	s_and_b64 s[12:13], s[18:19], exec
	s_or_b64 s[34:35], s[10:11], s[12:13]
	s_andn2_b64 s[10:11], s[38:39], exec
	s_and_b64 s[12:13], s[46:47], exec
	s_or_b64 s[38:39], s[10:11], s[12:13]
	;; [unrolled: 3-line block ×3, first 2 shown]
	s_and_b64 s[44:45], s[52:53], exec
	s_mov_b32 s49, s56
.LBB56_238:                             ;   in Loop: Header=BB56_8 Depth=1
	s_or_b64 exec, exec, s[40:41]
.LBB56_239:                             ;   in Loop: Header=BB56_8 Depth=1
	s_andn2_b64 s[10:11], s[26:27], exec
	s_and_b64 s[12:13], s[34:35], exec
	s_or_b64 s[26:27], s[10:11], s[12:13]
	s_andn2_b64 s[10:11], s[28:29], exec
	s_and_b64 s[12:13], s[38:39], exec
	s_or_b64 s[28:29], s[10:11], s[12:13]
	;; [unrolled: 3-line block ×3, first 2 shown]
	s_and_b64 s[36:37], s[44:45], exec
	s_mov_b32 s39, s49
.LBB56_240:                             ;   in Loop: Header=BB56_8 Depth=1
	s_or_b64 exec, exec, s[30:31]
	s_and_saveexec_b64 s[10:11], s[36:37]
	s_xor_b64 s[18:19], exec, s[10:11]
	s_cbranch_execz .LBB56_6
.LBB56_241:                             ;   in Loop: Header=BB56_8 Depth=1
	s_and_b32 s10, s57, -9
	s_cmp_eq_u32 s10, 0
	s_cbranch_scc1 .LBB56_4
; %bb.242:                              ;   in Loop: Header=BB56_8 Depth=1
	s_mov_b64 s[22:23], -1
                                        ; implicit-def: $sgpr72
                                        ; implicit-def: $sgpr39
                                        ; implicit-def: $sgpr0
                                        ; implicit-def: $sgpr1
	s_mov_b64 s[30:31], -1
	s_branch .LBB56_5
.LBB56_243:
	s_or_b64 exec, exec, s[86:87]
	s_xor_b64 s[6:7], s[92:93], -1
	s_xor_b64 s[0:1], s[88:89], -1
	;; [unrolled: 1-line block ×3, first 2 shown]
	s_mov_b64 s[2:3], 0
	s_and_saveexec_b64 s[4:5], s[0:1]
	s_xor_b64 s[4:5], exec, s[4:5]
	s_cbranch_execnz .LBB56_248
; %bb.244:
	s_andn2_saveexec_b64 s[0:1], s[4:5]
	s_cbranch_execnz .LBB56_268
.LBB56_245:
	s_or_b64 exec, exec, s[0:1]
	s_and_saveexec_b64 s[0:1], s[2:3]
.LBB56_246:
	; divergent unreachable
.LBB56_247:
	s_endpgm
.LBB56_248:
	s_and_saveexec_b64 s[0:1], s[6:7]
	s_xor_b64 s[6:7], exec, s[0:1]
	s_cbranch_execz .LBB56_266
; %bb.249:
	s_and_saveexec_b64 s[0:1], s[8:9]
	s_xor_b64 s[2:3], exec, s[0:1]
; %bb.250:
	v_and_b32_e32 v1, 0x8000, v2
	v_mov_b32_e32 v3, 0x8000
	v_mov_b32_e32 v4, 0xffff
	v_cmp_eq_u32_e32 vcc, 0, v1
	v_cndmask_b32_e32 v1, v3, v4, vcc
	v_xor_b32_e32 v38, v1, v2
; %bb.251:
	s_or_b64 exec, exec, s[2:3]
	s_mov_b64 s[2:3], exec
	v_readlane_b32 s0, v52, 4
	v_readlane_b32 s1, v52, 5
	s_and_b64 s[0:1], s[2:3], s[0:1]
	s_mov_b64 exec, s[0:1]
	s_cbranch_execz .LBB56_253
; %bb.252:
	v_mov_b32_e32 v1, 0
	v_mov_b32_e32 v2, s60
	ds_write_b32 v1, v2 offset:4108
.LBB56_253:
	s_or_b64 exec, exec, s[2:3]
	v_mov_b32_e32 v1, 0
	s_waitcnt lgkmcnt(0)
	s_barrier
	ds_read_b32 v1, v1 offset:4108
	s_waitcnt lgkmcnt(0)
	v_min_i32_e32 v1, s60, v1
	v_cmp_lt_i32_e32 vcc, v0, v1
	s_and_saveexec_b64 s[8:9], vcc
	s_cbranch_execz .LBB56_263
; %bb.254:
	v_cmp_u_f16_e32 vcc, v38, v38
	s_mov_b64 s[10:11], 0
	v_mov_b32_e32 v3, s78
	s_xor_b64 s[14:15], vcc, -1
                                        ; implicit-def: $sgpr12_sgpr13
                                        ; implicit-def: $sgpr18_sgpr19
                                        ; implicit-def: $sgpr16_sgpr17
	s_branch .LBB56_256
.LBB56_255:                             ;   in Loop: Header=BB56_256 Depth=1
	s_or_b64 exec, exec, s[2:3]
	s_and_b64 s[0:1], exec, s[18:19]
	s_or_b64 s[10:11], s[0:1], s[10:11]
	s_andn2_b64 s[0:1], s[12:13], exec
	s_and_b64 s[2:3], s[16:17], exec
	s_or_b64 s[12:13], s[0:1], s[2:3]
	s_andn2_b64 exec, exec, s[10:11]
	s_cbranch_execz .LBB56_258
.LBB56_256:                             ; =>This Inner Loop Header: Depth=1
	v_ashrrev_i32_e32 v7, 31, v6
	v_lshlrev_b64 v[4:5], 1, v[6:7]
	v_add_co_u32_e32 v4, vcc, s62, v4
	v_addc_co_u32_e32 v5, vcc, v3, v5, vcc
	global_load_ushort v4, v[4:5], off
	v_mov_b32_e32 v2, v0
	s_or_b64 s[16:17], s[16:17], exec
	s_or_b64 s[18:19], s[18:19], exec
                                        ; implicit-def: $vgpr0
	s_waitcnt vmcnt(0)
	v_cmp_o_f16_e64 s[2:3], v4, v4
	v_cmp_neq_f16_e32 vcc, v4, v38
	s_or_b64 s[0:1], s[14:15], s[2:3]
	s_and_b64 s[0:1], vcc, s[0:1]
	s_and_saveexec_b64 s[2:3], s[0:1]
	s_cbranch_execz .LBB56_255
; %bb.257:                              ;   in Loop: Header=BB56_256 Depth=1
	v_add_u32_e32 v0, s33, v2
	v_cmp_ge_i32_e32 vcc, v0, v1
	s_andn2_b64 s[0:1], s[18:19], exec
	s_and_b64 s[18:19], vcc, exec
	v_add_u32_e32 v6, s79, v6
	s_andn2_b64 s[16:17], s[16:17], exec
	s_or_b64 s[18:19], s[0:1], s[18:19]
	s_branch .LBB56_255
.LBB56_258:
	s_or_b64 exec, exec, s[10:11]
	s_and_saveexec_b64 s[0:1], s[12:13]
	s_xor_b64 s[0:1], exec, s[0:1]
	s_cbranch_execz .LBB56_263
; %bb.259:
	s_mov_b64 s[2:3], exec
	s_brev_b32 s0, -2
.LBB56_260:                             ; =>This Inner Loop Header: Depth=1
	s_ff1_i32_b64 s1, s[2:3]
	v_readlane_b32 s12, v2, s1
	s_lshl_b64 s[10:11], 1, s1
	s_min_i32 s0, s0, s12
	s_andn2_b64 s[2:3], s[2:3], s[10:11]
	s_cmp_lg_u64 s[2:3], 0
	s_cbranch_scc1 .LBB56_260
; %bb.261:
	v_mbcnt_lo_u32_b32 v0, exec_lo, 0
	v_mbcnt_hi_u32_b32 v0, exec_hi, v0
	v_cmp_eq_u32_e32 vcc, 0, v0
	s_and_saveexec_b64 s[2:3], vcc
	s_xor_b64 s[2:3], exec, s[2:3]
	s_cbranch_execz .LBB56_263
; %bb.262:
	v_mov_b32_e32 v0, 0
	v_mov_b32_e32 v1, s0
	ds_min_i32 v0, v1 offset:4108
.LBB56_263:
	s_or_b64 exec, exec, s[8:9]
	s_waitcnt lgkmcnt(0)
	s_barrier
	s_mov_b64 s[2:3], exec
	v_readlane_b32 s0, v52, 4
	v_readlane_b32 s1, v52, 5
	s_and_b64 s[0:1], s[2:3], s[0:1]
	s_mov_b64 exec, s[0:1]
	s_cbranch_execz .LBB56_265
; %bb.264:
	v_readlane_b32 s1, v52, 8
	v_readlane_b32 s0, v52, 7
	s_mul_i32 s0, s0, s1
	v_readlane_b32 s8, v52, 6
	s_mul_i32 s8, s8, s1
	s_ashr_i32 s1, s0, 31
	v_mov_b32_e32 v2, 0
	s_lshl_b64 s[0:1], s[0:1], 1
	v_readlane_b32 s10, v52, 2
	ds_read_b32 v0, v2 offset:4108
	v_readlane_b32 s11, v52, 3
	s_add_u32 s0, s10, s0
	s_addc_u32 s1, s11, s1
	s_ashr_i32 s9, s8, 31
	s_lshl_b64 s[8:9], s[8:9], 3
	v_readlane_b32 s10, v52, 0
	v_readlane_b32 s11, v52, 1
	s_add_u32 s8, s10, s8
	s_addc_u32 s9, s11, s9
	s_waitcnt lgkmcnt(0)
	v_ashrrev_i32_e32 v1, 31, v0
	global_store_dwordx2 v2, v[0:1], s[8:9]
	global_store_short v2, v38, s[0:1]
.LBB56_265:
	s_or_b64 exec, exec, s[2:3]
.LBB56_266:
	s_or_saveexec_b64 s[0:1], s[6:7]
	s_mov_b64 s[2:3], 0
	s_xor_b64 exec, exec, s[0:1]
	s_cbranch_execnz .LBB56_269
.LBB56_267:
	s_or_b64 exec, exec, s[0:1]
	s_and_b64 s[2:3], s[2:3], exec
	s_andn2_saveexec_b64 s[0:1], s[4:5]
	s_cbranch_execz .LBB56_245
.LBB56_268:
	s_or_b64 s[2:3], s[2:3], exec
	s_trap 2
	s_or_b64 exec, exec, s[0:1]
	s_and_saveexec_b64 s[0:1], s[2:3]
	s_cbranch_execnz .LBB56_246
	s_branch .LBB56_247
.LBB56_269:
	s_mov_b64 s[2:3], exec
	s_trap 2
	s_branch .LBB56_267
	.section	.rodata,"a",@progbits
	.p2align	6, 0x0
	.amdhsa_kernel _ZN2at6native12_GLOBAL__N_114gatherKthValueIN3c104HalfEiLi1EEEvNS_4cuda6detail10TensorInfoIKT_T0_EESA_SA_SA_SA_NS7_IS8_SA_EENS7_IlSA_EE
		.amdhsa_group_segment_fixed_size 4112
		.amdhsa_private_segment_fixed_size 0
		.amdhsa_kernarg_size 920
		.amdhsa_user_sgpr_count 6
		.amdhsa_user_sgpr_private_segment_buffer 1
		.amdhsa_user_sgpr_dispatch_ptr 0
		.amdhsa_user_sgpr_queue_ptr 0
		.amdhsa_user_sgpr_kernarg_segment_ptr 1
		.amdhsa_user_sgpr_dispatch_id 0
		.amdhsa_user_sgpr_flat_scratch_init 0
		.amdhsa_user_sgpr_kernarg_preload_length 0
		.amdhsa_user_sgpr_kernarg_preload_offset 0
		.amdhsa_user_sgpr_private_segment_size 0
		.amdhsa_uses_dynamic_stack 0
		.amdhsa_system_sgpr_private_segment_wavefront_offset 0
		.amdhsa_system_sgpr_workgroup_id_x 1
		.amdhsa_system_sgpr_workgroup_id_y 1
		.amdhsa_system_sgpr_workgroup_id_z 1
		.amdhsa_system_sgpr_workgroup_info 0
		.amdhsa_system_vgpr_workitem_id 0
		.amdhsa_next_free_vgpr 53
		.amdhsa_next_free_sgpr 96
		.amdhsa_accum_offset 56
		.amdhsa_reserve_vcc 1
		.amdhsa_reserve_flat_scratch 0
		.amdhsa_float_round_mode_32 0
		.amdhsa_float_round_mode_16_64 0
		.amdhsa_float_denorm_mode_32 3
		.amdhsa_float_denorm_mode_16_64 3
		.amdhsa_dx10_clamp 1
		.amdhsa_ieee_mode 1
		.amdhsa_fp16_overflow 0
		.amdhsa_tg_split 0
		.amdhsa_exception_fp_ieee_invalid_op 0
		.amdhsa_exception_fp_denorm_src 0
		.amdhsa_exception_fp_ieee_div_zero 0
		.amdhsa_exception_fp_ieee_overflow 0
		.amdhsa_exception_fp_ieee_underflow 0
		.amdhsa_exception_fp_ieee_inexact 0
		.amdhsa_exception_int_div_zero 0
	.end_amdhsa_kernel
	.section	.text._ZN2at6native12_GLOBAL__N_114gatherKthValueIN3c104HalfEiLi1EEEvNS_4cuda6detail10TensorInfoIKT_T0_EESA_SA_SA_SA_NS7_IS8_SA_EENS7_IlSA_EE,"axG",@progbits,_ZN2at6native12_GLOBAL__N_114gatherKthValueIN3c104HalfEiLi1EEEvNS_4cuda6detail10TensorInfoIKT_T0_EESA_SA_SA_SA_NS7_IS8_SA_EENS7_IlSA_EE,comdat
.Lfunc_end56:
	.size	_ZN2at6native12_GLOBAL__N_114gatherKthValueIN3c104HalfEiLi1EEEvNS_4cuda6detail10TensorInfoIKT_T0_EESA_SA_SA_SA_NS7_IS8_SA_EENS7_IlSA_EE, .Lfunc_end56-_ZN2at6native12_GLOBAL__N_114gatherKthValueIN3c104HalfEiLi1EEEvNS_4cuda6detail10TensorInfoIKT_T0_EESA_SA_SA_SA_NS7_IS8_SA_EENS7_IlSA_EE
                                        ; -- End function
	.section	.AMDGPU.csdata,"",@progbits
; Kernel info:
; codeLenInByte = 10392
; NumSgprs: 100
; NumVgprs: 53
; NumAgprs: 0
; TotalNumVgprs: 53
; ScratchSize: 0
; MemoryBound: 0
; FloatMode: 240
; IeeeMode: 1
; LDSByteSize: 4112 bytes/workgroup (compile time only)
; SGPRBlocks: 12
; VGPRBlocks: 6
; NumSGPRsForWavesPerEU: 100
; NumVGPRsForWavesPerEU: 53
; AccumOffset: 56
; Occupancy: 8
; WaveLimiterHint : 1
; COMPUTE_PGM_RSRC2:SCRATCH_EN: 0
; COMPUTE_PGM_RSRC2:USER_SGPR: 6
; COMPUTE_PGM_RSRC2:TRAP_HANDLER: 0
; COMPUTE_PGM_RSRC2:TGID_X_EN: 1
; COMPUTE_PGM_RSRC2:TGID_Y_EN: 1
; COMPUTE_PGM_RSRC2:TGID_Z_EN: 1
; COMPUTE_PGM_RSRC2:TIDIG_COMP_CNT: 0
; COMPUTE_PGM_RSRC3_GFX90A:ACCUM_OFFSET: 13
; COMPUTE_PGM_RSRC3_GFX90A:TG_SPLIT: 0
	.section	.text._ZN2at6native12_GLOBAL__N_114gatherKthValueIN3c104HalfEiLi2EEEvNS_4cuda6detail10TensorInfoIKT_T0_EESA_SA_SA_SA_NS7_IS8_SA_EENS7_IlSA_EE,"axG",@progbits,_ZN2at6native12_GLOBAL__N_114gatherKthValueIN3c104HalfEiLi2EEEvNS_4cuda6detail10TensorInfoIKT_T0_EESA_SA_SA_SA_NS7_IS8_SA_EENS7_IlSA_EE,comdat
	.globl	_ZN2at6native12_GLOBAL__N_114gatherKthValueIN3c104HalfEiLi2EEEvNS_4cuda6detail10TensorInfoIKT_T0_EESA_SA_SA_SA_NS7_IS8_SA_EENS7_IlSA_EE ; -- Begin function _ZN2at6native12_GLOBAL__N_114gatherKthValueIN3c104HalfEiLi2EEEvNS_4cuda6detail10TensorInfoIKT_T0_EESA_SA_SA_SA_NS7_IS8_SA_EENS7_IlSA_EE
	.p2align	8
	.type	_ZN2at6native12_GLOBAL__N_114gatherKthValueIN3c104HalfEiLi2EEEvNS_4cuda6detail10TensorInfoIKT_T0_EESA_SA_SA_SA_NS7_IS8_SA_EENS7_IlSA_EE,@function
_ZN2at6native12_GLOBAL__N_114gatherKthValueIN3c104HalfEiLi2EEEvNS_4cuda6detail10TensorInfoIKT_T0_EESA_SA_SA_SA_NS7_IS8_SA_EENS7_IlSA_EE: ; @_ZN2at6native12_GLOBAL__N_114gatherKthValueIN3c104HalfEiLi2EEEvNS_4cuda6detail10TensorInfoIKT_T0_EESA_SA_SA_SA_NS7_IS8_SA_EENS7_IlSA_EE
; %bb.0:
	s_load_dwordx2 s[12:13], s[4:5], 0x298
	s_load_dwordx4 s[60:63], s[4:5], 0xd8
	s_add_u32 s10, s4, 0x298
	s_addc_u32 s11, s5, 0
	s_waitcnt lgkmcnt(0)
	s_mul_i32 s0, s13, s8
	s_add_i32 s0, s0, s7
	s_mul_i32 s0, s0, s12
	s_add_i32 s16, s0, s6
	s_cmp_ge_i32 s16, s62
	s_cbranch_scc1 .LBB57_247
; %bb.1:
	s_load_dword s0, s[4:5], 0xc
	s_load_dwordx2 s[2:3], s[4:5], 0xe8
                                        ; implicit-def: $vgpr52 : SGPR spill to VGPR lane
                                        ; kill: killed $sgpr4 killed $sgpr5
	s_abs_i32 s19, s16
	s_ashr_i32 s18, s16, 31
	s_mov_b32 s72, 0
	s_waitcnt lgkmcnt(0)
	s_abs_i32 s1, s0
	v_writelane_b32 v52, s2, 0
	v_writelane_b32 v52, s3, 1
	s_load_dwordx2 s[8:9], s[4:5], 0x6c
	s_load_dwordx2 s[2:3], s[4:5], 0x0
	;; [unrolled: 1-line block ×3, first 2 shown]
	v_cvt_f32_u32_e32 v1, s1
	s_ashr_i32 s7, s0, 31
	s_load_dword s20, s[4:5], 0xf4
	s_waitcnt lgkmcnt(0)
	v_writelane_b32 v52, s14, 2
	v_writelane_b32 v52, s15, 3
	s_load_dword s17, s[4:5], 0x1cc
	s_load_dwordx2 s[14:15], s[4:5], 0x1c0
	v_rcp_iflag_f32_e32 v1, v1
	s_waitcnt lgkmcnt(0)
	v_writelane_b32 v52, s14, 4
	v_writelane_b32 v52, s15, 5
	s_load_dwordx2 s[14:15], s[4:5], 0x154
	v_mul_f32_e32 v1, 0x4f7ffffe, v1
	v_cvt_u32_f32_e32 v1, v1
	s_sub_i32 s4, 0, s1
	s_waitcnt lgkmcnt(0)
	v_writelane_b32 v52, s14, 6
	v_writelane_b32 v52, s15, 7
	s_abs_i32 s15, s20
	v_cvt_f32_u32_e32 v2, s15
	v_readfirstlane_b32 s5, v1
	s_abs_i32 s14, s17
	s_mul_i32 s4, s4, s5
	v_rcp_iflag_f32_e32 v1, v2
	v_cvt_f32_u32_e32 v2, s14
	s_mul_hi_u32 s4, s5, s4
	s_add_i32 s5, s5, s4
	v_mul_f32_e32 v1, 0x4f7ffffe, v1
	v_cvt_u32_f32_e32 v1, v1
	v_rcp_iflag_f32_e32 v2, v2
	s_mul_hi_u32 s13, s19, s5
	s_sub_i32 s4, 0, s15
	v_readfirstlane_b32 s5, v1
	v_mul_f32_e32 v1, 0x4f7ffffe, v2
	s_mul_i32 s4, s4, s5
	v_cvt_u32_f32_e32 v1, v1
	s_mul_hi_u32 s4, s5, s4
	s_add_i32 s5, s5, s4
	v_writelane_b32 v52, s15, 8
	s_mul_hi_u32 s4, s19, s5
	v_writelane_b32 v52, s4, 9
	s_sub_i32 s4, 0, s14
	v_readfirstlane_b32 s5, v1
	s_mul_i32 s4, s4, s5
	s_mul_hi_u32 s4, s5, s4
	s_add_i32 s5, s5, s4
	v_writelane_b32 v52, s14, 10
	s_mul_hi_u32 s4, s19, s5
	v_writelane_b32 v52, s4, 11
	v_cmp_eq_u32_e64 s[14:15], 0, v0
	s_mov_b64 s[4:5], exec
	v_writelane_b32 v52, s14, 12
	v_writelane_b32 v52, s15, 13
	s_and_b64 s[14:15], s[4:5], s[14:15]
	s_mov_b64 exec, s[14:15]
	s_cbranch_execz .LBB57_3
; %bb.2:
	v_mov_b32_e32 v2, 0
	v_mov_b32_e32 v3, s60
	;; [unrolled: 1-line block ×3, first 2 shown]
	ds_write_b96 v2, v[2:4] offset:4096
.LBB57_3:
	s_or_b64 exec, exec, s[4:5]
	v_writelane_b32 v52, s20, 14
	s_ashr_i32 s4, s20, 31
	v_writelane_b32 v52, s4, 15
	s_mul_i32 s5, s13, s1
	v_writelane_b32 v52, s17, 16
	s_ashr_i32 s4, s17, 31
	s_sub_i32 s5, s19, s5
	v_writelane_b32 v52, s4, 17
	s_xor_b32 s4, s18, s7
	s_add_i32 s7, s13, 1
	s_sub_i32 s14, s5, s1
	s_cmp_ge_u32 s5, s1
	s_cselect_b32 s7, s7, s13
	s_cselect_b32 s5, s14, s5
	s_add_i32 s13, s7, 1
	s_cmp_ge_u32 s5, s1
	s_cselect_b32 s1, s13, s7
	s_xor_b32 s1, s1, s4
	s_sub_i32 s1, s1, s4
	s_mul_i32 s0, s1, s0
	s_sub_i32 s0, s16, s0
	s_mul_i32 s0, s0, s9
	s_mul_i32 s1, s1, s8
	s_waitcnt lgkmcnt(0)
	s_barrier
	s_load_dword s4, s[10:11], 0xc
	s_add_i32 s0, s1, s0
	s_ashr_i32 s1, s0, 31
	s_lshl_b64 s[0:1], s[0:1], 1
	s_add_u32 s62, s2, s0
	v_mbcnt_lo_u32_b32 v1, -1, 0
	s_addc_u32 s82, s3, s1
	s_waitcnt lgkmcnt(0)
	s_and_b32 s33, s4, 0xffff
	v_mbcnt_hi_u32_b32 v13, -1, v1
	v_writelane_b32 v52, s18, 18
	v_cmp_gt_u32_e32 vcc, 64, v0
	v_cmp_gt_i32_e64 s[2:3], 4, v13
	s_add_i32 s0, s33, -1
	v_writelane_b32 v52, s19, 19
	s_lshl_b32 s7, s33, 2
	s_bfe_u32 s8, s4, 0xa0006
	s_and_b64 s[74:75], vcc, s[2:3]
	s_add_i32 s81, s0, s60
	v_writelane_b32 v52, s16, 20
	s_cmpk_gt_i32 s60, 0x600
	v_writelane_b32 v52, s0, 21
	s_cselect_b64 s[0:1], -1, 0
	v_writelane_b32 v52, s0, 22
	s_cmp_gt_u32 s33, 63
	v_writelane_b32 v52, s1, 23
	s_cselect_b64 s[0:1], -1, 0
	v_writelane_b32 v52, s0, 24
	s_cmp_lt_u32 s6, s12
	v_writelane_b32 v52, s1, 25
	s_cselect_b32 s0, 12, 18
	s_add_u32 s0, s10, s0
	s_addc_u32 s1, s11, 0
	v_writelane_b32 v52, s0, 26
	v_writelane_b32 v52, s1, 27
	s_add_i32 s0, s8, -2
	s_lshr_b32 s1, s0, 1
	v_mov_b32_e32 v9, 0
	s_add_i32 s1, s1, 1
	s_cmpk_gt_u32 s33, 0x7f
	v_mul_lo_u32 v6, v0, s63
	v_mov_b32_e32 v7, v9
	s_cselect_b64 s[2:3], -1, 0
	v_lshlrev_b64 v[2:3], 1, v[6:7]
	v_writelane_b32 v52, s2, 28
	v_mov_b32_e32 v7, s82
	v_add_co_u32_e32 v10, vcc, s62, v2
	v_writelane_b32 v52, s3, 29
	v_addc_co_u32_e32 v11, vcc, v7, v3, vcc
	v_cmp_gt_u32_e64 s[10:11], s60, v0
	v_lshlrev_b64 v[2:3], v13, -1
	v_writelane_b32 v52, s10, 30
	v_not_b32_e32 v12, v2
	v_cvt_f32_u32_e32 v2, s7
	v_writelane_b32 v52, s11, 31
	v_cmp_gt_i32_e64 s[10:11], s60, v0
	s_and_b32 s6, s8, 0x3fe
	s_and_b32 s9, s1, 7
	v_writelane_b32 v52, s10, 32
	s_cmp_gt_u32 s0, 13
	v_writelane_b32 v52, s11, 33
	s_cselect_b64 s[10:11], -1, 0
	v_writelane_b32 v52, s10, 34
	v_rcp_iflag_f32_e32 v2, v2
	v_writelane_b32 v52, s11, 35
	s_and_b32 s0, s1, -8
	v_writelane_b32 v52, s0, 36
	s_cmp_lg_u32 s9, 0
	v_writelane_b32 v52, s9, 37
	s_cselect_b64 s[0:1], -1, 0
	v_writelane_b32 v52, s0, 38
	v_mul_f32_e32 v2, 0x4f7ffffe, v2
	v_writelane_b32 v52, s1, 39
	v_cvt_u32_f32_e32 v2, v2
	v_writelane_b32 v52, s8, 40
	s_cmp_lg_u32 s6, s8
	v_writelane_b32 v52, s6, 41
	s_cselect_b64 s[0:1], -1, 0
	v_writelane_b32 v52, s0, 42
	v_writelane_b32 v52, s1, 43
	s_sub_i32 s0, 0, s7
	v_readfirstlane_b32 s1, v2
	s_mul_i32 s0, s0, s1
	s_mul_hi_u32 s0, s1, s0
	s_add_i32 s6, s1, s0
	s_mul_hi_u32 s0, s60, s6
	s_mul_i32 s0, s0, s7
	s_sub_i32 s0, s60, s0
	s_sub_i32 s1, s0, s7
	s_cmp_ge_u32 s0, s7
	s_cselect_b32 s0, s1, s0
	s_sub_i32 s1, s0, s7
	v_cvt_f32_u32_e32 v5, s33
	s_cmp_ge_u32 s0, s7
	s_cselect_b32 s0, s1, s0
	s_sub_i32 s9, s60, s0
	v_add_u32_e32 v25, s9, v0
	v_rcp_iflag_f32_e32 v5, v5
	v_lshrrev_b32_e32 v1, 4, v0
	v_mul_lo_u32 v2, v25, s63
	v_and_b32_e32 v23, 60, v1
	v_not_b32_e32 v1, v3
	v_ashrrev_i32_e32 v3, 31, v2
	v_lshlrev_b64 v[2:3], 1, v[2:3]
	v_lshlrev_b32_e32 v20, 2, v0
	v_add_co_u32_e32 v14, vcc, s62, v2
	v_mul_f32_e32 v2, 0x4f7ffffe, v5
	v_cmp_gt_i32_e64 s[10:11], s9, v20
	v_cvt_u32_f32_e32 v2, v2
	v_writelane_b32 v52, s10, 44
	v_writelane_b32 v52, s11, 45
	v_cmp_gt_u32_e64 s[10:11], s60, v25
	v_writelane_b32 v52, s10, 46
	v_writelane_b32 v52, s11, 47
	s_sub_i32 s10, 0, s33
	v_readfirstlane_b32 s11, v2
	s_mul_i32 s10, s10, s11
	s_mul_hi_u32 s10, s11, s10
	s_abs_i32 s8, s81
	s_add_i32 s10, s11, s10
	v_writelane_b32 v52, s10, 48
	s_mul_hi_u32 s10, s8, s10
	s_mul_i32 s10, s10, s33
	s_sub_i32 s8, s8, s10
	s_ashr_i32 s1, s81, 31
	s_sub_i32 s10, s8, s33
	s_cmp_ge_u32 s8, s33
	s_cselect_b32 s8, s10, s8
	s_sub_i32 s10, s8, s33
	s_cmp_ge_u32 s8, s33
	s_cselect_b32 s8, s10, s8
	s_xor_b32 s8, s8, s1
	v_mul_lo_u32 v2, s63, v20
	s_sub_i32 s1, s1, s8
	v_add_u32_e32 v26, s63, v2
	v_or_b32_e32 v2, 2, v20
	s_add_i32 s81, s81, s1
	v_mul_lo_u32 v27, s63, v2
	v_or_b32_e32 v2, 3, v20
	s_add_i32 s1, s33, s60
	v_mul_lo_u32 v28, s63, v2
	v_add_u32_e32 v2, s1, v0
	v_lshlrev_b32_e32 v21, 1, v0
	v_lshlrev_b32_e32 v4, 2, v13
	v_mov_b32_e32 v8, s82
	v_cmp_gt_i32_e64 s[10:11], s81, v0
	s_mul_i32 s83, s63, s33
	v_subrev_u32_e32 v2, s0, v2
	v_cmp_eq_u32_e64 s[2:3], 0, v13
	v_cmp_gt_u32_e64 s[4:5], 2, v0
	v_add_u32_e32 v22, 0xc00, v21
	v_and_b32_e32 v24, 0x100, v4
	v_addc_co_u32_e32 v15, vcc, v8, v3, vcc
	v_cmp_gt_i32_e64 s[14:15], s60, v25
	v_writelane_b32 v52, s10, 49
	s_lshl_b32 s16, s83, 2
	v_lshlrev_b32_e32 v29, 2, v6
	v_mul_lo_u32 v30, s63, v2
	v_lshlrev_b32_e32 v31, 3, v0
	s_lshl_b32 s17, s33, 3
	s_lshl_b32 s8, s33, 1
	v_or_b32_e32 v32, 0xc00, v4
	s_mov_b32 s0, 14
	s_mov_b64 s[90:91], 0
	s_movk_i32 s80, 0x3c00
	v_mov_b32_e32 v33, 0xffff
	v_mov_b32_e32 v34, 0x8000
	v_mov_b32_e32 v35, -1
	v_mov_b32_e32 v36, 0xc00
	v_mov_b32_e32 v37, 0x5040100
	v_mov_b32_e32 v38, 0
	s_mov_b32 s1, 0
	s_mov_b32 s77, 0
	;; [unrolled: 1-line block ×3, first 2 shown]
	v_writelane_b32 v52, s11, 50
                                        ; implicit-def: $sgpr92_sgpr93
                                        ; implicit-def: $sgpr64_sgpr65
                                        ; implicit-def: $sgpr94_sgpr95
                                        ; implicit-def: $sgpr66_sgpr67
                                        ; implicit-def: $sgpr68_sgpr69
                                        ; implicit-def: $sgpr70_sgpr71
	s_branch .LBB57_8
.LBB57_4:                               ;   in Loop: Header=BB57_8 Depth=1
	s_xor_b32 s1, s1, 1
	s_add_i32 s10, s0, -2
	s_cmp_eq_u32 s0, 0
	s_mov_b64 s[22:23], 0
	s_cselect_b64 s[30:31], -1, 0
	s_mov_b32 s0, s10
.LBB57_5:                               ;   in Loop: Header=BB57_8 Depth=1
	s_andn2_b64 s[10:11], s[26:27], exec
	s_and_b64 s[12:13], s[22:23], exec
	s_or_b64 s[26:27], s[10:11], s[12:13]
	s_andn2_b64 s[28:29], s[28:29], exec
	s_andn2_b64 s[24:25], s[24:25], exec
	s_orn2_b64 s[22:23], s[30:31], exec
	s_mov_b32 s61, s39
.LBB57_6:                               ;   in Loop: Header=BB57_8 Depth=1
	s_or_b64 exec, exec, s[18:19]
	s_andn2_b64 s[10:11], s[70:71], exec
	s_and_b64 s[12:13], s[26:27], exec
	s_or_b64 s[70:71], s[10:11], s[12:13]
	s_andn2_b64 s[10:11], s[68:69], exec
	s_and_b64 s[12:13], s[28:29], exec
	s_or_b64 s[68:69], s[10:11], s[12:13]
	;; [unrolled: 3-line block ×3, first 2 shown]
	s_orn2_b64 s[22:23], s[22:23], exec
.LBB57_7:                               ;   in Loop: Header=BB57_8 Depth=1
	s_or_b64 exec, exec, s[20:21]
	s_and_b64 s[10:11], exec, s[22:23]
	s_or_b64 s[90:91], s[10:11], s[90:91]
	s_andn2_b64 s[10:11], s[94:95], exec
	s_and_b64 s[12:13], s[70:71], exec
	s_or_b64 s[94:95], s[10:11], s[12:13]
	s_andn2_b64 s[10:11], s[64:65], exec
	s_and_b64 s[12:13], s[68:69], exec
	;; [unrolled: 3-line block ×3, first 2 shown]
	v_mov_b32_e32 v2, s77
	s_or_b64 s[92:93], s[10:11], s[12:13]
	s_andn2_b64 exec, exec, s[90:91]
	s_cbranch_execz .LBB57_243
.LBB57_8:                               ; =>This Loop Header: Depth=1
                                        ;     Child Loop BB57_13 Depth 2
                                        ;     Child Loop BB57_32 Depth 2
	;; [unrolled: 1-line block ×17, first 2 shown]
	ds_read_b64 v[2:3], v9 offset:4096
	s_waitcnt lgkmcnt(0)
	v_readfirstlane_b32 s73, v2
	s_cmp_gt_i32 s73, 0
	s_cbranch_scc1 .LBB57_39
; %bb.9:                                ;   in Loop: Header=BB57_8 Depth=1
	v_readlane_b32 s10, v52, 22
	v_readlane_b32 s11, v52, 23
	s_and_b64 vcc, exec, s[10:11]
	s_cbranch_vccz .LBB57_21
; %bb.10:                               ;   in Loop: Header=BB57_8 Depth=1
	s_movk_i32 s10, 0x601
	v_cmp_gt_i32_e32 vcc, s10, v3
	s_mov_b64 s[20:21], 0
	s_mov_b64 s[18:19], 0
	s_cbranch_vccz .LBB57_26
; %bb.11:                               ;   in Loop: Header=BB57_8 Depth=1
	v_readlane_b32 s10, v52, 26
	v_readlane_b32 s11, v52, 27
	s_nop 4
	global_load_ushort v2, v9, s[10:11]
	global_load_ushort v4, v[10:11], off
	s_mov_b64 s[22:23], 0
	s_waitcnt vmcnt(1)
	v_add_u32_e32 v5, v0, v2
	v_mul_lo_u32 v3, s63, v2
	v_mul_lo_u32 v8, s63, v5
	v_mov_b32_e32 v5, v0
	s_branch .LBB57_13
.LBB57_12:                              ;   in Loop: Header=BB57_13 Depth=2
	s_or_b64 exec, exec, s[18:19]
	v_cmp_le_i32_e32 vcc, s60, v5
	v_add_u32_e32 v8, v8, v3
	s_or_b64 s[22:23], vcc, s[22:23]
	v_mov_b32_e32 v4, v16
	s_andn2_b64 exec, exec, s[22:23]
	s_cbranch_execz .LBB57_22
.LBB57_13:                              ;   Parent Loop BB57_8 Depth=1
                                        ; =>  This Inner Loop Header: Depth=2
	v_add_u32_e32 v5, v5, v2
	v_cmp_gt_u32_e32 vcc, s60, v5
	s_waitcnt lgkmcnt(0)
	v_mov_b32_e32 v17, 0
	v_mov_b32_e32 v16, 0
	s_and_saveexec_b64 s[18:19], vcc
	s_cbranch_execz .LBB57_15
; %bb.14:                               ;   in Loop: Header=BB57_13 Depth=2
	v_lshlrev_b64 v[18:19], 1, v[8:9]
	v_add_co_u32_e32 v18, vcc, s62, v18
	v_addc_co_u32_e32 v19, vcc, v7, v19, vcc
	global_load_ushort v16, v[18:19], off
.LBB57_15:                              ;   in Loop: Header=BB57_13 Depth=2
	s_or_b64 exec, exec, s[18:19]
	s_waitcnt vmcnt(0)
	v_cmp_lt_i16_e32 vcc, -1, v4
	v_cndmask_b32_e32 v18, v33, v34, vcc
	v_xor_b32_sdwa v18, v18, v4 dst_sel:DWORD dst_unused:UNUSED_PAD src0_sel:DWORD src1_sel:WORD_0
	v_cmp_o_f16_e32 vcc, v4, v4
	v_cndmask_b32_e32 v18, v33, v18, vcc
	v_and_b32_e32 v18, s76, v18
	v_cmp_eq_u32_e32 vcc, s77, v18
	s_cmp_lg_u64 vcc, 0
	s_cselect_b64 s[10:11], -1, 0
	s_and_b64 s[10:11], s[2:3], s[10:11]
	s_and_saveexec_b64 s[24:25], s[10:11]
	s_cbranch_execz .LBB57_19
; %bb.16:                               ;   in Loop: Header=BB57_13 Depth=2
	s_mov_b64 s[28:29], exec
	v_mbcnt_lo_u32_b32 v17, s28, 0
	v_mbcnt_hi_u32_b32 v17, s29, v17
	s_bcnt1_i32_b64 s10, vcc
	v_cmp_eq_u32_e64 s[18:19], 0, v17
                                        ; implicit-def: $vgpr18
	s_and_saveexec_b64 s[26:27], s[18:19]
	s_cbranch_execz .LBB57_18
; %bb.17:                               ;   in Loop: Header=BB57_13 Depth=2
	s_bcnt1_i32_b64 s11, s[28:29]
	s_mul_i32 s11, s10, s11
	v_mov_b32_e32 v18, s11
	ds_add_rtn_u32 v18, v9, v18 offset:4104
.LBB57_18:                              ;   in Loop: Header=BB57_13 Depth=2
	s_or_b64 exec, exec, s[26:27]
	s_waitcnt lgkmcnt(0)
	v_readfirstlane_b32 s11, v18
	v_mov_b32_e32 v18, s11
	v_mad_u32_u24 v17, s10, v17, v18
.LBB57_19:                              ;   in Loop: Header=BB57_13 Depth=2
	s_or_b64 exec, exec, s[24:25]
	ds_bpermute_b32 v17, v24, v17
	s_and_saveexec_b64 s[18:19], vcc
	s_cbranch_execz .LBB57_12
; %bb.20:                               ;   in Loop: Header=BB57_13 Depth=2
	v_and_b32_e32 v19, vcc_lo, v12
	v_and_b32_e32 v18, vcc_hi, v1
	v_bcnt_u32_b32 v19, v19, 0
	v_bcnt_u32_b32 v18, v18, v19
	v_lshlrev_b32_e32 v18, 1, v18
	s_waitcnt lgkmcnt(0)
	v_lshl_add_u32 v17, v17, 1, v18
	ds_write_b16 v17, v4
	s_branch .LBB57_12
.LBB57_21:                              ;   in Loop: Header=BB57_8 Depth=1
	s_mov_b64 s[20:21], -1
	s_mov_b64 s[18:19], 0
	s_branch .LBB57_25
.LBB57_22:                              ;   in Loop: Header=BB57_8 Depth=1
	s_or_b64 exec, exec, s[22:23]
	s_waitcnt lgkmcnt(0)
	s_barrier
	s_mov_b64 s[18:19], exec
	v_readlane_b32 s10, v52, 12
	v_readlane_b32 s11, v52, 13
	s_and_b64 s[10:11], s[18:19], s[10:11]
	s_mov_b64 exec, s[10:11]
	s_cbranch_execz .LBB57_24
; %bb.23:                               ;   in Loop: Header=BB57_8 Depth=1
	ds_read_b32 v2, v9 offset:4104
	s_waitcnt lgkmcnt(0)
	ds_write_b32 v9, v2 offset:4096
.LBB57_24:                              ;   in Loop: Header=BB57_8 Depth=1
	s_or_b64 exec, exec, s[18:19]
	s_waitcnt lgkmcnt(0)
	s_barrier
	s_mov_b64 s[18:19], -1
.LBB57_25:                              ;   in Loop: Header=BB57_8 Depth=1
                                        ; implicit-def: $sgpr73
.LBB57_26:                              ;   in Loop: Header=BB57_8 Depth=1
	s_and_b64 vcc, exec, s[20:21]
	s_cbranch_vccz .LBB57_37
; %bb.27:                               ;   in Loop: Header=BB57_8 Depth=1
	v_mov_b32_e32 v2, 0
	s_mov_b64 s[18:19], exec
	v_readlane_b32 s10, v52, 30
	v_readlane_b32 s11, v52, 31
	s_and_b64 s[10:11], s[18:19], s[10:11]
	s_mov_b64 exec, s[10:11]
	s_cbranch_execz .LBB57_29
; %bb.28:                               ;   in Loop: Header=BB57_8 Depth=1
	global_load_ushort v2, v[10:11], off
.LBB57_29:                              ;   in Loop: Header=BB57_8 Depth=1
	s_or_b64 exec, exec, s[18:19]
	s_mov_b64 s[18:19], exec
	v_readlane_b32 s10, v52, 32
	v_readlane_b32 s11, v52, 33
	s_and_b64 s[10:11], s[18:19], s[10:11]
	s_mov_b64 exec, s[10:11]
	s_cbranch_execz .LBB57_34
; %bb.30:                               ;   in Loop: Header=BB57_8 Depth=1
	v_readlane_b32 s10, v52, 26
	v_readlane_b32 s11, v52, 27
	s_mov_b64 s[20:21], 0
	v_mov_b32_e32 v4, v21
	v_mov_b32_e32 v17, v0
	s_nop 1
	global_load_ushort v3, v9, s[10:11]
	s_waitcnt vmcnt(0)
	v_add_u32_e32 v8, v0, v3
	v_lshlrev_b32_e32 v5, 1, v3
	v_mul_lo_u32 v16, s63, v3
	v_mul_lo_u32 v8, s63, v8
	s_branch .LBB57_32
.LBB57_31:                              ;   in Loop: Header=BB57_32 Depth=2
	s_or_b64 exec, exec, s[22:23]
	v_cmp_le_i32_e32 vcc, s60, v17
	ds_write_b16 v4, v2
	v_add_u32_e32 v4, v4, v5
	v_add_u32_e32 v8, v8, v16
	s_or_b64 s[20:21], vcc, s[20:21]
	s_waitcnt vmcnt(0)
	v_mov_b32_e32 v2, v18
	s_andn2_b64 exec, exec, s[20:21]
	s_cbranch_execz .LBB57_34
.LBB57_32:                              ;   Parent Loop BB57_8 Depth=1
                                        ; =>  This Inner Loop Header: Depth=2
	v_add_u32_e32 v17, v17, v3
	v_cmp_gt_u32_e32 vcc, s60, v17
	v_mov_b32_e32 v18, 0
	s_and_saveexec_b64 s[22:23], vcc
	s_cbranch_execz .LBB57_31
; %bb.33:                               ;   in Loop: Header=BB57_32 Depth=2
	v_lshlrev_b64 v[18:19], 1, v[8:9]
	v_mov_b32_e32 v39, s82
	v_add_co_u32_e32 v18, vcc, s62, v18
	v_addc_co_u32_e32 v19, vcc, v39, v19, vcc
	global_load_ushort v18, v[18:19], off
	s_branch .LBB57_31
.LBB57_34:                              ;   in Loop: Header=BB57_8 Depth=1
	s_or_b64 exec, exec, s[18:19]
	s_waitcnt lgkmcnt(0)
	s_barrier
	s_mov_b64 s[18:19], exec
	v_readlane_b32 s10, v52, 12
	v_readlane_b32 s11, v52, 13
	s_and_b64 s[10:11], s[18:19], s[10:11]
	s_mov_b64 exec, s[10:11]
	s_cbranch_execz .LBB57_36
; %bb.35:                               ;   in Loop: Header=BB57_8 Depth=1
	s_waitcnt vmcnt(0)
	v_mov_b32_e32 v2, s60
	ds_write_b32 v9, v2 offset:4096
.LBB57_36:                              ;   in Loop: Header=BB57_8 Depth=1
	s_or_b64 exec, exec, s[18:19]
	s_mov_b64 s[18:19], -1
	s_waitcnt lgkmcnt(0)
	s_barrier
                                        ; implicit-def: $sgpr73
.LBB57_37:                              ;   in Loop: Header=BB57_8 Depth=1
	s_and_b64 vcc, exec, s[18:19]
	s_cbranch_vccz .LBB57_39
; %bb.38:                               ;   in Loop: Header=BB57_8 Depth=1
	s_waitcnt vmcnt(0)
	ds_read_b32 v2, v9 offset:4096
	s_waitcnt lgkmcnt(0)
	v_readfirstlane_b32 s73, v2
.LBB57_39:                              ;   in Loop: Header=BB57_8 Depth=1
	s_cmp_lt_i32 s73, 1
	s_cbranch_scc0 .LBB57_51
; %bb.40:                               ;   in Loop: Header=BB57_8 Depth=1
	s_waitcnt vmcnt(0)
	v_mov_b32_e32 v2, 0
	s_mov_b32 s88, 0
	v_mov_b32_e32 v3, 0
	v_mov_b32_e32 v4, v2
	;; [unrolled: 1-line block ×3, first 2 shown]
	s_mov_b64 s[84:85], exec
	v_readlane_b32 s10, v52, 44
	v_readlane_b32 s11, v52, 45
	s_and_b64 s[10:11], s[84:85], s[10:11]
	s_mov_b64 exec, s[10:11]
	s_cbranch_execz .LBB57_44
; %bb.41:                               ;   in Loop: Header=BB57_8 Depth=1
	s_and_b32 s89, s0, 0xfe
	s_mov_b64 s[86:87], 0
	s_mov_b32 s78, 0
	s_mov_b32 s79, 0
	;; [unrolled: 1-line block ×4, first 2 shown]
	v_mov_b32_e32 v8, v20
.LBB57_42:                              ;   Parent Loop BB57_8 Depth=1
                                        ; =>  This Inner Loop Header: Depth=2
	v_add_u32_e32 v2, s88, v29
	v_ashrrev_i32_e32 v3, 31, v2
	v_add_u32_e32 v4, s88, v26
	v_lshlrev_b64 v[2:3], 1, v[2:3]
	v_mov_b32_e32 v39, s82
	v_ashrrev_i32_e32 v5, 31, v4
	v_add_co_u32_e64 v2, s[18:19], s62, v2
	v_add_u32_e32 v16, s88, v27
	v_lshlrev_b64 v[4:5], 1, v[4:5]
	v_addc_co_u32_e64 v3, s[18:19], v39, v3, s[18:19]
	v_ashrrev_i32_e32 v17, 31, v16
	v_add_co_u32_e64 v4, s[18:19], s62, v4
	v_add_u32_e32 v18, s88, v28
	v_lshlrev_b64 v[16:17], 1, v[16:17]
	v_addc_co_u32_e64 v5, s[18:19], v39, v5, s[18:19]
	v_ashrrev_i32_e32 v19, 31, v18
	v_add_co_u32_e64 v16, s[18:19], s62, v16
	v_lshlrev_b64 v[18:19], 1, v[18:19]
	v_addc_co_u32_e64 v17, s[18:19], v39, v17, s[18:19]
	v_add_co_u32_e64 v18, s[18:19], s62, v18
	v_addc_co_u32_e64 v19, s[18:19], v39, v19, s[18:19]
	global_load_ushort v2, v[2:3], off
	s_nop 0
	global_load_ushort v3, v[4:5], off
	s_nop 0
	global_load_ushort v4, v[16:17], off
	global_load_ushort v5, v[18:19], off
	v_add_u32_e32 v8, s7, v8
	s_add_i32 s88, s88, s16
	v_cmp_le_i32_e32 vcc, s9, v8
	s_waitcnt vmcnt(3)
	v_cmp_lt_i16_e64 s[18:19], -1, v2
	v_cndmask_b32_e64 v16, v33, v34, s[18:19]
	s_waitcnt vmcnt(2)
	v_cmp_lt_i16_e64 s[18:19], -1, v3
	v_cndmask_b32_e64 v17, v33, v34, s[18:19]
	;; [unrolled: 3-line block ×4, first 2 shown]
	v_xor_b32_sdwa v17, v17, v3 dst_sel:DWORD dst_unused:UNUSED_PAD src0_sel:DWORD src1_sel:WORD_0
	v_cmp_o_f16_e64 s[18:19], v3, v3
	v_xor_b32_sdwa v3, v18, v4 dst_sel:DWORD dst_unused:UNUSED_PAD src0_sel:DWORD src1_sel:WORD_0
	v_cmp_o_f16_e64 s[20:21], v4, v4
	;; [unrolled: 2-line block ×4, first 2 shown]
	v_cndmask_b32_e64 v2, v33, v5, s[24:25]
	v_cndmask_b32_e64 v5, v33, v17, s[18:19]
	v_and_b32_e32 v16, s76, v2
	v_bfe_u32 v2, v2, s89, 2
	v_cndmask_b32_e64 v3, v33, v3, s[20:21]
	v_and_b32_e32 v17, s76, v5
	v_bfe_u32 v5, v5, s89, 2
	v_cmp_eq_u32_e64 s[18:19], s77, v16
	v_cmp_eq_u32_e64 s[26:27], 0, v2
	v_cndmask_b32_e64 v4, v33, v4, s[22:23]
	v_and_b32_e32 v18, s76, v3
	v_bfe_u32 v3, v3, s89, 2
	v_cmp_eq_u32_e64 s[20:21], s77, v17
	v_cmp_eq_u32_e64 s[28:29], 0, v5
	s_and_b64 s[12:13], s[18:19], s[26:27]
	v_and_b32_e32 v19, s76, v4
	v_bfe_u32 v4, v4, s89, 2
	v_cmp_eq_u32_e64 s[22:23], s77, v18
	v_cmp_eq_u32_e64 s[30:31], 0, v3
	;; [unrolled: 1-line block ×5, first 2 shown]
	v_cndmask_b32_e64 v2, 0, 1, s[12:13]
	s_and_b64 s[12:13], s[20:21], s[28:29]
	v_cmp_eq_u32_e64 s[24:25], s77, v19
	v_cmp_eq_u32_e64 s[34:35], 0, v4
	;; [unrolled: 1-line block ×5, first 2 shown]
	v_cndmask_b32_e64 v3, 0, 1, s[12:13]
	s_and_b64 s[12:13], s[22:23], s[30:31]
	v_cmp_eq_u32_e64 s[42:43], 1, v4
	v_cmp_eq_u32_e64 s[50:51], 2, v4
	;; [unrolled: 1-line block ×3, first 2 shown]
	v_cndmask_b32_e64 v4, 0, 1, s[12:13]
	s_and_b64 s[12:13], s[24:25], s[34:35]
	v_cmp_eq_u32_e64 s[38:39], 1, v5
	v_cmp_eq_u32_e64 s[46:47], 2, v5
	;; [unrolled: 1-line block ×3, first 2 shown]
	v_cndmask_b32_e64 v5, 0, 1, s[12:13]
	s_and_b64 s[12:13], s[18:19], s[36:37]
	v_cndmask_b32_e64 v16, 0, 1, s[12:13]
	s_and_b64 s[12:13], s[20:21], s[38:39]
	;; [unrolled: 2-line block ×12, first 2 shown]
	v_cmp_ne_u32_e64 s[18:19], 0, v2
	v_cmp_ne_u32_e64 s[20:21], 0, v3
	;; [unrolled: 1-line block ×7, first 2 shown]
	v_cndmask_b32_e64 v46, 0, 1, s[12:13]
	v_cmp_ne_u32_e64 s[38:39], 0, v40
	v_cmp_ne_u32_e64 s[46:47], 0, v44
	s_bcnt1_i32_b64 s12, s[18:19]
	s_bcnt1_i32_b64 s13, s[20:21]
	;; [unrolled: 1-line block ×7, first 2 shown]
	v_cmp_ne_u32_e64 s[22:23], 0, v4
	v_cmp_ne_u32_e64 s[30:31], 0, v18
	;; [unrolled: 1-line block ×4, first 2 shown]
	s_bcnt1_i32_b64 s25, s[38:39]
	s_bcnt1_i32_b64 s29, s[46:47]
	s_add_i32 s11, s11, s12
	s_add_i32 s10, s10, s20
	;; [unrolled: 1-line block ×4, first 2 shown]
	v_cmp_ne_u32_e64 s[34:35], 0, v19
	v_cmp_ne_u32_e64 s[42:43], 0, v42
	;; [unrolled: 1-line block ×3, first 2 shown]
	s_bcnt1_i32_b64 s18, s[22:23]
	s_bcnt1_i32_b64 s22, s[30:31]
	;; [unrolled: 1-line block ×4, first 2 shown]
	s_add_i32 s11, s11, s13
	s_add_i32 s10, s10, s21
	;; [unrolled: 1-line block ×4, first 2 shown]
	s_bcnt1_i32_b64 s23, s[34:35]
	s_bcnt1_i32_b64 s27, s[42:43]
	;; [unrolled: 1-line block ×3, first 2 shown]
	s_add_i32 s11, s11, s18
	s_add_i32 s10, s10, s22
	;; [unrolled: 1-line block ×8, first 2 shown]
	s_or_b64 s[86:87], vcc, s[86:87]
	v_mov_b32_e32 v2, s11
	v_mov_b32_e32 v3, s10
	;; [unrolled: 1-line block ×4, first 2 shown]
	s_andn2_b64 exec, exec, s[86:87]
	s_cbranch_execnz .LBB57_42
; %bb.43:                               ;   in Loop: Header=BB57_8 Depth=1
	s_or_b64 exec, exec, s[86:87]
.LBB57_44:                              ;   in Loop: Header=BB57_8 Depth=1
	s_or_b64 exec, exec, s[84:85]
	v_mov_b32_e32 v8, 0
	s_mov_b64 s[18:19], exec
	v_readlane_b32 s10, v52, 46
	v_readlane_b32 s11, v52, 47
	s_and_b64 s[10:11], s[18:19], s[10:11]
	s_mov_b64 exec, s[10:11]
	s_cbranch_execz .LBB57_46
; %bb.45:                               ;   in Loop: Header=BB57_8 Depth=1
	global_load_ushort v8, v[14:15], off
.LBB57_46:                              ;   in Loop: Header=BB57_8 Depth=1
	s_or_b64 exec, exec, s[18:19]
	s_mov_b64 s[20:21], 0
	s_mov_b64 s[84:85], 0
	s_and_saveexec_b64 s[22:23], s[14:15]
	s_cbranch_execz .LBB57_53
; %bb.47:                               ;   in Loop: Header=BB57_8 Depth=1
	s_and_b32 s10, s0, 0xfe
	s_mov_b64 s[24:25], 0
	v_mov_b32_e32 v16, v30
	v_mov_b32_e32 v18, v25
	s_branch .LBB57_49
.LBB57_48:                              ;   in Loop: Header=BB57_49 Depth=2
	s_or_b64 exec, exec, s[18:19]
	s_waitcnt vmcnt(0)
	v_cmp_lt_i16_e32 vcc, -1, v8
	v_cndmask_b32_e32 v19, v33, v34, vcc
	v_xor_b32_sdwa v19, v19, v8 dst_sel:DWORD dst_unused:UNUSED_PAD src0_sel:DWORD src1_sel:WORD_0
	v_cmp_o_f16_e32 vcc, v8, v8
	v_cndmask_b32_e32 v8, v33, v19, vcc
	v_and_b32_e32 v19, s76, v8
	v_bfe_u32 v8, v8, s10, 2
	v_cmp_eq_u32_e32 vcc, s77, v19
	v_cmp_eq_u32_e64 s[18:19], 0, v8
	s_and_b64 s[12:13], vcc, s[18:19]
	v_cndmask_b32_e64 v19, 0, 1, s[12:13]
	v_cmp_ne_u32_e64 s[18:19], 0, v19
	s_bcnt1_i32_b64 s11, s[18:19]
	v_cmp_eq_u32_e64 s[18:19], 1, v8
	s_and_b64 s[12:13], vcc, s[18:19]
	v_cndmask_b32_e64 v19, 0, 1, s[12:13]
	v_cmp_ne_u32_e64 s[18:19], 0, v19
	v_add_u32_e32 v2, s11, v2
	s_bcnt1_i32_b64 s11, s[18:19]
	v_cmp_eq_u32_e64 s[18:19], 2, v8
	s_and_b64 s[12:13], vcc, s[18:19]
	v_cndmask_b32_e64 v19, 0, 1, s[12:13]
	v_cmp_ne_u32_e64 s[18:19], 0, v19
	v_add_u32_e32 v3, s11, v3
	s_bcnt1_i32_b64 s11, s[18:19]
	v_cmp_eq_u32_e64 s[18:19], 3, v8
	s_and_b64 s[12:13], vcc, s[18:19]
	v_cndmask_b32_e64 v8, 0, 1, s[12:13]
	v_cmp_ne_u32_e32 vcc, 0, v8
	v_add_u32_e32 v4, s11, v4
	s_bcnt1_i32_b64 s11, vcc
	v_cmp_le_i32_e32 vcc, s60, v18
	v_add_u32_e32 v5, s11, v5
	v_add_u32_e32 v16, s83, v16
	s_or_b64 s[24:25], vcc, s[24:25]
	v_mov_b32_e32 v8, v17
	s_andn2_b64 exec, exec, s[24:25]
	s_cbranch_execz .LBB57_52
.LBB57_49:                              ;   Parent Loop BB57_8 Depth=1
                                        ; =>  This Inner Loop Header: Depth=2
	v_add_u32_e32 v18, s33, v18
	v_cmp_gt_u32_e32 vcc, s60, v18
	v_mov_b32_e32 v17, 0
	s_and_saveexec_b64 s[18:19], vcc
	s_cbranch_execz .LBB57_48
; %bb.50:                               ;   in Loop: Header=BB57_49 Depth=2
	v_ashrrev_i32_e32 v17, 31, v16
	v_lshlrev_b64 v[40:41], 1, v[16:17]
	v_mov_b32_e32 v17, s82
	v_add_co_u32_e32 v40, vcc, s62, v40
	v_addc_co_u32_e32 v41, vcc, v17, v41, vcc
	global_load_ushort v17, v[40:41], off
	s_branch .LBB57_48
.LBB57_51:                              ;   in Loop: Header=BB57_8 Depth=1
	s_mov_b64 s[84:85], 0
                                        ; implicit-def: $vgpr5
	s_cbranch_execnz .LBB57_54
	s_branch .LBB57_63
.LBB57_52:                              ;   in Loop: Header=BB57_8 Depth=1
	s_or_b64 exec, exec, s[24:25]
	s_mov_b64 s[84:85], exec
.LBB57_53:                              ;   in Loop: Header=BB57_8 Depth=1
	s_or_b64 exec, exec, s[22:23]
	s_and_b64 vcc, exec, s[20:21]
	s_cbranch_vccz .LBB57_63
.LBB57_54:                              ;   in Loop: Header=BB57_8 Depth=1
	s_mul_hi_u32 s10, s73, s6
	s_mul_i32 s10, s10, s7
	s_sub_i32 s10, s73, s10
	s_sub_i32 s11, s10, s7
	s_cmp_ge_u32 s10, s7
	s_cselect_b32 s10, s11, s10
	s_sub_i32 s11, s10, s7
	s_cmp_ge_u32 s10, s7
	s_cselect_b32 s10, s11, s10
	s_sub_i32 s10, s73, s10
	v_cmp_gt_u32_e32 vcc, s10, v20
	s_mov_b32 s78, 0
	s_waitcnt vmcnt(0)
	v_mov_b32_e32 v2, 0
	v_mov_b32_e32 v3, 0
	;; [unrolled: 1-line block ×4, first 2 shown]
	s_and_saveexec_b64 s[86:87], vcc
	s_cbranch_execz .LBB57_58
; %bb.55:                               ;   in Loop: Header=BB57_8 Depth=1
	s_and_b32 s11, s0, 0xfe
	s_mov_b64 s[88:89], 0
	v_mov_b32_e32 v8, v31
	s_mov_b32 s79, 0
	s_mov_b32 s12, 0
	s_mov_b32 s13, 0
	v_mov_b32_e32 v16, v20
.LBB57_56:                              ;   Parent Loop BB57_8 Depth=1
                                        ; =>  This Inner Loop Header: Depth=2
	ds_read_b64 v[2:3], v8
	v_add_u32_e32 v16, s7, v16
	v_cmp_le_i32_e32 vcc, s10, v16
	v_add_u32_e32 v8, s17, v8
	s_waitcnt lgkmcnt(0)
	v_cmp_lt_i16_e64 s[18:19], -1, v2
	v_cndmask_b32_e64 v4, v33, v34, s[18:19]
	v_cmp_gt_i16_sdwa s[18:19], v2, v35 src0_sel:WORD_1 src1_sel:DWORD
	v_cndmask_b32_e64 v5, v33, v34, s[18:19]
	v_cmp_lt_i16_e64 s[18:19], -1, v3
	v_cndmask_b32_e64 v17, v33, v34, s[18:19]
	v_cmp_gt_i16_sdwa s[18:19], v3, v35 src0_sel:WORD_1 src1_sel:DWORD
	v_cndmask_b32_e64 v18, v33, v34, s[18:19]
	v_xor_b32_sdwa v17, v17, v3 dst_sel:DWORD dst_unused:UNUSED_PAD src0_sel:DWORD src1_sel:WORD_0
	v_cmp_o_f16_e64 s[20:21], v3, v3
	v_xor_b32_sdwa v18, v18, v3 dst_sel:DWORD dst_unused:UNUSED_PAD src0_sel:DWORD src1_sel:WORD_1
	v_cmp_o_f16_sdwa s[22:23], v3, v3 src0_sel:WORD_1 src1_sel:WORD_1
	v_xor_b32_sdwa v3, v4, v2 dst_sel:DWORD dst_unused:UNUSED_PAD src0_sel:DWORD src1_sel:WORD_0
	v_cmp_o_f16_e64 s[24:25], v2, v2
	v_xor_b32_sdwa v5, v5, v2 dst_sel:DWORD dst_unused:UNUSED_PAD src0_sel:DWORD src1_sel:WORD_1
	v_cmp_o_f16_sdwa s[18:19], v2, v2 src0_sel:WORD_1 src1_sel:WORD_1
	v_cndmask_b32_e64 v2, v33, v3, s[24:25]
	v_cndmask_b32_e64 v3, v33, v5, s[18:19]
	v_cndmask_b32_e64 v4, v33, v17, s[20:21]
	v_and_b32_e32 v17, s76, v2
	v_bfe_u32 v2, v2, s11, 2
	v_cndmask_b32_e64 v5, v33, v18, s[22:23]
	v_and_b32_e32 v18, s76, v3
	v_bfe_u32 v3, v3, s11, 2
	v_cmp_eq_u32_e64 s[18:19], s77, v17
	v_cmp_eq_u32_e64 s[26:27], 0, v2
	v_and_b32_e32 v19, s76, v4
	v_bfe_u32 v4, v4, s11, 2
	v_cmp_eq_u32_e64 s[20:21], s77, v18
	v_cmp_eq_u32_e64 s[28:29], 0, v3
	s_and_b64 s[26:27], s[18:19], s[26:27]
	v_and_b32_e32 v39, s76, v5
	v_bfe_u32 v5, v5, s11, 2
	v_cmp_eq_u32_e64 s[22:23], s77, v19
	v_cmp_eq_u32_e64 s[30:31], 0, v4
	;; [unrolled: 1-line block ×5, first 2 shown]
	v_cndmask_b32_e64 v2, 0, 1, s[26:27]
	s_and_b64 s[26:27], s[20:21], s[28:29]
	v_cmp_eq_u32_e64 s[24:25], s77, v39
	v_cmp_eq_u32_e64 s[34:35], 0, v5
	v_cmp_eq_u32_e64 s[38:39], 1, v3
	v_cmp_eq_u32_e64 s[46:47], 2, v3
	v_cmp_eq_u32_e64 s[54:55], 3, v3
	v_cndmask_b32_e64 v3, 0, 1, s[26:27]
	s_and_b64 s[26:27], s[22:23], s[30:31]
	v_cmp_eq_u32_e64 s[40:41], 1, v4
	v_cmp_eq_u32_e64 s[48:49], 2, v4
	;; [unrolled: 1-line block ×3, first 2 shown]
	v_cndmask_b32_e64 v4, 0, 1, s[26:27]
	s_and_b64 s[26:27], s[24:25], s[34:35]
	v_cmp_eq_u32_e64 s[42:43], 1, v5
	v_cmp_eq_u32_e64 s[50:51], 2, v5
	;; [unrolled: 1-line block ×3, first 2 shown]
	v_cndmask_b32_e64 v5, 0, 1, s[26:27]
	s_and_b64 s[26:27], s[18:19], s[36:37]
	v_cndmask_b32_e64 v17, 0, 1, s[26:27]
	s_and_b64 s[26:27], s[20:21], s[38:39]
	;; [unrolled: 2-line block ×5, first 2 shown]
	s_and_b64 s[18:19], s[18:19], s[52:53]
	v_cndmask_b32_e64 v40, 0, 1, s[26:27]
	s_and_b64 s[26:27], s[20:21], s[46:47]
	v_cndmask_b32_e64 v44, 0, 1, s[18:19]
	;; [unrolled: 2-line block ×7, first 2 shown]
	v_cndmask_b32_e64 v47, 0, 1, s[18:19]
	v_cmp_ne_u32_e64 s[18:19], 0, v2
	v_cmp_ne_u32_e64 s[20:21], 0, v3
	;; [unrolled: 1-line block ×11, first 2 shown]
	s_bcnt1_i32_b64 s18, s[18:19]
	s_bcnt1_i32_b64 s19, s[20:21]
	;; [unrolled: 1-line block ×8, first 2 shown]
	v_cmp_ne_u32_e64 s[34:35], 0, v39
	v_cmp_ne_u32_e64 s[40:41], 0, v42
	;; [unrolled: 1-line block ×3, first 2 shown]
	s_bcnt1_i32_b64 s23, s[28:29]
	s_bcnt1_i32_b64 s27, s[38:39]
	;; [unrolled: 1-line block ×3, first 2 shown]
	s_add_i32 s13, s13, s18
	s_add_i32 s12, s12, s22
	;; [unrolled: 1-line block ×4, first 2 shown]
	v_cmp_ne_u32_e64 s[42:43], 0, v43
	v_cmp_ne_u32_e64 s[50:51], 0, v47
	s_bcnt1_i32_b64 s25, s[34:35]
	s_bcnt1_i32_b64 s28, s[40:41]
	;; [unrolled: 1-line block ×3, first 2 shown]
	s_add_i32 s13, s13, s19
	s_add_i32 s12, s12, s23
	;; [unrolled: 1-line block ×4, first 2 shown]
	s_bcnt1_i32_b64 s29, s[42:43]
	s_bcnt1_i32_b64 s35, s[50:51]
	s_add_i32 s13, s13, s20
	s_add_i32 s12, s12, s24
	;; [unrolled: 1-line block ×8, first 2 shown]
	s_or_b64 s[88:89], vcc, s[88:89]
	v_mov_b32_e32 v2, s13
	v_mov_b32_e32 v3, s12
	;; [unrolled: 1-line block ×4, first 2 shown]
	s_andn2_b64 exec, exec, s[88:89]
	s_cbranch_execnz .LBB57_56
; %bb.57:                               ;   in Loop: Header=BB57_8 Depth=1
	s_or_b64 exec, exec, s[88:89]
.LBB57_58:                              ;   in Loop: Header=BB57_8 Depth=1
	s_or_b64 exec, exec, s[86:87]
	v_add_u32_e32 v8, s10, v0
	v_cmp_gt_i32_e32 vcc, s73, v8
	s_and_saveexec_b64 s[28:29], vcc
	s_cbranch_execz .LBB57_62
; %bb.59:                               ;   in Loop: Header=BB57_8 Depth=1
	s_and_b32 s10, s0, 0xfe
	v_lshlrev_b32_e32 v16, 1, v8
	s_mov_b64 s[30:31], 0
.LBB57_60:                              ;   Parent Loop BB57_8 Depth=1
                                        ; =>  This Inner Loop Header: Depth=2
	ds_read_u16 v17, v16
	v_add_u32_e32 v8, s33, v8
	v_cmp_le_i32_e32 vcc, s73, v8
	v_add_u32_e32 v16, s8, v16
	s_waitcnt lgkmcnt(0)
	v_cmp_lt_i16_e64 s[18:19], -1, v17
	v_cndmask_b32_e64 v18, v33, v34, s[18:19]
	v_xor_b32_sdwa v18, v18, v17 dst_sel:DWORD dst_unused:UNUSED_PAD src0_sel:DWORD src1_sel:WORD_0
	v_cmp_o_f16_e64 s[18:19], v17, v17
	v_cndmask_b32_e64 v17, v33, v18, s[18:19]
	v_and_b32_e32 v18, s76, v17
	v_bfe_u32 v17, v17, s10, 2
	v_cmp_eq_u32_e64 s[18:19], s77, v18
	v_cmp_eq_u32_e64 s[20:21], 0, v17
	;; [unrolled: 1-line block ×3, first 2 shown]
	s_and_b64 s[12:13], s[18:19], s[20:21]
	v_cmp_eq_u32_e64 s[24:25], 2, v17
	v_cmp_eq_u32_e64 s[26:27], 3, v17
	v_cndmask_b32_e64 v17, 0, 1, s[12:13]
	s_and_b64 s[12:13], s[18:19], s[22:23]
	v_cndmask_b32_e64 v18, 0, 1, s[12:13]
	s_and_b64 s[12:13], s[18:19], s[24:25]
	;; [unrolled: 2-line block ×3, first 2 shown]
	v_cndmask_b32_e64 v39, 0, 1, s[12:13]
	v_cmp_ne_u32_e64 s[18:19], 0, v17
	v_cmp_ne_u32_e64 s[20:21], 0, v18
	;; [unrolled: 1-line block ×4, first 2 shown]
	s_bcnt1_i32_b64 s11, s[18:19]
	s_bcnt1_i32_b64 s12, s[20:21]
	;; [unrolled: 1-line block ×4, first 2 shown]
	v_add_u32_e32 v2, s11, v2
	v_add_u32_e32 v3, s12, v3
	;; [unrolled: 1-line block ×3, first 2 shown]
	s_or_b64 s[30:31], vcc, s[30:31]
	v_add_u32_e32 v5, s18, v5
	s_andn2_b64 exec, exec, s[30:31]
	s_cbranch_execnz .LBB57_60
; %bb.61:                               ;   in Loop: Header=BB57_8 Depth=1
	s_or_b64 exec, exec, s[30:31]
	s_or_b64 s[84:85], s[84:85], exec
.LBB57_62:                              ;   in Loop: Header=BB57_8 Depth=1
	s_or_b64 exec, exec, s[28:29]
.LBB57_63:                              ;   in Loop: Header=BB57_8 Depth=1
	s_and_saveexec_b64 s[18:19], s[84:85]
	s_or_b64 exec, exec, s[18:19]
	s_lshl_b32 s10, s1, 6
	s_and_saveexec_b64 s[18:19], s[2:3]
	s_cbranch_execz .LBB57_65
; %bb.64:                               ;   in Loop: Header=BB57_8 Depth=1
	s_waitcnt vmcnt(0)
	v_or_b32_e32 v8, s10, v23
	v_lshlrev_b32_e32 v8, 2, v8
	ds_write_b128 v8, v[2:5] offset:3072
.LBB57_65:                              ;   in Loop: Header=BB57_8 Depth=1
	s_or_b64 exec, exec, s[18:19]
	s_waitcnt lgkmcnt(0)
	s_barrier
	s_and_saveexec_b64 s[18:19], s[74:75]
	s_cbranch_execz .LBB57_79
; %bb.66:                               ;   in Loop: Header=BB57_8 Depth=1
	v_readlane_b32 s12, v52, 24
	v_readlane_b32 s13, v52, 25
	v_add_u32_e32 v4, s10, v13
	s_andn2_b64 vcc, exec, s[12:13]
	s_waitcnt vmcnt(0)
	v_mov_b32_e32 v2, 0
	s_cbranch_vccnz .LBB57_78
; %bb.67:                               ;   in Loop: Header=BB57_8 Depth=1
	v_readlane_b32 s12, v52, 28
	v_readlane_b32 s13, v52, 29
	s_mov_b32 s11, 0
	s_and_b64 vcc, exec, s[12:13]
	v_mov_b32_e32 v2, 0
	s_cbranch_vccz .LBB57_71
; %bb.68:                               ;   in Loop: Header=BB57_8 Depth=1
	v_readlane_b32 s12, v52, 34
	v_readlane_b32 s13, v52, 35
	v_lshl_add_u32 v5, v4, 2, v36
	s_andn2_b64 vcc, exec, s[12:13]
	s_cbranch_vccnz .LBB57_72
; %bb.69:                               ;   in Loop: Header=BB57_8 Depth=1
	s_mov_b32 s21, 1
	s_mov_b32 s20, 0
	v_mov_b32_e32 v2, 0
	v_readlane_b32 s11, v52, 36
	v_mov_b32_e32 v3, 0
.LBB57_70:                              ;   Parent Loop BB57_8 Depth=1
                                        ; =>  This Inner Loop Header: Depth=2
	v_lshl_add_u32 v8, s20, 4, v5
	v_lshl_add_u32 v39, s21, 4, v5
	ds_read2_b32 v[16:17], v8 offset1:8
	ds_read2_b32 v[18:19], v39 offset1:8
	ds_read2_b32 v[40:41], v8 offset0:16 offset1:24
	ds_read2_b32 v[42:43], v39 offset0:16 offset1:24
	;; [unrolled: 1-line block ×6, first 2 shown]
	s_waitcnt lgkmcnt(7)
	v_add3_u32 v2, v16, v2, v17
	s_waitcnt lgkmcnt(6)
	v_add3_u32 v3, v18, v3, v19
	s_waitcnt lgkmcnt(4)
	v_add3_u32 v3, v42, v3, v43
	v_add3_u32 v2, v40, v2, v41
	s_add_i32 s21, s21, 16
	s_add_i32 s20, s20, 16
	s_add_i32 s11, s11, -8
	s_waitcnt lgkmcnt(3)
	v_add3_u32 v2, v44, v2, v45
	s_waitcnt lgkmcnt(2)
	v_add3_u32 v3, v46, v3, v47
	s_cmp_lg_u32 s11, 0
	s_waitcnt lgkmcnt(0)
	v_add3_u32 v3, v50, v3, v51
	v_add3_u32 v2, v48, v2, v49
	s_cbranch_scc1 .LBB57_70
	s_branch .LBB57_73
.LBB57_71:                              ;   in Loop: Header=BB57_8 Depth=1
	s_cbranch_execnz .LBB57_76
	s_branch .LBB57_78
.LBB57_72:                              ;   in Loop: Header=BB57_8 Depth=1
	s_mov_b32 s73, s72
	v_pk_mov_b32 v[2:3], s[72:73], s[72:73] op_sel:[0,1]
	s_mov_b32 s73, 1
	s_mov_b64 s[20:21], s[72:73]
.LBB57_73:                              ;   in Loop: Header=BB57_8 Depth=1
	v_readlane_b32 s12, v52, 38
	v_readlane_b32 s13, v52, 39
	s_andn2_b64 vcc, exec, s[12:13]
	v_readlane_b32 s11, v52, 37
	s_cbranch_vccnz .LBB57_75
.LBB57_74:                              ;   Parent Loop BB57_8 Depth=1
                                        ; =>  This Inner Loop Header: Depth=2
	v_lshl_add_u32 v8, s20, 4, v5
	v_lshl_add_u32 v16, s21, 4, v5
	ds_read_b32 v16, v16
	ds_read_b32 v8, v8
	s_add_i32 s21, s21, 2
	s_add_i32 s20, s20, 2
	s_add_i32 s11, s11, -1
	s_cmp_lg_u32 s11, 0
	s_waitcnt lgkmcnt(1)
	v_add_u32_e32 v3, v16, v3
	s_waitcnt lgkmcnt(0)
	v_add_u32_e32 v2, v8, v2
	s_cbranch_scc1 .LBB57_74
.LBB57_75:                              ;   in Loop: Header=BB57_8 Depth=1
	v_readlane_b32 s20, v52, 42
	v_add_u32_e32 v2, v2, v3
	v_readlane_b32 s11, v52, 41
	v_readlane_b32 s21, v52, 43
	s_and_b64 vcc, exec, s[20:21]
	s_cbranch_vccz .LBB57_78
.LBB57_76:                              ;   in Loop: Header=BB57_8 Depth=1
	s_lshl_b32 s12, s1, 8
	s_lshl_b32 s13, s11, 4
	s_add_i32 s12, s12, s13
	v_add_u32_e32 v3, s12, v32
	v_readlane_b32 s12, v52, 40
	s_sub_i32 s11, s12, s11
.LBB57_77:                              ;   Parent Loop BB57_8 Depth=1
                                        ; =>  This Inner Loop Header: Depth=2
	ds_read_b32 v5, v3
	s_add_i32 s11, s11, -1
	v_add_u32_e32 v3, 16, v3
	s_cmp_eq_u32 s11, 0
	s_waitcnt lgkmcnt(0)
	v_add_u32_e32 v2, v5, v2
	s_cbranch_scc0 .LBB57_77
.LBB57_78:                              ;   in Loop: Header=BB57_8 Depth=1
	v_lshlrev_b32_e32 v3, 2, v4
	ds_write_b32 v3, v2 offset:3072
.LBB57_79:                              ;   in Loop: Header=BB57_8 Depth=1
	s_or_b64 exec, exec, s[18:19]
	s_lshl_b32 s10, s10, 2
	s_waitcnt vmcnt(0)
	v_mov_b32_e32 v2, s10
	s_waitcnt lgkmcnt(0)
	s_barrier
	ds_read_b128 v[2:5], v2 offset:3072
	s_and_b32 s47, s0, 0xfe
	s_lshl_b32 s55, 3, s47
	s_not_b32 s48, s55
	s_mov_b64 s[22:23], -1
	s_waitcnt lgkmcnt(0)
	v_readfirstlane_b32 s34, v2
	s_cmp_eq_u32 s34, 1
	s_cselect_b64 s[10:11], -1, 0
	s_cmp_eq_u32 s61, 1
	s_cselect_b64 s[12:13], -1, 0
	s_and_b64 s[24:25], s[10:11], s[12:13]
	v_readfirstlane_b32 s38, v3
	v_readfirstlane_b32 s46, v4
	;; [unrolled: 1-line block ×3, first 2 shown]
	s_and_b64 vcc, exec, s[24:25]
	s_cbranch_vccz .LBB57_91
; %bb.80:                               ;   in Loop: Header=BB57_8 Depth=1
	ds_read_b32 v2, v9 offset:4096
	s_waitcnt lgkmcnt(0)
	s_barrier
	v_readfirstlane_b32 s10, v2
	s_and_saveexec_b64 s[18:19], s[4:5]
	s_cbranch_execz .LBB57_82
; %bb.81:                               ;   in Loop: Header=BB57_8 Depth=1
	ds_write_b16 v22, v9
.LBB57_82:                              ;   in Loop: Header=BB57_8 Depth=1
	s_or_b64 exec, exec, s[18:19]
	s_and_b32 s77, s77, s48
	s_or_b32 s76, s76, s55
	s_cmp_lt_i32 s10, 1
	s_waitcnt lgkmcnt(0)
	s_barrier
	s_cbranch_scc0 .LBB57_92
; %bb.83:                               ;   in Loop: Header=BB57_8 Depth=1
	s_mov_b64 s[18:19], 0
                                        ; implicit-def: $vgpr38
	s_mov_b64 s[20:21], exec
	v_readlane_b32 s12, v52, 49
	v_readlane_b32 s13, v52, 50
	s_and_b64 s[12:13], s[20:21], s[12:13]
	s_mov_b64 exec, s[12:13]
	s_cbranch_execz .LBB57_94
; %bb.84:                               ;   in Loop: Header=BB57_8 Depth=1
	s_mov_b64 s[26:27], 0
	v_mov_b32_e32 v2, v6
	v_mov_b32_e32 v4, v0
                                        ; implicit-def: $sgpr28_sgpr29
	s_branch .LBB57_86
.LBB57_85:                              ;   in Loop: Header=BB57_86 Depth=2
	s_or_b64 exec, exec, s[18:19]
	s_waitcnt lgkmcnt(0)
	s_barrier
	s_waitcnt vmcnt(0)
	ds_read_b32 v3, v9 offset:3072
	v_add_u32_e32 v4, s33, v4
	v_cmp_le_i32_e64 s[18:19], s81, v4
	v_add_u32_e32 v2, s83, v2
	s_waitcnt lgkmcnt(0)
	v_cmp_neq_f16_e32 vcc, 0, v3
	s_or_b64 s[12:13], s[18:19], vcc
	s_and_b64 s[12:13], exec, s[12:13]
	s_or_b64 s[26:27], s[12:13], s[26:27]
	s_andn2_b64 s[12:13], s[28:29], exec
	s_and_b64 s[18:19], vcc, exec
	s_or_b64 s[28:29], s[12:13], s[18:19]
	s_barrier
	s_andn2_b64 exec, exec, s[26:27]
	s_cbranch_execz .LBB57_93
.LBB57_86:                              ;   Parent Loop BB57_8 Depth=1
                                        ; =>  This Inner Loop Header: Depth=2
	v_cmp_gt_i32_e32 vcc, s60, v4
	v_mov_b32_e32 v3, 0
	s_and_saveexec_b64 s[30:31], vcc
	s_cbranch_execz .LBB57_88
; %bb.87:                               ;   in Loop: Header=BB57_86 Depth=2
	v_ashrrev_i32_e32 v3, 31, v2
	v_lshlrev_b64 v[16:17], 1, v[2:3]
	v_mov_b32_e32 v3, s82
	v_add_co_u32_e64 v16, s[18:19], s62, v16
	v_addc_co_u32_e64 v17, s[18:19], v3, v17, s[18:19]
	global_load_ushort v3, v[16:17], off
.LBB57_88:                              ;   in Loop: Header=BB57_86 Depth=2
	s_or_b64 exec, exec, s[30:31]
	s_and_saveexec_b64 s[18:19], vcc
	s_cbranch_execz .LBB57_85
; %bb.89:                               ;   in Loop: Header=BB57_86 Depth=2
	s_waitcnt vmcnt(0)
	v_cmp_lt_i16_e32 vcc, -1, v3
	v_cndmask_b32_e32 v5, v33, v34, vcc
	v_xor_b32_sdwa v5, v5, v3 dst_sel:DWORD dst_unused:UNUSED_PAD src0_sel:DWORD src1_sel:WORD_0
	v_cmp_o_f16_e32 vcc, v3, v3
	v_cndmask_b32_e32 v5, v33, v5, vcc
	v_and_b32_e32 v5, s76, v5
	v_cmp_eq_u32_e32 vcc, s77, v5
	s_and_b64 exec, exec, vcc
	s_cbranch_execz .LBB57_85
; %bb.90:                               ;   in Loop: Header=BB57_86 Depth=2
	v_perm_b32 v3, v3, s80, v37
	ds_write_b32 v9, v3 offset:3072
	s_branch .LBB57_85
.LBB57_91:                              ;   in Loop: Header=BB57_8 Depth=1
	s_mov_b64 s[18:19], -1
                                        ; implicit-def: $sgpr20_sgpr21
                                        ; implicit-def: $sgpr28_sgpr29
                                        ; implicit-def: $sgpr26_sgpr27
	s_branch .LBB57_105
.LBB57_92:                              ;   in Loop: Header=BB57_8 Depth=1
	s_mov_b64 s[20:21], -1
	s_mov_b64 s[18:19], 0
                                        ; implicit-def: $sgpr26_sgpr27
                                        ; implicit-def: $vgpr38
	s_mov_b64 s[28:29], s[20:21]
	s_cbranch_execnz .LBB57_95
	s_branch .LBB57_105
.LBB57_93:                              ;   in Loop: Header=BB57_8 Depth=1
	s_or_b64 exec, exec, s[26:27]
	v_lshrrev_b32_e32 v38, 16, v3
	s_and_b64 s[18:19], s[28:29], exec
.LBB57_94:                              ;   in Loop: Header=BB57_8 Depth=1
	s_or_b64 exec, exec, s[20:21]
	s_mov_b64 s[26:27], -1
	s_mov_b64 s[20:21], 0
	s_mov_b64 s[28:29], s[20:21]
	s_branch .LBB57_105
.LBB57_95:                              ;   in Loop: Header=BB57_8 Depth=1
	v_readlane_b32 s11, v52, 21
	s_add_i32 s11, s10, s11
	s_abs_i32 s13, s11
	v_readlane_b32 s18, v52, 48
	s_mul_hi_u32 s18, s13, s18
	s_mul_i32 s18, s18, s33
	s_sub_i32 s13, s13, s18
	s_ashr_i32 s12, s11, 31
	s_sub_i32 s18, s13, s33
	s_cmp_ge_u32 s13, s33
	s_cselect_b32 s13, s18, s13
	s_sub_i32 s18, s13, s33
	s_cmp_ge_u32 s13, s33
	s_cselect_b32 s13, s18, s13
	s_xor_b32 s13, s13, s12
	s_sub_i32 s12, s12, s13
	s_add_i32 s11, s11, s12
	v_cmp_gt_i32_e32 vcc, s11, v0
	s_mov_b64 s[18:19], 0
                                        ; implicit-def: $vgpr38
	s_and_saveexec_b64 s[20:21], vcc
	s_cbranch_execz .LBB57_104
; %bb.96:                               ;   in Loop: Header=BB57_8 Depth=1
	s_mov_b64 s[26:27], 0
	v_mov_b32_e32 v2, v21
	v_mov_b32_e32 v3, v0
                                        ; implicit-def: $sgpr28_sgpr29
	s_branch .LBB57_98
.LBB57_97:                              ;   in Loop: Header=BB57_98 Depth=2
	s_or_b64 exec, exec, s[18:19]
	s_waitcnt lgkmcnt(0)
	s_barrier
	ds_read_b32 v4, v9 offset:3072
	v_add_u32_e32 v3, s33, v3
	v_cmp_le_i32_e64 s[18:19], s11, v3
	v_add_u32_e32 v2, s8, v2
	s_waitcnt lgkmcnt(0)
	v_cmp_neq_f16_e32 vcc, 0, v4
	s_or_b64 s[12:13], s[18:19], vcc
	s_and_b64 s[12:13], exec, s[12:13]
	s_or_b64 s[26:27], s[12:13], s[26:27]
	s_andn2_b64 s[12:13], s[28:29], exec
	s_and_b64 s[18:19], vcc, exec
	s_or_b64 s[28:29], s[12:13], s[18:19]
	s_barrier
	s_andn2_b64 exec, exec, s[26:27]
	s_cbranch_execz .LBB57_103
.LBB57_98:                              ;   Parent Loop BB57_8 Depth=1
                                        ; =>  This Inner Loop Header: Depth=2
	v_cmp_gt_i32_e32 vcc, s10, v3
	v_mov_b32_e32 v4, 0
	s_and_saveexec_b64 s[18:19], vcc
	s_cbranch_execz .LBB57_100
; %bb.99:                               ;   in Loop: Header=BB57_98 Depth=2
	ds_read_u16 v4, v2
.LBB57_100:                             ;   in Loop: Header=BB57_98 Depth=2
	s_or_b64 exec, exec, s[18:19]
	s_and_saveexec_b64 s[18:19], vcc
	s_cbranch_execz .LBB57_97
; %bb.101:                              ;   in Loop: Header=BB57_98 Depth=2
	s_waitcnt lgkmcnt(0)
	v_cmp_lt_i16_e32 vcc, -1, v4
	v_cndmask_b32_e32 v5, v33, v34, vcc
	v_xor_b32_sdwa v5, v5, v4 dst_sel:DWORD dst_unused:UNUSED_PAD src0_sel:DWORD src1_sel:WORD_0
	v_cmp_o_f16_e32 vcc, v4, v4
	v_cndmask_b32_e32 v5, v33, v5, vcc
	v_and_b32_e32 v5, s76, v5
	v_cmp_eq_u32_e32 vcc, s77, v5
	s_and_b64 exec, exec, vcc
	s_cbranch_execz .LBB57_97
; %bb.102:                              ;   in Loop: Header=BB57_98 Depth=2
	v_perm_b32 v4, v4, s80, v37
	ds_write_b32 v9, v4 offset:3072
	s_branch .LBB57_97
.LBB57_103:                             ;   in Loop: Header=BB57_8 Depth=1
	s_or_b64 exec, exec, s[26:27]
	v_lshrrev_b32_e32 v38, 16, v4
	s_and_b64 s[18:19], s[28:29], exec
.LBB57_104:                             ;   in Loop: Header=BB57_8 Depth=1
	s_or_b64 exec, exec, s[20:21]
	s_mov_b64 s[28:29], -1
	s_mov_b64 s[20:21], 0
	s_mov_b64 s[26:27], 0
.LBB57_105:                             ;   in Loop: Header=BB57_8 Depth=1
	s_andn2_b64 s[10:11], s[70:71], exec
	s_and_b64 s[12:13], s[20:21], exec
	s_or_b64 s[70:71], s[10:11], s[12:13]
	s_andn2_b64 s[10:11], s[68:69], exec
	s_and_b64 s[12:13], s[28:29], exec
	s_or_b64 s[68:69], s[10:11], s[12:13]
	;; [unrolled: 3-line block ×3, first 2 shown]
	s_and_saveexec_b64 s[20:21], s[18:19]
	s_cbranch_execz .LBB57_7
; %bb.106:                              ;   in Loop: Header=BB57_8 Depth=1
	s_xor_b64 s[10:11], s[24:25], -1
	s_mov_b64 s[18:19], 0
	s_andn2_b64 vcc, exec, s[10:11]
	s_mov_b32 s39, 1
	s_cbranch_vccnz .LBB57_117
; %bb.107:                              ;   in Loop: Header=BB57_8 Depth=1
	s_cmp_gt_i32 s61, s34
	s_mov_b64 s[18:19], -1
                                        ; implicit-def: $sgpr57
                                        ; implicit-def: $sgpr10
                                        ; implicit-def: $sgpr11
	s_cbranch_scc1 .LBB57_113
; %bb.108:                              ;   in Loop: Header=BB57_8 Depth=1
	ds_read_b32 v2, v9 offset:4096
	s_waitcnt lgkmcnt(0)
	v_cmp_ne_u32_e32 vcc, 0, v2
	s_cbranch_vccnz .LBB57_112
; %bb.109:                              ;   in Loop: Header=BB57_8 Depth=1
	s_mov_b64 s[18:19], exec
	v_readlane_b32 s10, v52, 12
	v_readlane_b32 s11, v52, 13
	s_and_b64 s[10:11], s[18:19], s[10:11]
	s_mov_b64 exec, s[10:11]
	s_cbranch_execz .LBB57_111
; %bb.110:                              ;   in Loop: Header=BB57_8 Depth=1
	v_mov_b32_e32 v2, s34
	ds_write_b32 v9, v2 offset:4100
.LBB57_111:                             ;   in Loop: Header=BB57_8 Depth=1
	s_or_b64 exec, exec, s[18:19]
	s_waitcnt lgkmcnt(0)
	s_barrier
.LBB57_112:                             ;   in Loop: Header=BB57_8 Depth=1
	s_and_b32 s10, s77, s48
	s_or_b32 s11, s76, s55
	s_mov_b64 s[18:19], 0
	s_mov_b32 s57, 8
.LBB57_113:                             ;   in Loop: Header=BB57_8 Depth=1
	s_andn2_b64 vcc, exec, s[18:19]
	s_cbranch_vccnz .LBB57_115
; %bb.114:                              ;   in Loop: Header=BB57_8 Depth=1
	s_sub_i32 s61, s61, s34
	s_mov_b64 s[18:19], -1
	s_mov_b32 s57, 0
	s_mov_b32 s10, s77
	;; [unrolled: 1-line block ×3, first 2 shown]
.LBB57_115:                             ;   in Loop: Header=BB57_8 Depth=1
	s_mov_b32 s76, s11
	s_mov_b32 s77, s10
	;; [unrolled: 1-line block ×3, first 2 shown]
	s_mov_b64 s[22:23], -1
	s_and_b64 vcc, exec, s[18:19]
	s_cbranch_vccnz .LBB57_118
.LBB57_116:                             ;   in Loop: Header=BB57_8 Depth=1
	s_mov_b64 s[36:37], -1
                                        ; implicit-def: $sgpr24_sgpr25
                                        ; implicit-def: $sgpr28_sgpr29
                                        ; implicit-def: $sgpr26_sgpr27
	s_and_saveexec_b64 s[10:11], s[36:37]
	s_xor_b64 s[18:19], exec, s[10:11]
	s_cbranch_execz .LBB57_6
	s_branch .LBB57_241
.LBB57_117:                             ;   in Loop: Header=BB57_8 Depth=1
	s_mov_b32 s57, 1
	s_mov_b64 s[22:23], -1
	s_and_b64 vcc, exec, s[18:19]
	s_cbranch_vccz .LBB57_116
.LBB57_118:                             ;   in Loop: Header=BB57_8 Depth=1
	s_cmp_eq_u32 s38, 1
	s_cselect_b64 s[10:11], -1, 0
	s_cmp_eq_u32 s39, 1
	s_cselect_b64 s[12:13], -1, 0
	s_and_b64 s[34:35], s[10:11], s[12:13]
	s_mov_b64 s[18:19], -1
	s_and_b64 vcc, exec, s[34:35]
	s_cbranch_vccz .LBB57_130
; %bb.119:                              ;   in Loop: Header=BB57_8 Depth=1
	ds_read_b32 v2, v9 offset:4096
	s_waitcnt lgkmcnt(0)
	s_barrier
	v_readfirstlane_b32 s10, v2
	s_and_saveexec_b64 s[18:19], s[4:5]
	s_cbranch_execz .LBB57_121
; %bb.120:                              ;   in Loop: Header=BB57_8 Depth=1
	ds_write_b16 v22, v9
.LBB57_121:                             ;   in Loop: Header=BB57_8 Depth=1
	s_or_b64 exec, exec, s[18:19]
	s_lshl_b32 s11, 1, s47
	s_and_b32 s12, s77, s48
	s_or_b32 s77, s12, s11
	s_or_b32 s76, s76, s55
	s_cmp_gt_i32 s10, 0
	s_waitcnt lgkmcnt(0)
	s_barrier
	s_cbranch_scc1 .LBB57_131
; %bb.122:                              ;   in Loop: Header=BB57_8 Depth=1
	s_mov_b64 s[18:19], 0
                                        ; implicit-def: $vgpr38
	s_mov_b64 s[24:25], exec
	v_readlane_b32 s12, v52, 49
	v_readlane_b32 s13, v52, 50
	s_and_b64 s[12:13], s[24:25], s[12:13]
	s_mov_b64 exec, s[12:13]
	s_cbranch_execz .LBB57_133
; %bb.123:                              ;   in Loop: Header=BB57_8 Depth=1
	s_mov_b64 s[26:27], 0
	v_mov_b32_e32 v2, v6
	v_mov_b32_e32 v4, v0
                                        ; implicit-def: $sgpr28_sgpr29
	s_branch .LBB57_125
.LBB57_124:                             ;   in Loop: Header=BB57_125 Depth=2
	s_or_b64 exec, exec, s[18:19]
	s_waitcnt lgkmcnt(0)
	s_barrier
	s_waitcnt vmcnt(0)
	ds_read_b32 v3, v9 offset:3072
	v_add_u32_e32 v4, s33, v4
	v_cmp_le_i32_e64 s[18:19], s81, v4
	v_add_u32_e32 v2, s83, v2
	s_waitcnt lgkmcnt(0)
	v_cmp_neq_f16_e32 vcc, 0, v3
	s_or_b64 s[12:13], s[18:19], vcc
	s_and_b64 s[12:13], exec, s[12:13]
	s_or_b64 s[26:27], s[12:13], s[26:27]
	s_andn2_b64 s[12:13], s[28:29], exec
	s_and_b64 s[18:19], vcc, exec
	s_or_b64 s[28:29], s[12:13], s[18:19]
	s_barrier
	s_andn2_b64 exec, exec, s[26:27]
	s_cbranch_execz .LBB57_132
.LBB57_125:                             ;   Parent Loop BB57_8 Depth=1
                                        ; =>  This Inner Loop Header: Depth=2
	v_cmp_gt_i32_e32 vcc, s60, v4
	v_mov_b32_e32 v3, 0
	s_and_saveexec_b64 s[30:31], vcc
	s_cbranch_execz .LBB57_127
; %bb.126:                              ;   in Loop: Header=BB57_125 Depth=2
	v_ashrrev_i32_e32 v3, 31, v2
	v_lshlrev_b64 v[16:17], 1, v[2:3]
	v_mov_b32_e32 v3, s82
	v_add_co_u32_e64 v16, s[18:19], s62, v16
	v_addc_co_u32_e64 v17, s[18:19], v3, v17, s[18:19]
	global_load_ushort v3, v[16:17], off
.LBB57_127:                             ;   in Loop: Header=BB57_125 Depth=2
	s_or_b64 exec, exec, s[30:31]
	s_and_saveexec_b64 s[18:19], vcc
	s_cbranch_execz .LBB57_124
; %bb.128:                              ;   in Loop: Header=BB57_125 Depth=2
	s_waitcnt vmcnt(0)
	v_cmp_lt_i16_e32 vcc, -1, v3
	v_cndmask_b32_e32 v5, v33, v34, vcc
	v_xor_b32_sdwa v5, v5, v3 dst_sel:DWORD dst_unused:UNUSED_PAD src0_sel:DWORD src1_sel:WORD_0
	v_cmp_o_f16_e32 vcc, v3, v3
	v_cndmask_b32_e32 v5, v33, v5, vcc
	v_and_b32_e32 v5, s76, v5
	v_cmp_eq_u32_e32 vcc, s77, v5
	s_and_b64 exec, exec, vcc
	s_cbranch_execz .LBB57_124
; %bb.129:                              ;   in Loop: Header=BB57_125 Depth=2
	v_perm_b32 v3, v3, s80, v37
	ds_write_b32 v9, v3 offset:3072
	s_branch .LBB57_124
.LBB57_130:                             ;   in Loop: Header=BB57_8 Depth=1
                                        ; implicit-def: $sgpr26_sgpr27
                                        ; implicit-def: $sgpr28_sgpr29
                                        ; implicit-def: $sgpr24_sgpr25
	s_branch .LBB57_144
.LBB57_131:                             ;   in Loop: Header=BB57_8 Depth=1
	s_mov_b64 s[26:27], -1
	s_mov_b64 s[18:19], 0
                                        ; implicit-def: $sgpr24_sgpr25
                                        ; implicit-def: $vgpr38
	s_mov_b64 s[28:29], s[26:27]
	s_cbranch_execnz .LBB57_134
	s_branch .LBB57_144
.LBB57_132:                             ;   in Loop: Header=BB57_8 Depth=1
	s_or_b64 exec, exec, s[26:27]
	v_lshrrev_b32_e32 v38, 16, v3
	s_and_b64 s[18:19], s[28:29], exec
.LBB57_133:                             ;   in Loop: Header=BB57_8 Depth=1
	s_or_b64 exec, exec, s[24:25]
	s_mov_b64 s[24:25], -1
	s_mov_b64 s[26:27], 0
	s_mov_b64 s[28:29], s[26:27]
	s_branch .LBB57_144
.LBB57_134:                             ;   in Loop: Header=BB57_8 Depth=1
	v_readlane_b32 s11, v52, 21
	s_add_i32 s11, s10, s11
	s_abs_i32 s13, s11
	v_readlane_b32 s18, v52, 48
	s_mul_hi_u32 s18, s13, s18
	s_mul_i32 s18, s18, s33
	s_sub_i32 s13, s13, s18
	s_ashr_i32 s12, s11, 31
	s_sub_i32 s18, s13, s33
	s_cmp_ge_u32 s13, s33
	s_cselect_b32 s13, s18, s13
	s_sub_i32 s18, s13, s33
	s_cmp_ge_u32 s13, s33
	s_cselect_b32 s13, s18, s13
	s_xor_b32 s13, s13, s12
	s_sub_i32 s12, s12, s13
	s_add_i32 s11, s11, s12
	v_cmp_gt_i32_e32 vcc, s11, v0
	s_mov_b64 s[18:19], 0
                                        ; implicit-def: $vgpr38
	s_and_saveexec_b64 s[24:25], vcc
	s_cbranch_execz .LBB57_143
; %bb.135:                              ;   in Loop: Header=BB57_8 Depth=1
	s_mov_b64 s[26:27], 0
	v_mov_b32_e32 v2, v21
	v_mov_b32_e32 v3, v0
                                        ; implicit-def: $sgpr28_sgpr29
	s_branch .LBB57_137
.LBB57_136:                             ;   in Loop: Header=BB57_137 Depth=2
	s_or_b64 exec, exec, s[18:19]
	s_waitcnt lgkmcnt(0)
	s_barrier
	ds_read_b32 v4, v9 offset:3072
	v_add_u32_e32 v3, s33, v3
	v_cmp_le_i32_e64 s[18:19], s11, v3
	v_add_u32_e32 v2, s8, v2
	s_waitcnt lgkmcnt(0)
	v_cmp_neq_f16_e32 vcc, 0, v4
	s_or_b64 s[12:13], s[18:19], vcc
	s_and_b64 s[12:13], exec, s[12:13]
	s_or_b64 s[26:27], s[12:13], s[26:27]
	s_andn2_b64 s[12:13], s[28:29], exec
	s_and_b64 s[18:19], vcc, exec
	s_or_b64 s[28:29], s[12:13], s[18:19]
	s_barrier
	s_andn2_b64 exec, exec, s[26:27]
	s_cbranch_execz .LBB57_142
.LBB57_137:                             ;   Parent Loop BB57_8 Depth=1
                                        ; =>  This Inner Loop Header: Depth=2
	v_cmp_gt_i32_e32 vcc, s10, v3
	v_mov_b32_e32 v4, 0
	s_and_saveexec_b64 s[18:19], vcc
	s_cbranch_execz .LBB57_139
; %bb.138:                              ;   in Loop: Header=BB57_137 Depth=2
	ds_read_u16 v4, v2
.LBB57_139:                             ;   in Loop: Header=BB57_137 Depth=2
	s_or_b64 exec, exec, s[18:19]
	s_and_saveexec_b64 s[18:19], vcc
	s_cbranch_execz .LBB57_136
; %bb.140:                              ;   in Loop: Header=BB57_137 Depth=2
	s_waitcnt lgkmcnt(0)
	v_cmp_lt_i16_e32 vcc, -1, v4
	v_cndmask_b32_e32 v5, v33, v34, vcc
	v_xor_b32_sdwa v5, v5, v4 dst_sel:DWORD dst_unused:UNUSED_PAD src0_sel:DWORD src1_sel:WORD_0
	v_cmp_o_f16_e32 vcc, v4, v4
	v_cndmask_b32_e32 v5, v33, v5, vcc
	v_and_b32_e32 v5, s76, v5
	v_cmp_eq_u32_e32 vcc, s77, v5
	s_and_b64 exec, exec, vcc
	s_cbranch_execz .LBB57_136
; %bb.141:                              ;   in Loop: Header=BB57_137 Depth=2
	v_perm_b32 v4, v4, s80, v37
	ds_write_b32 v9, v4 offset:3072
	s_branch .LBB57_136
.LBB57_142:                             ;   in Loop: Header=BB57_8 Depth=1
	s_or_b64 exec, exec, s[26:27]
	v_lshrrev_b32_e32 v38, 16, v4
	s_and_b64 s[18:19], s[28:29], exec
.LBB57_143:                             ;   in Loop: Header=BB57_8 Depth=1
	s_or_b64 exec, exec, s[24:25]
	s_mov_b64 s[28:29], -1
	s_mov_b64 s[26:27], 0
	s_mov_b64 s[24:25], 0
.LBB57_144:                             ;   in Loop: Header=BB57_8 Depth=1
	s_mov_b64 s[36:37], 0
                                        ; implicit-def: $sgpr57
	s_and_saveexec_b64 s[30:31], s[18:19]
	s_cbranch_execz .LBB57_240
; %bb.145:                              ;   in Loop: Header=BB57_8 Depth=1
	s_xor_b64 s[10:11], s[34:35], -1
	s_mov_b64 s[18:19], 0
	s_andn2_b64 vcc, exec, s[10:11]
	s_mov_b32 s49, 1
	s_cbranch_vccnz .LBB57_156
; %bb.146:                              ;   in Loop: Header=BB57_8 Depth=1
	s_cmp_gt_i32 s39, s38
	s_mov_b64 s[18:19], -1
                                        ; implicit-def: $sgpr57
                                        ; implicit-def: $sgpr10
                                        ; implicit-def: $sgpr11
	s_cbranch_scc1 .LBB57_152
; %bb.147:                              ;   in Loop: Header=BB57_8 Depth=1
	ds_read_b32 v2, v9 offset:4096
	s_waitcnt lgkmcnt(0)
	v_cmp_ne_u32_e32 vcc, 0, v2
	s_cbranch_vccnz .LBB57_151
; %bb.148:                              ;   in Loop: Header=BB57_8 Depth=1
	s_mov_b64 s[18:19], exec
	v_readlane_b32 s10, v52, 12
	v_readlane_b32 s11, v52, 13
	s_and_b64 s[10:11], s[18:19], s[10:11]
	s_mov_b64 exec, s[10:11]
	s_cbranch_execz .LBB57_150
; %bb.149:                              ;   in Loop: Header=BB57_8 Depth=1
	v_mov_b32_e32 v2, s38
	ds_write_b32 v9, v2 offset:4100
.LBB57_150:                             ;   in Loop: Header=BB57_8 Depth=1
	s_or_b64 exec, exec, s[18:19]
	s_waitcnt lgkmcnt(0)
	s_barrier
.LBB57_151:                             ;   in Loop: Header=BB57_8 Depth=1
	s_lshl_b32 s10, 1, s47
	s_and_b32 s11, s77, s48
	s_or_b32 s10, s11, s10
	s_or_b32 s11, s76, s55
	s_mov_b64 s[18:19], 0
	s_mov_b32 s57, 8
.LBB57_152:                             ;   in Loop: Header=BB57_8 Depth=1
	s_andn2_b64 vcc, exec, s[18:19]
	s_cbranch_vccnz .LBB57_154
; %bb.153:                              ;   in Loop: Header=BB57_8 Depth=1
	s_sub_i32 s39, s39, s38
	s_mov_b64 s[18:19], -1
	s_mov_b32 s57, 0
	s_mov_b32 s10, s77
	;; [unrolled: 1-line block ×3, first 2 shown]
.LBB57_154:                             ;   in Loop: Header=BB57_8 Depth=1
	s_mov_b32 s76, s11
	s_mov_b32 s77, s10
	;; [unrolled: 1-line block ×3, first 2 shown]
	s_andn2_b64 vcc, exec, s[18:19]
	s_mov_b64 s[44:45], -1
	s_cbranch_vccz .LBB57_157
.LBB57_155:                             ;   in Loop: Header=BB57_8 Depth=1
                                        ; implicit-def: $sgpr36_sgpr37
                                        ; implicit-def: $sgpr38_sgpr39
                                        ; implicit-def: $sgpr34_sgpr35
	s_branch .LBB57_239
.LBB57_156:                             ;   in Loop: Header=BB57_8 Depth=1
	s_mov_b32 s57, 1
	s_andn2_b64 vcc, exec, s[18:19]
	s_mov_b64 s[44:45], -1
	s_cbranch_vccnz .LBB57_155
.LBB57_157:                             ;   in Loop: Header=BB57_8 Depth=1
	s_cmp_eq_u32 s46, 1
	s_cselect_b64 s[10:11], -1, 0
	s_cmp_eq_u32 s49, 1
	s_cselect_b64 s[12:13], -1, 0
	s_and_b64 s[42:43], s[10:11], s[12:13]
	s_mov_b64 s[18:19], -1
	s_and_b64 vcc, exec, s[42:43]
	s_cbranch_vccz .LBB57_169
; %bb.158:                              ;   in Loop: Header=BB57_8 Depth=1
	ds_read_b32 v2, v9 offset:4096
	s_waitcnt lgkmcnt(0)
	s_barrier
	v_readfirstlane_b32 s10, v2
	s_and_saveexec_b64 s[18:19], s[4:5]
	s_cbranch_execz .LBB57_160
; %bb.159:                              ;   in Loop: Header=BB57_8 Depth=1
	ds_write_b16 v22, v9
.LBB57_160:                             ;   in Loop: Header=BB57_8 Depth=1
	s_or_b64 exec, exec, s[18:19]
	s_lshl_b32 s11, 2, s47
	s_and_b32 s12, s77, s48
	s_or_b32 s77, s12, s11
	s_or_b32 s76, s76, s55
	s_cmp_gt_i32 s10, 0
	s_waitcnt lgkmcnt(0)
	s_barrier
	s_cbranch_scc1 .LBB57_170
; %bb.161:                              ;   in Loop: Header=BB57_8 Depth=1
	s_mov_b64 s[18:19], 0
                                        ; implicit-def: $vgpr38
	s_mov_b64 s[34:35], exec
	v_readlane_b32 s12, v52, 49
	v_readlane_b32 s13, v52, 50
	s_and_b64 s[12:13], s[34:35], s[12:13]
	s_mov_b64 exec, s[12:13]
	s_cbranch_execz .LBB57_172
; %bb.162:                              ;   in Loop: Header=BB57_8 Depth=1
	v_mov_b32_e32 v2, v6
	v_mov_b32_e32 v4, v0
                                        ; implicit-def: $sgpr38_sgpr39
	s_branch .LBB57_164
.LBB57_163:                             ;   in Loop: Header=BB57_164 Depth=2
	s_or_b64 exec, exec, s[18:19]
	s_waitcnt lgkmcnt(0)
	s_barrier
	s_waitcnt vmcnt(0)
	ds_read_b32 v3, v9 offset:3072
	v_add_u32_e32 v4, s33, v4
	v_cmp_le_i32_e64 s[18:19], s81, v4
	v_add_u32_e32 v2, s83, v2
	s_waitcnt lgkmcnt(0)
	v_cmp_neq_f16_e32 vcc, 0, v3
	s_or_b64 s[12:13], s[18:19], vcc
	s_and_b64 s[12:13], exec, s[12:13]
	s_or_b64 s[36:37], s[12:13], s[36:37]
	s_andn2_b64 s[12:13], s[38:39], exec
	s_and_b64 s[18:19], vcc, exec
	s_or_b64 s[38:39], s[12:13], s[18:19]
	s_barrier
	s_andn2_b64 exec, exec, s[36:37]
	s_cbranch_execz .LBB57_171
.LBB57_164:                             ;   Parent Loop BB57_8 Depth=1
                                        ; =>  This Inner Loop Header: Depth=2
	v_cmp_gt_i32_e32 vcc, s60, v4
	v_mov_b32_e32 v3, 0
	s_and_saveexec_b64 s[40:41], vcc
	s_cbranch_execz .LBB57_166
; %bb.165:                              ;   in Loop: Header=BB57_164 Depth=2
	v_ashrrev_i32_e32 v3, 31, v2
	v_lshlrev_b64 v[16:17], 1, v[2:3]
	v_mov_b32_e32 v3, s82
	v_add_co_u32_e64 v16, s[18:19], s62, v16
	v_addc_co_u32_e64 v17, s[18:19], v3, v17, s[18:19]
	global_load_ushort v3, v[16:17], off
.LBB57_166:                             ;   in Loop: Header=BB57_164 Depth=2
	s_or_b64 exec, exec, s[40:41]
	s_and_saveexec_b64 s[18:19], vcc
	s_cbranch_execz .LBB57_163
; %bb.167:                              ;   in Loop: Header=BB57_164 Depth=2
	s_waitcnt vmcnt(0)
	v_cmp_lt_i16_e32 vcc, -1, v3
	v_cndmask_b32_e32 v5, v33, v34, vcc
	v_xor_b32_sdwa v5, v5, v3 dst_sel:DWORD dst_unused:UNUSED_PAD src0_sel:DWORD src1_sel:WORD_0
	v_cmp_o_f16_e32 vcc, v3, v3
	v_cndmask_b32_e32 v5, v33, v5, vcc
	v_and_b32_e32 v5, s76, v5
	v_cmp_eq_u32_e32 vcc, s77, v5
	s_and_b64 exec, exec, vcc
	s_cbranch_execz .LBB57_163
; %bb.168:                              ;   in Loop: Header=BB57_164 Depth=2
	v_perm_b32 v3, v3, s80, v37
	ds_write_b32 v9, v3 offset:3072
	s_branch .LBB57_163
.LBB57_169:                             ;   in Loop: Header=BB57_8 Depth=1
                                        ; implicit-def: $sgpr34_sgpr35
                                        ; implicit-def: $sgpr38_sgpr39
                                        ; implicit-def: $sgpr36_sgpr37
	s_branch .LBB57_183
.LBB57_170:                             ;   in Loop: Header=BB57_8 Depth=1
	s_mov_b64 s[34:35], -1
	s_mov_b64 s[18:19], 0
                                        ; implicit-def: $sgpr36_sgpr37
                                        ; implicit-def: $vgpr38
	s_mov_b64 s[38:39], s[34:35]
	s_cbranch_execnz .LBB57_173
	s_branch .LBB57_183
.LBB57_171:                             ;   in Loop: Header=BB57_8 Depth=1
	s_or_b64 exec, exec, s[36:37]
	v_lshrrev_b32_e32 v38, 16, v3
	s_and_b64 s[18:19], s[38:39], exec
.LBB57_172:                             ;   in Loop: Header=BB57_8 Depth=1
	s_or_b64 exec, exec, s[34:35]
	s_mov_b64 s[36:37], -1
	s_mov_b64 s[34:35], 0
	s_mov_b64 s[38:39], s[34:35]
	s_branch .LBB57_183
.LBB57_173:                             ;   in Loop: Header=BB57_8 Depth=1
	v_readlane_b32 s11, v52, 21
	s_add_i32 s11, s10, s11
	s_abs_i32 s13, s11
	v_readlane_b32 s18, v52, 48
	s_mul_hi_u32 s18, s13, s18
	s_mul_i32 s18, s18, s33
	s_sub_i32 s13, s13, s18
	s_ashr_i32 s12, s11, 31
	s_sub_i32 s18, s13, s33
	s_cmp_ge_u32 s13, s33
	s_cselect_b32 s13, s18, s13
	s_sub_i32 s18, s13, s33
	s_cmp_ge_u32 s13, s33
	s_cselect_b32 s13, s18, s13
	s_xor_b32 s13, s13, s12
	s_sub_i32 s12, s12, s13
	s_add_i32 s11, s11, s12
	v_cmp_gt_i32_e32 vcc, s11, v0
	s_mov_b64 s[18:19], 0
                                        ; implicit-def: $vgpr38
	s_and_saveexec_b64 s[34:35], vcc
	s_cbranch_execz .LBB57_182
; %bb.174:                              ;   in Loop: Header=BB57_8 Depth=1
	s_mov_b64 s[36:37], 0
	v_mov_b32_e32 v2, v21
	v_mov_b32_e32 v3, v0
                                        ; implicit-def: $sgpr38_sgpr39
	s_branch .LBB57_176
.LBB57_175:                             ;   in Loop: Header=BB57_176 Depth=2
	s_or_b64 exec, exec, s[18:19]
	s_waitcnt lgkmcnt(0)
	s_barrier
	ds_read_b32 v4, v9 offset:3072
	v_add_u32_e32 v3, s33, v3
	v_cmp_le_i32_e64 s[18:19], s11, v3
	v_add_u32_e32 v2, s8, v2
	s_waitcnt lgkmcnt(0)
	v_cmp_neq_f16_e32 vcc, 0, v4
	s_or_b64 s[12:13], s[18:19], vcc
	s_and_b64 s[12:13], exec, s[12:13]
	s_or_b64 s[36:37], s[12:13], s[36:37]
	s_andn2_b64 s[12:13], s[38:39], exec
	s_and_b64 s[18:19], vcc, exec
	s_or_b64 s[38:39], s[12:13], s[18:19]
	s_barrier
	s_andn2_b64 exec, exec, s[36:37]
	s_cbranch_execz .LBB57_181
.LBB57_176:                             ;   Parent Loop BB57_8 Depth=1
                                        ; =>  This Inner Loop Header: Depth=2
	v_cmp_gt_i32_e32 vcc, s10, v3
	v_mov_b32_e32 v4, 0
	s_and_saveexec_b64 s[18:19], vcc
	s_cbranch_execz .LBB57_178
; %bb.177:                              ;   in Loop: Header=BB57_176 Depth=2
	ds_read_u16 v4, v2
.LBB57_178:                             ;   in Loop: Header=BB57_176 Depth=2
	s_or_b64 exec, exec, s[18:19]
	s_and_saveexec_b64 s[18:19], vcc
	s_cbranch_execz .LBB57_175
; %bb.179:                              ;   in Loop: Header=BB57_176 Depth=2
	s_waitcnt lgkmcnt(0)
	v_cmp_lt_i16_e32 vcc, -1, v4
	v_cndmask_b32_e32 v5, v33, v34, vcc
	v_xor_b32_sdwa v5, v5, v4 dst_sel:DWORD dst_unused:UNUSED_PAD src0_sel:DWORD src1_sel:WORD_0
	v_cmp_o_f16_e32 vcc, v4, v4
	v_cndmask_b32_e32 v5, v33, v5, vcc
	v_and_b32_e32 v5, s76, v5
	v_cmp_eq_u32_e32 vcc, s77, v5
	s_and_b64 exec, exec, vcc
	s_cbranch_execz .LBB57_175
; %bb.180:                              ;   in Loop: Header=BB57_176 Depth=2
	v_perm_b32 v4, v4, s80, v37
	ds_write_b32 v9, v4 offset:3072
	s_branch .LBB57_175
.LBB57_181:                             ;   in Loop: Header=BB57_8 Depth=1
	s_or_b64 exec, exec, s[36:37]
	v_lshrrev_b32_e32 v38, 16, v4
	s_and_b64 s[18:19], s[38:39], exec
.LBB57_182:                             ;   in Loop: Header=BB57_8 Depth=1
	s_or_b64 exec, exec, s[34:35]
	s_mov_b64 s[38:39], -1
	s_mov_b64 s[34:35], 0
	s_mov_b64 s[36:37], 0
.LBB57_183:                             ;   in Loop: Header=BB57_8 Depth=1
	s_mov_b64 s[44:45], 0
                                        ; implicit-def: $sgpr57
	s_and_saveexec_b64 s[40:41], s[18:19]
	s_cbranch_execz .LBB57_238
; %bb.184:                              ;   in Loop: Header=BB57_8 Depth=1
	s_xor_b64 s[10:11], s[42:43], -1
	s_mov_b64 s[18:19], 0
	s_andn2_b64 vcc, exec, s[10:11]
	s_mov_b32 s56, 1
	s_cbranch_vccnz .LBB57_195
; %bb.185:                              ;   in Loop: Header=BB57_8 Depth=1
	s_cmp_gt_i32 s49, s46
	s_mov_b64 s[18:19], -1
                                        ; implicit-def: $sgpr57
                                        ; implicit-def: $sgpr10
                                        ; implicit-def: $sgpr11
	s_cbranch_scc1 .LBB57_191
; %bb.186:                              ;   in Loop: Header=BB57_8 Depth=1
	ds_read_b32 v2, v9 offset:4096
	s_waitcnt lgkmcnt(0)
	v_cmp_ne_u32_e32 vcc, 0, v2
	s_cbranch_vccnz .LBB57_190
; %bb.187:                              ;   in Loop: Header=BB57_8 Depth=1
	s_mov_b64 s[18:19], exec
	v_readlane_b32 s10, v52, 12
	v_readlane_b32 s11, v52, 13
	s_and_b64 s[10:11], s[18:19], s[10:11]
	s_mov_b64 exec, s[10:11]
	s_cbranch_execz .LBB57_189
; %bb.188:                              ;   in Loop: Header=BB57_8 Depth=1
	v_mov_b32_e32 v2, s46
	ds_write_b32 v9, v2 offset:4100
.LBB57_189:                             ;   in Loop: Header=BB57_8 Depth=1
	s_or_b64 exec, exec, s[18:19]
	s_waitcnt lgkmcnt(0)
	s_barrier
.LBB57_190:                             ;   in Loop: Header=BB57_8 Depth=1
	s_lshl_b32 s10, 2, s47
	s_and_b32 s11, s77, s48
	s_or_b32 s10, s11, s10
	s_or_b32 s11, s76, s55
	s_mov_b64 s[18:19], 0
	s_mov_b32 s57, 8
.LBB57_191:                             ;   in Loop: Header=BB57_8 Depth=1
	s_andn2_b64 vcc, exec, s[18:19]
	s_cbranch_vccnz .LBB57_193
; %bb.192:                              ;   in Loop: Header=BB57_8 Depth=1
	s_sub_i32 s49, s49, s46
	s_mov_b64 s[18:19], -1
	s_mov_b32 s57, 0
	s_mov_b32 s10, s77
	;; [unrolled: 1-line block ×3, first 2 shown]
.LBB57_193:                             ;   in Loop: Header=BB57_8 Depth=1
	s_mov_b32 s76, s11
	s_mov_b32 s77, s10
	;; [unrolled: 1-line block ×3, first 2 shown]
	s_andn2_b64 vcc, exec, s[18:19]
	s_mov_b64 s[52:53], -1
	s_cbranch_vccz .LBB57_196
.LBB57_194:                             ;   in Loop: Header=BB57_8 Depth=1
                                        ; implicit-def: $sgpr18_sgpr19
                                        ; implicit-def: $sgpr46_sgpr47
                                        ; implicit-def: $sgpr44_sgpr45
	s_branch .LBB57_237
.LBB57_195:                             ;   in Loop: Header=BB57_8 Depth=1
	s_mov_b32 s57, 1
	s_andn2_b64 vcc, exec, s[18:19]
	s_mov_b64 s[52:53], -1
	s_cbranch_vccnz .LBB57_194
.LBB57_196:                             ;   in Loop: Header=BB57_8 Depth=1
	s_cmp_eq_u32 s54, 1
	s_cselect_b64 s[10:11], -1, 0
	s_cmp_eq_u32 s56, 1
	s_cselect_b64 s[12:13], -1, 0
	s_and_b64 s[42:43], s[10:11], s[12:13]
	s_mov_b64 s[48:49], -1
	s_and_b64 vcc, exec, s[42:43]
	s_cbranch_vccz .LBB57_208
; %bb.197:                              ;   in Loop: Header=BB57_8 Depth=1
	ds_read_b32 v2, v9 offset:4096
	s_waitcnt lgkmcnt(0)
	s_barrier
	v_readfirstlane_b32 s10, v2
	s_and_saveexec_b64 s[18:19], s[4:5]
	s_cbranch_execz .LBB57_199
; %bb.198:                              ;   in Loop: Header=BB57_8 Depth=1
	ds_write_b16 v22, v9
.LBB57_199:                             ;   in Loop: Header=BB57_8 Depth=1
	s_or_b64 exec, exec, s[18:19]
	s_or_b32 s77, s77, s55
	s_or_b32 s76, s76, s55
	s_cmp_gt_i32 s10, 0
	s_waitcnt lgkmcnt(0)
	s_barrier
	s_cbranch_scc1 .LBB57_209
; %bb.200:                              ;   in Loop: Header=BB57_8 Depth=1
	s_mov_b64 s[48:49], 0
                                        ; implicit-def: $vgpr38
	s_mov_b64 s[44:45], exec
	v_readlane_b32 s12, v52, 49
	v_readlane_b32 s13, v52, 50
	s_and_b64 s[12:13], s[44:45], s[12:13]
	s_mov_b64 exec, s[12:13]
	s_cbranch_execz .LBB57_211
; %bb.201:                              ;   in Loop: Header=BB57_8 Depth=1
	s_mov_b64 s[46:47], 0
	v_mov_b32_e32 v2, v6
	v_mov_b32_e32 v4, v0
                                        ; implicit-def: $sgpr48_sgpr49
	s_branch .LBB57_203
.LBB57_202:                             ;   in Loop: Header=BB57_203 Depth=2
	s_or_b64 exec, exec, s[18:19]
	s_waitcnt lgkmcnt(0)
	s_barrier
	s_waitcnt vmcnt(0)
	ds_read_b32 v3, v9 offset:3072
	v_add_u32_e32 v4, s33, v4
	v_cmp_le_i32_e64 s[18:19], s81, v4
	v_add_u32_e32 v2, s83, v2
	s_waitcnt lgkmcnt(0)
	v_cmp_neq_f16_e32 vcc, 0, v3
	s_or_b64 s[12:13], s[18:19], vcc
	s_and_b64 s[12:13], exec, s[12:13]
	s_or_b64 s[46:47], s[12:13], s[46:47]
	s_andn2_b64 s[12:13], s[48:49], exec
	s_and_b64 s[18:19], vcc, exec
	s_or_b64 s[48:49], s[12:13], s[18:19]
	s_barrier
	s_andn2_b64 exec, exec, s[46:47]
	s_cbranch_execz .LBB57_210
.LBB57_203:                             ;   Parent Loop BB57_8 Depth=1
                                        ; =>  This Inner Loop Header: Depth=2
	v_cmp_gt_i32_e32 vcc, s60, v4
	v_mov_b32_e32 v3, 0
	s_and_saveexec_b64 s[50:51], vcc
	s_cbranch_execz .LBB57_205
; %bb.204:                              ;   in Loop: Header=BB57_203 Depth=2
	v_ashrrev_i32_e32 v3, 31, v2
	v_lshlrev_b64 v[16:17], 1, v[2:3]
	v_mov_b32_e32 v3, s82
	v_add_co_u32_e64 v16, s[18:19], s62, v16
	v_addc_co_u32_e64 v17, s[18:19], v3, v17, s[18:19]
	global_load_ushort v3, v[16:17], off
.LBB57_205:                             ;   in Loop: Header=BB57_203 Depth=2
	s_or_b64 exec, exec, s[50:51]
	s_and_saveexec_b64 s[18:19], vcc
	s_cbranch_execz .LBB57_202
; %bb.206:                              ;   in Loop: Header=BB57_203 Depth=2
	s_waitcnt vmcnt(0)
	v_cmp_lt_i16_e32 vcc, -1, v3
	v_cndmask_b32_e32 v5, v33, v34, vcc
	v_xor_b32_sdwa v5, v5, v3 dst_sel:DWORD dst_unused:UNUSED_PAD src0_sel:DWORD src1_sel:WORD_0
	v_cmp_o_f16_e32 vcc, v3, v3
	v_cndmask_b32_e32 v5, v33, v5, vcc
	v_and_b32_e32 v5, s76, v5
	v_cmp_eq_u32_e32 vcc, s77, v5
	s_and_b64 exec, exec, vcc
	s_cbranch_execz .LBB57_202
; %bb.207:                              ;   in Loop: Header=BB57_203 Depth=2
	v_perm_b32 v3, v3, s80, v37
	ds_write_b32 v9, v3 offset:3072
	s_branch .LBB57_202
.LBB57_208:                             ;   in Loop: Header=BB57_8 Depth=1
                                        ; implicit-def: $sgpr18_sgpr19
                                        ; implicit-def: $sgpr46_sgpr47
                                        ; implicit-def: $sgpr44_sgpr45
	s_branch .LBB57_222
.LBB57_209:                             ;   in Loop: Header=BB57_8 Depth=1
	s_mov_b64 s[18:19], -1
	s_mov_b64 s[48:49], 0
                                        ; implicit-def: $sgpr44_sgpr45
                                        ; implicit-def: $vgpr38
	s_mov_b64 s[46:47], s[18:19]
	s_cbranch_execnz .LBB57_212
	s_branch .LBB57_222
.LBB57_210:                             ;   in Loop: Header=BB57_8 Depth=1
	s_or_b64 exec, exec, s[46:47]
	v_lshrrev_b32_e32 v38, 16, v3
	s_and_b64 s[48:49], s[48:49], exec
.LBB57_211:                             ;   in Loop: Header=BB57_8 Depth=1
	s_or_b64 exec, exec, s[44:45]
	s_mov_b64 s[44:45], -1
	s_mov_b64 s[18:19], 0
	s_mov_b64 s[46:47], s[18:19]
	s_branch .LBB57_222
.LBB57_212:                             ;   in Loop: Header=BB57_8 Depth=1
	v_readlane_b32 s11, v52, 21
	s_add_i32 s11, s10, s11
	s_abs_i32 s13, s11
	v_readlane_b32 s18, v52, 48
	s_mul_hi_u32 s18, s13, s18
	s_mul_i32 s18, s18, s33
	s_sub_i32 s13, s13, s18
	s_ashr_i32 s12, s11, 31
	s_sub_i32 s18, s13, s33
	s_cmp_ge_u32 s13, s33
	s_cselect_b32 s13, s18, s13
	s_sub_i32 s18, s13, s33
	s_cmp_ge_u32 s13, s33
	s_cselect_b32 s13, s18, s13
	s_xor_b32 s13, s13, s12
	s_sub_i32 s12, s12, s13
	s_add_i32 s11, s11, s12
	v_cmp_gt_i32_e32 vcc, s11, v0
	s_mov_b64 s[48:49], 0
                                        ; implicit-def: $vgpr38
	s_and_saveexec_b64 s[44:45], vcc
	s_cbranch_execz .LBB57_221
; %bb.213:                              ;   in Loop: Header=BB57_8 Depth=1
	s_mov_b64 s[46:47], 0
	v_mov_b32_e32 v2, v21
	v_mov_b32_e32 v3, v0
                                        ; implicit-def: $sgpr48_sgpr49
	s_branch .LBB57_215
.LBB57_214:                             ;   in Loop: Header=BB57_215 Depth=2
	s_or_b64 exec, exec, s[18:19]
	s_waitcnt lgkmcnt(0)
	s_barrier
	ds_read_b32 v4, v9 offset:3072
	v_add_u32_e32 v3, s33, v3
	v_cmp_le_i32_e64 s[18:19], s11, v3
	v_add_u32_e32 v2, s8, v2
	s_waitcnt lgkmcnt(0)
	v_cmp_neq_f16_e32 vcc, 0, v4
	s_or_b64 s[12:13], s[18:19], vcc
	s_and_b64 s[12:13], exec, s[12:13]
	s_or_b64 s[46:47], s[12:13], s[46:47]
	s_andn2_b64 s[12:13], s[48:49], exec
	s_and_b64 s[18:19], vcc, exec
	s_or_b64 s[48:49], s[12:13], s[18:19]
	s_barrier
	s_andn2_b64 exec, exec, s[46:47]
	s_cbranch_execz .LBB57_220
.LBB57_215:                             ;   Parent Loop BB57_8 Depth=1
                                        ; =>  This Inner Loop Header: Depth=2
	v_cmp_gt_i32_e32 vcc, s10, v3
	v_mov_b32_e32 v4, 0
	s_and_saveexec_b64 s[18:19], vcc
	s_cbranch_execz .LBB57_217
; %bb.216:                              ;   in Loop: Header=BB57_215 Depth=2
	ds_read_u16 v4, v2
.LBB57_217:                             ;   in Loop: Header=BB57_215 Depth=2
	s_or_b64 exec, exec, s[18:19]
	s_and_saveexec_b64 s[18:19], vcc
	s_cbranch_execz .LBB57_214
; %bb.218:                              ;   in Loop: Header=BB57_215 Depth=2
	s_waitcnt lgkmcnt(0)
	v_cmp_lt_i16_e32 vcc, -1, v4
	v_cndmask_b32_e32 v5, v33, v34, vcc
	v_xor_b32_sdwa v5, v5, v4 dst_sel:DWORD dst_unused:UNUSED_PAD src0_sel:DWORD src1_sel:WORD_0
	v_cmp_o_f16_e32 vcc, v4, v4
	v_cndmask_b32_e32 v5, v33, v5, vcc
	v_and_b32_e32 v5, s76, v5
	v_cmp_eq_u32_e32 vcc, s77, v5
	s_and_b64 exec, exec, vcc
	s_cbranch_execz .LBB57_214
; %bb.219:                              ;   in Loop: Header=BB57_215 Depth=2
	v_perm_b32 v4, v4, s80, v37
	ds_write_b32 v9, v4 offset:3072
	s_branch .LBB57_214
.LBB57_220:                             ;   in Loop: Header=BB57_8 Depth=1
	s_or_b64 exec, exec, s[46:47]
	v_lshrrev_b32_e32 v38, 16, v4
	s_and_b64 s[48:49], s[48:49], exec
.LBB57_221:                             ;   in Loop: Header=BB57_8 Depth=1
	s_or_b64 exec, exec, s[44:45]
	s_mov_b64 s[46:47], -1
	s_mov_b64 s[18:19], 0
	s_mov_b64 s[44:45], 0
.LBB57_222:                             ;   in Loop: Header=BB57_8 Depth=1
	s_mov_b64 s[52:53], 0
                                        ; implicit-def: $sgpr57
	s_and_saveexec_b64 s[50:51], s[48:49]
	s_cbranch_execz .LBB57_236
; %bb.223:                              ;   in Loop: Header=BB57_8 Depth=1
	s_xor_b64 s[10:11], s[42:43], -1
	s_andn2_b64 vcc, exec, s[10:11]
	s_mov_b32 s57, 1
	s_cbranch_vccnz .LBB57_230
; %bb.224:                              ;   in Loop: Header=BB57_8 Depth=1
	s_cmp_gt_i32 s56, s54
	s_cbranch_scc1 .LBB57_231
; %bb.225:                              ;   in Loop: Header=BB57_8 Depth=1
	ds_read_b32 v2, v9 offset:4096
	s_waitcnt lgkmcnt(0)
	v_cmp_ne_u32_e32 vcc, 0, v2
	s_cbranch_vccnz .LBB57_229
; %bb.226:                              ;   in Loop: Header=BB57_8 Depth=1
	s_mov_b64 s[42:43], exec
	v_readlane_b32 s10, v52, 12
	v_readlane_b32 s11, v52, 13
	s_and_b64 s[10:11], s[42:43], s[10:11]
	s_mov_b64 exec, s[10:11]
	s_cbranch_execz .LBB57_228
; %bb.227:                              ;   in Loop: Header=BB57_8 Depth=1
	v_mov_b32_e32 v2, s54
	ds_write_b32 v9, v2 offset:4100
.LBB57_228:                             ;   in Loop: Header=BB57_8 Depth=1
	s_or_b64 exec, exec, s[42:43]
	s_waitcnt lgkmcnt(0)
	s_barrier
.LBB57_229:                             ;   in Loop: Header=BB57_8 Depth=1
	s_or_b32 s10, s77, s55
	s_or_b32 s11, s76, s55
	s_mov_b64 s[42:43], 0
	s_mov_b32 s57, 8
	s_branch .LBB57_232
.LBB57_230:                             ;   in Loop: Header=BB57_8 Depth=1
	s_mov_b32 s56, 1
	s_branch .LBB57_235
.LBB57_231:                             ;   in Loop: Header=BB57_8 Depth=1
	s_mov_b64 s[42:43], -1
                                        ; implicit-def: $sgpr57
                                        ; implicit-def: $sgpr10
                                        ; implicit-def: $sgpr11
.LBB57_232:                             ;   in Loop: Header=BB57_8 Depth=1
	s_andn2_b64 vcc, exec, s[42:43]
	s_cbranch_vccnz .LBB57_234
; %bb.233:                              ;   in Loop: Header=BB57_8 Depth=1
	s_sub_i32 s56, s56, s54
	s_mov_b32 s57, 8
	s_mov_b32 s10, s77
	;; [unrolled: 1-line block ×3, first 2 shown]
.LBB57_234:                             ;   in Loop: Header=BB57_8 Depth=1
	s_mov_b32 s77, s10
	s_mov_b32 s76, s11
.LBB57_235:                             ;   in Loop: Header=BB57_8 Depth=1
	s_mov_b64 s[52:53], exec
.LBB57_236:                             ;   in Loop: Header=BB57_8 Depth=1
	s_or_b64 exec, exec, s[50:51]
.LBB57_237:                             ;   in Loop: Header=BB57_8 Depth=1
	s_andn2_b64 s[10:11], s[34:35], exec
	s_and_b64 s[12:13], s[18:19], exec
	s_or_b64 s[34:35], s[10:11], s[12:13]
	s_andn2_b64 s[10:11], s[38:39], exec
	s_and_b64 s[12:13], s[46:47], exec
	s_or_b64 s[38:39], s[10:11], s[12:13]
	;; [unrolled: 3-line block ×3, first 2 shown]
	s_and_b64 s[44:45], s[52:53], exec
	s_mov_b32 s49, s56
.LBB57_238:                             ;   in Loop: Header=BB57_8 Depth=1
	s_or_b64 exec, exec, s[40:41]
.LBB57_239:                             ;   in Loop: Header=BB57_8 Depth=1
	s_andn2_b64 s[10:11], s[26:27], exec
	s_and_b64 s[12:13], s[34:35], exec
	s_or_b64 s[26:27], s[10:11], s[12:13]
	s_andn2_b64 s[10:11], s[28:29], exec
	s_and_b64 s[12:13], s[38:39], exec
	s_or_b64 s[28:29], s[10:11], s[12:13]
	;; [unrolled: 3-line block ×3, first 2 shown]
	s_and_b64 s[36:37], s[44:45], exec
	s_mov_b32 s39, s49
.LBB57_240:                             ;   in Loop: Header=BB57_8 Depth=1
	s_or_b64 exec, exec, s[30:31]
	s_and_saveexec_b64 s[10:11], s[36:37]
	s_xor_b64 s[18:19], exec, s[10:11]
	s_cbranch_execz .LBB57_6
.LBB57_241:                             ;   in Loop: Header=BB57_8 Depth=1
	s_and_b32 s10, s57, -9
	s_cmp_eq_u32 s10, 0
	s_cbranch_scc1 .LBB57_4
; %bb.242:                              ;   in Loop: Header=BB57_8 Depth=1
	s_mov_b64 s[22:23], -1
                                        ; implicit-def: $sgpr76
                                        ; implicit-def: $sgpr39
                                        ; implicit-def: $sgpr0
                                        ; implicit-def: $sgpr1
	s_mov_b64 s[30:31], -1
	s_branch .LBB57_5
.LBB57_243:
	s_or_b64 exec, exec, s[90:91]
	s_xor_b64 s[6:7], s[64:65], -1
	s_xor_b64 s[0:1], s[92:93], -1
	;; [unrolled: 1-line block ×3, first 2 shown]
	s_mov_b64 s[2:3], 0
	s_and_saveexec_b64 s[4:5], s[0:1]
	s_xor_b64 s[4:5], exec, s[4:5]
	s_cbranch_execnz .LBB57_248
; %bb.244:
	s_andn2_saveexec_b64 s[0:1], s[4:5]
	s_cbranch_execnz .LBB57_268
.LBB57_245:
	s_or_b64 exec, exec, s[0:1]
	s_and_saveexec_b64 s[0:1], s[2:3]
.LBB57_246:
	; divergent unreachable
.LBB57_247:
	s_endpgm
.LBB57_248:
	s_and_saveexec_b64 s[0:1], s[6:7]
	s_xor_b64 s[6:7], exec, s[0:1]
	s_cbranch_execz .LBB57_266
; %bb.249:
	s_and_saveexec_b64 s[0:1], s[8:9]
	s_xor_b64 s[2:3], exec, s[0:1]
; %bb.250:
	v_and_b32_e32 v1, 0x8000, v2
	v_mov_b32_e32 v3, 0x8000
	v_mov_b32_e32 v4, 0xffff
	v_cmp_eq_u32_e32 vcc, 0, v1
	v_cndmask_b32_e32 v1, v3, v4, vcc
	v_xor_b32_e32 v38, v1, v2
; %bb.251:
	s_or_b64 exec, exec, s[2:3]
	s_mov_b64 s[2:3], exec
	v_readlane_b32 s0, v52, 12
	v_readlane_b32 s1, v52, 13
	s_and_b64 s[0:1], s[2:3], s[0:1]
	v_readlane_b32 s20, v52, 20
	v_readlane_b32 s21, v52, 16
	;; [unrolled: 1-line block ×5, first 2 shown]
	s_mov_b64 exec, s[0:1]
	s_cbranch_execz .LBB57_253
; %bb.252:
	v_mov_b32_e32 v1, 0
	v_mov_b32_e32 v2, s60
	ds_write_b32 v1, v2 offset:4108
.LBB57_253:
	s_or_b64 exec, exec, s[2:3]
	v_mov_b32_e32 v1, 0
	s_waitcnt lgkmcnt(0)
	s_barrier
	ds_read_b32 v1, v1 offset:4108
	s_waitcnt lgkmcnt(0)
	v_min_i32_e32 v1, s60, v1
	v_cmp_lt_i32_e32 vcc, v0, v1
	s_and_saveexec_b64 s[8:9], vcc
	s_cbranch_execz .LBB57_263
; %bb.254:
	v_cmp_u_f16_e32 vcc, v38, v38
	s_mov_b64 s[10:11], 0
	v_mov_b32_e32 v3, s82
	s_xor_b64 s[14:15], vcc, -1
                                        ; implicit-def: $sgpr12_sgpr13
                                        ; implicit-def: $sgpr18_sgpr19
                                        ; implicit-def: $sgpr16_sgpr17
	s_branch .LBB57_256
.LBB57_255:                             ;   in Loop: Header=BB57_256 Depth=1
	s_or_b64 exec, exec, s[2:3]
	s_and_b64 s[0:1], exec, s[18:19]
	s_or_b64 s[10:11], s[0:1], s[10:11]
	s_andn2_b64 s[0:1], s[12:13], exec
	s_and_b64 s[2:3], s[16:17], exec
	s_or_b64 s[12:13], s[0:1], s[2:3]
	s_andn2_b64 exec, exec, s[10:11]
	s_cbranch_execz .LBB57_258
.LBB57_256:                             ; =>This Inner Loop Header: Depth=1
	v_ashrrev_i32_e32 v7, 31, v6
	v_lshlrev_b64 v[4:5], 1, v[6:7]
	v_add_co_u32_e32 v4, vcc, s62, v4
	v_addc_co_u32_e32 v5, vcc, v3, v5, vcc
	global_load_ushort v4, v[4:5], off
	v_mov_b32_e32 v2, v0
	s_or_b64 s[16:17], s[16:17], exec
	s_or_b64 s[18:19], s[18:19], exec
                                        ; implicit-def: $vgpr0
	s_waitcnt vmcnt(0)
	v_cmp_o_f16_e64 s[2:3], v4, v4
	v_cmp_neq_f16_e32 vcc, v4, v38
	s_or_b64 s[0:1], s[14:15], s[2:3]
	s_and_b64 s[0:1], vcc, s[0:1]
	s_and_saveexec_b64 s[2:3], s[0:1]
	s_cbranch_execz .LBB57_255
; %bb.257:                              ;   in Loop: Header=BB57_256 Depth=1
	v_add_u32_e32 v0, s33, v2
	v_cmp_ge_i32_e32 vcc, v0, v1
	s_andn2_b64 s[0:1], s[18:19], exec
	s_and_b64 s[18:19], vcc, exec
	v_add_u32_e32 v6, s83, v6
	s_andn2_b64 s[16:17], s[16:17], exec
	s_or_b64 s[18:19], s[0:1], s[18:19]
	s_branch .LBB57_255
.LBB57_258:
	s_or_b64 exec, exec, s[10:11]
	s_and_saveexec_b64 s[0:1], s[12:13]
	s_xor_b64 s[0:1], exec, s[0:1]
	s_cbranch_execz .LBB57_263
; %bb.259:
	s_mov_b64 s[2:3], exec
	s_brev_b32 s0, -2
.LBB57_260:                             ; =>This Inner Loop Header: Depth=1
	s_ff1_i32_b64 s1, s[2:3]
	v_readlane_b32 s12, v2, s1
	s_lshl_b64 s[10:11], 1, s1
	s_min_i32 s0, s0, s12
	s_andn2_b64 s[2:3], s[2:3], s[10:11]
	s_cmp_lg_u64 s[2:3], 0
	s_cbranch_scc1 .LBB57_260
; %bb.261:
	v_mbcnt_lo_u32_b32 v0, exec_lo, 0
	v_mbcnt_hi_u32_b32 v0, exec_hi, v0
	v_cmp_eq_u32_e32 vcc, 0, v0
	s_and_saveexec_b64 s[2:3], vcc
	s_xor_b64 s[2:3], exec, s[2:3]
	s_cbranch_execz .LBB57_263
; %bb.262:
	v_mov_b32_e32 v0, 0
	v_mov_b32_e32 v1, s0
	ds_min_i32 v0, v1 offset:4108
.LBB57_263:
	s_or_b64 exec, exec, s[8:9]
	s_waitcnt lgkmcnt(0)
	s_barrier
	s_mov_b64 s[2:3], exec
	v_readlane_b32 s0, v52, 12
	v_readlane_b32 s1, v52, 13
	s_and_b64 s[0:1], s[2:3], s[0:1]
	s_mov_b64 exec, s[0:1]
	s_cbranch_execz .LBB57_265
; %bb.264:
	v_readlane_b32 s10, v52, 8
	v_readlane_b32 s11, v52, 9
	s_mul_i32 s1, s11, s10
	v_readlane_b32 s0, v52, 15
	s_sub_i32 s1, s23, s1
	s_xor_b32 s0, s22, s0
	s_add_i32 s8, s11, 1
	s_sub_i32 s9, s1, s10
	s_cmp_ge_u32 s1, s10
	s_cselect_b32 s8, s8, s11
	s_cselect_b32 s1, s9, s1
	s_add_i32 s9, s8, 1
	s_cmp_ge_u32 s1, s10
	s_cselect_b32 s1, s9, s8
	s_xor_b32 s1, s1, s0
	s_sub_i32 s0, s1, s0
	s_mul_i32 s1, s0, s24
	v_readlane_b32 s8, v52, 6
	s_sub_i32 s1, s20, s1
	v_readlane_b32 s9, v52, 7
	v_readlane_b32 s11, v52, 10
	;; [unrolled: 1-line block ×3, first 2 shown]
	s_mul_i32 s1, s1, s9
	s_mul_i32 s0, s0, s8
	s_mul_i32 s8, s12, s11
	s_add_i32 s0, s0, s1
	v_readlane_b32 s1, v52, 17
	s_sub_i32 s8, s23, s8
	s_xor_b32 s1, s22, s1
	s_add_i32 s9, s12, 1
	s_sub_i32 s10, s8, s11
	s_cmp_ge_u32 s8, s11
	s_cselect_b32 s9, s9, s12
	s_cselect_b32 s8, s10, s8
	s_add_i32 s10, s9, 1
	s_cmp_ge_u32 s8, s11
	s_cselect_b32 s8, s10, s9
	s_xor_b32 s8, s8, s1
	s_sub_i32 s1, s8, s1
	s_mul_i32 s8, s1, s21
	v_readlane_b32 s10, v52, 2
	s_sub_i32 s8, s20, s8
	v_readlane_b32 s11, v52, 3
	s_mul_i32 s8, s8, s11
	s_mul_i32 s1, s1, s10
	s_add_i32 s8, s1, s8
	s_ashr_i32 s1, s0, 31
	v_mov_b32_e32 v2, 0
	s_lshl_b64 s[0:1], s[0:1], 1
	v_readlane_b32 s10, v52, 0
	ds_read_b32 v0, v2 offset:4108
	v_readlane_b32 s11, v52, 1
	s_add_u32 s0, s10, s0
	s_addc_u32 s1, s11, s1
	s_ashr_i32 s9, s8, 31
	s_lshl_b64 s[8:9], s[8:9], 3
	v_readlane_b32 s10, v52, 4
	v_readlane_b32 s11, v52, 5
	s_add_u32 s8, s10, s8
	s_addc_u32 s9, s11, s9
	s_waitcnt lgkmcnt(0)
	v_ashrrev_i32_e32 v1, 31, v0
	global_store_dwordx2 v2, v[0:1], s[8:9]
	global_store_short v2, v38, s[0:1]
.LBB57_265:
	s_or_b64 exec, exec, s[2:3]
.LBB57_266:
	s_or_saveexec_b64 s[0:1], s[6:7]
	s_mov_b64 s[2:3], 0
	s_xor_b64 exec, exec, s[0:1]
	s_cbranch_execnz .LBB57_269
.LBB57_267:
	s_or_b64 exec, exec, s[0:1]
	s_and_b64 s[2:3], s[2:3], exec
	s_andn2_saveexec_b64 s[0:1], s[4:5]
	s_cbranch_execz .LBB57_245
.LBB57_268:
	s_or_b64 s[2:3], s[2:3], exec
	s_trap 2
	s_or_b64 exec, exec, s[0:1]
	s_and_saveexec_b64 s[0:1], s[2:3]
	s_cbranch_execnz .LBB57_246
	s_branch .LBB57_247
.LBB57_269:
	s_mov_b64 s[2:3], exec
	s_trap 2
	s_branch .LBB57_267
	.section	.rodata,"a",@progbits
	.p2align	6, 0x0
	.amdhsa_kernel _ZN2at6native12_GLOBAL__N_114gatherKthValueIN3c104HalfEiLi2EEEvNS_4cuda6detail10TensorInfoIKT_T0_EESA_SA_SA_SA_NS7_IS8_SA_EENS7_IlSA_EE
		.amdhsa_group_segment_fixed_size 4112
		.amdhsa_private_segment_fixed_size 0
		.amdhsa_kernarg_size 920
		.amdhsa_user_sgpr_count 6
		.amdhsa_user_sgpr_private_segment_buffer 1
		.amdhsa_user_sgpr_dispatch_ptr 0
		.amdhsa_user_sgpr_queue_ptr 0
		.amdhsa_user_sgpr_kernarg_segment_ptr 1
		.amdhsa_user_sgpr_dispatch_id 0
		.amdhsa_user_sgpr_flat_scratch_init 0
		.amdhsa_user_sgpr_kernarg_preload_length 0
		.amdhsa_user_sgpr_kernarg_preload_offset 0
		.amdhsa_user_sgpr_private_segment_size 0
		.amdhsa_uses_dynamic_stack 0
		.amdhsa_system_sgpr_private_segment_wavefront_offset 0
		.amdhsa_system_sgpr_workgroup_id_x 1
		.amdhsa_system_sgpr_workgroup_id_y 1
		.amdhsa_system_sgpr_workgroup_id_z 1
		.amdhsa_system_sgpr_workgroup_info 0
		.amdhsa_system_vgpr_workitem_id 0
		.amdhsa_next_free_vgpr 53
		.amdhsa_next_free_sgpr 96
		.amdhsa_accum_offset 56
		.amdhsa_reserve_vcc 1
		.amdhsa_reserve_flat_scratch 0
		.amdhsa_float_round_mode_32 0
		.amdhsa_float_round_mode_16_64 0
		.amdhsa_float_denorm_mode_32 3
		.amdhsa_float_denorm_mode_16_64 3
		.amdhsa_dx10_clamp 1
		.amdhsa_ieee_mode 1
		.amdhsa_fp16_overflow 0
		.amdhsa_tg_split 0
		.amdhsa_exception_fp_ieee_invalid_op 0
		.amdhsa_exception_fp_denorm_src 0
		.amdhsa_exception_fp_ieee_div_zero 0
		.amdhsa_exception_fp_ieee_overflow 0
		.amdhsa_exception_fp_ieee_underflow 0
		.amdhsa_exception_fp_ieee_inexact 0
		.amdhsa_exception_int_div_zero 0
	.end_amdhsa_kernel
	.section	.text._ZN2at6native12_GLOBAL__N_114gatherKthValueIN3c104HalfEiLi2EEEvNS_4cuda6detail10TensorInfoIKT_T0_EESA_SA_SA_SA_NS7_IS8_SA_EENS7_IlSA_EE,"axG",@progbits,_ZN2at6native12_GLOBAL__N_114gatherKthValueIN3c104HalfEiLi2EEEvNS_4cuda6detail10TensorInfoIKT_T0_EESA_SA_SA_SA_NS7_IS8_SA_EENS7_IlSA_EE,comdat
.Lfunc_end57:
	.size	_ZN2at6native12_GLOBAL__N_114gatherKthValueIN3c104HalfEiLi2EEEvNS_4cuda6detail10TensorInfoIKT_T0_EESA_SA_SA_SA_NS7_IS8_SA_EENS7_IlSA_EE, .Lfunc_end57-_ZN2at6native12_GLOBAL__N_114gatherKthValueIN3c104HalfEiLi2EEEvNS_4cuda6detail10TensorInfoIKT_T0_EESA_SA_SA_SA_NS7_IS8_SA_EENS7_IlSA_EE
                                        ; -- End function
	.section	.AMDGPU.csdata,"",@progbits
; Kernel info:
; codeLenInByte = 10984
; NumSgprs: 100
; NumVgprs: 53
; NumAgprs: 0
; TotalNumVgprs: 53
; ScratchSize: 0
; MemoryBound: 0
; FloatMode: 240
; IeeeMode: 1
; LDSByteSize: 4112 bytes/workgroup (compile time only)
; SGPRBlocks: 12
; VGPRBlocks: 6
; NumSGPRsForWavesPerEU: 100
; NumVGPRsForWavesPerEU: 53
; AccumOffset: 56
; Occupancy: 8
; WaveLimiterHint : 1
; COMPUTE_PGM_RSRC2:SCRATCH_EN: 0
; COMPUTE_PGM_RSRC2:USER_SGPR: 6
; COMPUTE_PGM_RSRC2:TRAP_HANDLER: 0
; COMPUTE_PGM_RSRC2:TGID_X_EN: 1
; COMPUTE_PGM_RSRC2:TGID_Y_EN: 1
; COMPUTE_PGM_RSRC2:TGID_Z_EN: 1
; COMPUTE_PGM_RSRC2:TIDIG_COMP_CNT: 0
; COMPUTE_PGM_RSRC3_GFX90A:ACCUM_OFFSET: 13
; COMPUTE_PGM_RSRC3_GFX90A:TG_SPLIT: 0
	.section	.text._ZN2at6native12_GLOBAL__N_114gatherKthValueIN3c104HalfEiLi3EEEvNS_4cuda6detail10TensorInfoIKT_T0_EESA_SA_SA_SA_NS7_IS8_SA_EENS7_IlSA_EE,"axG",@progbits,_ZN2at6native12_GLOBAL__N_114gatherKthValueIN3c104HalfEiLi3EEEvNS_4cuda6detail10TensorInfoIKT_T0_EESA_SA_SA_SA_NS7_IS8_SA_EENS7_IlSA_EE,comdat
	.globl	_ZN2at6native12_GLOBAL__N_114gatherKthValueIN3c104HalfEiLi3EEEvNS_4cuda6detail10TensorInfoIKT_T0_EESA_SA_SA_SA_NS7_IS8_SA_EENS7_IlSA_EE ; -- Begin function _ZN2at6native12_GLOBAL__N_114gatherKthValueIN3c104HalfEiLi3EEEvNS_4cuda6detail10TensorInfoIKT_T0_EESA_SA_SA_SA_NS7_IS8_SA_EENS7_IlSA_EE
	.p2align	8
	.type	_ZN2at6native12_GLOBAL__N_114gatherKthValueIN3c104HalfEiLi3EEEvNS_4cuda6detail10TensorInfoIKT_T0_EESA_SA_SA_SA_NS7_IS8_SA_EENS7_IlSA_EE,@function
_ZN2at6native12_GLOBAL__N_114gatherKthValueIN3c104HalfEiLi3EEEvNS_4cuda6detail10TensorInfoIKT_T0_EESA_SA_SA_SA_NS7_IS8_SA_EENS7_IlSA_EE: ; @_ZN2at6native12_GLOBAL__N_114gatherKthValueIN3c104HalfEiLi3EEEvNS_4cuda6detail10TensorInfoIKT_T0_EESA_SA_SA_SA_NS7_IS8_SA_EENS7_IlSA_EE
; %bb.0:
	s_load_dwordx2 s[14:15], s[4:5], 0x298
	s_load_dwordx4 s[68:71], s[4:5], 0xd8
	s_add_u32 s12, s4, 0x298
	s_addc_u32 s13, s5, 0
	s_waitcnt lgkmcnt(0)
	s_mul_i32 s0, s15, s8
	s_add_i32 s0, s0, s7
	s_mul_i32 s0, s0, s14
	s_add_i32 s23, s0, s6
	s_cmp_ge_i32 s23, s70
	s_cbranch_scc1 .LBB58_247
; %bb.1:
	s_load_dwordx2 s[2:3], s[4:5], 0xc
	s_load_dwordx2 s[24:25], s[4:5], 0xf4
	s_ashr_i32 s8, s23, 31
	s_abs_i32 s9, s23
	s_load_dwordx4 s[28:31], s[4:5], 0x154
	s_waitcnt lgkmcnt(0)
	s_ashr_i32 s0, s3, 31
	s_add_i32 s1, s3, s0
	s_xor_b32 s1, s1, s0
	v_cvt_f32_u32_e32 v1, s1
	s_xor_b32 s7, s8, s0
	s_sub_i32 s0, 0, s1
                                        ; implicit-def: $vgpr52 : SGPR spill to VGPR lane
                                        ; kill: killed $sgpr4 killed $sgpr5
	s_mov_b32 s80, 0
	v_rcp_iflag_f32_e32 v1, v1
	v_writelane_b32 v52, s28, 0
	v_writelane_b32 v52, s29, 1
	;; [unrolled: 1-line block ×3, first 2 shown]
	v_mul_f32_e32 v1, 0x4f7ffffe, v1
	v_cvt_u32_f32_e32 v1, v1
	v_writelane_b32 v52, s31, 3
	v_readfirstlane_b32 s10, v1
	s_mul_i32 s0, s0, s10
	s_mul_hi_u32 s0, s10, s0
	s_add_i32 s10, s10, s0
	s_mul_hi_u32 s0, s9, s10
	s_mul_i32 s10, s0, s1
	s_sub_i32 s10, s9, s10
	s_add_i32 s11, s0, 1
	s_sub_i32 s15, s10, s1
	s_cmp_ge_u32 s10, s1
	s_cselect_b32 s0, s11, s0
	s_cselect_b32 s10, s15, s10
	s_add_i32 s11, s0, 1
	s_cmp_ge_u32 s10, s1
	s_cselect_b32 s10, s11, s0
	s_abs_i32 s0, s2
	s_ashr_i32 s11, s25, 31
	v_cvt_f32_u32_e32 v1, s0
	s_add_i32 s15, s25, s11
	s_xor_b32 s19, s8, s11
	s_xor_b32 s11, s15, s11
	v_cvt_f32_u32_e32 v2, s11
	v_rcp_iflag_f32_e32 v1, v1
	s_xor_b32 s10, s10, s7
	s_sub_i32 s16, 0, s0
	v_rcp_iflag_f32_e32 v2, v2
	v_mul_f32_e32 v1, 0x4f7ffffe, v1
	v_cvt_u32_f32_e32 v1, v1
	s_sub_i32 s7, s10, s7
	v_mul_f32_e32 v2, 0x4f7ffffe, v2
	v_cvt_u32_f32_e32 v2, v2
	v_readfirstlane_b32 s10, v1
	s_mul_i32 s16, s16, s10
	s_mul_hi_u32 s16, s10, s16
	s_add_i32 s20, s10, s16
	s_sub_i32 s10, 0, s11
	v_readfirstlane_b32 s16, v2
	s_mul_i32 s10, s10, s16
	s_mul_hi_u32 s10, s16, s10
	s_add_i32 s16, s16, s10
	s_mul_hi_u32 s10, s9, s16
	s_mul_i32 s16, s10, s11
	s_sub_i32 s16, s9, s16
	s_ashr_i32 s1, s2, 31
	s_ashr_i32 s15, s7, 31
	s_abs_i32 s18, s7
	s_add_i32 s17, s10, 1
	s_sub_i32 s21, s16, s11
	s_cmp_ge_u32 s16, s11
	s_cselect_b32 s10, s17, s10
	s_cselect_b32 s16, s21, s16
	s_add_i32 s17, s10, 1
	s_cmp_ge_u32 s16, s11
	s_cselect_b32 s10, s17, s10
	s_load_dwordx2 s[16:17], s[4:5], 0x0
	s_load_dwordx4 s[28:31], s[4:5], 0x22c
	s_abs_i32 s21, s24
	v_cvt_f32_u32_e32 v1, s21
	s_xor_b32 s10, s10, s19
	s_waitcnt lgkmcnt(0)
	v_writelane_b32 v52, s28, 4
	v_writelane_b32 v52, s29, 5
	;; [unrolled: 1-line block ×4, first 2 shown]
	s_load_dwordx2 s[28:29], s[4:5], 0x1cc
	s_load_dwordx2 s[26:27], s[4:5], 0x1c0
	v_rcp_iflag_f32_e32 v1, v1
	s_waitcnt lgkmcnt(0)
	v_writelane_b32 v52, s26, 8
	v_writelane_b32 v52, s27, 9
	s_sub_i32 s26, s10, s19
	s_ashr_i32 s10, s29, 31
	s_add_i32 s11, s29, s10
	s_xor_b32 s11, s11, s10
	v_cvt_f32_u32_e32 v2, s11
	v_mul_f32_e32 v1, 0x4f7ffffe, v1
	v_cvt_u32_f32_e32 v1, v1
	v_writelane_b32 v52, s21, 10
	v_rcp_iflag_f32_e32 v2, v2
	s_sub_i32 s19, 0, s21
	v_readfirstlane_b32 s21, v1
	s_mul_i32 s19, s19, s21
	v_mul_f32_e32 v1, 0x4f7ffffe, v2
	v_cvt_u32_f32_e32 v1, v1
	s_mul_hi_u32 s19, s21, s19
	s_add_i32 s21, s21, s19
	s_xor_b32 s19, s8, s10
	s_sub_i32 s8, 0, s11
	v_readfirstlane_b32 s10, v1
	s_mul_i32 s8, s8, s10
	s_mul_hi_u32 s8, s10, s8
	s_add_i32 s10, s10, s8
	s_mul_hi_u32 s8, s9, s10
	s_mul_i32 s10, s8, s11
	s_sub_i32 s9, s9, s10
	s_abs_i32 s27, s26
	s_add_i32 s10, s8, 1
	s_sub_i32 s22, s9, s11
	s_cmp_ge_u32 s9, s11
	s_cselect_b32 s8, s10, s8
	s_cselect_b32 s9, s22, s9
	s_add_i32 s10, s8, 1
	s_cmp_ge_u32 s9, s11
	s_cselect_b32 s22, s10, s8
	s_abs_i32 s30, s28
	v_cvt_f32_u32_e32 v1, s30
	s_load_dwordx2 s[8:9], s[4:5], 0xe8
	v_rcp_iflag_f32_e32 v1, v1
	s_waitcnt lgkmcnt(0)
	v_writelane_b32 v52, s8, 11
	v_writelane_b32 v52, s9, 12
	v_mul_f32_e32 v1, 0x4f7ffffe, v1
	v_cvt_u32_f32_e32 v1, v1
	s_load_dwordx4 s[8:11], s[4:5], 0x6c
	v_writelane_b32 v52, s27, 13
	s_mul_hi_u32 s4, s27, s21
	v_writelane_b32 v52, s4, 14
	s_xor_b32 s4, s22, s19
	s_sub_i32 s19, s4, s19
	s_sub_i32 s4, 0, s30
	v_readfirstlane_b32 s5, v1
	s_mul_i32 s4, s4, s5
	s_mul_hi_u32 s4, s5, s4
	s_waitcnt lgkmcnt(0)
	s_mul_hi_u32 s11, s18, s20
	s_abs_i32 s20, s19
	v_writelane_b32 v52, s30, 15
	s_add_i32 s5, s5, s4
	v_writelane_b32 v52, s20, 16
	s_mul_hi_u32 s4, s20, s5
	v_writelane_b32 v52, s4, 17
	v_cmp_eq_u32_e64 s[20:21], 0, v0
	s_mov_b64 s[4:5], exec
	v_writelane_b32 v52, s20, 18
	v_writelane_b32 v52, s21, 19
	s_and_b64 s[20:21], s[4:5], s[20:21]
	s_mov_b64 exec, s[20:21]
	s_cbranch_execz .LBB58_3
; %bb.2:
	v_mov_b32_e32 v2, 0
	v_mov_b32_e32 v3, s68
	;; [unrolled: 1-line block ×3, first 2 shown]
	ds_write_b96 v2, v[2:4] offset:4096
.LBB58_3:
	s_or_b64 exec, exec, s[4:5]
	v_writelane_b32 v52, s26, 20
	s_ashr_i32 s4, s26, 31
	v_writelane_b32 v52, s4, 21
	v_writelane_b32 v52, s24, 22
	;; [unrolled: 1-line block ×3, first 2 shown]
	s_ashr_i32 s4, s24, 31
	v_writelane_b32 v52, s4, 24
	v_writelane_b32 v52, s19, 25
	s_ashr_i32 s4, s19, 31
	v_writelane_b32 v52, s4, 26
	v_writelane_b32 v52, s28, 27
	;; [unrolled: 1-line block ×3, first 2 shown]
	s_ashr_i32 s4, s28, 31
	v_writelane_b32 v52, s4, 29
	s_mul_i32 s3, s7, s3
	s_mul_i32 s4, s11, s0
	s_sub_i32 s3, s23, s3
	s_sub_i32 s4, s18, s4
	s_mul_i32 s3, s3, s10
	s_xor_b32 s1, s15, s1
	s_add_i32 s5, s11, 1
	s_sub_i32 s10, s4, s0
	s_cmp_ge_u32 s4, s0
	s_cselect_b32 s5, s5, s11
	s_cselect_b32 s4, s10, s4
	s_add_i32 s10, s5, 1
	s_cmp_ge_u32 s4, s0
	s_cselect_b32 s0, s10, s5
	s_xor_b32 s0, s0, s1
	s_sub_i32 s0, s0, s1
	s_mul_i32 s1, s0, s2
	s_sub_i32 s1, s7, s1
	s_mul_i32 s1, s1, s9
	s_add_i32 s1, s1, s3
	s_mul_i32 s0, s0, s8
	s_waitcnt lgkmcnt(0)
	s_barrier
	s_load_dword s2, s[12:13], 0xc
	s_add_i32 s0, s1, s0
	s_ashr_i32 s1, s0, 31
	s_lshl_b64 s[0:1], s[0:1], 1
	s_add_u32 s70, s16, s0
	v_mbcnt_lo_u32_b32 v1, -1, 0
	s_addc_u32 s90, s17, s1
	s_waitcnt lgkmcnt(0)
	s_and_b32 s33, s2, 0xffff
	v_mbcnt_hi_u32_b32 v13, -1, v1
	s_bfe_u32 s8, s2, 0xa0006
	v_cmp_gt_u32_e32 vcc, 64, v0
	v_cmp_gt_i32_e64 s[2:3], 4, v13
	s_add_i32 s0, s33, -1
	s_lshl_b32 s7, s33, 2
	s_and_b64 s[82:83], vcc, s[2:3]
	s_add_i32 s89, s0, s68
	v_writelane_b32 v52, s23, 30
	s_cmpk_gt_i32 s68, 0x600
	v_writelane_b32 v52, s0, 31
	s_cselect_b64 s[0:1], -1, 0
	v_writelane_b32 v52, s0, 32
	s_cmp_gt_u32 s33, 63
	v_writelane_b32 v52, s1, 33
	s_cselect_b64 s[0:1], -1, 0
	v_writelane_b32 v52, s0, 34
	s_cmp_lt_u32 s6, s14
	v_writelane_b32 v52, s1, 35
	s_cselect_b32 s0, 12, 18
	s_add_u32 s0, s12, s0
	s_addc_u32 s1, s13, 0
	v_writelane_b32 v52, s0, 36
	v_writelane_b32 v52, s1, 37
	s_add_i32 s0, s8, -2
	s_lshr_b32 s1, s0, 1
	v_mov_b32_e32 v9, 0
	s_add_i32 s1, s1, 1
	s_cmpk_gt_u32 s33, 0x7f
	v_mul_lo_u32 v6, v0, s71
	v_mov_b32_e32 v7, v9
	s_cselect_b64 s[2:3], -1, 0
	v_lshlrev_b64 v[2:3], 1, v[6:7]
	v_writelane_b32 v52, s2, 38
	v_mov_b32_e32 v7, s90
	v_add_co_u32_e32 v10, vcc, s70, v2
	v_writelane_b32 v52, s3, 39
	v_addc_co_u32_e32 v11, vcc, v7, v3, vcc
	v_cmp_gt_u32_e64 s[10:11], s68, v0
	v_lshlrev_b64 v[2:3], v13, -1
	v_writelane_b32 v52, s10, 40
	v_not_b32_e32 v12, v2
	v_cvt_f32_u32_e32 v2, s7
	v_writelane_b32 v52, s11, 41
	v_cmp_gt_i32_e64 s[10:11], s68, v0
	s_and_b32 s6, s8, 0x3fe
	s_and_b32 s9, s1, 7
	v_writelane_b32 v52, s10, 42
	s_cmp_gt_u32 s0, 13
	v_writelane_b32 v52, s11, 43
	s_cselect_b64 s[10:11], -1, 0
	v_writelane_b32 v52, s10, 44
	v_rcp_iflag_f32_e32 v2, v2
	v_writelane_b32 v52, s11, 45
	s_and_b32 s0, s1, -8
	v_writelane_b32 v52, s0, 46
	s_cmp_lg_u32 s9, 0
	v_writelane_b32 v52, s9, 47
	s_cselect_b64 s[0:1], -1, 0
	v_writelane_b32 v52, s0, 48
	v_mul_f32_e32 v2, 0x4f7ffffe, v2
	v_writelane_b32 v52, s1, 49
	v_cvt_u32_f32_e32 v2, v2
	v_writelane_b32 v52, s8, 50
	s_cmp_lg_u32 s6, s8
	v_writelane_b32 v52, s6, 51
	s_cselect_b64 s[0:1], -1, 0
	v_writelane_b32 v52, s0, 52
	v_writelane_b32 v52, s1, 53
	s_sub_i32 s0, 0, s7
	v_readfirstlane_b32 s1, v2
	s_mul_i32 s0, s0, s1
	s_mul_hi_u32 s0, s1, s0
	s_add_i32 s6, s1, s0
	s_mul_hi_u32 s0, s68, s6
	s_mul_i32 s0, s0, s7
	s_sub_i32 s0, s68, s0
	s_sub_i32 s1, s0, s7
	s_cmp_ge_u32 s0, s7
	s_cselect_b32 s0, s1, s0
	s_sub_i32 s1, s0, s7
	v_cvt_f32_u32_e32 v5, s33
	s_cmp_ge_u32 s0, s7
	s_cselect_b32 s0, s1, s0
	s_sub_i32 s9, s68, s0
	v_add_u32_e32 v25, s9, v0
	v_rcp_iflag_f32_e32 v5, v5
	v_lshrrev_b32_e32 v1, 4, v0
	v_mul_lo_u32 v2, v25, s71
	v_and_b32_e32 v23, 60, v1
	v_not_b32_e32 v1, v3
	v_ashrrev_i32_e32 v3, 31, v2
	v_lshlrev_b64 v[2:3], 1, v[2:3]
	v_lshlrev_b32_e32 v20, 2, v0
	v_add_co_u32_e32 v14, vcc, s70, v2
	v_mul_f32_e32 v2, 0x4f7ffffe, v5
	v_cmp_gt_i32_e64 s[10:11], s9, v20
	v_cvt_u32_f32_e32 v2, v2
	v_writelane_b32 v52, s10, 54
	v_writelane_b32 v52, s11, 55
	v_cmp_gt_u32_e64 s[10:11], s68, v25
	v_writelane_b32 v52, s10, 56
	v_writelane_b32 v52, s11, 57
	s_sub_i32 s10, 0, s33
	v_readfirstlane_b32 s11, v2
	s_mul_i32 s10, s10, s11
	s_mul_hi_u32 s10, s11, s10
	s_abs_i32 s8, s89
	s_add_i32 s10, s11, s10
	v_writelane_b32 v52, s10, 58
	s_mul_hi_u32 s10, s8, s10
	s_mul_i32 s10, s10, s33
	s_sub_i32 s8, s8, s10
	s_ashr_i32 s1, s89, 31
	s_sub_i32 s10, s8, s33
	s_cmp_ge_u32 s8, s33
	s_cselect_b32 s8, s10, s8
	s_sub_i32 s10, s8, s33
	s_cmp_ge_u32 s8, s33
	s_cselect_b32 s8, s10, s8
	s_xor_b32 s8, s8, s1
	v_mul_lo_u32 v2, s71, v20
	s_sub_i32 s1, s1, s8
	v_add_u32_e32 v26, s71, v2
	v_or_b32_e32 v2, 2, v20
	s_add_i32 s89, s89, s1
	v_mul_lo_u32 v27, s71, v2
	v_or_b32_e32 v2, 3, v20
	s_add_i32 s1, s33, s68
	v_mul_lo_u32 v28, s71, v2
	v_add_u32_e32 v2, s1, v0
	v_lshlrev_b32_e32 v21, 1, v0
	v_lshlrev_b32_e32 v4, 2, v13
	v_mov_b32_e32 v8, s90
	v_cmp_gt_i32_e64 s[10:11], s89, v0
	s_mul_i32 s91, s71, s33
	v_subrev_u32_e32 v2, s0, v2
	v_cmp_eq_u32_e64 s[2:3], 0, v13
	v_cmp_gt_u32_e64 s[4:5], 2, v0
	v_add_u32_e32 v22, 0xc00, v21
	v_and_b32_e32 v24, 0x100, v4
	v_addc_co_u32_e32 v15, vcc, v8, v3, vcc
	v_cmp_gt_i32_e64 s[14:15], s68, v25
	v_writelane_b32 v52, s10, 59
	s_lshl_b32 s16, s91, 2
	v_lshlrev_b32_e32 v29, 2, v6
	v_mul_lo_u32 v30, s71, v2
	v_lshlrev_b32_e32 v31, 3, v0
	s_lshl_b32 s17, s33, 3
	s_lshl_b32 s8, s33, 1
	v_or_b32_e32 v32, 0xc00, v4
	s_mov_b32 s0, 14
	s_movk_i32 s88, 0x3c00
	v_mov_b32_e32 v33, 0xffff
	v_mov_b32_e32 v34, 0x8000
	v_mov_b32_e32 v35, -1
	v_mov_b32_e32 v36, 0xc00
	v_mov_b32_e32 v37, 0x5040100
	;; [unrolled: 1-line block ×3, first 2 shown]
	s_mov_b32 s1, 0
	s_mov_b32 s85, 0
	;; [unrolled: 1-line block ×3, first 2 shown]
	s_mov_b64 s[78:79], 0
	v_writelane_b32 v52, s11, 60
                                        ; implicit-def: $sgpr60_sgpr61
                                        ; implicit-def: $sgpr64_sgpr65
                                        ; implicit-def: $sgpr62_sgpr63
                                        ; implicit-def: $sgpr66_sgpr67
                                        ; implicit-def: $sgpr72_sgpr73
                                        ; implicit-def: $sgpr76_sgpr77
	s_branch .LBB58_8
.LBB58_4:                               ;   in Loop: Header=BB58_8 Depth=1
	s_xor_b32 s1, s1, 1
	s_add_i32 s10, s0, -2
	s_cmp_eq_u32 s0, 0
	s_mov_b64 s[22:23], 0
	s_cselect_b64 s[30:31], -1, 0
	s_mov_b32 s0, s10
.LBB58_5:                               ;   in Loop: Header=BB58_8 Depth=1
	s_andn2_b64 s[10:11], s[26:27], exec
	s_and_b64 s[12:13], s[22:23], exec
	s_or_b64 s[26:27], s[10:11], s[12:13]
	s_andn2_b64 s[28:29], s[28:29], exec
	s_andn2_b64 s[24:25], s[24:25], exec
	s_orn2_b64 s[22:23], s[30:31], exec
	s_mov_b32 s69, s39
.LBB58_6:                               ;   in Loop: Header=BB58_8 Depth=1
	s_or_b64 exec, exec, s[18:19]
	s_andn2_b64 s[10:11], s[76:77], exec
	s_and_b64 s[12:13], s[26:27], exec
	s_or_b64 s[76:77], s[10:11], s[12:13]
	s_andn2_b64 s[10:11], s[72:73], exec
	s_and_b64 s[12:13], s[28:29], exec
	s_or_b64 s[72:73], s[10:11], s[12:13]
	;; [unrolled: 3-line block ×3, first 2 shown]
	s_orn2_b64 s[22:23], s[22:23], exec
.LBB58_7:                               ;   in Loop: Header=BB58_8 Depth=1
	s_or_b64 exec, exec, s[20:21]
	s_and_b64 s[10:11], exec, s[22:23]
	s_or_b64 s[78:79], s[10:11], s[78:79]
	s_andn2_b64 s[10:11], s[62:63], exec
	s_and_b64 s[12:13], s[76:77], exec
	s_or_b64 s[62:63], s[10:11], s[12:13]
	s_andn2_b64 s[10:11], s[64:65], exec
	s_and_b64 s[12:13], s[72:73], exec
	;; [unrolled: 3-line block ×3, first 2 shown]
	v_mov_b32_e32 v2, s85
	s_or_b64 s[60:61], s[10:11], s[12:13]
	s_andn2_b64 exec, exec, s[78:79]
	s_cbranch_execz .LBB58_243
.LBB58_8:                               ; =>This Loop Header: Depth=1
                                        ;     Child Loop BB58_13 Depth 2
                                        ;     Child Loop BB58_32 Depth 2
                                        ;     Child Loop BB58_42 Depth 2
                                        ;     Child Loop BB58_49 Depth 2
                                        ;     Child Loop BB58_56 Depth 2
                                        ;     Child Loop BB58_60 Depth 2
                                        ;     Child Loop BB58_70 Depth 2
                                        ;     Child Loop BB58_74 Depth 2
                                        ;     Child Loop BB58_77 Depth 2
                                        ;     Child Loop BB58_98 Depth 2
                                        ;     Child Loop BB58_86 Depth 2
                                        ;     Child Loop BB58_137 Depth 2
                                        ;     Child Loop BB58_125 Depth 2
                                        ;     Child Loop BB58_176 Depth 2
                                        ;     Child Loop BB58_164 Depth 2
                                        ;     Child Loop BB58_215 Depth 2
                                        ;     Child Loop BB58_203 Depth 2
	ds_read_b64 v[2:3], v9 offset:4096
	s_waitcnt lgkmcnt(0)
	v_readfirstlane_b32 s81, v2
	s_cmp_gt_i32 s81, 0
	s_cbranch_scc1 .LBB58_39
; %bb.9:                                ;   in Loop: Header=BB58_8 Depth=1
	v_readlane_b32 s10, v52, 32
	v_readlane_b32 s11, v52, 33
	s_and_b64 vcc, exec, s[10:11]
	s_cbranch_vccz .LBB58_21
; %bb.10:                               ;   in Loop: Header=BB58_8 Depth=1
	s_movk_i32 s10, 0x601
	v_cmp_gt_i32_e32 vcc, s10, v3
	s_mov_b64 s[20:21], 0
	s_mov_b64 s[18:19], 0
	s_cbranch_vccz .LBB58_26
; %bb.11:                               ;   in Loop: Header=BB58_8 Depth=1
	v_readlane_b32 s10, v52, 36
	v_readlane_b32 s11, v52, 37
	s_nop 4
	global_load_ushort v2, v9, s[10:11]
	global_load_ushort v4, v[10:11], off
	s_mov_b64 s[22:23], 0
	s_waitcnt vmcnt(1)
	v_add_u32_e32 v5, v0, v2
	v_mul_lo_u32 v3, s71, v2
	v_mul_lo_u32 v8, s71, v5
	v_mov_b32_e32 v5, v0
	s_branch .LBB58_13
.LBB58_12:                              ;   in Loop: Header=BB58_13 Depth=2
	s_or_b64 exec, exec, s[18:19]
	v_cmp_le_i32_e32 vcc, s68, v5
	v_add_u32_e32 v8, v8, v3
	s_or_b64 s[22:23], vcc, s[22:23]
	v_mov_b32_e32 v4, v16
	s_andn2_b64 exec, exec, s[22:23]
	s_cbranch_execz .LBB58_22
.LBB58_13:                              ;   Parent Loop BB58_8 Depth=1
                                        ; =>  This Inner Loop Header: Depth=2
	v_add_u32_e32 v5, v5, v2
	v_cmp_gt_u32_e32 vcc, s68, v5
	s_waitcnt lgkmcnt(0)
	v_mov_b32_e32 v17, 0
	v_mov_b32_e32 v16, 0
	s_and_saveexec_b64 s[18:19], vcc
	s_cbranch_execz .LBB58_15
; %bb.14:                               ;   in Loop: Header=BB58_13 Depth=2
	v_lshlrev_b64 v[18:19], 1, v[8:9]
	v_add_co_u32_e32 v18, vcc, s70, v18
	v_addc_co_u32_e32 v19, vcc, v7, v19, vcc
	global_load_ushort v16, v[18:19], off
.LBB58_15:                              ;   in Loop: Header=BB58_13 Depth=2
	s_or_b64 exec, exec, s[18:19]
	s_waitcnt vmcnt(0)
	v_cmp_lt_i16_e32 vcc, -1, v4
	v_cndmask_b32_e32 v18, v33, v34, vcc
	v_xor_b32_sdwa v18, v18, v4 dst_sel:DWORD dst_unused:UNUSED_PAD src0_sel:DWORD src1_sel:WORD_0
	v_cmp_o_f16_e32 vcc, v4, v4
	v_cndmask_b32_e32 v18, v33, v18, vcc
	v_and_b32_e32 v18, s84, v18
	v_cmp_eq_u32_e32 vcc, s85, v18
	s_cmp_lg_u64 vcc, 0
	s_cselect_b64 s[10:11], -1, 0
	s_and_b64 s[10:11], s[2:3], s[10:11]
	s_and_saveexec_b64 s[24:25], s[10:11]
	s_cbranch_execz .LBB58_19
; %bb.16:                               ;   in Loop: Header=BB58_13 Depth=2
	s_mov_b64 s[28:29], exec
	v_mbcnt_lo_u32_b32 v17, s28, 0
	v_mbcnt_hi_u32_b32 v17, s29, v17
	s_bcnt1_i32_b64 s10, vcc
	v_cmp_eq_u32_e64 s[18:19], 0, v17
                                        ; implicit-def: $vgpr18
	s_and_saveexec_b64 s[26:27], s[18:19]
	s_cbranch_execz .LBB58_18
; %bb.17:                               ;   in Loop: Header=BB58_13 Depth=2
	s_bcnt1_i32_b64 s11, s[28:29]
	s_mul_i32 s11, s10, s11
	v_mov_b32_e32 v18, s11
	ds_add_rtn_u32 v18, v9, v18 offset:4104
.LBB58_18:                              ;   in Loop: Header=BB58_13 Depth=2
	s_or_b64 exec, exec, s[26:27]
	s_waitcnt lgkmcnt(0)
	v_readfirstlane_b32 s11, v18
	v_mov_b32_e32 v18, s11
	v_mad_u32_u24 v17, s10, v17, v18
.LBB58_19:                              ;   in Loop: Header=BB58_13 Depth=2
	s_or_b64 exec, exec, s[24:25]
	ds_bpermute_b32 v17, v24, v17
	s_and_saveexec_b64 s[18:19], vcc
	s_cbranch_execz .LBB58_12
; %bb.20:                               ;   in Loop: Header=BB58_13 Depth=2
	v_and_b32_e32 v19, vcc_lo, v12
	v_and_b32_e32 v18, vcc_hi, v1
	v_bcnt_u32_b32 v19, v19, 0
	v_bcnt_u32_b32 v18, v18, v19
	v_lshlrev_b32_e32 v18, 1, v18
	s_waitcnt lgkmcnt(0)
	v_lshl_add_u32 v17, v17, 1, v18
	ds_write_b16 v17, v4
	s_branch .LBB58_12
.LBB58_21:                              ;   in Loop: Header=BB58_8 Depth=1
	s_mov_b64 s[20:21], -1
	s_mov_b64 s[18:19], 0
	s_branch .LBB58_25
.LBB58_22:                              ;   in Loop: Header=BB58_8 Depth=1
	s_or_b64 exec, exec, s[22:23]
	s_waitcnt lgkmcnt(0)
	s_barrier
	s_mov_b64 s[18:19], exec
	v_readlane_b32 s10, v52, 18
	v_readlane_b32 s11, v52, 19
	s_and_b64 s[10:11], s[18:19], s[10:11]
	s_mov_b64 exec, s[10:11]
	s_cbranch_execz .LBB58_24
; %bb.23:                               ;   in Loop: Header=BB58_8 Depth=1
	ds_read_b32 v2, v9 offset:4104
	s_waitcnt lgkmcnt(0)
	ds_write_b32 v9, v2 offset:4096
.LBB58_24:                              ;   in Loop: Header=BB58_8 Depth=1
	s_or_b64 exec, exec, s[18:19]
	s_waitcnt lgkmcnt(0)
	s_barrier
	s_mov_b64 s[18:19], -1
.LBB58_25:                              ;   in Loop: Header=BB58_8 Depth=1
                                        ; implicit-def: $sgpr81
.LBB58_26:                              ;   in Loop: Header=BB58_8 Depth=1
	s_and_b64 vcc, exec, s[20:21]
	s_cbranch_vccz .LBB58_37
; %bb.27:                               ;   in Loop: Header=BB58_8 Depth=1
	v_mov_b32_e32 v2, 0
	s_mov_b64 s[18:19], exec
	v_readlane_b32 s10, v52, 40
	v_readlane_b32 s11, v52, 41
	s_and_b64 s[10:11], s[18:19], s[10:11]
	s_mov_b64 exec, s[10:11]
	s_cbranch_execz .LBB58_29
; %bb.28:                               ;   in Loop: Header=BB58_8 Depth=1
	global_load_ushort v2, v[10:11], off
.LBB58_29:                              ;   in Loop: Header=BB58_8 Depth=1
	s_or_b64 exec, exec, s[18:19]
	s_mov_b64 s[18:19], exec
	v_readlane_b32 s10, v52, 42
	v_readlane_b32 s11, v52, 43
	s_and_b64 s[10:11], s[18:19], s[10:11]
	s_mov_b64 exec, s[10:11]
	s_cbranch_execz .LBB58_34
; %bb.30:                               ;   in Loop: Header=BB58_8 Depth=1
	v_readlane_b32 s10, v52, 36
	v_readlane_b32 s11, v52, 37
	s_mov_b64 s[20:21], 0
	v_mov_b32_e32 v4, v21
	v_mov_b32_e32 v17, v0
	s_nop 1
	global_load_ushort v3, v9, s[10:11]
	s_waitcnt vmcnt(0)
	v_add_u32_e32 v8, v0, v3
	v_lshlrev_b32_e32 v5, 1, v3
	v_mul_lo_u32 v16, s71, v3
	v_mul_lo_u32 v8, s71, v8
	s_branch .LBB58_32
.LBB58_31:                              ;   in Loop: Header=BB58_32 Depth=2
	s_or_b64 exec, exec, s[22:23]
	v_cmp_le_i32_e32 vcc, s68, v17
	ds_write_b16 v4, v2
	v_add_u32_e32 v4, v4, v5
	v_add_u32_e32 v8, v8, v16
	s_or_b64 s[20:21], vcc, s[20:21]
	s_waitcnt vmcnt(0)
	v_mov_b32_e32 v2, v18
	s_andn2_b64 exec, exec, s[20:21]
	s_cbranch_execz .LBB58_34
.LBB58_32:                              ;   Parent Loop BB58_8 Depth=1
                                        ; =>  This Inner Loop Header: Depth=2
	v_add_u32_e32 v17, v17, v3
	v_cmp_gt_u32_e32 vcc, s68, v17
	v_mov_b32_e32 v18, 0
	s_and_saveexec_b64 s[22:23], vcc
	s_cbranch_execz .LBB58_31
; %bb.33:                               ;   in Loop: Header=BB58_32 Depth=2
	v_lshlrev_b64 v[18:19], 1, v[8:9]
	v_mov_b32_e32 v39, s90
	v_add_co_u32_e32 v18, vcc, s70, v18
	v_addc_co_u32_e32 v19, vcc, v39, v19, vcc
	global_load_ushort v18, v[18:19], off
	s_branch .LBB58_31
.LBB58_34:                              ;   in Loop: Header=BB58_8 Depth=1
	s_or_b64 exec, exec, s[18:19]
	s_waitcnt lgkmcnt(0)
	s_barrier
	s_mov_b64 s[18:19], exec
	v_readlane_b32 s10, v52, 18
	v_readlane_b32 s11, v52, 19
	s_and_b64 s[10:11], s[18:19], s[10:11]
	s_mov_b64 exec, s[10:11]
	s_cbranch_execz .LBB58_36
; %bb.35:                               ;   in Loop: Header=BB58_8 Depth=1
	s_waitcnt vmcnt(0)
	v_mov_b32_e32 v2, s68
	ds_write_b32 v9, v2 offset:4096
.LBB58_36:                              ;   in Loop: Header=BB58_8 Depth=1
	s_or_b64 exec, exec, s[18:19]
	s_mov_b64 s[18:19], -1
	s_waitcnt lgkmcnt(0)
	s_barrier
                                        ; implicit-def: $sgpr81
.LBB58_37:                              ;   in Loop: Header=BB58_8 Depth=1
	s_and_b64 vcc, exec, s[18:19]
	s_cbranch_vccz .LBB58_39
; %bb.38:                               ;   in Loop: Header=BB58_8 Depth=1
	s_waitcnt vmcnt(0)
	ds_read_b32 v2, v9 offset:4096
	s_waitcnt lgkmcnt(0)
	v_readfirstlane_b32 s81, v2
.LBB58_39:                              ;   in Loop: Header=BB58_8 Depth=1
	s_cmp_lt_i32 s81, 1
	s_cbranch_scc0 .LBB58_51
; %bb.40:                               ;   in Loop: Header=BB58_8 Depth=1
	s_waitcnt vmcnt(0)
	v_mov_b32_e32 v2, 0
	s_mov_b32 s74, 0
	v_mov_b32_e32 v3, 0
	v_mov_b32_e32 v4, v2
	;; [unrolled: 1-line block ×3, first 2 shown]
	s_mov_b64 s[92:93], exec
	v_readlane_b32 s10, v52, 54
	v_readlane_b32 s11, v52, 55
	s_and_b64 s[10:11], s[92:93], s[10:11]
	s_mov_b64 exec, s[10:11]
	s_cbranch_execz .LBB58_44
; %bb.41:                               ;   in Loop: Header=BB58_8 Depth=1
	s_and_b32 s75, s0, 0xfe
	s_mov_b64 s[94:95], 0
	s_mov_b32 s86, 0
	s_mov_b32 s87, 0
	;; [unrolled: 1-line block ×4, first 2 shown]
	v_mov_b32_e32 v8, v20
.LBB58_42:                              ;   Parent Loop BB58_8 Depth=1
                                        ; =>  This Inner Loop Header: Depth=2
	v_add_u32_e32 v2, s74, v29
	v_ashrrev_i32_e32 v3, 31, v2
	v_add_u32_e32 v4, s74, v26
	v_lshlrev_b64 v[2:3], 1, v[2:3]
	v_mov_b32_e32 v39, s90
	v_ashrrev_i32_e32 v5, 31, v4
	v_add_co_u32_e64 v2, s[18:19], s70, v2
	v_add_u32_e32 v16, s74, v27
	v_lshlrev_b64 v[4:5], 1, v[4:5]
	v_addc_co_u32_e64 v3, s[18:19], v39, v3, s[18:19]
	v_ashrrev_i32_e32 v17, 31, v16
	v_add_co_u32_e64 v4, s[18:19], s70, v4
	v_add_u32_e32 v18, s74, v28
	v_lshlrev_b64 v[16:17], 1, v[16:17]
	v_addc_co_u32_e64 v5, s[18:19], v39, v5, s[18:19]
	v_ashrrev_i32_e32 v19, 31, v18
	v_add_co_u32_e64 v16, s[18:19], s70, v16
	v_lshlrev_b64 v[18:19], 1, v[18:19]
	v_addc_co_u32_e64 v17, s[18:19], v39, v17, s[18:19]
	v_add_co_u32_e64 v18, s[18:19], s70, v18
	v_addc_co_u32_e64 v19, s[18:19], v39, v19, s[18:19]
	global_load_ushort v2, v[2:3], off
	s_nop 0
	global_load_ushort v3, v[4:5], off
	s_nop 0
	global_load_ushort v4, v[16:17], off
	global_load_ushort v5, v[18:19], off
	v_add_u32_e32 v8, s7, v8
	s_add_i32 s74, s74, s16
	v_cmp_le_i32_e32 vcc, s9, v8
	s_waitcnt vmcnt(3)
	v_cmp_lt_i16_e64 s[18:19], -1, v2
	v_cndmask_b32_e64 v16, v33, v34, s[18:19]
	s_waitcnt vmcnt(2)
	v_cmp_lt_i16_e64 s[18:19], -1, v3
	v_cndmask_b32_e64 v17, v33, v34, s[18:19]
	;; [unrolled: 3-line block ×4, first 2 shown]
	v_xor_b32_sdwa v17, v17, v3 dst_sel:DWORD dst_unused:UNUSED_PAD src0_sel:DWORD src1_sel:WORD_0
	v_cmp_o_f16_e64 s[18:19], v3, v3
	v_xor_b32_sdwa v3, v18, v4 dst_sel:DWORD dst_unused:UNUSED_PAD src0_sel:DWORD src1_sel:WORD_0
	v_cmp_o_f16_e64 s[20:21], v4, v4
	v_xor_b32_sdwa v4, v19, v5 dst_sel:DWORD dst_unused:UNUSED_PAD src0_sel:DWORD src1_sel:WORD_0
	v_cmp_o_f16_e64 s[22:23], v5, v5
	v_xor_b32_sdwa v5, v16, v2 dst_sel:DWORD dst_unused:UNUSED_PAD src0_sel:DWORD src1_sel:WORD_0
	v_cmp_o_f16_e64 s[24:25], v2, v2
	v_cndmask_b32_e64 v2, v33, v5, s[24:25]
	v_cndmask_b32_e64 v5, v33, v17, s[18:19]
	v_and_b32_e32 v16, s84, v2
	v_bfe_u32 v2, v2, s75, 2
	v_cndmask_b32_e64 v3, v33, v3, s[20:21]
	v_and_b32_e32 v17, s84, v5
	v_bfe_u32 v5, v5, s75, 2
	v_cmp_eq_u32_e64 s[18:19], s85, v16
	v_cmp_eq_u32_e64 s[26:27], 0, v2
	v_cndmask_b32_e64 v4, v33, v4, s[22:23]
	v_and_b32_e32 v18, s84, v3
	v_bfe_u32 v3, v3, s75, 2
	v_cmp_eq_u32_e64 s[20:21], s85, v17
	v_cmp_eq_u32_e64 s[28:29], 0, v5
	s_and_b64 s[12:13], s[18:19], s[26:27]
	v_and_b32_e32 v19, s84, v4
	v_bfe_u32 v4, v4, s75, 2
	v_cmp_eq_u32_e64 s[22:23], s85, v18
	v_cmp_eq_u32_e64 s[30:31], 0, v3
	v_cmp_eq_u32_e64 s[36:37], 1, v2
	v_cmp_eq_u32_e64 s[44:45], 2, v2
	v_cmp_eq_u32_e64 s[52:53], 3, v2
	v_cndmask_b32_e64 v2, 0, 1, s[12:13]
	s_and_b64 s[12:13], s[20:21], s[28:29]
	v_cmp_eq_u32_e64 s[24:25], s85, v19
	v_cmp_eq_u32_e64 s[34:35], 0, v4
	;; [unrolled: 1-line block ×5, first 2 shown]
	v_cndmask_b32_e64 v3, 0, 1, s[12:13]
	s_and_b64 s[12:13], s[22:23], s[30:31]
	v_cmp_eq_u32_e64 s[42:43], 1, v4
	v_cmp_eq_u32_e64 s[50:51], 2, v4
	;; [unrolled: 1-line block ×3, first 2 shown]
	v_cndmask_b32_e64 v4, 0, 1, s[12:13]
	s_and_b64 s[12:13], s[24:25], s[34:35]
	v_cmp_eq_u32_e64 s[38:39], 1, v5
	v_cmp_eq_u32_e64 s[46:47], 2, v5
	;; [unrolled: 1-line block ×3, first 2 shown]
	v_cndmask_b32_e64 v5, 0, 1, s[12:13]
	s_and_b64 s[12:13], s[18:19], s[36:37]
	v_cndmask_b32_e64 v16, 0, 1, s[12:13]
	s_and_b64 s[12:13], s[20:21], s[38:39]
	;; [unrolled: 2-line block ×12, first 2 shown]
	v_cmp_ne_u32_e64 s[18:19], 0, v2
	v_cmp_ne_u32_e64 s[20:21], 0, v3
	;; [unrolled: 1-line block ×7, first 2 shown]
	v_cndmask_b32_e64 v46, 0, 1, s[12:13]
	v_cmp_ne_u32_e64 s[38:39], 0, v40
	v_cmp_ne_u32_e64 s[46:47], 0, v44
	s_bcnt1_i32_b64 s12, s[18:19]
	s_bcnt1_i32_b64 s13, s[20:21]
	;; [unrolled: 1-line block ×7, first 2 shown]
	v_cmp_ne_u32_e64 s[22:23], 0, v4
	v_cmp_ne_u32_e64 s[30:31], 0, v18
	v_cmp_ne_u32_e64 s[40:41], 0, v41
	v_cmp_ne_u32_e64 s[48:49], 0, v45
	s_bcnt1_i32_b64 s25, s[38:39]
	s_bcnt1_i32_b64 s29, s[46:47]
	s_add_i32 s11, s11, s12
	s_add_i32 s10, s10, s20
	;; [unrolled: 1-line block ×4, first 2 shown]
	v_cmp_ne_u32_e64 s[34:35], 0, v19
	v_cmp_ne_u32_e64 s[42:43], 0, v42
	;; [unrolled: 1-line block ×3, first 2 shown]
	s_bcnt1_i32_b64 s18, s[22:23]
	s_bcnt1_i32_b64 s22, s[30:31]
	;; [unrolled: 1-line block ×4, first 2 shown]
	s_add_i32 s11, s11, s13
	s_add_i32 s10, s10, s21
	;; [unrolled: 1-line block ×4, first 2 shown]
	s_bcnt1_i32_b64 s23, s[34:35]
	s_bcnt1_i32_b64 s27, s[42:43]
	;; [unrolled: 1-line block ×3, first 2 shown]
	s_add_i32 s11, s11, s18
	s_add_i32 s10, s10, s22
	;; [unrolled: 1-line block ×8, first 2 shown]
	s_or_b64 s[94:95], vcc, s[94:95]
	v_mov_b32_e32 v2, s11
	v_mov_b32_e32 v3, s10
	;; [unrolled: 1-line block ×4, first 2 shown]
	s_andn2_b64 exec, exec, s[94:95]
	s_cbranch_execnz .LBB58_42
; %bb.43:                               ;   in Loop: Header=BB58_8 Depth=1
	s_or_b64 exec, exec, s[94:95]
.LBB58_44:                              ;   in Loop: Header=BB58_8 Depth=1
	s_or_b64 exec, exec, s[92:93]
	v_mov_b32_e32 v8, 0
	s_mov_b64 s[18:19], exec
	v_readlane_b32 s10, v52, 56
	v_readlane_b32 s11, v52, 57
	s_and_b64 s[10:11], s[18:19], s[10:11]
	s_mov_b64 exec, s[10:11]
	s_cbranch_execz .LBB58_46
; %bb.45:                               ;   in Loop: Header=BB58_8 Depth=1
	global_load_ushort v8, v[14:15], off
.LBB58_46:                              ;   in Loop: Header=BB58_8 Depth=1
	s_or_b64 exec, exec, s[18:19]
	s_mov_b64 s[20:21], 0
	s_mov_b64 s[92:93], 0
	s_and_saveexec_b64 s[22:23], s[14:15]
	s_cbranch_execz .LBB58_53
; %bb.47:                               ;   in Loop: Header=BB58_8 Depth=1
	s_and_b32 s10, s0, 0xfe
	s_mov_b64 s[24:25], 0
	v_mov_b32_e32 v16, v30
	v_mov_b32_e32 v18, v25
	s_branch .LBB58_49
.LBB58_48:                              ;   in Loop: Header=BB58_49 Depth=2
	s_or_b64 exec, exec, s[18:19]
	s_waitcnt vmcnt(0)
	v_cmp_lt_i16_e32 vcc, -1, v8
	v_cndmask_b32_e32 v19, v33, v34, vcc
	v_xor_b32_sdwa v19, v19, v8 dst_sel:DWORD dst_unused:UNUSED_PAD src0_sel:DWORD src1_sel:WORD_0
	v_cmp_o_f16_e32 vcc, v8, v8
	v_cndmask_b32_e32 v8, v33, v19, vcc
	v_and_b32_e32 v19, s84, v8
	v_bfe_u32 v8, v8, s10, 2
	v_cmp_eq_u32_e32 vcc, s85, v19
	v_cmp_eq_u32_e64 s[18:19], 0, v8
	s_and_b64 s[12:13], vcc, s[18:19]
	v_cndmask_b32_e64 v19, 0, 1, s[12:13]
	v_cmp_ne_u32_e64 s[18:19], 0, v19
	s_bcnt1_i32_b64 s11, s[18:19]
	v_cmp_eq_u32_e64 s[18:19], 1, v8
	s_and_b64 s[12:13], vcc, s[18:19]
	v_cndmask_b32_e64 v19, 0, 1, s[12:13]
	v_cmp_ne_u32_e64 s[18:19], 0, v19
	v_add_u32_e32 v2, s11, v2
	s_bcnt1_i32_b64 s11, s[18:19]
	v_cmp_eq_u32_e64 s[18:19], 2, v8
	s_and_b64 s[12:13], vcc, s[18:19]
	v_cndmask_b32_e64 v19, 0, 1, s[12:13]
	v_cmp_ne_u32_e64 s[18:19], 0, v19
	v_add_u32_e32 v3, s11, v3
	s_bcnt1_i32_b64 s11, s[18:19]
	v_cmp_eq_u32_e64 s[18:19], 3, v8
	s_and_b64 s[12:13], vcc, s[18:19]
	v_cndmask_b32_e64 v8, 0, 1, s[12:13]
	v_cmp_ne_u32_e32 vcc, 0, v8
	v_add_u32_e32 v4, s11, v4
	s_bcnt1_i32_b64 s11, vcc
	v_cmp_le_i32_e32 vcc, s68, v18
	v_add_u32_e32 v5, s11, v5
	v_add_u32_e32 v16, s91, v16
	s_or_b64 s[24:25], vcc, s[24:25]
	v_mov_b32_e32 v8, v17
	s_andn2_b64 exec, exec, s[24:25]
	s_cbranch_execz .LBB58_52
.LBB58_49:                              ;   Parent Loop BB58_8 Depth=1
                                        ; =>  This Inner Loop Header: Depth=2
	v_add_u32_e32 v18, s33, v18
	v_cmp_gt_u32_e32 vcc, s68, v18
	v_mov_b32_e32 v17, 0
	s_and_saveexec_b64 s[18:19], vcc
	s_cbranch_execz .LBB58_48
; %bb.50:                               ;   in Loop: Header=BB58_49 Depth=2
	v_ashrrev_i32_e32 v17, 31, v16
	v_lshlrev_b64 v[40:41], 1, v[16:17]
	v_mov_b32_e32 v17, s90
	v_add_co_u32_e32 v40, vcc, s70, v40
	v_addc_co_u32_e32 v41, vcc, v17, v41, vcc
	global_load_ushort v17, v[40:41], off
	s_branch .LBB58_48
.LBB58_51:                              ;   in Loop: Header=BB58_8 Depth=1
	s_mov_b64 s[92:93], 0
                                        ; implicit-def: $vgpr5
	s_cbranch_execnz .LBB58_54
	s_branch .LBB58_63
.LBB58_52:                              ;   in Loop: Header=BB58_8 Depth=1
	s_or_b64 exec, exec, s[24:25]
	s_mov_b64 s[92:93], exec
.LBB58_53:                              ;   in Loop: Header=BB58_8 Depth=1
	s_or_b64 exec, exec, s[22:23]
	s_and_b64 vcc, exec, s[20:21]
	s_cbranch_vccz .LBB58_63
.LBB58_54:                              ;   in Loop: Header=BB58_8 Depth=1
	s_mul_hi_u32 s10, s81, s6
	s_mul_i32 s10, s10, s7
	s_sub_i32 s10, s81, s10
	s_sub_i32 s11, s10, s7
	s_cmp_ge_u32 s10, s7
	s_cselect_b32 s10, s11, s10
	s_sub_i32 s11, s10, s7
	s_cmp_ge_u32 s10, s7
	s_cselect_b32 s10, s11, s10
	s_sub_i32 s10, s81, s10
	v_cmp_gt_u32_e32 vcc, s10, v20
	s_mov_b32 s86, 0
	s_waitcnt vmcnt(0)
	v_mov_b32_e32 v2, 0
	v_mov_b32_e32 v3, 0
	;; [unrolled: 1-line block ×4, first 2 shown]
	s_and_saveexec_b64 s[94:95], vcc
	s_cbranch_execz .LBB58_58
; %bb.55:                               ;   in Loop: Header=BB58_8 Depth=1
	s_and_b32 s11, s0, 0xfe
	s_mov_b64 s[74:75], 0
	v_mov_b32_e32 v8, v31
	s_mov_b32 s87, 0
	s_mov_b32 s12, 0
	;; [unrolled: 1-line block ×3, first 2 shown]
	v_mov_b32_e32 v16, v20
.LBB58_56:                              ;   Parent Loop BB58_8 Depth=1
                                        ; =>  This Inner Loop Header: Depth=2
	ds_read_b64 v[2:3], v8
	v_add_u32_e32 v16, s7, v16
	v_cmp_le_i32_e32 vcc, s10, v16
	v_add_u32_e32 v8, s17, v8
	s_waitcnt lgkmcnt(0)
	v_cmp_lt_i16_e64 s[18:19], -1, v2
	v_cndmask_b32_e64 v4, v33, v34, s[18:19]
	v_cmp_gt_i16_sdwa s[18:19], v2, v35 src0_sel:WORD_1 src1_sel:DWORD
	v_cndmask_b32_e64 v5, v33, v34, s[18:19]
	v_cmp_lt_i16_e64 s[18:19], -1, v3
	v_cndmask_b32_e64 v17, v33, v34, s[18:19]
	v_cmp_gt_i16_sdwa s[18:19], v3, v35 src0_sel:WORD_1 src1_sel:DWORD
	v_cndmask_b32_e64 v18, v33, v34, s[18:19]
	v_xor_b32_sdwa v17, v17, v3 dst_sel:DWORD dst_unused:UNUSED_PAD src0_sel:DWORD src1_sel:WORD_0
	v_cmp_o_f16_e64 s[20:21], v3, v3
	v_xor_b32_sdwa v18, v18, v3 dst_sel:DWORD dst_unused:UNUSED_PAD src0_sel:DWORD src1_sel:WORD_1
	v_cmp_o_f16_sdwa s[22:23], v3, v3 src0_sel:WORD_1 src1_sel:WORD_1
	v_xor_b32_sdwa v3, v4, v2 dst_sel:DWORD dst_unused:UNUSED_PAD src0_sel:DWORD src1_sel:WORD_0
	v_cmp_o_f16_e64 s[24:25], v2, v2
	v_xor_b32_sdwa v5, v5, v2 dst_sel:DWORD dst_unused:UNUSED_PAD src0_sel:DWORD src1_sel:WORD_1
	v_cmp_o_f16_sdwa s[18:19], v2, v2 src0_sel:WORD_1 src1_sel:WORD_1
	v_cndmask_b32_e64 v2, v33, v3, s[24:25]
	v_cndmask_b32_e64 v3, v33, v5, s[18:19]
	;; [unrolled: 1-line block ×3, first 2 shown]
	v_and_b32_e32 v17, s84, v2
	v_bfe_u32 v2, v2, s11, 2
	v_cndmask_b32_e64 v5, v33, v18, s[22:23]
	v_and_b32_e32 v18, s84, v3
	v_bfe_u32 v3, v3, s11, 2
	v_cmp_eq_u32_e64 s[18:19], s85, v17
	v_cmp_eq_u32_e64 s[26:27], 0, v2
	v_and_b32_e32 v19, s84, v4
	v_bfe_u32 v4, v4, s11, 2
	v_cmp_eq_u32_e64 s[20:21], s85, v18
	v_cmp_eq_u32_e64 s[28:29], 0, v3
	s_and_b64 s[26:27], s[18:19], s[26:27]
	v_and_b32_e32 v39, s84, v5
	v_bfe_u32 v5, v5, s11, 2
	v_cmp_eq_u32_e64 s[22:23], s85, v19
	v_cmp_eq_u32_e64 s[30:31], 0, v4
	;; [unrolled: 1-line block ×5, first 2 shown]
	v_cndmask_b32_e64 v2, 0, 1, s[26:27]
	s_and_b64 s[26:27], s[20:21], s[28:29]
	v_cmp_eq_u32_e64 s[24:25], s85, v39
	v_cmp_eq_u32_e64 s[34:35], 0, v5
	;; [unrolled: 1-line block ×5, first 2 shown]
	v_cndmask_b32_e64 v3, 0, 1, s[26:27]
	s_and_b64 s[26:27], s[22:23], s[30:31]
	v_cmp_eq_u32_e64 s[40:41], 1, v4
	v_cmp_eq_u32_e64 s[48:49], 2, v4
	;; [unrolled: 1-line block ×3, first 2 shown]
	v_cndmask_b32_e64 v4, 0, 1, s[26:27]
	s_and_b64 s[26:27], s[24:25], s[34:35]
	v_cmp_eq_u32_e64 s[42:43], 1, v5
	v_cmp_eq_u32_e64 s[50:51], 2, v5
	;; [unrolled: 1-line block ×3, first 2 shown]
	v_cndmask_b32_e64 v5, 0, 1, s[26:27]
	s_and_b64 s[26:27], s[18:19], s[36:37]
	v_cndmask_b32_e64 v17, 0, 1, s[26:27]
	s_and_b64 s[26:27], s[20:21], s[38:39]
	;; [unrolled: 2-line block ×5, first 2 shown]
	s_and_b64 s[18:19], s[18:19], s[52:53]
	v_cndmask_b32_e64 v40, 0, 1, s[26:27]
	s_and_b64 s[26:27], s[20:21], s[46:47]
	v_cndmask_b32_e64 v44, 0, 1, s[18:19]
	;; [unrolled: 2-line block ×7, first 2 shown]
	v_cndmask_b32_e64 v47, 0, 1, s[18:19]
	v_cmp_ne_u32_e64 s[18:19], 0, v2
	v_cmp_ne_u32_e64 s[20:21], 0, v3
	;; [unrolled: 1-line block ×11, first 2 shown]
	s_bcnt1_i32_b64 s18, s[18:19]
	s_bcnt1_i32_b64 s19, s[20:21]
	;; [unrolled: 1-line block ×8, first 2 shown]
	v_cmp_ne_u32_e64 s[34:35], 0, v39
	v_cmp_ne_u32_e64 s[40:41], 0, v42
	;; [unrolled: 1-line block ×3, first 2 shown]
	s_bcnt1_i32_b64 s23, s[28:29]
	s_bcnt1_i32_b64 s27, s[38:39]
	;; [unrolled: 1-line block ×3, first 2 shown]
	s_add_i32 s13, s13, s18
	s_add_i32 s12, s12, s22
	;; [unrolled: 1-line block ×4, first 2 shown]
	v_cmp_ne_u32_e64 s[42:43], 0, v43
	v_cmp_ne_u32_e64 s[50:51], 0, v47
	s_bcnt1_i32_b64 s25, s[34:35]
	s_bcnt1_i32_b64 s28, s[40:41]
	;; [unrolled: 1-line block ×3, first 2 shown]
	s_add_i32 s13, s13, s19
	s_add_i32 s12, s12, s23
	;; [unrolled: 1-line block ×4, first 2 shown]
	s_bcnt1_i32_b64 s29, s[42:43]
	s_bcnt1_i32_b64 s35, s[50:51]
	s_add_i32 s13, s13, s20
	s_add_i32 s12, s12, s24
	;; [unrolled: 1-line block ×8, first 2 shown]
	s_or_b64 s[74:75], vcc, s[74:75]
	v_mov_b32_e32 v2, s13
	v_mov_b32_e32 v3, s12
	;; [unrolled: 1-line block ×4, first 2 shown]
	s_andn2_b64 exec, exec, s[74:75]
	s_cbranch_execnz .LBB58_56
; %bb.57:                               ;   in Loop: Header=BB58_8 Depth=1
	s_or_b64 exec, exec, s[74:75]
.LBB58_58:                              ;   in Loop: Header=BB58_8 Depth=1
	s_or_b64 exec, exec, s[94:95]
	v_add_u32_e32 v8, s10, v0
	v_cmp_gt_i32_e32 vcc, s81, v8
	s_and_saveexec_b64 s[28:29], vcc
	s_cbranch_execz .LBB58_62
; %bb.59:                               ;   in Loop: Header=BB58_8 Depth=1
	s_and_b32 s10, s0, 0xfe
	v_lshlrev_b32_e32 v16, 1, v8
	s_mov_b64 s[30:31], 0
.LBB58_60:                              ;   Parent Loop BB58_8 Depth=1
                                        ; =>  This Inner Loop Header: Depth=2
	ds_read_u16 v17, v16
	v_add_u32_e32 v8, s33, v8
	v_cmp_le_i32_e32 vcc, s81, v8
	v_add_u32_e32 v16, s8, v16
	s_waitcnt lgkmcnt(0)
	v_cmp_lt_i16_e64 s[18:19], -1, v17
	v_cndmask_b32_e64 v18, v33, v34, s[18:19]
	v_xor_b32_sdwa v18, v18, v17 dst_sel:DWORD dst_unused:UNUSED_PAD src0_sel:DWORD src1_sel:WORD_0
	v_cmp_o_f16_e64 s[18:19], v17, v17
	v_cndmask_b32_e64 v17, v33, v18, s[18:19]
	v_and_b32_e32 v18, s84, v17
	v_bfe_u32 v17, v17, s10, 2
	v_cmp_eq_u32_e64 s[18:19], s85, v18
	v_cmp_eq_u32_e64 s[20:21], 0, v17
	;; [unrolled: 1-line block ×3, first 2 shown]
	s_and_b64 s[12:13], s[18:19], s[20:21]
	v_cmp_eq_u32_e64 s[24:25], 2, v17
	v_cmp_eq_u32_e64 s[26:27], 3, v17
	v_cndmask_b32_e64 v17, 0, 1, s[12:13]
	s_and_b64 s[12:13], s[18:19], s[22:23]
	v_cndmask_b32_e64 v18, 0, 1, s[12:13]
	s_and_b64 s[12:13], s[18:19], s[24:25]
	v_cndmask_b32_e64 v19, 0, 1, s[12:13]
	s_and_b64 s[12:13], s[18:19], s[26:27]
	v_cndmask_b32_e64 v39, 0, 1, s[12:13]
	v_cmp_ne_u32_e64 s[18:19], 0, v17
	v_cmp_ne_u32_e64 s[20:21], 0, v18
	;; [unrolled: 1-line block ×4, first 2 shown]
	s_bcnt1_i32_b64 s11, s[18:19]
	s_bcnt1_i32_b64 s12, s[20:21]
	;; [unrolled: 1-line block ×4, first 2 shown]
	v_add_u32_e32 v2, s11, v2
	v_add_u32_e32 v3, s12, v3
	;; [unrolled: 1-line block ×3, first 2 shown]
	s_or_b64 s[30:31], vcc, s[30:31]
	v_add_u32_e32 v5, s18, v5
	s_andn2_b64 exec, exec, s[30:31]
	s_cbranch_execnz .LBB58_60
; %bb.61:                               ;   in Loop: Header=BB58_8 Depth=1
	s_or_b64 exec, exec, s[30:31]
	s_or_b64 s[92:93], s[92:93], exec
.LBB58_62:                              ;   in Loop: Header=BB58_8 Depth=1
	s_or_b64 exec, exec, s[28:29]
.LBB58_63:                              ;   in Loop: Header=BB58_8 Depth=1
	s_and_saveexec_b64 s[18:19], s[92:93]
	s_or_b64 exec, exec, s[18:19]
	s_lshl_b32 s10, s1, 6
	s_and_saveexec_b64 s[18:19], s[2:3]
	s_cbranch_execz .LBB58_65
; %bb.64:                               ;   in Loop: Header=BB58_8 Depth=1
	s_waitcnt vmcnt(0)
	v_or_b32_e32 v8, s10, v23
	v_lshlrev_b32_e32 v8, 2, v8
	ds_write_b128 v8, v[2:5] offset:3072
.LBB58_65:                              ;   in Loop: Header=BB58_8 Depth=1
	s_or_b64 exec, exec, s[18:19]
	s_waitcnt lgkmcnt(0)
	s_barrier
	s_and_saveexec_b64 s[18:19], s[82:83]
	s_cbranch_execz .LBB58_79
; %bb.66:                               ;   in Loop: Header=BB58_8 Depth=1
	v_readlane_b32 s12, v52, 34
	v_readlane_b32 s13, v52, 35
	v_add_u32_e32 v4, s10, v13
	s_andn2_b64 vcc, exec, s[12:13]
	s_waitcnt vmcnt(0)
	v_mov_b32_e32 v2, 0
	s_cbranch_vccnz .LBB58_78
; %bb.67:                               ;   in Loop: Header=BB58_8 Depth=1
	v_readlane_b32 s12, v52, 38
	v_readlane_b32 s13, v52, 39
	s_mov_b32 s11, 0
	s_and_b64 vcc, exec, s[12:13]
	v_mov_b32_e32 v2, 0
	s_cbranch_vccz .LBB58_71
; %bb.68:                               ;   in Loop: Header=BB58_8 Depth=1
	v_readlane_b32 s12, v52, 44
	v_readlane_b32 s13, v52, 45
	v_lshl_add_u32 v5, v4, 2, v36
	s_andn2_b64 vcc, exec, s[12:13]
	s_cbranch_vccnz .LBB58_72
; %bb.69:                               ;   in Loop: Header=BB58_8 Depth=1
	s_mov_b32 s21, 1
	s_mov_b32 s20, 0
	v_mov_b32_e32 v2, 0
	v_readlane_b32 s11, v52, 46
	v_mov_b32_e32 v3, 0
.LBB58_70:                              ;   Parent Loop BB58_8 Depth=1
                                        ; =>  This Inner Loop Header: Depth=2
	v_lshl_add_u32 v8, s20, 4, v5
	v_lshl_add_u32 v39, s21, 4, v5
	ds_read2_b32 v[16:17], v8 offset1:8
	ds_read2_b32 v[18:19], v39 offset1:8
	ds_read2_b32 v[40:41], v8 offset0:16 offset1:24
	ds_read2_b32 v[42:43], v39 offset0:16 offset1:24
	;; [unrolled: 1-line block ×6, first 2 shown]
	s_waitcnt lgkmcnt(7)
	v_add3_u32 v2, v16, v2, v17
	s_waitcnt lgkmcnt(6)
	v_add3_u32 v3, v18, v3, v19
	;; [unrolled: 2-line block ×3, first 2 shown]
	v_add3_u32 v2, v40, v2, v41
	s_add_i32 s21, s21, 16
	s_add_i32 s20, s20, 16
	s_add_i32 s11, s11, -8
	s_waitcnt lgkmcnt(3)
	v_add3_u32 v2, v44, v2, v45
	s_waitcnt lgkmcnt(2)
	v_add3_u32 v3, v46, v3, v47
	s_cmp_lg_u32 s11, 0
	s_waitcnt lgkmcnt(0)
	v_add3_u32 v3, v50, v3, v51
	v_add3_u32 v2, v48, v2, v49
	s_cbranch_scc1 .LBB58_70
	s_branch .LBB58_73
.LBB58_71:                              ;   in Loop: Header=BB58_8 Depth=1
	s_cbranch_execnz .LBB58_76
	s_branch .LBB58_78
.LBB58_72:                              ;   in Loop: Header=BB58_8 Depth=1
	s_mov_b32 s81, s80
	v_pk_mov_b32 v[2:3], s[80:81], s[80:81] op_sel:[0,1]
	s_mov_b32 s81, 1
	s_mov_b64 s[20:21], s[80:81]
.LBB58_73:                              ;   in Loop: Header=BB58_8 Depth=1
	v_readlane_b32 s12, v52, 48
	v_readlane_b32 s13, v52, 49
	s_andn2_b64 vcc, exec, s[12:13]
	v_readlane_b32 s11, v52, 47
	s_cbranch_vccnz .LBB58_75
.LBB58_74:                              ;   Parent Loop BB58_8 Depth=1
                                        ; =>  This Inner Loop Header: Depth=2
	v_lshl_add_u32 v8, s20, 4, v5
	v_lshl_add_u32 v16, s21, 4, v5
	ds_read_b32 v16, v16
	ds_read_b32 v8, v8
	s_add_i32 s21, s21, 2
	s_add_i32 s20, s20, 2
	s_add_i32 s11, s11, -1
	s_cmp_lg_u32 s11, 0
	s_waitcnt lgkmcnt(1)
	v_add_u32_e32 v3, v16, v3
	s_waitcnt lgkmcnt(0)
	v_add_u32_e32 v2, v8, v2
	s_cbranch_scc1 .LBB58_74
.LBB58_75:                              ;   in Loop: Header=BB58_8 Depth=1
	v_readlane_b32 s20, v52, 52
	v_add_u32_e32 v2, v2, v3
	v_readlane_b32 s11, v52, 51
	v_readlane_b32 s21, v52, 53
	s_and_b64 vcc, exec, s[20:21]
	s_cbranch_vccz .LBB58_78
.LBB58_76:                              ;   in Loop: Header=BB58_8 Depth=1
	s_lshl_b32 s12, s1, 8
	s_lshl_b32 s13, s11, 4
	s_add_i32 s12, s12, s13
	v_add_u32_e32 v3, s12, v32
	v_readlane_b32 s12, v52, 50
	s_sub_i32 s11, s12, s11
.LBB58_77:                              ;   Parent Loop BB58_8 Depth=1
                                        ; =>  This Inner Loop Header: Depth=2
	ds_read_b32 v5, v3
	s_add_i32 s11, s11, -1
	v_add_u32_e32 v3, 16, v3
	s_cmp_eq_u32 s11, 0
	s_waitcnt lgkmcnt(0)
	v_add_u32_e32 v2, v5, v2
	s_cbranch_scc0 .LBB58_77
.LBB58_78:                              ;   in Loop: Header=BB58_8 Depth=1
	v_lshlrev_b32_e32 v3, 2, v4
	ds_write_b32 v3, v2 offset:3072
.LBB58_79:                              ;   in Loop: Header=BB58_8 Depth=1
	s_or_b64 exec, exec, s[18:19]
	s_lshl_b32 s10, s10, 2
	s_waitcnt vmcnt(0)
	v_mov_b32_e32 v2, s10
	s_waitcnt lgkmcnt(0)
	s_barrier
	ds_read_b128 v[2:5], v2 offset:3072
	s_and_b32 s47, s0, 0xfe
	s_lshl_b32 s55, 3, s47
	s_not_b32 s48, s55
	s_mov_b64 s[22:23], -1
	s_waitcnt lgkmcnt(0)
	v_readfirstlane_b32 s34, v2
	s_cmp_eq_u32 s34, 1
	s_cselect_b64 s[10:11], -1, 0
	s_cmp_eq_u32 s69, 1
	s_cselect_b64 s[12:13], -1, 0
	s_and_b64 s[24:25], s[10:11], s[12:13]
	v_readfirstlane_b32 s38, v3
	v_readfirstlane_b32 s46, v4
	;; [unrolled: 1-line block ×3, first 2 shown]
	s_and_b64 vcc, exec, s[24:25]
	s_cbranch_vccz .LBB58_91
; %bb.80:                               ;   in Loop: Header=BB58_8 Depth=1
	ds_read_b32 v2, v9 offset:4096
	s_waitcnt lgkmcnt(0)
	s_barrier
	v_readfirstlane_b32 s10, v2
	s_and_saveexec_b64 s[18:19], s[4:5]
	s_cbranch_execz .LBB58_82
; %bb.81:                               ;   in Loop: Header=BB58_8 Depth=1
	ds_write_b16 v22, v9
.LBB58_82:                              ;   in Loop: Header=BB58_8 Depth=1
	s_or_b64 exec, exec, s[18:19]
	s_and_b32 s85, s85, s48
	s_or_b32 s84, s84, s55
	s_cmp_lt_i32 s10, 1
	s_waitcnt lgkmcnt(0)
	s_barrier
	s_cbranch_scc0 .LBB58_92
; %bb.83:                               ;   in Loop: Header=BB58_8 Depth=1
	s_mov_b64 s[18:19], 0
                                        ; implicit-def: $vgpr38
	s_mov_b64 s[20:21], exec
	v_readlane_b32 s12, v52, 59
	v_readlane_b32 s13, v52, 60
	s_and_b64 s[12:13], s[20:21], s[12:13]
	s_mov_b64 exec, s[12:13]
	s_cbranch_execz .LBB58_94
; %bb.84:                               ;   in Loop: Header=BB58_8 Depth=1
	s_mov_b64 s[26:27], 0
	v_mov_b32_e32 v2, v6
	v_mov_b32_e32 v4, v0
                                        ; implicit-def: $sgpr28_sgpr29
	s_branch .LBB58_86
.LBB58_85:                              ;   in Loop: Header=BB58_86 Depth=2
	s_or_b64 exec, exec, s[18:19]
	s_waitcnt lgkmcnt(0)
	s_barrier
	s_waitcnt vmcnt(0)
	ds_read_b32 v3, v9 offset:3072
	v_add_u32_e32 v4, s33, v4
	v_cmp_le_i32_e64 s[18:19], s89, v4
	v_add_u32_e32 v2, s91, v2
	s_waitcnt lgkmcnt(0)
	v_cmp_neq_f16_e32 vcc, 0, v3
	s_or_b64 s[12:13], s[18:19], vcc
	s_and_b64 s[12:13], exec, s[12:13]
	s_or_b64 s[26:27], s[12:13], s[26:27]
	s_andn2_b64 s[12:13], s[28:29], exec
	s_and_b64 s[18:19], vcc, exec
	s_or_b64 s[28:29], s[12:13], s[18:19]
	s_barrier
	s_andn2_b64 exec, exec, s[26:27]
	s_cbranch_execz .LBB58_93
.LBB58_86:                              ;   Parent Loop BB58_8 Depth=1
                                        ; =>  This Inner Loop Header: Depth=2
	v_cmp_gt_i32_e32 vcc, s68, v4
	v_mov_b32_e32 v3, 0
	s_and_saveexec_b64 s[30:31], vcc
	s_cbranch_execz .LBB58_88
; %bb.87:                               ;   in Loop: Header=BB58_86 Depth=2
	v_ashrrev_i32_e32 v3, 31, v2
	v_lshlrev_b64 v[16:17], 1, v[2:3]
	v_mov_b32_e32 v3, s90
	v_add_co_u32_e64 v16, s[18:19], s70, v16
	v_addc_co_u32_e64 v17, s[18:19], v3, v17, s[18:19]
	global_load_ushort v3, v[16:17], off
.LBB58_88:                              ;   in Loop: Header=BB58_86 Depth=2
	s_or_b64 exec, exec, s[30:31]
	s_and_saveexec_b64 s[18:19], vcc
	s_cbranch_execz .LBB58_85
; %bb.89:                               ;   in Loop: Header=BB58_86 Depth=2
	s_waitcnt vmcnt(0)
	v_cmp_lt_i16_e32 vcc, -1, v3
	v_cndmask_b32_e32 v5, v33, v34, vcc
	v_xor_b32_sdwa v5, v5, v3 dst_sel:DWORD dst_unused:UNUSED_PAD src0_sel:DWORD src1_sel:WORD_0
	v_cmp_o_f16_e32 vcc, v3, v3
	v_cndmask_b32_e32 v5, v33, v5, vcc
	v_and_b32_e32 v5, s84, v5
	v_cmp_eq_u32_e32 vcc, s85, v5
	s_and_b64 exec, exec, vcc
	s_cbranch_execz .LBB58_85
; %bb.90:                               ;   in Loop: Header=BB58_86 Depth=2
	v_perm_b32 v3, v3, s88, v37
	ds_write_b32 v9, v3 offset:3072
	s_branch .LBB58_85
.LBB58_91:                              ;   in Loop: Header=BB58_8 Depth=1
	s_mov_b64 s[18:19], -1
                                        ; implicit-def: $sgpr20_sgpr21
                                        ; implicit-def: $sgpr28_sgpr29
                                        ; implicit-def: $sgpr26_sgpr27
	s_branch .LBB58_105
.LBB58_92:                              ;   in Loop: Header=BB58_8 Depth=1
	s_mov_b64 s[20:21], -1
	s_mov_b64 s[18:19], 0
                                        ; implicit-def: $sgpr26_sgpr27
                                        ; implicit-def: $vgpr38
	s_mov_b64 s[28:29], s[20:21]
	s_cbranch_execnz .LBB58_95
	s_branch .LBB58_105
.LBB58_93:                              ;   in Loop: Header=BB58_8 Depth=1
	s_or_b64 exec, exec, s[26:27]
	v_lshrrev_b32_e32 v38, 16, v3
	s_and_b64 s[18:19], s[28:29], exec
.LBB58_94:                              ;   in Loop: Header=BB58_8 Depth=1
	s_or_b64 exec, exec, s[20:21]
	s_mov_b64 s[26:27], -1
	s_mov_b64 s[20:21], 0
	s_mov_b64 s[28:29], s[20:21]
	s_branch .LBB58_105
.LBB58_95:                              ;   in Loop: Header=BB58_8 Depth=1
	v_readlane_b32 s11, v52, 31
	s_add_i32 s11, s10, s11
	s_abs_i32 s13, s11
	v_readlane_b32 s18, v52, 58
	s_mul_hi_u32 s18, s13, s18
	s_mul_i32 s18, s18, s33
	s_sub_i32 s13, s13, s18
	s_ashr_i32 s12, s11, 31
	s_sub_i32 s18, s13, s33
	s_cmp_ge_u32 s13, s33
	s_cselect_b32 s13, s18, s13
	s_sub_i32 s18, s13, s33
	s_cmp_ge_u32 s13, s33
	s_cselect_b32 s13, s18, s13
	s_xor_b32 s13, s13, s12
	s_sub_i32 s12, s12, s13
	s_add_i32 s11, s11, s12
	v_cmp_gt_i32_e32 vcc, s11, v0
	s_mov_b64 s[18:19], 0
                                        ; implicit-def: $vgpr38
	s_and_saveexec_b64 s[20:21], vcc
	s_cbranch_execz .LBB58_104
; %bb.96:                               ;   in Loop: Header=BB58_8 Depth=1
	s_mov_b64 s[26:27], 0
	v_mov_b32_e32 v2, v21
	v_mov_b32_e32 v3, v0
                                        ; implicit-def: $sgpr28_sgpr29
	s_branch .LBB58_98
.LBB58_97:                              ;   in Loop: Header=BB58_98 Depth=2
	s_or_b64 exec, exec, s[18:19]
	s_waitcnt lgkmcnt(0)
	s_barrier
	ds_read_b32 v4, v9 offset:3072
	v_add_u32_e32 v3, s33, v3
	v_cmp_le_i32_e64 s[18:19], s11, v3
	v_add_u32_e32 v2, s8, v2
	s_waitcnt lgkmcnt(0)
	v_cmp_neq_f16_e32 vcc, 0, v4
	s_or_b64 s[12:13], s[18:19], vcc
	s_and_b64 s[12:13], exec, s[12:13]
	s_or_b64 s[26:27], s[12:13], s[26:27]
	s_andn2_b64 s[12:13], s[28:29], exec
	s_and_b64 s[18:19], vcc, exec
	s_or_b64 s[28:29], s[12:13], s[18:19]
	s_barrier
	s_andn2_b64 exec, exec, s[26:27]
	s_cbranch_execz .LBB58_103
.LBB58_98:                              ;   Parent Loop BB58_8 Depth=1
                                        ; =>  This Inner Loop Header: Depth=2
	v_cmp_gt_i32_e32 vcc, s10, v3
	v_mov_b32_e32 v4, 0
	s_and_saveexec_b64 s[18:19], vcc
	s_cbranch_execz .LBB58_100
; %bb.99:                               ;   in Loop: Header=BB58_98 Depth=2
	ds_read_u16 v4, v2
.LBB58_100:                             ;   in Loop: Header=BB58_98 Depth=2
	s_or_b64 exec, exec, s[18:19]
	s_and_saveexec_b64 s[18:19], vcc
	s_cbranch_execz .LBB58_97
; %bb.101:                              ;   in Loop: Header=BB58_98 Depth=2
	s_waitcnt lgkmcnt(0)
	v_cmp_lt_i16_e32 vcc, -1, v4
	v_cndmask_b32_e32 v5, v33, v34, vcc
	v_xor_b32_sdwa v5, v5, v4 dst_sel:DWORD dst_unused:UNUSED_PAD src0_sel:DWORD src1_sel:WORD_0
	v_cmp_o_f16_e32 vcc, v4, v4
	v_cndmask_b32_e32 v5, v33, v5, vcc
	v_and_b32_e32 v5, s84, v5
	v_cmp_eq_u32_e32 vcc, s85, v5
	s_and_b64 exec, exec, vcc
	s_cbranch_execz .LBB58_97
; %bb.102:                              ;   in Loop: Header=BB58_98 Depth=2
	v_perm_b32 v4, v4, s88, v37
	ds_write_b32 v9, v4 offset:3072
	s_branch .LBB58_97
.LBB58_103:                             ;   in Loop: Header=BB58_8 Depth=1
	s_or_b64 exec, exec, s[26:27]
	v_lshrrev_b32_e32 v38, 16, v4
	s_and_b64 s[18:19], s[28:29], exec
.LBB58_104:                             ;   in Loop: Header=BB58_8 Depth=1
	s_or_b64 exec, exec, s[20:21]
	s_mov_b64 s[28:29], -1
	s_mov_b64 s[20:21], 0
	s_mov_b64 s[26:27], 0
.LBB58_105:                             ;   in Loop: Header=BB58_8 Depth=1
	s_andn2_b64 s[10:11], s[76:77], exec
	s_and_b64 s[12:13], s[20:21], exec
	s_or_b64 s[76:77], s[10:11], s[12:13]
	s_andn2_b64 s[10:11], s[72:73], exec
	s_and_b64 s[12:13], s[28:29], exec
	s_or_b64 s[72:73], s[10:11], s[12:13]
	;; [unrolled: 3-line block ×3, first 2 shown]
	s_and_saveexec_b64 s[20:21], s[18:19]
	s_cbranch_execz .LBB58_7
; %bb.106:                              ;   in Loop: Header=BB58_8 Depth=1
	s_xor_b64 s[10:11], s[24:25], -1
	s_mov_b64 s[18:19], 0
	s_andn2_b64 vcc, exec, s[10:11]
	s_mov_b32 s39, 1
	s_cbranch_vccnz .LBB58_117
; %bb.107:                              ;   in Loop: Header=BB58_8 Depth=1
	s_cmp_gt_i32 s69, s34
	s_mov_b64 s[18:19], -1
                                        ; implicit-def: $sgpr57
                                        ; implicit-def: $sgpr10
                                        ; implicit-def: $sgpr11
	s_cbranch_scc1 .LBB58_113
; %bb.108:                              ;   in Loop: Header=BB58_8 Depth=1
	ds_read_b32 v2, v9 offset:4096
	s_waitcnt lgkmcnt(0)
	v_cmp_ne_u32_e32 vcc, 0, v2
	s_cbranch_vccnz .LBB58_112
; %bb.109:                              ;   in Loop: Header=BB58_8 Depth=1
	s_mov_b64 s[18:19], exec
	v_readlane_b32 s10, v52, 18
	v_readlane_b32 s11, v52, 19
	s_and_b64 s[10:11], s[18:19], s[10:11]
	s_mov_b64 exec, s[10:11]
	s_cbranch_execz .LBB58_111
; %bb.110:                              ;   in Loop: Header=BB58_8 Depth=1
	v_mov_b32_e32 v2, s34
	ds_write_b32 v9, v2 offset:4100
.LBB58_111:                             ;   in Loop: Header=BB58_8 Depth=1
	s_or_b64 exec, exec, s[18:19]
	s_waitcnt lgkmcnt(0)
	s_barrier
.LBB58_112:                             ;   in Loop: Header=BB58_8 Depth=1
	s_and_b32 s10, s85, s48
	s_or_b32 s11, s84, s55
	s_mov_b64 s[18:19], 0
	s_mov_b32 s57, 8
.LBB58_113:                             ;   in Loop: Header=BB58_8 Depth=1
	s_andn2_b64 vcc, exec, s[18:19]
	s_cbranch_vccnz .LBB58_115
; %bb.114:                              ;   in Loop: Header=BB58_8 Depth=1
	s_sub_i32 s69, s69, s34
	s_mov_b64 s[18:19], -1
	s_mov_b32 s57, 0
	s_mov_b32 s10, s85
	;; [unrolled: 1-line block ×3, first 2 shown]
.LBB58_115:                             ;   in Loop: Header=BB58_8 Depth=1
	s_mov_b32 s84, s11
	s_mov_b32 s85, s10
	;; [unrolled: 1-line block ×3, first 2 shown]
	s_mov_b64 s[22:23], -1
	s_and_b64 vcc, exec, s[18:19]
	s_cbranch_vccnz .LBB58_118
.LBB58_116:                             ;   in Loop: Header=BB58_8 Depth=1
	s_mov_b64 s[36:37], -1
                                        ; implicit-def: $sgpr24_sgpr25
                                        ; implicit-def: $sgpr28_sgpr29
                                        ; implicit-def: $sgpr26_sgpr27
	s_and_saveexec_b64 s[10:11], s[36:37]
	s_xor_b64 s[18:19], exec, s[10:11]
	s_cbranch_execz .LBB58_6
	s_branch .LBB58_241
.LBB58_117:                             ;   in Loop: Header=BB58_8 Depth=1
	s_mov_b32 s57, 1
	s_mov_b64 s[22:23], -1
	s_and_b64 vcc, exec, s[18:19]
	s_cbranch_vccz .LBB58_116
.LBB58_118:                             ;   in Loop: Header=BB58_8 Depth=1
	s_cmp_eq_u32 s38, 1
	s_cselect_b64 s[10:11], -1, 0
	s_cmp_eq_u32 s39, 1
	s_cselect_b64 s[12:13], -1, 0
	s_and_b64 s[34:35], s[10:11], s[12:13]
	s_mov_b64 s[18:19], -1
	s_and_b64 vcc, exec, s[34:35]
	s_cbranch_vccz .LBB58_130
; %bb.119:                              ;   in Loop: Header=BB58_8 Depth=1
	ds_read_b32 v2, v9 offset:4096
	s_waitcnt lgkmcnt(0)
	s_barrier
	v_readfirstlane_b32 s10, v2
	s_and_saveexec_b64 s[18:19], s[4:5]
	s_cbranch_execz .LBB58_121
; %bb.120:                              ;   in Loop: Header=BB58_8 Depth=1
	ds_write_b16 v22, v9
.LBB58_121:                             ;   in Loop: Header=BB58_8 Depth=1
	s_or_b64 exec, exec, s[18:19]
	s_lshl_b32 s11, 1, s47
	s_and_b32 s12, s85, s48
	s_or_b32 s85, s12, s11
	s_or_b32 s84, s84, s55
	s_cmp_gt_i32 s10, 0
	s_waitcnt lgkmcnt(0)
	s_barrier
	s_cbranch_scc1 .LBB58_131
; %bb.122:                              ;   in Loop: Header=BB58_8 Depth=1
	s_mov_b64 s[18:19], 0
                                        ; implicit-def: $vgpr38
	s_mov_b64 s[24:25], exec
	v_readlane_b32 s12, v52, 59
	v_readlane_b32 s13, v52, 60
	s_and_b64 s[12:13], s[24:25], s[12:13]
	s_mov_b64 exec, s[12:13]
	s_cbranch_execz .LBB58_133
; %bb.123:                              ;   in Loop: Header=BB58_8 Depth=1
	s_mov_b64 s[26:27], 0
	v_mov_b32_e32 v2, v6
	v_mov_b32_e32 v4, v0
                                        ; implicit-def: $sgpr28_sgpr29
	s_branch .LBB58_125
.LBB58_124:                             ;   in Loop: Header=BB58_125 Depth=2
	s_or_b64 exec, exec, s[18:19]
	s_waitcnt lgkmcnt(0)
	s_barrier
	s_waitcnt vmcnt(0)
	ds_read_b32 v3, v9 offset:3072
	v_add_u32_e32 v4, s33, v4
	v_cmp_le_i32_e64 s[18:19], s89, v4
	v_add_u32_e32 v2, s91, v2
	s_waitcnt lgkmcnt(0)
	v_cmp_neq_f16_e32 vcc, 0, v3
	s_or_b64 s[12:13], s[18:19], vcc
	s_and_b64 s[12:13], exec, s[12:13]
	s_or_b64 s[26:27], s[12:13], s[26:27]
	s_andn2_b64 s[12:13], s[28:29], exec
	s_and_b64 s[18:19], vcc, exec
	s_or_b64 s[28:29], s[12:13], s[18:19]
	s_barrier
	s_andn2_b64 exec, exec, s[26:27]
	s_cbranch_execz .LBB58_132
.LBB58_125:                             ;   Parent Loop BB58_8 Depth=1
                                        ; =>  This Inner Loop Header: Depth=2
	v_cmp_gt_i32_e32 vcc, s68, v4
	v_mov_b32_e32 v3, 0
	s_and_saveexec_b64 s[30:31], vcc
	s_cbranch_execz .LBB58_127
; %bb.126:                              ;   in Loop: Header=BB58_125 Depth=2
	v_ashrrev_i32_e32 v3, 31, v2
	v_lshlrev_b64 v[16:17], 1, v[2:3]
	v_mov_b32_e32 v3, s90
	v_add_co_u32_e64 v16, s[18:19], s70, v16
	v_addc_co_u32_e64 v17, s[18:19], v3, v17, s[18:19]
	global_load_ushort v3, v[16:17], off
.LBB58_127:                             ;   in Loop: Header=BB58_125 Depth=2
	s_or_b64 exec, exec, s[30:31]
	s_and_saveexec_b64 s[18:19], vcc
	s_cbranch_execz .LBB58_124
; %bb.128:                              ;   in Loop: Header=BB58_125 Depth=2
	s_waitcnt vmcnt(0)
	v_cmp_lt_i16_e32 vcc, -1, v3
	v_cndmask_b32_e32 v5, v33, v34, vcc
	v_xor_b32_sdwa v5, v5, v3 dst_sel:DWORD dst_unused:UNUSED_PAD src0_sel:DWORD src1_sel:WORD_0
	v_cmp_o_f16_e32 vcc, v3, v3
	v_cndmask_b32_e32 v5, v33, v5, vcc
	v_and_b32_e32 v5, s84, v5
	v_cmp_eq_u32_e32 vcc, s85, v5
	s_and_b64 exec, exec, vcc
	s_cbranch_execz .LBB58_124
; %bb.129:                              ;   in Loop: Header=BB58_125 Depth=2
	v_perm_b32 v3, v3, s88, v37
	ds_write_b32 v9, v3 offset:3072
	s_branch .LBB58_124
.LBB58_130:                             ;   in Loop: Header=BB58_8 Depth=1
                                        ; implicit-def: $sgpr26_sgpr27
                                        ; implicit-def: $sgpr28_sgpr29
                                        ; implicit-def: $sgpr24_sgpr25
	s_branch .LBB58_144
.LBB58_131:                             ;   in Loop: Header=BB58_8 Depth=1
	s_mov_b64 s[26:27], -1
	s_mov_b64 s[18:19], 0
                                        ; implicit-def: $sgpr24_sgpr25
                                        ; implicit-def: $vgpr38
	s_mov_b64 s[28:29], s[26:27]
	s_cbranch_execnz .LBB58_134
	s_branch .LBB58_144
.LBB58_132:                             ;   in Loop: Header=BB58_8 Depth=1
	s_or_b64 exec, exec, s[26:27]
	v_lshrrev_b32_e32 v38, 16, v3
	s_and_b64 s[18:19], s[28:29], exec
.LBB58_133:                             ;   in Loop: Header=BB58_8 Depth=1
	s_or_b64 exec, exec, s[24:25]
	s_mov_b64 s[24:25], -1
	s_mov_b64 s[26:27], 0
	s_mov_b64 s[28:29], s[26:27]
	s_branch .LBB58_144
.LBB58_134:                             ;   in Loop: Header=BB58_8 Depth=1
	v_readlane_b32 s11, v52, 31
	s_add_i32 s11, s10, s11
	s_abs_i32 s13, s11
	v_readlane_b32 s18, v52, 58
	s_mul_hi_u32 s18, s13, s18
	s_mul_i32 s18, s18, s33
	s_sub_i32 s13, s13, s18
	s_ashr_i32 s12, s11, 31
	s_sub_i32 s18, s13, s33
	s_cmp_ge_u32 s13, s33
	s_cselect_b32 s13, s18, s13
	s_sub_i32 s18, s13, s33
	s_cmp_ge_u32 s13, s33
	s_cselect_b32 s13, s18, s13
	s_xor_b32 s13, s13, s12
	s_sub_i32 s12, s12, s13
	s_add_i32 s11, s11, s12
	v_cmp_gt_i32_e32 vcc, s11, v0
	s_mov_b64 s[18:19], 0
                                        ; implicit-def: $vgpr38
	s_and_saveexec_b64 s[24:25], vcc
	s_cbranch_execz .LBB58_143
; %bb.135:                              ;   in Loop: Header=BB58_8 Depth=1
	s_mov_b64 s[26:27], 0
	v_mov_b32_e32 v2, v21
	v_mov_b32_e32 v3, v0
                                        ; implicit-def: $sgpr28_sgpr29
	s_branch .LBB58_137
.LBB58_136:                             ;   in Loop: Header=BB58_137 Depth=2
	s_or_b64 exec, exec, s[18:19]
	s_waitcnt lgkmcnt(0)
	s_barrier
	ds_read_b32 v4, v9 offset:3072
	v_add_u32_e32 v3, s33, v3
	v_cmp_le_i32_e64 s[18:19], s11, v3
	v_add_u32_e32 v2, s8, v2
	s_waitcnt lgkmcnt(0)
	v_cmp_neq_f16_e32 vcc, 0, v4
	s_or_b64 s[12:13], s[18:19], vcc
	s_and_b64 s[12:13], exec, s[12:13]
	s_or_b64 s[26:27], s[12:13], s[26:27]
	s_andn2_b64 s[12:13], s[28:29], exec
	s_and_b64 s[18:19], vcc, exec
	s_or_b64 s[28:29], s[12:13], s[18:19]
	s_barrier
	s_andn2_b64 exec, exec, s[26:27]
	s_cbranch_execz .LBB58_142
.LBB58_137:                             ;   Parent Loop BB58_8 Depth=1
                                        ; =>  This Inner Loop Header: Depth=2
	v_cmp_gt_i32_e32 vcc, s10, v3
	v_mov_b32_e32 v4, 0
	s_and_saveexec_b64 s[18:19], vcc
	s_cbranch_execz .LBB58_139
; %bb.138:                              ;   in Loop: Header=BB58_137 Depth=2
	ds_read_u16 v4, v2
.LBB58_139:                             ;   in Loop: Header=BB58_137 Depth=2
	s_or_b64 exec, exec, s[18:19]
	s_and_saveexec_b64 s[18:19], vcc
	s_cbranch_execz .LBB58_136
; %bb.140:                              ;   in Loop: Header=BB58_137 Depth=2
	s_waitcnt lgkmcnt(0)
	v_cmp_lt_i16_e32 vcc, -1, v4
	v_cndmask_b32_e32 v5, v33, v34, vcc
	v_xor_b32_sdwa v5, v5, v4 dst_sel:DWORD dst_unused:UNUSED_PAD src0_sel:DWORD src1_sel:WORD_0
	v_cmp_o_f16_e32 vcc, v4, v4
	v_cndmask_b32_e32 v5, v33, v5, vcc
	v_and_b32_e32 v5, s84, v5
	v_cmp_eq_u32_e32 vcc, s85, v5
	s_and_b64 exec, exec, vcc
	s_cbranch_execz .LBB58_136
; %bb.141:                              ;   in Loop: Header=BB58_137 Depth=2
	v_perm_b32 v4, v4, s88, v37
	ds_write_b32 v9, v4 offset:3072
	s_branch .LBB58_136
.LBB58_142:                             ;   in Loop: Header=BB58_8 Depth=1
	s_or_b64 exec, exec, s[26:27]
	v_lshrrev_b32_e32 v38, 16, v4
	s_and_b64 s[18:19], s[28:29], exec
.LBB58_143:                             ;   in Loop: Header=BB58_8 Depth=1
	s_or_b64 exec, exec, s[24:25]
	s_mov_b64 s[28:29], -1
	s_mov_b64 s[26:27], 0
	s_mov_b64 s[24:25], 0
.LBB58_144:                             ;   in Loop: Header=BB58_8 Depth=1
	s_mov_b64 s[36:37], 0
                                        ; implicit-def: $sgpr57
	s_and_saveexec_b64 s[30:31], s[18:19]
	s_cbranch_execz .LBB58_240
; %bb.145:                              ;   in Loop: Header=BB58_8 Depth=1
	s_xor_b64 s[10:11], s[34:35], -1
	s_mov_b64 s[18:19], 0
	s_andn2_b64 vcc, exec, s[10:11]
	s_mov_b32 s49, 1
	s_cbranch_vccnz .LBB58_156
; %bb.146:                              ;   in Loop: Header=BB58_8 Depth=1
	s_cmp_gt_i32 s39, s38
	s_mov_b64 s[18:19], -1
                                        ; implicit-def: $sgpr57
                                        ; implicit-def: $sgpr10
                                        ; implicit-def: $sgpr11
	s_cbranch_scc1 .LBB58_152
; %bb.147:                              ;   in Loop: Header=BB58_8 Depth=1
	ds_read_b32 v2, v9 offset:4096
	s_waitcnt lgkmcnt(0)
	v_cmp_ne_u32_e32 vcc, 0, v2
	s_cbranch_vccnz .LBB58_151
; %bb.148:                              ;   in Loop: Header=BB58_8 Depth=1
	s_mov_b64 s[18:19], exec
	v_readlane_b32 s10, v52, 18
	v_readlane_b32 s11, v52, 19
	s_and_b64 s[10:11], s[18:19], s[10:11]
	s_mov_b64 exec, s[10:11]
	s_cbranch_execz .LBB58_150
; %bb.149:                              ;   in Loop: Header=BB58_8 Depth=1
	v_mov_b32_e32 v2, s38
	ds_write_b32 v9, v2 offset:4100
.LBB58_150:                             ;   in Loop: Header=BB58_8 Depth=1
	s_or_b64 exec, exec, s[18:19]
	s_waitcnt lgkmcnt(0)
	s_barrier
.LBB58_151:                             ;   in Loop: Header=BB58_8 Depth=1
	s_lshl_b32 s10, 1, s47
	s_and_b32 s11, s85, s48
	s_or_b32 s10, s11, s10
	s_or_b32 s11, s84, s55
	s_mov_b64 s[18:19], 0
	s_mov_b32 s57, 8
.LBB58_152:                             ;   in Loop: Header=BB58_8 Depth=1
	s_andn2_b64 vcc, exec, s[18:19]
	s_cbranch_vccnz .LBB58_154
; %bb.153:                              ;   in Loop: Header=BB58_8 Depth=1
	s_sub_i32 s39, s39, s38
	s_mov_b64 s[18:19], -1
	s_mov_b32 s57, 0
	s_mov_b32 s10, s85
	;; [unrolled: 1-line block ×3, first 2 shown]
.LBB58_154:                             ;   in Loop: Header=BB58_8 Depth=1
	s_mov_b32 s84, s11
	s_mov_b32 s85, s10
	;; [unrolled: 1-line block ×3, first 2 shown]
	s_andn2_b64 vcc, exec, s[18:19]
	s_mov_b64 s[44:45], -1
	s_cbranch_vccz .LBB58_157
.LBB58_155:                             ;   in Loop: Header=BB58_8 Depth=1
                                        ; implicit-def: $sgpr36_sgpr37
                                        ; implicit-def: $sgpr38_sgpr39
                                        ; implicit-def: $sgpr34_sgpr35
	s_branch .LBB58_239
.LBB58_156:                             ;   in Loop: Header=BB58_8 Depth=1
	s_mov_b32 s57, 1
	s_andn2_b64 vcc, exec, s[18:19]
	s_mov_b64 s[44:45], -1
	s_cbranch_vccnz .LBB58_155
.LBB58_157:                             ;   in Loop: Header=BB58_8 Depth=1
	s_cmp_eq_u32 s46, 1
	s_cselect_b64 s[10:11], -1, 0
	s_cmp_eq_u32 s49, 1
	s_cselect_b64 s[12:13], -1, 0
	s_and_b64 s[42:43], s[10:11], s[12:13]
	s_mov_b64 s[18:19], -1
	s_and_b64 vcc, exec, s[42:43]
	s_cbranch_vccz .LBB58_169
; %bb.158:                              ;   in Loop: Header=BB58_8 Depth=1
	ds_read_b32 v2, v9 offset:4096
	s_waitcnt lgkmcnt(0)
	s_barrier
	v_readfirstlane_b32 s10, v2
	s_and_saveexec_b64 s[18:19], s[4:5]
	s_cbranch_execz .LBB58_160
; %bb.159:                              ;   in Loop: Header=BB58_8 Depth=1
	ds_write_b16 v22, v9
.LBB58_160:                             ;   in Loop: Header=BB58_8 Depth=1
	s_or_b64 exec, exec, s[18:19]
	s_lshl_b32 s11, 2, s47
	s_and_b32 s12, s85, s48
	s_or_b32 s85, s12, s11
	s_or_b32 s84, s84, s55
	s_cmp_gt_i32 s10, 0
	s_waitcnt lgkmcnt(0)
	s_barrier
	s_cbranch_scc1 .LBB58_170
; %bb.161:                              ;   in Loop: Header=BB58_8 Depth=1
	s_mov_b64 s[18:19], 0
                                        ; implicit-def: $vgpr38
	s_mov_b64 s[34:35], exec
	v_readlane_b32 s12, v52, 59
	v_readlane_b32 s13, v52, 60
	s_and_b64 s[12:13], s[34:35], s[12:13]
	s_mov_b64 exec, s[12:13]
	s_cbranch_execz .LBB58_172
; %bb.162:                              ;   in Loop: Header=BB58_8 Depth=1
	v_mov_b32_e32 v2, v6
	v_mov_b32_e32 v4, v0
                                        ; implicit-def: $sgpr38_sgpr39
	s_branch .LBB58_164
.LBB58_163:                             ;   in Loop: Header=BB58_164 Depth=2
	s_or_b64 exec, exec, s[18:19]
	s_waitcnt lgkmcnt(0)
	s_barrier
	s_waitcnt vmcnt(0)
	ds_read_b32 v3, v9 offset:3072
	v_add_u32_e32 v4, s33, v4
	v_cmp_le_i32_e64 s[18:19], s89, v4
	v_add_u32_e32 v2, s91, v2
	s_waitcnt lgkmcnt(0)
	v_cmp_neq_f16_e32 vcc, 0, v3
	s_or_b64 s[12:13], s[18:19], vcc
	s_and_b64 s[12:13], exec, s[12:13]
	s_or_b64 s[36:37], s[12:13], s[36:37]
	s_andn2_b64 s[12:13], s[38:39], exec
	s_and_b64 s[18:19], vcc, exec
	s_or_b64 s[38:39], s[12:13], s[18:19]
	s_barrier
	s_andn2_b64 exec, exec, s[36:37]
	s_cbranch_execz .LBB58_171
.LBB58_164:                             ;   Parent Loop BB58_8 Depth=1
                                        ; =>  This Inner Loop Header: Depth=2
	v_cmp_gt_i32_e32 vcc, s68, v4
	v_mov_b32_e32 v3, 0
	s_and_saveexec_b64 s[40:41], vcc
	s_cbranch_execz .LBB58_166
; %bb.165:                              ;   in Loop: Header=BB58_164 Depth=2
	v_ashrrev_i32_e32 v3, 31, v2
	v_lshlrev_b64 v[16:17], 1, v[2:3]
	v_mov_b32_e32 v3, s90
	v_add_co_u32_e64 v16, s[18:19], s70, v16
	v_addc_co_u32_e64 v17, s[18:19], v3, v17, s[18:19]
	global_load_ushort v3, v[16:17], off
.LBB58_166:                             ;   in Loop: Header=BB58_164 Depth=2
	s_or_b64 exec, exec, s[40:41]
	s_and_saveexec_b64 s[18:19], vcc
	s_cbranch_execz .LBB58_163
; %bb.167:                              ;   in Loop: Header=BB58_164 Depth=2
	s_waitcnt vmcnt(0)
	v_cmp_lt_i16_e32 vcc, -1, v3
	v_cndmask_b32_e32 v5, v33, v34, vcc
	v_xor_b32_sdwa v5, v5, v3 dst_sel:DWORD dst_unused:UNUSED_PAD src0_sel:DWORD src1_sel:WORD_0
	v_cmp_o_f16_e32 vcc, v3, v3
	v_cndmask_b32_e32 v5, v33, v5, vcc
	v_and_b32_e32 v5, s84, v5
	v_cmp_eq_u32_e32 vcc, s85, v5
	s_and_b64 exec, exec, vcc
	s_cbranch_execz .LBB58_163
; %bb.168:                              ;   in Loop: Header=BB58_164 Depth=2
	v_perm_b32 v3, v3, s88, v37
	ds_write_b32 v9, v3 offset:3072
	s_branch .LBB58_163
.LBB58_169:                             ;   in Loop: Header=BB58_8 Depth=1
                                        ; implicit-def: $sgpr34_sgpr35
                                        ; implicit-def: $sgpr38_sgpr39
                                        ; implicit-def: $sgpr36_sgpr37
	s_branch .LBB58_183
.LBB58_170:                             ;   in Loop: Header=BB58_8 Depth=1
	s_mov_b64 s[34:35], -1
	s_mov_b64 s[18:19], 0
                                        ; implicit-def: $sgpr36_sgpr37
                                        ; implicit-def: $vgpr38
	s_mov_b64 s[38:39], s[34:35]
	s_cbranch_execnz .LBB58_173
	s_branch .LBB58_183
.LBB58_171:                             ;   in Loop: Header=BB58_8 Depth=1
	s_or_b64 exec, exec, s[36:37]
	v_lshrrev_b32_e32 v38, 16, v3
	s_and_b64 s[18:19], s[38:39], exec
.LBB58_172:                             ;   in Loop: Header=BB58_8 Depth=1
	s_or_b64 exec, exec, s[34:35]
	s_mov_b64 s[36:37], -1
	s_mov_b64 s[34:35], 0
	s_mov_b64 s[38:39], s[34:35]
	s_branch .LBB58_183
.LBB58_173:                             ;   in Loop: Header=BB58_8 Depth=1
	v_readlane_b32 s11, v52, 31
	s_add_i32 s11, s10, s11
	s_abs_i32 s13, s11
	v_readlane_b32 s18, v52, 58
	s_mul_hi_u32 s18, s13, s18
	s_mul_i32 s18, s18, s33
	s_sub_i32 s13, s13, s18
	s_ashr_i32 s12, s11, 31
	s_sub_i32 s18, s13, s33
	s_cmp_ge_u32 s13, s33
	s_cselect_b32 s13, s18, s13
	s_sub_i32 s18, s13, s33
	s_cmp_ge_u32 s13, s33
	s_cselect_b32 s13, s18, s13
	s_xor_b32 s13, s13, s12
	s_sub_i32 s12, s12, s13
	s_add_i32 s11, s11, s12
	v_cmp_gt_i32_e32 vcc, s11, v0
	s_mov_b64 s[18:19], 0
                                        ; implicit-def: $vgpr38
	s_and_saveexec_b64 s[34:35], vcc
	s_cbranch_execz .LBB58_182
; %bb.174:                              ;   in Loop: Header=BB58_8 Depth=1
	s_mov_b64 s[36:37], 0
	v_mov_b32_e32 v2, v21
	v_mov_b32_e32 v3, v0
                                        ; implicit-def: $sgpr38_sgpr39
	s_branch .LBB58_176
.LBB58_175:                             ;   in Loop: Header=BB58_176 Depth=2
	s_or_b64 exec, exec, s[18:19]
	s_waitcnt lgkmcnt(0)
	s_barrier
	ds_read_b32 v4, v9 offset:3072
	v_add_u32_e32 v3, s33, v3
	v_cmp_le_i32_e64 s[18:19], s11, v3
	v_add_u32_e32 v2, s8, v2
	s_waitcnt lgkmcnt(0)
	v_cmp_neq_f16_e32 vcc, 0, v4
	s_or_b64 s[12:13], s[18:19], vcc
	s_and_b64 s[12:13], exec, s[12:13]
	s_or_b64 s[36:37], s[12:13], s[36:37]
	s_andn2_b64 s[12:13], s[38:39], exec
	s_and_b64 s[18:19], vcc, exec
	s_or_b64 s[38:39], s[12:13], s[18:19]
	s_barrier
	s_andn2_b64 exec, exec, s[36:37]
	s_cbranch_execz .LBB58_181
.LBB58_176:                             ;   Parent Loop BB58_8 Depth=1
                                        ; =>  This Inner Loop Header: Depth=2
	v_cmp_gt_i32_e32 vcc, s10, v3
	v_mov_b32_e32 v4, 0
	s_and_saveexec_b64 s[18:19], vcc
	s_cbranch_execz .LBB58_178
; %bb.177:                              ;   in Loop: Header=BB58_176 Depth=2
	ds_read_u16 v4, v2
.LBB58_178:                             ;   in Loop: Header=BB58_176 Depth=2
	s_or_b64 exec, exec, s[18:19]
	s_and_saveexec_b64 s[18:19], vcc
	s_cbranch_execz .LBB58_175
; %bb.179:                              ;   in Loop: Header=BB58_176 Depth=2
	s_waitcnt lgkmcnt(0)
	v_cmp_lt_i16_e32 vcc, -1, v4
	v_cndmask_b32_e32 v5, v33, v34, vcc
	v_xor_b32_sdwa v5, v5, v4 dst_sel:DWORD dst_unused:UNUSED_PAD src0_sel:DWORD src1_sel:WORD_0
	v_cmp_o_f16_e32 vcc, v4, v4
	v_cndmask_b32_e32 v5, v33, v5, vcc
	v_and_b32_e32 v5, s84, v5
	v_cmp_eq_u32_e32 vcc, s85, v5
	s_and_b64 exec, exec, vcc
	s_cbranch_execz .LBB58_175
; %bb.180:                              ;   in Loop: Header=BB58_176 Depth=2
	v_perm_b32 v4, v4, s88, v37
	ds_write_b32 v9, v4 offset:3072
	s_branch .LBB58_175
.LBB58_181:                             ;   in Loop: Header=BB58_8 Depth=1
	s_or_b64 exec, exec, s[36:37]
	v_lshrrev_b32_e32 v38, 16, v4
	s_and_b64 s[18:19], s[38:39], exec
.LBB58_182:                             ;   in Loop: Header=BB58_8 Depth=1
	s_or_b64 exec, exec, s[34:35]
	s_mov_b64 s[38:39], -1
	s_mov_b64 s[34:35], 0
	s_mov_b64 s[36:37], 0
.LBB58_183:                             ;   in Loop: Header=BB58_8 Depth=1
	s_mov_b64 s[44:45], 0
                                        ; implicit-def: $sgpr57
	s_and_saveexec_b64 s[40:41], s[18:19]
	s_cbranch_execz .LBB58_238
; %bb.184:                              ;   in Loop: Header=BB58_8 Depth=1
	s_xor_b64 s[10:11], s[42:43], -1
	s_mov_b64 s[18:19], 0
	s_andn2_b64 vcc, exec, s[10:11]
	s_mov_b32 s56, 1
	s_cbranch_vccnz .LBB58_195
; %bb.185:                              ;   in Loop: Header=BB58_8 Depth=1
	s_cmp_gt_i32 s49, s46
	s_mov_b64 s[18:19], -1
                                        ; implicit-def: $sgpr57
                                        ; implicit-def: $sgpr10
                                        ; implicit-def: $sgpr11
	s_cbranch_scc1 .LBB58_191
; %bb.186:                              ;   in Loop: Header=BB58_8 Depth=1
	ds_read_b32 v2, v9 offset:4096
	s_waitcnt lgkmcnt(0)
	v_cmp_ne_u32_e32 vcc, 0, v2
	s_cbranch_vccnz .LBB58_190
; %bb.187:                              ;   in Loop: Header=BB58_8 Depth=1
	s_mov_b64 s[18:19], exec
	v_readlane_b32 s10, v52, 18
	v_readlane_b32 s11, v52, 19
	s_and_b64 s[10:11], s[18:19], s[10:11]
	s_mov_b64 exec, s[10:11]
	s_cbranch_execz .LBB58_189
; %bb.188:                              ;   in Loop: Header=BB58_8 Depth=1
	v_mov_b32_e32 v2, s46
	ds_write_b32 v9, v2 offset:4100
.LBB58_189:                             ;   in Loop: Header=BB58_8 Depth=1
	s_or_b64 exec, exec, s[18:19]
	s_waitcnt lgkmcnt(0)
	s_barrier
.LBB58_190:                             ;   in Loop: Header=BB58_8 Depth=1
	s_lshl_b32 s10, 2, s47
	s_and_b32 s11, s85, s48
	s_or_b32 s10, s11, s10
	s_or_b32 s11, s84, s55
	s_mov_b64 s[18:19], 0
	s_mov_b32 s57, 8
.LBB58_191:                             ;   in Loop: Header=BB58_8 Depth=1
	s_andn2_b64 vcc, exec, s[18:19]
	s_cbranch_vccnz .LBB58_193
; %bb.192:                              ;   in Loop: Header=BB58_8 Depth=1
	s_sub_i32 s49, s49, s46
	s_mov_b64 s[18:19], -1
	s_mov_b32 s57, 0
	s_mov_b32 s10, s85
	;; [unrolled: 1-line block ×3, first 2 shown]
.LBB58_193:                             ;   in Loop: Header=BB58_8 Depth=1
	s_mov_b32 s84, s11
	s_mov_b32 s85, s10
	;; [unrolled: 1-line block ×3, first 2 shown]
	s_andn2_b64 vcc, exec, s[18:19]
	s_mov_b64 s[52:53], -1
	s_cbranch_vccz .LBB58_196
.LBB58_194:                             ;   in Loop: Header=BB58_8 Depth=1
                                        ; implicit-def: $sgpr18_sgpr19
                                        ; implicit-def: $sgpr46_sgpr47
                                        ; implicit-def: $sgpr44_sgpr45
	s_branch .LBB58_237
.LBB58_195:                             ;   in Loop: Header=BB58_8 Depth=1
	s_mov_b32 s57, 1
	s_andn2_b64 vcc, exec, s[18:19]
	s_mov_b64 s[52:53], -1
	s_cbranch_vccnz .LBB58_194
.LBB58_196:                             ;   in Loop: Header=BB58_8 Depth=1
	s_cmp_eq_u32 s54, 1
	s_cselect_b64 s[10:11], -1, 0
	s_cmp_eq_u32 s56, 1
	s_cselect_b64 s[12:13], -1, 0
	s_and_b64 s[42:43], s[10:11], s[12:13]
	s_mov_b64 s[48:49], -1
	s_and_b64 vcc, exec, s[42:43]
	s_cbranch_vccz .LBB58_208
; %bb.197:                              ;   in Loop: Header=BB58_8 Depth=1
	ds_read_b32 v2, v9 offset:4096
	s_waitcnt lgkmcnt(0)
	s_barrier
	v_readfirstlane_b32 s10, v2
	s_and_saveexec_b64 s[18:19], s[4:5]
	s_cbranch_execz .LBB58_199
; %bb.198:                              ;   in Loop: Header=BB58_8 Depth=1
	ds_write_b16 v22, v9
.LBB58_199:                             ;   in Loop: Header=BB58_8 Depth=1
	s_or_b64 exec, exec, s[18:19]
	s_or_b32 s85, s85, s55
	s_or_b32 s84, s84, s55
	s_cmp_gt_i32 s10, 0
	s_waitcnt lgkmcnt(0)
	s_barrier
	s_cbranch_scc1 .LBB58_209
; %bb.200:                              ;   in Loop: Header=BB58_8 Depth=1
	s_mov_b64 s[48:49], 0
                                        ; implicit-def: $vgpr38
	s_mov_b64 s[44:45], exec
	v_readlane_b32 s12, v52, 59
	v_readlane_b32 s13, v52, 60
	s_and_b64 s[12:13], s[44:45], s[12:13]
	s_mov_b64 exec, s[12:13]
	s_cbranch_execz .LBB58_211
; %bb.201:                              ;   in Loop: Header=BB58_8 Depth=1
	s_mov_b64 s[46:47], 0
	v_mov_b32_e32 v2, v6
	v_mov_b32_e32 v4, v0
                                        ; implicit-def: $sgpr48_sgpr49
	s_branch .LBB58_203
.LBB58_202:                             ;   in Loop: Header=BB58_203 Depth=2
	s_or_b64 exec, exec, s[18:19]
	s_waitcnt lgkmcnt(0)
	s_barrier
	s_waitcnt vmcnt(0)
	ds_read_b32 v3, v9 offset:3072
	v_add_u32_e32 v4, s33, v4
	v_cmp_le_i32_e64 s[18:19], s89, v4
	v_add_u32_e32 v2, s91, v2
	s_waitcnt lgkmcnt(0)
	v_cmp_neq_f16_e32 vcc, 0, v3
	s_or_b64 s[12:13], s[18:19], vcc
	s_and_b64 s[12:13], exec, s[12:13]
	s_or_b64 s[46:47], s[12:13], s[46:47]
	s_andn2_b64 s[12:13], s[48:49], exec
	s_and_b64 s[18:19], vcc, exec
	s_or_b64 s[48:49], s[12:13], s[18:19]
	s_barrier
	s_andn2_b64 exec, exec, s[46:47]
	s_cbranch_execz .LBB58_210
.LBB58_203:                             ;   Parent Loop BB58_8 Depth=1
                                        ; =>  This Inner Loop Header: Depth=2
	v_cmp_gt_i32_e32 vcc, s68, v4
	v_mov_b32_e32 v3, 0
	s_and_saveexec_b64 s[50:51], vcc
	s_cbranch_execz .LBB58_205
; %bb.204:                              ;   in Loop: Header=BB58_203 Depth=2
	v_ashrrev_i32_e32 v3, 31, v2
	v_lshlrev_b64 v[16:17], 1, v[2:3]
	v_mov_b32_e32 v3, s90
	v_add_co_u32_e64 v16, s[18:19], s70, v16
	v_addc_co_u32_e64 v17, s[18:19], v3, v17, s[18:19]
	global_load_ushort v3, v[16:17], off
.LBB58_205:                             ;   in Loop: Header=BB58_203 Depth=2
	s_or_b64 exec, exec, s[50:51]
	s_and_saveexec_b64 s[18:19], vcc
	s_cbranch_execz .LBB58_202
; %bb.206:                              ;   in Loop: Header=BB58_203 Depth=2
	s_waitcnt vmcnt(0)
	v_cmp_lt_i16_e32 vcc, -1, v3
	v_cndmask_b32_e32 v5, v33, v34, vcc
	v_xor_b32_sdwa v5, v5, v3 dst_sel:DWORD dst_unused:UNUSED_PAD src0_sel:DWORD src1_sel:WORD_0
	v_cmp_o_f16_e32 vcc, v3, v3
	v_cndmask_b32_e32 v5, v33, v5, vcc
	v_and_b32_e32 v5, s84, v5
	v_cmp_eq_u32_e32 vcc, s85, v5
	s_and_b64 exec, exec, vcc
	s_cbranch_execz .LBB58_202
; %bb.207:                              ;   in Loop: Header=BB58_203 Depth=2
	v_perm_b32 v3, v3, s88, v37
	ds_write_b32 v9, v3 offset:3072
	s_branch .LBB58_202
.LBB58_208:                             ;   in Loop: Header=BB58_8 Depth=1
                                        ; implicit-def: $sgpr18_sgpr19
                                        ; implicit-def: $sgpr46_sgpr47
                                        ; implicit-def: $sgpr44_sgpr45
	s_branch .LBB58_222
.LBB58_209:                             ;   in Loop: Header=BB58_8 Depth=1
	s_mov_b64 s[18:19], -1
	s_mov_b64 s[48:49], 0
                                        ; implicit-def: $sgpr44_sgpr45
                                        ; implicit-def: $vgpr38
	s_mov_b64 s[46:47], s[18:19]
	s_cbranch_execnz .LBB58_212
	s_branch .LBB58_222
.LBB58_210:                             ;   in Loop: Header=BB58_8 Depth=1
	s_or_b64 exec, exec, s[46:47]
	v_lshrrev_b32_e32 v38, 16, v3
	s_and_b64 s[48:49], s[48:49], exec
.LBB58_211:                             ;   in Loop: Header=BB58_8 Depth=1
	s_or_b64 exec, exec, s[44:45]
	s_mov_b64 s[44:45], -1
	s_mov_b64 s[18:19], 0
	s_mov_b64 s[46:47], s[18:19]
	s_branch .LBB58_222
.LBB58_212:                             ;   in Loop: Header=BB58_8 Depth=1
	v_readlane_b32 s11, v52, 31
	s_add_i32 s11, s10, s11
	s_abs_i32 s13, s11
	v_readlane_b32 s18, v52, 58
	s_mul_hi_u32 s18, s13, s18
	s_mul_i32 s18, s18, s33
	s_sub_i32 s13, s13, s18
	s_ashr_i32 s12, s11, 31
	s_sub_i32 s18, s13, s33
	s_cmp_ge_u32 s13, s33
	s_cselect_b32 s13, s18, s13
	s_sub_i32 s18, s13, s33
	s_cmp_ge_u32 s13, s33
	s_cselect_b32 s13, s18, s13
	s_xor_b32 s13, s13, s12
	s_sub_i32 s12, s12, s13
	s_add_i32 s11, s11, s12
	v_cmp_gt_i32_e32 vcc, s11, v0
	s_mov_b64 s[48:49], 0
                                        ; implicit-def: $vgpr38
	s_and_saveexec_b64 s[44:45], vcc
	s_cbranch_execz .LBB58_221
; %bb.213:                              ;   in Loop: Header=BB58_8 Depth=1
	s_mov_b64 s[46:47], 0
	v_mov_b32_e32 v2, v21
	v_mov_b32_e32 v3, v0
                                        ; implicit-def: $sgpr48_sgpr49
	s_branch .LBB58_215
.LBB58_214:                             ;   in Loop: Header=BB58_215 Depth=2
	s_or_b64 exec, exec, s[18:19]
	s_waitcnt lgkmcnt(0)
	s_barrier
	ds_read_b32 v4, v9 offset:3072
	v_add_u32_e32 v3, s33, v3
	v_cmp_le_i32_e64 s[18:19], s11, v3
	v_add_u32_e32 v2, s8, v2
	s_waitcnt lgkmcnt(0)
	v_cmp_neq_f16_e32 vcc, 0, v4
	s_or_b64 s[12:13], s[18:19], vcc
	s_and_b64 s[12:13], exec, s[12:13]
	s_or_b64 s[46:47], s[12:13], s[46:47]
	s_andn2_b64 s[12:13], s[48:49], exec
	s_and_b64 s[18:19], vcc, exec
	s_or_b64 s[48:49], s[12:13], s[18:19]
	s_barrier
	s_andn2_b64 exec, exec, s[46:47]
	s_cbranch_execz .LBB58_220
.LBB58_215:                             ;   Parent Loop BB58_8 Depth=1
                                        ; =>  This Inner Loop Header: Depth=2
	v_cmp_gt_i32_e32 vcc, s10, v3
	v_mov_b32_e32 v4, 0
	s_and_saveexec_b64 s[18:19], vcc
	s_cbranch_execz .LBB58_217
; %bb.216:                              ;   in Loop: Header=BB58_215 Depth=2
	ds_read_u16 v4, v2
.LBB58_217:                             ;   in Loop: Header=BB58_215 Depth=2
	s_or_b64 exec, exec, s[18:19]
	s_and_saveexec_b64 s[18:19], vcc
	s_cbranch_execz .LBB58_214
; %bb.218:                              ;   in Loop: Header=BB58_215 Depth=2
	s_waitcnt lgkmcnt(0)
	v_cmp_lt_i16_e32 vcc, -1, v4
	v_cndmask_b32_e32 v5, v33, v34, vcc
	v_xor_b32_sdwa v5, v5, v4 dst_sel:DWORD dst_unused:UNUSED_PAD src0_sel:DWORD src1_sel:WORD_0
	v_cmp_o_f16_e32 vcc, v4, v4
	v_cndmask_b32_e32 v5, v33, v5, vcc
	v_and_b32_e32 v5, s84, v5
	v_cmp_eq_u32_e32 vcc, s85, v5
	s_and_b64 exec, exec, vcc
	s_cbranch_execz .LBB58_214
; %bb.219:                              ;   in Loop: Header=BB58_215 Depth=2
	v_perm_b32 v4, v4, s88, v37
	ds_write_b32 v9, v4 offset:3072
	s_branch .LBB58_214
.LBB58_220:                             ;   in Loop: Header=BB58_8 Depth=1
	s_or_b64 exec, exec, s[46:47]
	v_lshrrev_b32_e32 v38, 16, v4
	s_and_b64 s[48:49], s[48:49], exec
.LBB58_221:                             ;   in Loop: Header=BB58_8 Depth=1
	s_or_b64 exec, exec, s[44:45]
	s_mov_b64 s[46:47], -1
	s_mov_b64 s[18:19], 0
	s_mov_b64 s[44:45], 0
.LBB58_222:                             ;   in Loop: Header=BB58_8 Depth=1
	s_mov_b64 s[52:53], 0
                                        ; implicit-def: $sgpr57
	s_and_saveexec_b64 s[50:51], s[48:49]
	s_cbranch_execz .LBB58_236
; %bb.223:                              ;   in Loop: Header=BB58_8 Depth=1
	s_xor_b64 s[10:11], s[42:43], -1
	s_andn2_b64 vcc, exec, s[10:11]
	s_mov_b32 s57, 1
	s_cbranch_vccnz .LBB58_230
; %bb.224:                              ;   in Loop: Header=BB58_8 Depth=1
	s_cmp_gt_i32 s56, s54
	s_cbranch_scc1 .LBB58_231
; %bb.225:                              ;   in Loop: Header=BB58_8 Depth=1
	ds_read_b32 v2, v9 offset:4096
	s_waitcnt lgkmcnt(0)
	v_cmp_ne_u32_e32 vcc, 0, v2
	s_cbranch_vccnz .LBB58_229
; %bb.226:                              ;   in Loop: Header=BB58_8 Depth=1
	s_mov_b64 s[42:43], exec
	v_readlane_b32 s10, v52, 18
	v_readlane_b32 s11, v52, 19
	s_and_b64 s[10:11], s[42:43], s[10:11]
	s_mov_b64 exec, s[10:11]
	s_cbranch_execz .LBB58_228
; %bb.227:                              ;   in Loop: Header=BB58_8 Depth=1
	v_mov_b32_e32 v2, s54
	ds_write_b32 v9, v2 offset:4100
.LBB58_228:                             ;   in Loop: Header=BB58_8 Depth=1
	s_or_b64 exec, exec, s[42:43]
	s_waitcnt lgkmcnt(0)
	s_barrier
.LBB58_229:                             ;   in Loop: Header=BB58_8 Depth=1
	s_or_b32 s10, s85, s55
	s_or_b32 s11, s84, s55
	s_mov_b64 s[42:43], 0
	s_mov_b32 s57, 8
	s_branch .LBB58_232
.LBB58_230:                             ;   in Loop: Header=BB58_8 Depth=1
	s_mov_b32 s56, 1
	s_branch .LBB58_235
.LBB58_231:                             ;   in Loop: Header=BB58_8 Depth=1
	s_mov_b64 s[42:43], -1
                                        ; implicit-def: $sgpr57
                                        ; implicit-def: $sgpr10
                                        ; implicit-def: $sgpr11
.LBB58_232:                             ;   in Loop: Header=BB58_8 Depth=1
	s_andn2_b64 vcc, exec, s[42:43]
	s_cbranch_vccnz .LBB58_234
; %bb.233:                              ;   in Loop: Header=BB58_8 Depth=1
	s_sub_i32 s56, s56, s54
	s_mov_b32 s57, 8
	s_mov_b32 s10, s85
	;; [unrolled: 1-line block ×3, first 2 shown]
.LBB58_234:                             ;   in Loop: Header=BB58_8 Depth=1
	s_mov_b32 s85, s10
	s_mov_b32 s84, s11
.LBB58_235:                             ;   in Loop: Header=BB58_8 Depth=1
	s_mov_b64 s[52:53], exec
.LBB58_236:                             ;   in Loop: Header=BB58_8 Depth=1
	s_or_b64 exec, exec, s[50:51]
.LBB58_237:                             ;   in Loop: Header=BB58_8 Depth=1
	s_andn2_b64 s[10:11], s[34:35], exec
	s_and_b64 s[12:13], s[18:19], exec
	s_or_b64 s[34:35], s[10:11], s[12:13]
	s_andn2_b64 s[10:11], s[38:39], exec
	s_and_b64 s[12:13], s[46:47], exec
	s_or_b64 s[38:39], s[10:11], s[12:13]
	;; [unrolled: 3-line block ×3, first 2 shown]
	s_and_b64 s[44:45], s[52:53], exec
	s_mov_b32 s49, s56
.LBB58_238:                             ;   in Loop: Header=BB58_8 Depth=1
	s_or_b64 exec, exec, s[40:41]
.LBB58_239:                             ;   in Loop: Header=BB58_8 Depth=1
	s_andn2_b64 s[10:11], s[26:27], exec
	s_and_b64 s[12:13], s[34:35], exec
	s_or_b64 s[26:27], s[10:11], s[12:13]
	s_andn2_b64 s[10:11], s[28:29], exec
	s_and_b64 s[12:13], s[38:39], exec
	s_or_b64 s[28:29], s[10:11], s[12:13]
	;; [unrolled: 3-line block ×3, first 2 shown]
	s_and_b64 s[36:37], s[44:45], exec
	s_mov_b32 s39, s49
.LBB58_240:                             ;   in Loop: Header=BB58_8 Depth=1
	s_or_b64 exec, exec, s[30:31]
	s_and_saveexec_b64 s[10:11], s[36:37]
	s_xor_b64 s[18:19], exec, s[10:11]
	s_cbranch_execz .LBB58_6
.LBB58_241:                             ;   in Loop: Header=BB58_8 Depth=1
	s_and_b32 s10, s57, -9
	s_cmp_eq_u32 s10, 0
	s_cbranch_scc1 .LBB58_4
; %bb.242:                              ;   in Loop: Header=BB58_8 Depth=1
	s_mov_b64 s[22:23], -1
                                        ; implicit-def: $sgpr84
                                        ; implicit-def: $sgpr39
                                        ; implicit-def: $sgpr0
                                        ; implicit-def: $sgpr1
	s_mov_b64 s[30:31], -1
	s_branch .LBB58_5
.LBB58_243:
	s_or_b64 exec, exec, s[78:79]
	s_xor_b64 s[6:7], s[64:65], -1
	s_xor_b64 s[0:1], s[60:61], -1
	;; [unrolled: 1-line block ×3, first 2 shown]
	s_mov_b64 s[2:3], 0
	s_and_saveexec_b64 s[4:5], s[0:1]
	s_xor_b64 s[4:5], exec, s[4:5]
	s_cbranch_execnz .LBB58_248
; %bb.244:
	s_andn2_saveexec_b64 s[0:1], s[4:5]
	s_cbranch_execnz .LBB58_268
.LBB58_245:
	s_or_b64 exec, exec, s[0:1]
	s_and_saveexec_b64 s[0:1], s[2:3]
.LBB58_246:
	; divergent unreachable
.LBB58_247:
	s_endpgm
.LBB58_248:
	s_and_saveexec_b64 s[0:1], s[6:7]
	s_xor_b64 s[6:7], exec, s[0:1]
	s_cbranch_execz .LBB58_266
; %bb.249:
	s_and_saveexec_b64 s[0:1], s[8:9]
	s_xor_b64 s[2:3], exec, s[0:1]
; %bb.250:
	v_and_b32_e32 v1, 0x8000, v2
	v_mov_b32_e32 v3, 0x8000
	v_mov_b32_e32 v4, 0xffff
	v_cmp_eq_u32_e32 vcc, 0, v1
	v_cndmask_b32_e32 v1, v3, v4, vcc
	v_xor_b32_e32 v38, v1, v2
; %bb.251:
	s_or_b64 exec, exec, s[2:3]
	s_mov_b64 s[2:3], exec
	v_readlane_b32 s0, v52, 18
	v_readlane_b32 s1, v52, 19
	;; [unrolled: 1-line block ×4, first 2 shown]
	s_and_b64 s[0:1], s[2:3], s[0:1]
	v_readlane_b32 s20, v52, 30
	v_readlane_b32 s23, v52, 23
	;; [unrolled: 1-line block ×5, first 2 shown]
	s_mov_b64 exec, s[0:1]
	s_cbranch_execz .LBB58_253
; %bb.252:
	v_mov_b32_e32 v1, 0
	v_mov_b32_e32 v2, s68
	ds_write_b32 v1, v2 offset:4108
.LBB58_253:
	s_or_b64 exec, exec, s[2:3]
	v_mov_b32_e32 v1, 0
	s_waitcnt lgkmcnt(0)
	s_barrier
	ds_read_b32 v1, v1 offset:4108
	s_waitcnt lgkmcnt(0)
	v_min_i32_e32 v1, s68, v1
	v_cmp_lt_i32_e32 vcc, v0, v1
	s_and_saveexec_b64 s[8:9], vcc
	s_cbranch_execz .LBB58_263
; %bb.254:
	v_cmp_u_f16_e32 vcc, v38, v38
	s_mov_b64 s[10:11], 0
	v_mov_b32_e32 v3, s90
	s_xor_b64 s[14:15], vcc, -1
                                        ; implicit-def: $sgpr12_sgpr13
                                        ; implicit-def: $sgpr18_sgpr19
                                        ; implicit-def: $sgpr16_sgpr17
	s_branch .LBB58_256
.LBB58_255:                             ;   in Loop: Header=BB58_256 Depth=1
	s_or_b64 exec, exec, s[2:3]
	s_and_b64 s[0:1], exec, s[18:19]
	s_or_b64 s[10:11], s[0:1], s[10:11]
	s_andn2_b64 s[0:1], s[12:13], exec
	s_and_b64 s[2:3], s[16:17], exec
	s_or_b64 s[12:13], s[0:1], s[2:3]
	s_andn2_b64 exec, exec, s[10:11]
	s_cbranch_execz .LBB58_258
.LBB58_256:                             ; =>This Inner Loop Header: Depth=1
	v_ashrrev_i32_e32 v7, 31, v6
	v_lshlrev_b64 v[4:5], 1, v[6:7]
	v_add_co_u32_e32 v4, vcc, s70, v4
	v_addc_co_u32_e32 v5, vcc, v3, v5, vcc
	global_load_ushort v4, v[4:5], off
	v_mov_b32_e32 v2, v0
	s_or_b64 s[16:17], s[16:17], exec
	s_or_b64 s[18:19], s[18:19], exec
                                        ; implicit-def: $vgpr0
	s_waitcnt vmcnt(0)
	v_cmp_o_f16_e64 s[2:3], v4, v4
	v_cmp_neq_f16_e32 vcc, v4, v38
	s_or_b64 s[0:1], s[14:15], s[2:3]
	s_and_b64 s[0:1], vcc, s[0:1]
	s_and_saveexec_b64 s[2:3], s[0:1]
	s_cbranch_execz .LBB58_255
; %bb.257:                              ;   in Loop: Header=BB58_256 Depth=1
	v_add_u32_e32 v0, s33, v2
	v_cmp_ge_i32_e32 vcc, v0, v1
	s_andn2_b64 s[0:1], s[18:19], exec
	s_and_b64 s[18:19], vcc, exec
	v_add_u32_e32 v6, s91, v6
	s_andn2_b64 s[16:17], s[16:17], exec
	s_or_b64 s[18:19], s[0:1], s[18:19]
	s_branch .LBB58_255
.LBB58_258:
	s_or_b64 exec, exec, s[10:11]
	s_and_saveexec_b64 s[0:1], s[12:13]
	s_xor_b64 s[0:1], exec, s[0:1]
	s_cbranch_execz .LBB58_263
; %bb.259:
	s_mov_b64 s[2:3], exec
	s_brev_b32 s0, -2
.LBB58_260:                             ; =>This Inner Loop Header: Depth=1
	s_ff1_i32_b64 s1, s[2:3]
	v_readlane_b32 s12, v2, s1
	s_lshl_b64 s[10:11], 1, s1
	s_min_i32 s0, s0, s12
	s_andn2_b64 s[2:3], s[2:3], s[10:11]
	s_cmp_lg_u64 s[2:3], 0
	s_cbranch_scc1 .LBB58_260
; %bb.261:
	v_mbcnt_lo_u32_b32 v0, exec_lo, 0
	v_mbcnt_hi_u32_b32 v0, exec_hi, v0
	v_cmp_eq_u32_e32 vcc, 0, v0
	s_and_saveexec_b64 s[2:3], vcc
	s_xor_b64 s[2:3], exec, s[2:3]
	s_cbranch_execz .LBB58_263
; %bb.262:
	v_mov_b32_e32 v0, 0
	v_mov_b32_e32 v1, s0
	ds_min_i32 v0, v1 offset:4108
.LBB58_263:
	s_or_b64 exec, exec, s[8:9]
	s_waitcnt lgkmcnt(0)
	s_barrier
	s_mov_b64 s[2:3], exec
	v_readlane_b32 s0, v52, 18
	v_readlane_b32 s1, v52, 19
	s_and_b64 s[0:1], s[2:3], s[0:1]
	s_mov_b64 exec, s[0:1]
	s_cbranch_execz .LBB58_265
; %bb.264:
	v_readlane_b32 s8, v52, 0
	s_mul_i32 s0, s21, s23
	v_readlane_b32 s10, v52, 2
	s_sub_i32 s0, s20, s0
	v_readlane_b32 s9, v52, 1
	v_readlane_b32 s11, v52, 3
	s_mov_b32 s14, s10
	s_mov_b64 s[12:13], s[8:9]
	s_mul_i32 s0, s0, s14
	v_readlane_b32 s1, v52, 21
	v_readlane_b32 s8, v52, 24
	;; [unrolled: 1-line block ×4, first 2 shown]
	s_xor_b32 s1, s1, s8
	s_mul_i32 s8, s14, s11
	v_readlane_b32 s9, v52, 13
	s_sub_i32 s8, s9, s8
	s_add_i32 s9, s14, 1
	s_sub_i32 s10, s8, s11
	s_cmp_ge_u32 s8, s11
	s_cselect_b32 s9, s9, s14
	s_cselect_b32 s8, s10, s8
	s_add_i32 s10, s9, 1
	s_cmp_ge_u32 s8, s11
	s_cselect_b32 s8, s10, s9
	s_xor_b32 s8, s8, s1
	s_sub_i32 s1, s8, s1
	s_mul_i32 s8, s1, s22
	s_sub_i32 s8, s21, s8
	s_mul_i32 s8, s8, s13
	s_add_i32 s0, s8, s0
	s_mul_i32 s1, s1, s12
	v_readlane_b32 s8, v52, 4
	s_add_i32 s0, s0, s1
	s_mul_i32 s1, s26, s25
	v_readlane_b32 s10, v52, 6
	s_sub_i32 s1, s20, s1
	v_readlane_b32 s9, v52, 5
	s_mov_b32 s14, s10
	s_mov_b64 s[12:13], s[8:9]
	s_mul_i32 s1, s1, s14
	v_readlane_b32 s8, v52, 26
	v_readlane_b32 s9, v52, 29
	;; [unrolled: 1-line block ×4, first 2 shown]
	s_xor_b32 s8, s8, s9
	s_mul_i32 s9, s15, s14
	v_readlane_b32 s10, v52, 16
	v_readlane_b32 s11, v52, 7
	s_sub_i32 s9, s10, s9
	s_add_i32 s10, s15, 1
	s_sub_i32 s11, s9, s14
	s_cmp_ge_u32 s9, s14
	s_cselect_b32 s10, s10, s15
	s_cselect_b32 s9, s11, s9
	s_add_i32 s11, s10, 1
	s_cmp_ge_u32 s9, s14
	s_cselect_b32 s9, s11, s10
	s_xor_b32 s9, s9, s8
	s_sub_i32 s8, s9, s8
	s_mul_i32 s9, s8, s24
	s_sub_i32 s9, s26, s9
	s_mul_i32 s9, s9, s13
	s_add_i32 s1, s9, s1
	s_mul_i32 s8, s8, s12
	s_add_i32 s8, s1, s8
	s_ashr_i32 s1, s0, 31
	v_mov_b32_e32 v2, 0
	s_lshl_b64 s[0:1], s[0:1], 1
	v_readlane_b32 s10, v52, 11
	ds_read_b32 v0, v2 offset:4108
	v_readlane_b32 s11, v52, 12
	s_add_u32 s0, s10, s0
	s_addc_u32 s1, s11, s1
	s_ashr_i32 s9, s8, 31
	s_lshl_b64 s[8:9], s[8:9], 3
	v_readlane_b32 s10, v52, 8
	v_readlane_b32 s11, v52, 9
	s_add_u32 s8, s10, s8
	s_addc_u32 s9, s11, s9
	s_waitcnt lgkmcnt(0)
	v_ashrrev_i32_e32 v1, 31, v0
	global_store_dwordx2 v2, v[0:1], s[8:9]
	global_store_short v2, v38, s[0:1]
.LBB58_265:
	s_or_b64 exec, exec, s[2:3]
.LBB58_266:
	s_or_saveexec_b64 s[0:1], s[6:7]
	s_mov_b64 s[2:3], 0
	s_xor_b64 exec, exec, s[0:1]
	s_cbranch_execnz .LBB58_269
.LBB58_267:
	s_or_b64 exec, exec, s[0:1]
	s_and_b64 s[2:3], s[2:3], exec
	s_andn2_saveexec_b64 s[0:1], s[4:5]
	s_cbranch_execz .LBB58_245
.LBB58_268:
	s_or_b64 s[2:3], s[2:3], exec
	s_trap 2
	s_or_b64 exec, exec, s[0:1]
	s_and_saveexec_b64 s[0:1], s[2:3]
	s_cbranch_execnz .LBB58_246
	s_branch .LBB58_247
.LBB58_269:
	s_mov_b64 s[2:3], exec
	s_trap 2
	s_branch .LBB58_267
	.section	.rodata,"a",@progbits
	.p2align	6, 0x0
	.amdhsa_kernel _ZN2at6native12_GLOBAL__N_114gatherKthValueIN3c104HalfEiLi3EEEvNS_4cuda6detail10TensorInfoIKT_T0_EESA_SA_SA_SA_NS7_IS8_SA_EENS7_IlSA_EE
		.amdhsa_group_segment_fixed_size 4112
		.amdhsa_private_segment_fixed_size 0
		.amdhsa_kernarg_size 920
		.amdhsa_user_sgpr_count 6
		.amdhsa_user_sgpr_private_segment_buffer 1
		.amdhsa_user_sgpr_dispatch_ptr 0
		.amdhsa_user_sgpr_queue_ptr 0
		.amdhsa_user_sgpr_kernarg_segment_ptr 1
		.amdhsa_user_sgpr_dispatch_id 0
		.amdhsa_user_sgpr_flat_scratch_init 0
		.amdhsa_user_sgpr_kernarg_preload_length 0
		.amdhsa_user_sgpr_kernarg_preload_offset 0
		.amdhsa_user_sgpr_private_segment_size 0
		.amdhsa_uses_dynamic_stack 0
		.amdhsa_system_sgpr_private_segment_wavefront_offset 0
		.amdhsa_system_sgpr_workgroup_id_x 1
		.amdhsa_system_sgpr_workgroup_id_y 1
		.amdhsa_system_sgpr_workgroup_id_z 1
		.amdhsa_system_sgpr_workgroup_info 0
		.amdhsa_system_vgpr_workitem_id 0
		.amdhsa_next_free_vgpr 53
		.amdhsa_next_free_sgpr 96
		.amdhsa_accum_offset 56
		.amdhsa_reserve_vcc 1
		.amdhsa_reserve_flat_scratch 0
		.amdhsa_float_round_mode_32 0
		.amdhsa_float_round_mode_16_64 0
		.amdhsa_float_denorm_mode_32 3
		.amdhsa_float_denorm_mode_16_64 3
		.amdhsa_dx10_clamp 1
		.amdhsa_ieee_mode 1
		.amdhsa_fp16_overflow 0
		.amdhsa_tg_split 0
		.amdhsa_exception_fp_ieee_invalid_op 0
		.amdhsa_exception_fp_denorm_src 0
		.amdhsa_exception_fp_ieee_div_zero 0
		.amdhsa_exception_fp_ieee_overflow 0
		.amdhsa_exception_fp_ieee_underflow 0
		.amdhsa_exception_fp_ieee_inexact 0
		.amdhsa_exception_int_div_zero 0
	.end_amdhsa_kernel
	.section	.text._ZN2at6native12_GLOBAL__N_114gatherKthValueIN3c104HalfEiLi3EEEvNS_4cuda6detail10TensorInfoIKT_T0_EESA_SA_SA_SA_NS7_IS8_SA_EENS7_IlSA_EE,"axG",@progbits,_ZN2at6native12_GLOBAL__N_114gatherKthValueIN3c104HalfEiLi3EEEvNS_4cuda6detail10TensorInfoIKT_T0_EESA_SA_SA_SA_NS7_IS8_SA_EENS7_IlSA_EE,comdat
.Lfunc_end58:
	.size	_ZN2at6native12_GLOBAL__N_114gatherKthValueIN3c104HalfEiLi3EEEvNS_4cuda6detail10TensorInfoIKT_T0_EESA_SA_SA_SA_NS7_IS8_SA_EENS7_IlSA_EE, .Lfunc_end58-_ZN2at6native12_GLOBAL__N_114gatherKthValueIN3c104HalfEiLi3EEEvNS_4cuda6detail10TensorInfoIKT_T0_EESA_SA_SA_SA_NS7_IS8_SA_EENS7_IlSA_EE
                                        ; -- End function
	.section	.AMDGPU.csdata,"",@progbits
; Kernel info:
; codeLenInByte = 11560
; NumSgprs: 100
; NumVgprs: 53
; NumAgprs: 0
; TotalNumVgprs: 53
; ScratchSize: 0
; MemoryBound: 0
; FloatMode: 240
; IeeeMode: 1
; LDSByteSize: 4112 bytes/workgroup (compile time only)
; SGPRBlocks: 12
; VGPRBlocks: 6
; NumSGPRsForWavesPerEU: 100
; NumVGPRsForWavesPerEU: 53
; AccumOffset: 56
; Occupancy: 8
; WaveLimiterHint : 1
; COMPUTE_PGM_RSRC2:SCRATCH_EN: 0
; COMPUTE_PGM_RSRC2:USER_SGPR: 6
; COMPUTE_PGM_RSRC2:TRAP_HANDLER: 0
; COMPUTE_PGM_RSRC2:TGID_X_EN: 1
; COMPUTE_PGM_RSRC2:TGID_Y_EN: 1
; COMPUTE_PGM_RSRC2:TGID_Z_EN: 1
; COMPUTE_PGM_RSRC2:TIDIG_COMP_CNT: 0
; COMPUTE_PGM_RSRC3_GFX90A:ACCUM_OFFSET: 13
; COMPUTE_PGM_RSRC3_GFX90A:TG_SPLIT: 0
	.section	.text._ZN2at6native12_GLOBAL__N_114gatherKthValueIN3c104HalfEiLin1EEEvNS_4cuda6detail10TensorInfoIKT_T0_EESA_SA_SA_SA_NS7_IS8_SA_EENS7_IlSA_EE,"axG",@progbits,_ZN2at6native12_GLOBAL__N_114gatherKthValueIN3c104HalfEiLin1EEEvNS_4cuda6detail10TensorInfoIKT_T0_EESA_SA_SA_SA_NS7_IS8_SA_EENS7_IlSA_EE,comdat
	.globl	_ZN2at6native12_GLOBAL__N_114gatherKthValueIN3c104HalfEiLin1EEEvNS_4cuda6detail10TensorInfoIKT_T0_EESA_SA_SA_SA_NS7_IS8_SA_EENS7_IlSA_EE ; -- Begin function _ZN2at6native12_GLOBAL__N_114gatherKthValueIN3c104HalfEiLin1EEEvNS_4cuda6detail10TensorInfoIKT_T0_EESA_SA_SA_SA_NS7_IS8_SA_EENS7_IlSA_EE
	.p2align	8
	.type	_ZN2at6native12_GLOBAL__N_114gatherKthValueIN3c104HalfEiLin1EEEvNS_4cuda6detail10TensorInfoIKT_T0_EESA_SA_SA_SA_NS7_IS8_SA_EENS7_IlSA_EE,@function
_ZN2at6native12_GLOBAL__N_114gatherKthValueIN3c104HalfEiLin1EEEvNS_4cuda6detail10TensorInfoIKT_T0_EESA_SA_SA_SA_NS7_IS8_SA_EENS7_IlSA_EE: ; @_ZN2at6native12_GLOBAL__N_114gatherKthValueIN3c104HalfEiLin1EEEvNS_4cuda6detail10TensorInfoIKT_T0_EESA_SA_SA_SA_NS7_IS8_SA_EENS7_IlSA_EE
; %bb.0:
	s_load_dwordx2 s[12:13], s[4:5], 0x298
	s_load_dwordx4 s[60:63], s[4:5], 0xd8
	s_add_u32 s10, s4, 0x298
	s_addc_u32 s11, s5, 0
	s_waitcnt lgkmcnt(0)
	s_mul_i32 s0, s13, s8
	s_add_i32 s0, s0, s7
	s_mul_i32 s0, s0, s12
	s_add_i32 s33, s0, s6
	s_cmp_ge_i32 s33, s62
	s_cbranch_scc1 .LBB59_256
; %bb.1:
	s_load_dword s0, s[4:5], 0xd0
	s_mov_b32 s3, 0
	s_mov_b32 s2, s33
	s_waitcnt lgkmcnt(0)
	s_cmp_lt_i32 s0, 2
	s_cbranch_scc1 .LBB59_4
; %bb.2:
	s_add_i32 s2, s0, -1
	s_add_i32 s7, s0, 1
	s_lshl_b64 s[0:1], s[2:3], 2
	s_add_u32 s0, s0, s4
	s_addc_u32 s1, s1, s5
	s_add_u32 s0, s0, 8
	s_addc_u32 s1, s1, 0
	s_mov_b32 s2, s33
.LBB59_3:                               ; =>This Inner Loop Header: Depth=1
	s_load_dword s8, s[0:1], 0x0
	s_load_dword s13, s[0:1], 0x64
	s_mov_b32 s9, s2
	s_abs_i32 s2, s2
	s_waitcnt lgkmcnt(0)
	s_abs_i32 s15, s8
	v_cvt_f32_u32_e32 v1, s15
	s_sub_i32 s16, 0, s15
	s_xor_b32 s14, s9, s8
	s_ashr_i32 s14, s14, 31
	v_rcp_iflag_f32_e32 v1, v1
	v_mul_f32_e32 v1, 0x4f7ffffe, v1
	v_cvt_u32_f32_e32 v1, v1
	v_readfirstlane_b32 s17, v1
	s_mul_i32 s16, s16, s17
	s_mul_hi_u32 s16, s17, s16
	s_add_i32 s17, s17, s16
	s_mul_hi_u32 s16, s2, s17
	s_mul_i32 s17, s16, s15
	s_sub_i32 s2, s2, s17
	s_add_i32 s18, s16, 1
	s_sub_i32 s17, s2, s15
	s_cmp_ge_u32 s2, s15
	s_cselect_b32 s16, s18, s16
	s_cselect_b32 s2, s17, s2
	s_add_i32 s17, s16, 1
	s_cmp_ge_u32 s2, s15
	s_cselect_b32 s2, s17, s16
	s_xor_b32 s2, s2, s14
	s_sub_i32 s2, s2, s14
	s_mul_i32 s8, s2, s8
	s_sub_i32 s8, s9, s8
	s_mul_i32 s8, s13, s8
	s_add_i32 s7, s7, -1
	s_add_i32 s3, s8, s3
	s_add_u32 s0, s0, -4
	s_addc_u32 s1, s1, -1
	s_cmp_gt_u32 s7, 2
	s_cbranch_scc1 .LBB59_3
.LBB59_4:
	s_load_dword s8, s[4:5], 0x1b8
	s_add_u32 s0, s4, 0xe8
	s_addc_u32 s1, s5, 0
	s_mov_b32 s65, 0
	s_mov_b32 s62, s33
	s_waitcnt lgkmcnt(0)
	s_cmp_lt_i32 s8, 2
	s_cbranch_scc1 .LBB59_7
; %bb.5:
	s_add_i32 s64, s8, -1
	s_add_i32 s7, s8, 1
	s_lshl_b64 s[8:9], s[64:65], 2
	s_add_u32 s8, s8, s0
	s_addc_u32 s9, s9, s1
	s_add_u32 s8, s8, 8
	s_addc_u32 s9, s9, 0
	s_mov_b32 s62, s33
.LBB59_6:                               ; =>This Inner Loop Header: Depth=1
	s_load_dword s13, s[8:9], 0x0
	s_load_dword s15, s[8:9], 0x64
	s_abs_i32 s16, s62
	s_mov_b32 s14, s62
	s_waitcnt lgkmcnt(0)
	s_abs_i32 s18, s13
	v_cvt_f32_u32_e32 v1, s18
	s_sub_i32 s19, 0, s18
	s_xor_b32 s17, s62, s13
	s_ashr_i32 s17, s17, 31
	v_rcp_iflag_f32_e32 v1, v1
	v_mul_f32_e32 v1, 0x4f7ffffe, v1
	v_cvt_u32_f32_e32 v1, v1
	v_readfirstlane_b32 s20, v1
	s_mul_i32 s19, s19, s20
	s_mul_hi_u32 s19, s20, s19
	s_add_i32 s20, s20, s19
	s_mul_hi_u32 s19, s16, s20
	s_mul_i32 s20, s19, s18
	s_sub_i32 s16, s16, s20
	s_add_i32 s21, s19, 1
	s_sub_i32 s20, s16, s18
	s_cmp_ge_u32 s16, s18
	s_cselect_b32 s19, s21, s19
	s_cselect_b32 s16, s20, s16
	s_add_i32 s20, s19, 1
	s_cmp_ge_u32 s16, s18
	s_cselect_b32 s16, s20, s19
	s_xor_b32 s16, s16, s17
	s_sub_i32 s62, s16, s17
	s_mul_i32 s13, s62, s13
	s_sub_i32 s13, s14, s13
	s_mul_i32 s13, s15, s13
	s_add_i32 s7, s7, -1
	s_add_i32 s65, s13, s65
	s_add_u32 s8, s8, -4
	s_addc_u32 s9, s9, -1
	s_cmp_gt_u32 s7, 2
	s_cbranch_scc1 .LBB59_6
.LBB59_7:
	s_load_dword s7, s[4:5], 0x6c
	s_load_dword s14, s[4:5], 0x290
	s_add_u32 s8, s4, 0x1c0
	s_addc_u32 s9, s5, 0
	s_mov_b32 s67, 0
	s_waitcnt lgkmcnt(0)
	s_cmp_lt_i32 s14, 2
	s_cbranch_scc1 .LBB59_10
; %bb.8:
	s_add_i32 s66, s14, -1
	s_add_i32 s13, s14, 1
	s_lshl_b64 s[14:15], s[66:67], 2
	s_add_u32 s8, s14, s8
	s_addc_u32 s9, s15, s9
	s_add_u32 s8, s8, 8
	s_addc_u32 s9, s9, 0
.LBB59_9:                               ; =>This Inner Loop Header: Depth=1
	s_load_dword s14, s[8:9], 0x0
	s_load_dword s16, s[8:9], 0x64
	s_abs_i32 s17, s33
	s_mov_b32 s15, s33
	s_waitcnt lgkmcnt(0)
	s_abs_i32 s19, s14
	v_cvt_f32_u32_e32 v1, s19
	s_sub_i32 s20, 0, s19
	s_xor_b32 s18, s33, s14
	s_ashr_i32 s18, s18, 31
	v_rcp_iflag_f32_e32 v1, v1
	v_mul_f32_e32 v1, 0x4f7ffffe, v1
	v_cvt_u32_f32_e32 v1, v1
	v_readfirstlane_b32 s21, v1
	s_mul_i32 s20, s20, s21
	s_mul_hi_u32 s20, s21, s20
	s_add_i32 s21, s21, s20
	s_mul_hi_u32 s20, s17, s21
	s_mul_i32 s21, s20, s19
	s_sub_i32 s17, s17, s21
	s_add_i32 s22, s20, 1
	s_sub_i32 s21, s17, s19
	s_cmp_ge_u32 s17, s19
	s_cselect_b32 s20, s22, s20
	s_cselect_b32 s17, s21, s17
	s_add_i32 s21, s20, 1
	s_cmp_ge_u32 s17, s19
	s_cselect_b32 s17, s21, s20
	s_xor_b32 s17, s17, s18
	s_sub_i32 s33, s17, s18
	s_mul_i32 s14, s33, s14
	s_sub_i32 s14, s15, s14
	s_mul_i32 s14, s16, s14
	s_add_i32 s13, s13, -1
	s_add_i32 s67, s14, s67
	s_add_u32 s8, s8, -4
	s_addc_u32 s9, s9, -1
	s_cmp_gt_u32 s13, 2
	s_cbranch_scc1 .LBB59_9
.LBB59_10:
	s_load_dword s0, s[0:1], 0x6c
                                        ; implicit-def: $vgpr52 : SGPR spill to VGPR lane
	s_mov_b32 s56, 0
	s_waitcnt lgkmcnt(0)
	v_writelane_b32 v52, s0, 0
	s_load_dwordx2 s[8:9], s[4:5], 0x0
	s_load_dwordx2 s[0:1], s[4:5], 0xe8
	s_waitcnt lgkmcnt(0)
	v_writelane_b32 v52, s0, 1
	v_writelane_b32 v52, s1, 2
	s_load_dwordx2 s[0:1], s[4:5], 0x1c0
	s_waitcnt lgkmcnt(0)
	v_writelane_b32 v52, s0, 3
	v_writelane_b32 v52, s1, 4
	v_cmp_eq_u32_e64 s[0:1], 0, v0
	s_mov_b64 s[14:15], exec
	v_writelane_b32 v52, s0, 5
	v_writelane_b32 v52, s1, 6
	s_and_b64 s[0:1], s[14:15], s[0:1]
	s_mov_b64 exec, s[0:1]
	s_cbranch_execz .LBB59_12
; %bb.11:
	v_mov_b32_e32 v2, 0
	v_mov_b32_e32 v3, s60
	;; [unrolled: 1-line block ×3, first 2 shown]
	ds_write_b96 v2, v[2:4] offset:4096
.LBB59_12:
	s_or_b64 exec, exec, s[14:15]
	s_load_dword s0, s[4:5], 0x22c
	s_waitcnt lgkmcnt(0)
	s_barrier
	v_mbcnt_lo_u32_b32 v1, -1, 0
	v_writelane_b32 v52, s0, 7
	s_mul_i32 s0, s7, s2
	s_load_dword s2, s[10:11], 0xc
	s_add_i32 s0, s0, s3
	s_ashr_i32 s1, s0, 31
	s_lshl_b64 s[0:1], s[0:1], 1
	s_add_u32 s64, s8, s0
	s_addc_u32 s80, s9, s1
	s_waitcnt lgkmcnt(0)
	s_and_b32 s66, s2, 0xffff
	v_mbcnt_hi_u32_b32 v13, -1, v1
	s_bfe_u32 s4, s2, 0xa0006
	v_cmp_gt_u32_e32 vcc, 64, v0
	v_cmp_gt_i32_e64 s[2:3], 4, v13
	s_add_i32 s0, s66, -1
	s_lshl_b32 s8, s66, 2
	s_and_b64 s[74:75], vcc, s[2:3]
	s_add_i32 s9, s0, s60
	s_cmpk_gt_i32 s60, 0x600
	v_writelane_b32 v52, s0, 8
	s_cselect_b64 s[0:1], -1, 0
	v_writelane_b32 v52, s0, 9
	s_cmp_gt_u32 s66, 63
	v_writelane_b32 v52, s1, 10
	s_cselect_b64 s[0:1], -1, 0
	v_writelane_b32 v52, s0, 11
	s_cmp_lt_u32 s6, s12
	v_writelane_b32 v52, s1, 12
	s_cselect_b32 s0, 12, 18
	s_add_u32 s0, s10, s0
	s_addc_u32 s1, s11, 0
	v_writelane_b32 v52, s0, 13
	v_writelane_b32 v52, s1, 14
	s_add_i32 s0, s4, -2
	s_lshr_b32 s1, s0, 1
	s_add_i32 s1, s1, 1
	s_cmpk_gt_u32 s66, 0x7f
	s_cselect_b64 s[2:3], -1, 0
	v_writelane_b32 v52, s2, 15
	v_mov_b32_e32 v9, 0
	v_writelane_b32 v52, s3, 16
	v_cmp_gt_u32_e64 s[6:7], 2, v0
	v_writelane_b32 v52, s6, 17
	v_mul_lo_u32 v6, v0, s63
	v_mov_b32_e32 v7, v9
	v_writelane_b32 v52, s7, 18
	v_lshlrev_b64 v[2:3], 1, v[6:7]
	v_cmp_gt_u32_e64 s[6:7], s60, v0
	v_mov_b32_e32 v7, s80
	v_add_co_u32_e32 v10, vcc, s64, v2
	v_writelane_b32 v52, s6, 19
	v_addc_co_u32_e32 v11, vcc, v7, v3, vcc
	v_writelane_b32 v52, s7, 20
	v_cmp_gt_i32_e64 s[6:7], s60, v0
	v_lshlrev_b64 v[2:3], v13, -1
	v_writelane_b32 v52, s6, 21
	v_not_b32_e32 v12, v2
	v_cvt_f32_u32_e32 v2, s8
	v_writelane_b32 v52, s7, 22
	s_and_b32 s6, s4, 0x3fe
	s_and_b32 s7, s1, 7
	s_cmp_gt_u32 s0, 13
	s_cselect_b64 s[10:11], -1, 0
	v_writelane_b32 v52, s10, 23
	v_rcp_iflag_f32_e32 v2, v2
	v_writelane_b32 v52, s11, 24
	s_and_b32 s0, s1, -8
	v_writelane_b32 v52, s0, 25
	s_cmp_lg_u32 s7, 0
	v_writelane_b32 v52, s7, 26
	s_cselect_b64 s[0:1], -1, 0
	v_writelane_b32 v52, s0, 27
	v_mul_f32_e32 v2, 0x4f7ffffe, v2
	v_writelane_b32 v52, s1, 28
	v_cvt_u32_f32_e32 v2, v2
	v_writelane_b32 v52, s4, 29
	s_cmp_lg_u32 s6, s4
	v_writelane_b32 v52, s6, 30
	s_cselect_b64 s[0:1], -1, 0
	v_writelane_b32 v52, s0, 31
	v_writelane_b32 v52, s1, 32
	s_sub_i32 s0, 0, s8
	v_readfirstlane_b32 s1, v2
	s_mul_i32 s0, s0, s1
	s_mul_hi_u32 s0, s1, s0
	s_add_i32 s0, s1, s0
	s_mov_b32 s5, s0
	s_mul_hi_u32 s0, s60, s0
	s_mul_i32 s0, s0, s8
	s_sub_i32 s0, s60, s0
	s_sub_i32 s1, s0, s8
	s_cmp_ge_u32 s0, s8
	s_cselect_b32 s0, s1, s0
	s_sub_i32 s1, s0, s8
	v_cvt_f32_u32_e32 v5, s66
	s_cmp_ge_u32 s0, s8
	s_cselect_b32 s1, s1, s0
	s_sub_i32 s17, s60, s1
	v_add_u32_e32 v25, s17, v0
	v_rcp_iflag_f32_e32 v5, v5
	v_lshrrev_b32_e32 v1, 4, v0
	v_mul_lo_u32 v2, v25, s63
	v_lshlrev_b32_e32 v20, 2, v0
	v_and_b32_e32 v23, 60, v1
	v_not_b32_e32 v1, v3
	v_ashrrev_i32_e32 v3, 31, v2
	v_cmp_gt_i32_e64 s[6:7], s17, v20
	v_lshlrev_b64 v[2:3], 1, v[2:3]
	v_writelane_b32 v52, s6, 33
	v_add_co_u32_e32 v14, vcc, s64, v2
	v_mul_f32_e32 v2, 0x4f7ffffe, v5
	v_writelane_b32 v52, s7, 34
	v_cmp_gt_u32_e64 s[6:7], s60, v25
	v_cvt_u32_f32_e32 v2, v2
	v_writelane_b32 v52, s6, 35
	v_writelane_b32 v52, s7, 36
	v_cmp_gt_i32_e64 s[6:7], s60, v25
	v_writelane_b32 v52, s6, 37
	v_writelane_b32 v52, s7, 38
	s_sub_i32 s7, 0, s66
	v_readfirstlane_b32 s10, v2
	s_mul_i32 s7, s7, s10
	s_mul_hi_u32 s7, s10, s7
	s_abs_i32 s6, s9
	s_add_i32 s4, s10, s7
	s_mul_hi_u32 s7, s6, s4
	s_mul_i32 s7, s7, s66
	s_sub_i32 s6, s6, s7
	s_ashr_i32 s0, s9, 31
	s_sub_i32 s7, s6, s66
	s_cmp_ge_u32 s6, s66
	s_cselect_b32 s6, s7, s6
	s_sub_i32 s7, s6, s66
	s_cmp_ge_u32 s6, s66
	s_cselect_b32 s6, s7, s6
	s_xor_b32 s6, s6, s0
	s_sub_i32 s0, s0, s6
	s_add_i32 s9, s9, s0
	v_writelane_b32 v52, s4, 39
	v_cmp_gt_i32_e64 s[6:7], s9, v0
	v_mul_lo_u32 v2, s63, v20
	v_writelane_b32 v52, s6, 40
	v_add_u32_e32 v26, s63, v2
	v_or_b32_e32 v2, 2, v20
	v_writelane_b32 v52, s7, 41
	v_mul_lo_u32 v27, s63, v2
	v_or_b32_e32 v2, 3, v20
	s_add_i32 s6, s66, s60
	v_mul_lo_u32 v28, s63, v2
	v_add_u32_e32 v2, s6, v0
	v_lshlrev_b32_e32 v21, 1, v0
	v_lshlrev_b32_e32 v4, 2, v13
	v_mov_b32_e32 v8, s80
	s_mul_i32 s81, s63, s66
	v_subrev_u32_e32 v2, s1, v2
	v_cmp_eq_u32_e64 s[2:3], 0, v13
	v_add_u32_e32 v22, 0xc00, v21
	v_and_b32_e32 v24, 0x100, v4
	v_addc_co_u32_e32 v15, vcc, v8, v3, vcc
	s_lshl_b32 s0, s81, 2
	v_lshlrev_b32_e32 v29, 2, v6
	v_mul_lo_u32 v30, s63, v2
	v_lshlrev_b32_e32 v31, 3, v0
	s_lshl_b32 s1, s66, 3
	s_lshl_b32 s76, s66, 1
	v_or_b32_e32 v32, 0xc00, v4
	s_mov_b32 s78, 14
	s_mov_b64 s[90:91], 0
	s_movk_i32 s77, 0x3c00
	v_mov_b32_e32 v33, 0xffff
	v_mov_b32_e32 v34, 0x8000
	v_mov_b32_e32 v35, -1
	v_mov_b32_e32 v36, 0xc00
	v_mov_b32_e32 v37, 0x5040100
	;; [unrolled: 1-line block ×3, first 2 shown]
	s_mov_b32 s79, 0
	s_mov_b32 s11, 0
	;; [unrolled: 1-line block ×3, first 2 shown]
                                        ; implicit-def: $sgpr92_sgpr93
                                        ; implicit-def: $sgpr68_sgpr69
                                        ; implicit-def: $sgpr94_sgpr95
                                        ; implicit-def: $sgpr70_sgpr71
                                        ; implicit-def: $sgpr84_sgpr85
                                        ; implicit-def: $sgpr86_sgpr87
	s_branch .LBB59_17
.LBB59_13:                              ;   in Loop: Header=BB59_17 Depth=1
	s_xor_b32 s79, s79, 1
	s_add_i32 s12, s78, -2
	s_cmp_eq_u32 s78, 0
	s_mov_b64 s[18:19], 0
	s_cselect_b64 s[22:23], -1, 0
	s_mov_b32 s78, s12
.LBB59_14:                              ;   in Loop: Header=BB59_17 Depth=1
	s_andn2_b64 s[12:13], s[26:27], exec
	s_and_b64 s[14:15], s[18:19], exec
	s_or_b64 s[26:27], s[12:13], s[14:15]
	s_andn2_b64 s[28:29], s[28:29], exec
	s_andn2_b64 s[24:25], s[24:25], exec
	s_orn2_b64 s[22:23], s[22:23], exec
	s_mov_b32 s61, s37
.LBB59_15:                              ;   in Loop: Header=BB59_17 Depth=1
	s_or_b64 exec, exec, s[6:7]
	s_andn2_b64 s[6:7], s[86:87], exec
	s_and_b64 s[12:13], s[26:27], exec
	s_or_b64 s[86:87], s[6:7], s[12:13]
	s_andn2_b64 s[6:7], s[84:85], exec
	s_and_b64 s[12:13], s[28:29], exec
	s_or_b64 s[84:85], s[6:7], s[12:13]
	;; [unrolled: 3-line block ×3, first 2 shown]
	s_orn2_b64 s[22:23], s[22:23], exec
.LBB59_16:                              ;   in Loop: Header=BB59_17 Depth=1
	s_or_b64 exec, exec, s[20:21]
	s_and_b64 s[6:7], exec, s[22:23]
	s_or_b64 s[90:91], s[6:7], s[90:91]
	s_andn2_b64 s[6:7], s[94:95], exec
	s_and_b64 s[12:13], s[86:87], exec
	s_or_b64 s[94:95], s[6:7], s[12:13]
	s_andn2_b64 s[6:7], s[68:69], exec
	s_and_b64 s[12:13], s[84:85], exec
	;; [unrolled: 3-line block ×3, first 2 shown]
	v_mov_b32_e32 v2, s11
	s_or_b64 s[92:93], s[6:7], s[12:13]
	s_andn2_b64 exec, exec, s[90:91]
	s_cbranch_execz .LBB59_252
.LBB59_17:                              ; =>This Loop Header: Depth=1
                                        ;     Child Loop BB59_22 Depth 2
                                        ;     Child Loop BB59_41 Depth 2
	;; [unrolled: 1-line block ×17, first 2 shown]
	ds_read_b64 v[2:3], v9 offset:4096
	s_waitcnt lgkmcnt(0)
	v_readfirstlane_b32 s73, v2
	s_cmp_gt_i32 s73, 0
	s_cbranch_scc1 .LBB59_48
; %bb.18:                               ;   in Loop: Header=BB59_17 Depth=1
	v_readlane_b32 s6, v52, 9
	v_readlane_b32 s7, v52, 10
	s_and_b64 vcc, exec, s[6:7]
	s_cbranch_vccz .LBB59_30
; %bb.19:                               ;   in Loop: Header=BB59_17 Depth=1
	s_movk_i32 s4, 0x601
	v_cmp_gt_i32_e32 vcc, s4, v3
	s_mov_b64 s[6:7], 0
	s_mov_b64 s[18:19], 0
	s_cbranch_vccz .LBB59_35
; %bb.20:                               ;   in Loop: Header=BB59_17 Depth=1
	v_readlane_b32 s12, v52, 13
	v_readlane_b32 s13, v52, 14
	s_nop 4
	global_load_ushort v2, v9, s[12:13]
	global_load_ushort v4, v[10:11], off
	s_mov_b64 s[20:21], 0
	s_waitcnt vmcnt(1)
	v_add_u32_e32 v5, v0, v2
	v_mul_lo_u32 v3, s63, v2
	v_mul_lo_u32 v8, s63, v5
	v_mov_b32_e32 v5, v0
	s_branch .LBB59_22
.LBB59_21:                              ;   in Loop: Header=BB59_22 Depth=2
	s_or_b64 exec, exec, s[18:19]
	v_cmp_le_i32_e32 vcc, s60, v5
	v_add_u32_e32 v8, v8, v3
	s_or_b64 s[20:21], vcc, s[20:21]
	v_mov_b32_e32 v4, v16
	s_andn2_b64 exec, exec, s[20:21]
	s_cbranch_execz .LBB59_31
.LBB59_22:                              ;   Parent Loop BB59_17 Depth=1
                                        ; =>  This Inner Loop Header: Depth=2
	v_add_u32_e32 v5, v5, v2
	v_cmp_gt_u32_e32 vcc, s60, v5
	s_waitcnt lgkmcnt(0)
	v_mov_b32_e32 v17, 0
	v_mov_b32_e32 v16, 0
	s_and_saveexec_b64 s[18:19], vcc
	s_cbranch_execz .LBB59_24
; %bb.23:                               ;   in Loop: Header=BB59_22 Depth=2
	v_lshlrev_b64 v[18:19], 1, v[8:9]
	v_add_co_u32_e32 v18, vcc, s64, v18
	v_addc_co_u32_e32 v19, vcc, v7, v19, vcc
	global_load_ushort v16, v[18:19], off
.LBB59_24:                              ;   in Loop: Header=BB59_22 Depth=2
	s_or_b64 exec, exec, s[18:19]
	s_waitcnt vmcnt(0)
	v_cmp_lt_i16_e32 vcc, -1, v4
	v_cndmask_b32_e32 v18, v33, v34, vcc
	v_xor_b32_sdwa v18, v18, v4 dst_sel:DWORD dst_unused:UNUSED_PAD src0_sel:DWORD src1_sel:WORD_0
	v_cmp_o_f16_e32 vcc, v4, v4
	v_cndmask_b32_e32 v18, v33, v18, vcc
	v_and_b32_e32 v18, s10, v18
	v_cmp_eq_u32_e32 vcc, s11, v18
	s_cmp_lg_u64 vcc, 0
	s_cselect_b64 s[12:13], -1, 0
	s_and_b64 s[12:13], s[2:3], s[12:13]
	s_and_saveexec_b64 s[22:23], s[12:13]
	s_cbranch_execz .LBB59_28
; %bb.25:                               ;   in Loop: Header=BB59_22 Depth=2
	s_mov_b64 s[26:27], exec
	v_mbcnt_lo_u32_b32 v17, s26, 0
	v_mbcnt_hi_u32_b32 v17, s27, v17
	s_bcnt1_i32_b64 s12, vcc
	v_cmp_eq_u32_e64 s[18:19], 0, v17
                                        ; implicit-def: $vgpr18
	s_and_saveexec_b64 s[24:25], s[18:19]
	s_cbranch_execz .LBB59_27
; %bb.26:                               ;   in Loop: Header=BB59_22 Depth=2
	s_bcnt1_i32_b64 s13, s[26:27]
	s_mul_i32 s13, s12, s13
	v_mov_b32_e32 v18, s13
	ds_add_rtn_u32 v18, v9, v18 offset:4104
.LBB59_27:                              ;   in Loop: Header=BB59_22 Depth=2
	s_or_b64 exec, exec, s[24:25]
	s_waitcnt lgkmcnt(0)
	v_readfirstlane_b32 s13, v18
	v_mov_b32_e32 v18, s13
	v_mad_u32_u24 v17, s12, v17, v18
.LBB59_28:                              ;   in Loop: Header=BB59_22 Depth=2
	s_or_b64 exec, exec, s[22:23]
	ds_bpermute_b32 v17, v24, v17
	s_and_saveexec_b64 s[18:19], vcc
	s_cbranch_execz .LBB59_21
; %bb.29:                               ;   in Loop: Header=BB59_22 Depth=2
	v_and_b32_e32 v19, vcc_lo, v12
	v_and_b32_e32 v18, vcc_hi, v1
	v_bcnt_u32_b32 v19, v19, 0
	v_bcnt_u32_b32 v18, v18, v19
	v_lshlrev_b32_e32 v18, 1, v18
	s_waitcnt lgkmcnt(0)
	v_lshl_add_u32 v17, v17, 1, v18
	ds_write_b16 v17, v4
	s_branch .LBB59_21
.LBB59_30:                              ;   in Loop: Header=BB59_17 Depth=1
	s_mov_b64 s[6:7], -1
	s_mov_b64 s[18:19], 0
	s_branch .LBB59_34
.LBB59_31:                              ;   in Loop: Header=BB59_17 Depth=1
	s_or_b64 exec, exec, s[20:21]
	s_waitcnt lgkmcnt(0)
	s_barrier
	s_mov_b64 s[18:19], exec
	v_readlane_b32 s12, v52, 5
	v_readlane_b32 s13, v52, 6
	s_and_b64 s[12:13], s[18:19], s[12:13]
	s_mov_b64 exec, s[12:13]
	s_cbranch_execz .LBB59_33
; %bb.32:                               ;   in Loop: Header=BB59_17 Depth=1
	ds_read_b32 v2, v9 offset:4104
	s_waitcnt lgkmcnt(0)
	ds_write_b32 v9, v2 offset:4096
.LBB59_33:                              ;   in Loop: Header=BB59_17 Depth=1
	s_or_b64 exec, exec, s[18:19]
	s_waitcnt lgkmcnt(0)
	s_barrier
	s_mov_b64 s[18:19], -1
.LBB59_34:                              ;   in Loop: Header=BB59_17 Depth=1
                                        ; implicit-def: $sgpr73
.LBB59_35:                              ;   in Loop: Header=BB59_17 Depth=1
	s_and_b64 vcc, exec, s[6:7]
	s_cbranch_vccz .LBB59_46
; %bb.36:                               ;   in Loop: Header=BB59_17 Depth=1
	v_mov_b32_e32 v2, 0
	s_mov_b64 s[6:7], exec
	v_readlane_b32 s12, v52, 19
	v_readlane_b32 s13, v52, 20
	s_and_b64 s[12:13], s[6:7], s[12:13]
	s_mov_b64 exec, s[12:13]
	s_cbranch_execz .LBB59_38
; %bb.37:                               ;   in Loop: Header=BB59_17 Depth=1
	global_load_ushort v2, v[10:11], off
.LBB59_38:                              ;   in Loop: Header=BB59_17 Depth=1
	s_or_b64 exec, exec, s[6:7]
	s_mov_b64 s[6:7], exec
	v_readlane_b32 s12, v52, 21
	v_readlane_b32 s13, v52, 22
	s_and_b64 s[12:13], s[6:7], s[12:13]
	s_mov_b64 exec, s[12:13]
	s_cbranch_execz .LBB59_43
; %bb.39:                               ;   in Loop: Header=BB59_17 Depth=1
	v_readlane_b32 s12, v52, 13
	v_readlane_b32 s13, v52, 14
	s_mov_b64 s[18:19], 0
	v_mov_b32_e32 v4, v21
	v_mov_b32_e32 v17, v0
	s_nop 1
	global_load_ushort v3, v9, s[12:13]
	s_waitcnt vmcnt(0)
	v_add_u32_e32 v8, v0, v3
	v_lshlrev_b32_e32 v5, 1, v3
	v_mul_lo_u32 v16, s63, v3
	v_mul_lo_u32 v8, s63, v8
	s_branch .LBB59_41
.LBB59_40:                              ;   in Loop: Header=BB59_41 Depth=2
	s_or_b64 exec, exec, s[20:21]
	v_cmp_le_i32_e32 vcc, s60, v17
	ds_write_b16 v4, v2
	v_add_u32_e32 v4, v4, v5
	v_add_u32_e32 v8, v8, v16
	s_or_b64 s[18:19], vcc, s[18:19]
	s_waitcnt vmcnt(0)
	v_mov_b32_e32 v2, v18
	s_andn2_b64 exec, exec, s[18:19]
	s_cbranch_execz .LBB59_43
.LBB59_41:                              ;   Parent Loop BB59_17 Depth=1
                                        ; =>  This Inner Loop Header: Depth=2
	v_add_u32_e32 v17, v17, v3
	v_cmp_gt_u32_e32 vcc, s60, v17
	v_mov_b32_e32 v18, 0
	s_and_saveexec_b64 s[20:21], vcc
	s_cbranch_execz .LBB59_40
; %bb.42:                               ;   in Loop: Header=BB59_41 Depth=2
	v_lshlrev_b64 v[18:19], 1, v[8:9]
	v_mov_b32_e32 v39, s80
	v_add_co_u32_e32 v18, vcc, s64, v18
	v_addc_co_u32_e32 v19, vcc, v39, v19, vcc
	global_load_ushort v18, v[18:19], off
	s_branch .LBB59_40
.LBB59_43:                              ;   in Loop: Header=BB59_17 Depth=1
	s_or_b64 exec, exec, s[6:7]
	s_waitcnt lgkmcnt(0)
	s_barrier
	s_mov_b64 s[6:7], exec
	v_readlane_b32 s12, v52, 5
	v_readlane_b32 s13, v52, 6
	s_and_b64 s[12:13], s[6:7], s[12:13]
	s_mov_b64 exec, s[12:13]
	s_cbranch_execz .LBB59_45
; %bb.44:                               ;   in Loop: Header=BB59_17 Depth=1
	s_waitcnt vmcnt(0)
	v_mov_b32_e32 v2, s60
	ds_write_b32 v9, v2 offset:4096
.LBB59_45:                              ;   in Loop: Header=BB59_17 Depth=1
	s_or_b64 exec, exec, s[6:7]
	s_mov_b64 s[18:19], -1
	s_waitcnt lgkmcnt(0)
	s_barrier
                                        ; implicit-def: $sgpr73
.LBB59_46:                              ;   in Loop: Header=BB59_17 Depth=1
	s_and_b64 vcc, exec, s[18:19]
	s_cbranch_vccz .LBB59_48
; %bb.47:                               ;   in Loop: Header=BB59_17 Depth=1
	s_waitcnt vmcnt(0)
	ds_read_b32 v2, v9 offset:4096
	s_waitcnt lgkmcnt(0)
	v_readfirstlane_b32 s73, v2
.LBB59_48:                              ;   in Loop: Header=BB59_17 Depth=1
	s_cmp_lt_i32 s73, 1
	s_cbranch_scc0 .LBB59_60
; %bb.49:                               ;   in Loop: Header=BB59_17 Depth=1
	s_waitcnt vmcnt(0)
	v_mov_b32_e32 v2, 0
	s_mov_b32 s6, 0
	v_mov_b32_e32 v3, 0
	v_mov_b32_e32 v4, v2
	v_mov_b32_e32 v5, 0
	s_mov_b64 s[88:89], exec
	v_readlane_b32 s12, v52, 33
	v_readlane_b32 s13, v52, 34
	s_and_b64 s[12:13], s[88:89], s[12:13]
	s_mov_b64 exec, s[12:13]
	s_cbranch_execz .LBB59_53
; %bb.50:                               ;   in Loop: Header=BB59_17 Depth=1
	s_mov_b32 s72, s56
	s_and_b32 s7, s78, 0xfe
	s_mov_b64 s[82:83], 0
	s_mov_b32 s12, 0
	s_mov_b32 s13, 0
	;; [unrolled: 1-line block ×4, first 2 shown]
	v_mov_b32_e32 v8, v20
.LBB59_51:                              ;   Parent Loop BB59_17 Depth=1
                                        ; =>  This Inner Loop Header: Depth=2
	v_add_u32_e32 v2, s6, v29
	v_ashrrev_i32_e32 v3, 31, v2
	v_add_u32_e32 v4, s6, v26
	v_lshlrev_b64 v[2:3], 1, v[2:3]
	v_mov_b32_e32 v39, s80
	v_ashrrev_i32_e32 v5, 31, v4
	v_add_co_u32_e64 v2, s[18:19], s64, v2
	v_add_u32_e32 v16, s6, v27
	v_lshlrev_b64 v[4:5], 1, v[4:5]
	v_addc_co_u32_e64 v3, s[18:19], v39, v3, s[18:19]
	v_ashrrev_i32_e32 v17, 31, v16
	v_add_co_u32_e64 v4, s[18:19], s64, v4
	v_add_u32_e32 v18, s6, v28
	v_lshlrev_b64 v[16:17], 1, v[16:17]
	v_addc_co_u32_e64 v5, s[18:19], v39, v5, s[18:19]
	v_ashrrev_i32_e32 v19, 31, v18
	v_add_co_u32_e64 v16, s[18:19], s64, v16
	v_lshlrev_b64 v[18:19], 1, v[18:19]
	v_addc_co_u32_e64 v17, s[18:19], v39, v17, s[18:19]
	v_add_co_u32_e64 v18, s[18:19], s64, v18
	v_addc_co_u32_e64 v19, s[18:19], v39, v19, s[18:19]
	global_load_ushort v2, v[2:3], off
	s_nop 0
	global_load_ushort v3, v[4:5], off
	s_nop 0
	global_load_ushort v4, v[16:17], off
	global_load_ushort v5, v[18:19], off
	v_add_u32_e32 v8, s8, v8
	s_add_i32 s6, s6, s0
	v_cmp_le_i32_e32 vcc, s17, v8
	s_waitcnt vmcnt(3)
	v_cmp_lt_i16_e64 s[18:19], -1, v2
	v_cndmask_b32_e64 v16, v33, v34, s[18:19]
	s_waitcnt vmcnt(2)
	v_cmp_lt_i16_e64 s[18:19], -1, v3
	v_cndmask_b32_e64 v17, v33, v34, s[18:19]
	s_waitcnt vmcnt(1)
	v_cmp_lt_i16_e64 s[18:19], -1, v4
	v_cndmask_b32_e64 v18, v33, v34, s[18:19]
	s_waitcnt vmcnt(0)
	v_cmp_lt_i16_e64 s[18:19], -1, v5
	v_cndmask_b32_e64 v19, v33, v34, s[18:19]
	v_xor_b32_sdwa v17, v17, v3 dst_sel:DWORD dst_unused:UNUSED_PAD src0_sel:DWORD src1_sel:WORD_0
	v_cmp_o_f16_e64 s[18:19], v3, v3
	v_xor_b32_sdwa v3, v18, v4 dst_sel:DWORD dst_unused:UNUSED_PAD src0_sel:DWORD src1_sel:WORD_0
	v_cmp_o_f16_e64 s[20:21], v4, v4
	;; [unrolled: 2-line block ×4, first 2 shown]
	v_cndmask_b32_e64 v2, v33, v5, s[24:25]
	v_cndmask_b32_e64 v5, v33, v17, s[18:19]
	v_and_b32_e32 v16, s10, v2
	v_bfe_u32 v2, v2, s7, 2
	v_cndmask_b32_e64 v3, v33, v3, s[20:21]
	v_and_b32_e32 v17, s10, v5
	v_bfe_u32 v5, v5, s7, 2
	v_cmp_eq_u32_e64 s[18:19], s11, v16
	v_cmp_eq_u32_e64 s[26:27], 0, v2
	v_cndmask_b32_e64 v4, v33, v4, s[22:23]
	v_and_b32_e32 v18, s10, v3
	v_bfe_u32 v3, v3, s7, 2
	v_cmp_eq_u32_e64 s[20:21], s11, v17
	v_cmp_eq_u32_e64 s[28:29], 0, v5
	s_and_b64 s[26:27], s[18:19], s[26:27]
	v_and_b32_e32 v19, s10, v4
	v_bfe_u32 v4, v4, s7, 2
	v_cmp_eq_u32_e64 s[22:23], s11, v18
	v_cmp_eq_u32_e64 s[30:31], 0, v3
	;; [unrolled: 1-line block ×5, first 2 shown]
	v_cndmask_b32_e64 v2, 0, 1, s[26:27]
	s_and_b64 s[26:27], s[20:21], s[28:29]
	v_cmp_eq_u32_e64 s[24:25], s11, v19
	v_cmp_eq_u32_e64 s[34:35], 0, v4
	;; [unrolled: 1-line block ×5, first 2 shown]
	v_cndmask_b32_e64 v3, 0, 1, s[26:27]
	s_and_b64 s[26:27], s[22:23], s[30:31]
	v_cmp_eq_u32_e64 s[42:43], 1, v4
	v_cmp_eq_u32_e64 s[50:51], 2, v4
	;; [unrolled: 1-line block ×3, first 2 shown]
	v_cndmask_b32_e64 v4, 0, 1, s[26:27]
	s_and_b64 s[26:27], s[24:25], s[34:35]
	v_cmp_eq_u32_e64 s[38:39], 1, v5
	v_cmp_eq_u32_e64 s[46:47], 2, v5
	;; [unrolled: 1-line block ×3, first 2 shown]
	v_cndmask_b32_e64 v5, 0, 1, s[26:27]
	s_and_b64 s[26:27], s[18:19], s[36:37]
	v_cndmask_b32_e64 v16, 0, 1, s[26:27]
	s_and_b64 s[26:27], s[20:21], s[38:39]
	;; [unrolled: 2-line block ×5, first 2 shown]
	s_and_b64 s[18:19], s[18:19], s[52:53]
	v_cndmask_b32_e64 v39, 0, 1, s[26:27]
	s_and_b64 s[26:27], s[20:21], s[46:47]
	v_cndmask_b32_e64 v43, 0, 1, s[18:19]
	;; [unrolled: 2-line block ×7, first 2 shown]
	v_cndmask_b32_e64 v46, 0, 1, s[18:19]
	v_cmp_ne_u32_e64 s[18:19], 0, v2
	v_cmp_ne_u32_e64 s[20:21], 0, v3
	;; [unrolled: 1-line block ×11, first 2 shown]
	s_bcnt1_i32_b64 s16, s[18:19]
	s_bcnt1_i32_b64 s18, s[20:21]
	;; [unrolled: 1-line block ×8, first 2 shown]
	v_cmp_ne_u32_e64 s[40:41], 0, v41
	v_cmp_ne_u32_e64 s[48:49], 0, v45
	s_bcnt1_i32_b64 s23, s[30:31]
	s_bcnt1_i32_b64 s26, s[38:39]
	;; [unrolled: 1-line block ×3, first 2 shown]
	s_add_i32 s15, s15, s16
	s_add_i32 s14, s14, s21
	;; [unrolled: 1-line block ×4, first 2 shown]
	v_cmp_ne_u32_e64 s[34:35], 0, v19
	v_cmp_ne_u32_e64 s[42:43], 0, v42
	;; [unrolled: 1-line block ×3, first 2 shown]
	s_bcnt1_i32_b64 s27, s[40:41]
	s_bcnt1_i32_b64 s31, s[48:49]
	s_add_i32 s15, s15, s18
	s_add_i32 s14, s14, s22
	;; [unrolled: 1-line block ×4, first 2 shown]
	s_bcnt1_i32_b64 s24, s[34:35]
	s_bcnt1_i32_b64 s28, s[42:43]
	;; [unrolled: 1-line block ×3, first 2 shown]
	s_add_i32 s15, s15, s19
	s_add_i32 s14, s14, s23
	;; [unrolled: 1-line block ×8, first 2 shown]
	s_or_b64 s[82:83], vcc, s[82:83]
	v_mov_b32_e32 v2, s15
	v_mov_b32_e32 v3, s14
	;; [unrolled: 1-line block ×4, first 2 shown]
	s_andn2_b64 exec, exec, s[82:83]
	s_cbranch_execnz .LBB59_51
; %bb.52:                               ;   in Loop: Header=BB59_17 Depth=1
	s_or_b64 exec, exec, s[82:83]
	s_mov_b32 s56, s72
.LBB59_53:                              ;   in Loop: Header=BB59_17 Depth=1
	s_or_b64 exec, exec, s[88:89]
	v_mov_b32_e32 v8, 0
	s_mov_b64 s[6:7], exec
	v_readlane_b32 s12, v52, 35
	v_readlane_b32 s13, v52, 36
	s_and_b64 s[12:13], s[6:7], s[12:13]
	s_mov_b64 exec, s[12:13]
	s_cbranch_execz .LBB59_55
; %bb.54:                               ;   in Loop: Header=BB59_17 Depth=1
	global_load_ushort v8, v[14:15], off
.LBB59_55:                              ;   in Loop: Header=BB59_17 Depth=1
	s_or_b64 exec, exec, s[6:7]
	s_mov_b64 s[6:7], 0
	s_mov_b64 s[88:89], 0
	s_mov_b64 s[20:21], exec
	v_readlane_b32 s12, v52, 37
	v_readlane_b32 s13, v52, 38
	s_and_b64 s[12:13], s[20:21], s[12:13]
	s_mov_b64 exec, s[12:13]
	s_cbranch_execz .LBB59_62
; %bb.56:                               ;   in Loop: Header=BB59_17 Depth=1
	s_and_b32 s12, s78, 0xfe
	s_mov_b64 s[22:23], 0
	v_mov_b32_e32 v16, v30
	v_mov_b32_e32 v18, v25
	s_branch .LBB59_58
.LBB59_57:                              ;   in Loop: Header=BB59_58 Depth=2
	s_or_b64 exec, exec, s[18:19]
	s_waitcnt vmcnt(0)
	v_cmp_lt_i16_e32 vcc, -1, v8
	v_cndmask_b32_e32 v19, v33, v34, vcc
	v_xor_b32_sdwa v19, v19, v8 dst_sel:DWORD dst_unused:UNUSED_PAD src0_sel:DWORD src1_sel:WORD_0
	v_cmp_o_f16_e32 vcc, v8, v8
	v_cndmask_b32_e32 v8, v33, v19, vcc
	v_and_b32_e32 v19, s10, v8
	v_bfe_u32 v8, v8, s12, 2
	v_cmp_eq_u32_e32 vcc, s11, v19
	v_cmp_eq_u32_e64 s[18:19], 0, v8
	s_and_b64 s[14:15], vcc, s[18:19]
	v_cndmask_b32_e64 v19, 0, 1, s[14:15]
	v_cmp_ne_u32_e64 s[18:19], 0, v19
	s_bcnt1_i32_b64 s13, s[18:19]
	v_cmp_eq_u32_e64 s[18:19], 1, v8
	s_and_b64 s[14:15], vcc, s[18:19]
	v_cndmask_b32_e64 v19, 0, 1, s[14:15]
	v_cmp_ne_u32_e64 s[18:19], 0, v19
	v_add_u32_e32 v2, s13, v2
	s_bcnt1_i32_b64 s13, s[18:19]
	v_cmp_eq_u32_e64 s[18:19], 2, v8
	s_and_b64 s[14:15], vcc, s[18:19]
	v_cndmask_b32_e64 v19, 0, 1, s[14:15]
	v_cmp_ne_u32_e64 s[18:19], 0, v19
	v_add_u32_e32 v3, s13, v3
	s_bcnt1_i32_b64 s13, s[18:19]
	v_cmp_eq_u32_e64 s[18:19], 3, v8
	s_and_b64 s[14:15], vcc, s[18:19]
	v_cndmask_b32_e64 v8, 0, 1, s[14:15]
	v_cmp_ne_u32_e32 vcc, 0, v8
	v_add_u32_e32 v4, s13, v4
	s_bcnt1_i32_b64 s13, vcc
	v_cmp_le_i32_e32 vcc, s60, v18
	v_add_u32_e32 v5, s13, v5
	v_add_u32_e32 v16, s81, v16
	s_or_b64 s[22:23], vcc, s[22:23]
	v_mov_b32_e32 v8, v17
	s_andn2_b64 exec, exec, s[22:23]
	s_cbranch_execz .LBB59_61
.LBB59_58:                              ;   Parent Loop BB59_17 Depth=1
                                        ; =>  This Inner Loop Header: Depth=2
	v_add_u32_e32 v18, s66, v18
	v_cmp_gt_u32_e32 vcc, s60, v18
	v_mov_b32_e32 v17, 0
	s_and_saveexec_b64 s[18:19], vcc
	s_cbranch_execz .LBB59_57
; %bb.59:                               ;   in Loop: Header=BB59_58 Depth=2
	v_ashrrev_i32_e32 v17, 31, v16
	v_lshlrev_b64 v[40:41], 1, v[16:17]
	v_mov_b32_e32 v17, s80
	v_add_co_u32_e32 v40, vcc, s64, v40
	v_addc_co_u32_e32 v41, vcc, v17, v41, vcc
	global_load_ushort v17, v[40:41], off
	s_branch .LBB59_57
.LBB59_60:                              ;   in Loop: Header=BB59_17 Depth=1
	s_mov_b64 s[88:89], 0
                                        ; implicit-def: $vgpr5
	s_cbranch_execnz .LBB59_63
	s_branch .LBB59_72
.LBB59_61:                              ;   in Loop: Header=BB59_17 Depth=1
	s_or_b64 exec, exec, s[22:23]
	s_mov_b64 s[88:89], exec
.LBB59_62:                              ;   in Loop: Header=BB59_17 Depth=1
	s_or_b64 exec, exec, s[20:21]
	s_and_b64 vcc, exec, s[6:7]
	s_cbranch_vccz .LBB59_72
.LBB59_63:                              ;   in Loop: Header=BB59_17 Depth=1
	s_mul_hi_u32 s6, s73, s5
	s_mul_i32 s6, s6, s8
	s_sub_i32 s6, s73, s6
	s_sub_i32 s7, s6, s8
	s_cmp_ge_u32 s6, s8
	s_cselect_b32 s6, s7, s6
	s_sub_i32 s7, s6, s8
	s_cmp_ge_u32 s6, s8
	s_cselect_b32 s6, s7, s6
	s_sub_i32 s12, s73, s6
	v_cmp_gt_u32_e32 vcc, s12, v20
	s_mov_b32 s14, 0
	s_waitcnt vmcnt(0)
	v_mov_b32_e32 v2, 0
	v_mov_b32_e32 v3, 0
	;; [unrolled: 1-line block ×4, first 2 shown]
	s_and_saveexec_b64 s[82:83], vcc
	s_cbranch_execz .LBB59_67
; %bb.64:                               ;   in Loop: Header=BB59_17 Depth=1
	s_mov_b32 s4, s56
	s_and_b32 s13, s78, 0xfe
	s_mov_b64 s[6:7], 0
	v_mov_b32_e32 v8, v31
	s_mov_b32 s15, 0
	s_mov_b32 s16, 0
	s_mov_b32 s72, 0
	v_mov_b32_e32 v16, v20
.LBB59_65:                              ;   Parent Loop BB59_17 Depth=1
                                        ; =>  This Inner Loop Header: Depth=2
	ds_read_b64 v[2:3], v8
	v_add_u32_e32 v16, s8, v16
	v_cmp_le_i32_e32 vcc, s12, v16
	v_add_u32_e32 v8, s1, v8
	s_waitcnt lgkmcnt(0)
	v_cmp_lt_i16_e64 s[18:19], -1, v2
	v_cndmask_b32_e64 v4, v33, v34, s[18:19]
	v_cmp_gt_i16_sdwa s[18:19], v2, v35 src0_sel:WORD_1 src1_sel:DWORD
	v_cndmask_b32_e64 v5, v33, v34, s[18:19]
	v_cmp_lt_i16_e64 s[18:19], -1, v3
	v_cndmask_b32_e64 v17, v33, v34, s[18:19]
	v_cmp_gt_i16_sdwa s[18:19], v3, v35 src0_sel:WORD_1 src1_sel:DWORD
	v_cndmask_b32_e64 v18, v33, v34, s[18:19]
	v_xor_b32_sdwa v17, v17, v3 dst_sel:DWORD dst_unused:UNUSED_PAD src0_sel:DWORD src1_sel:WORD_0
	v_cmp_o_f16_e64 s[20:21], v3, v3
	v_xor_b32_sdwa v18, v18, v3 dst_sel:DWORD dst_unused:UNUSED_PAD src0_sel:DWORD src1_sel:WORD_1
	v_cmp_o_f16_sdwa s[22:23], v3, v3 src0_sel:WORD_1 src1_sel:WORD_1
	v_xor_b32_sdwa v3, v4, v2 dst_sel:DWORD dst_unused:UNUSED_PAD src0_sel:DWORD src1_sel:WORD_0
	v_cmp_o_f16_e64 s[24:25], v2, v2
	v_xor_b32_sdwa v5, v5, v2 dst_sel:DWORD dst_unused:UNUSED_PAD src0_sel:DWORD src1_sel:WORD_1
	v_cmp_o_f16_sdwa s[18:19], v2, v2 src0_sel:WORD_1 src1_sel:WORD_1
	v_cndmask_b32_e64 v2, v33, v3, s[24:25]
	v_cndmask_b32_e64 v3, v33, v5, s[18:19]
	;; [unrolled: 1-line block ×3, first 2 shown]
	v_and_b32_e32 v17, s10, v2
	v_bfe_u32 v2, v2, s13, 2
	v_cndmask_b32_e64 v5, v33, v18, s[22:23]
	v_and_b32_e32 v18, s10, v3
	v_bfe_u32 v3, v3, s13, 2
	v_cmp_eq_u32_e64 s[18:19], s11, v17
	v_cmp_eq_u32_e64 s[26:27], 0, v2
	v_and_b32_e32 v19, s10, v4
	v_bfe_u32 v4, v4, s13, 2
	v_cmp_eq_u32_e64 s[20:21], s11, v18
	v_cmp_eq_u32_e64 s[28:29], 0, v3
	s_and_b64 s[26:27], s[18:19], s[26:27]
	v_and_b32_e32 v39, s10, v5
	v_bfe_u32 v5, v5, s13, 2
	v_cmp_eq_u32_e64 s[22:23], s11, v19
	v_cmp_eq_u32_e64 s[30:31], 0, v4
	;; [unrolled: 1-line block ×5, first 2 shown]
	v_cndmask_b32_e64 v2, 0, 1, s[26:27]
	s_and_b64 s[26:27], s[20:21], s[28:29]
	v_cmp_eq_u32_e64 s[24:25], s11, v39
	v_cmp_eq_u32_e64 s[34:35], 0, v5
	;; [unrolled: 1-line block ×5, first 2 shown]
	v_cndmask_b32_e64 v3, 0, 1, s[26:27]
	s_and_b64 s[26:27], s[22:23], s[30:31]
	v_cmp_eq_u32_e64 s[40:41], 1, v4
	v_cmp_eq_u32_e64 s[48:49], 2, v4
	;; [unrolled: 1-line block ×3, first 2 shown]
	v_cndmask_b32_e64 v4, 0, 1, s[26:27]
	s_and_b64 s[26:27], s[24:25], s[34:35]
	v_cmp_eq_u32_e64 s[42:43], 1, v5
	v_cmp_eq_u32_e64 s[50:51], 2, v5
	v_cmp_eq_u32_e64 s[58:59], 3, v5
	v_cndmask_b32_e64 v5, 0, 1, s[26:27]
	s_and_b64 s[26:27], s[18:19], s[36:37]
	v_cndmask_b32_e64 v17, 0, 1, s[26:27]
	s_and_b64 s[26:27], s[20:21], s[38:39]
	;; [unrolled: 2-line block ×5, first 2 shown]
	s_and_b64 s[18:19], s[18:19], s[52:53]
	v_cndmask_b32_e64 v40, 0, 1, s[26:27]
	s_and_b64 s[26:27], s[20:21], s[46:47]
	v_cndmask_b32_e64 v44, 0, 1, s[18:19]
	;; [unrolled: 2-line block ×7, first 2 shown]
	v_cndmask_b32_e64 v47, 0, 1, s[18:19]
	v_cmp_ne_u32_e64 s[18:19], 0, v2
	v_cmp_ne_u32_e64 s[20:21], 0, v3
	;; [unrolled: 1-line block ×11, first 2 shown]
	s_bcnt1_i32_b64 s18, s[18:19]
	s_bcnt1_i32_b64 s19, s[20:21]
	;; [unrolled: 1-line block ×8, first 2 shown]
	v_cmp_ne_u32_e64 s[34:35], 0, v39
	v_cmp_ne_u32_e64 s[40:41], 0, v42
	;; [unrolled: 1-line block ×3, first 2 shown]
	s_bcnt1_i32_b64 s23, s[28:29]
	s_bcnt1_i32_b64 s27, s[38:39]
	;; [unrolled: 1-line block ×3, first 2 shown]
	s_add_i32 s18, s72, s18
	s_add_i32 s16, s16, s22
	s_add_i32 s15, s15, s26
	s_add_i32 s14, s14, s30
	v_cmp_ne_u32_e64 s[42:43], 0, v43
	v_cmp_ne_u32_e64 s[50:51], 0, v47
	s_bcnt1_i32_b64 s25, s[34:35]
	s_bcnt1_i32_b64 s28, s[40:41]
	s_bcnt1_i32_b64 s34, s[48:49]
	s_add_i32 s18, s18, s19
	s_add_i32 s16, s16, s23
	;; [unrolled: 1-line block ×4, first 2 shown]
	s_bcnt1_i32_b64 s29, s[42:43]
	s_bcnt1_i32_b64 s35, s[50:51]
	s_add_i32 s18, s18, s20
	s_add_i32 s16, s16, s24
	s_add_i32 s15, s15, s28
	s_add_i32 s14, s14, s34
	s_add_i32 s72, s18, s21
	s_add_i32 s16, s16, s25
	s_add_i32 s15, s15, s29
	s_add_i32 s14, s14, s35
	s_or_b64 s[6:7], vcc, s[6:7]
	v_mov_b32_e32 v2, s72
	v_mov_b32_e32 v3, s16
	;; [unrolled: 1-line block ×4, first 2 shown]
	s_andn2_b64 exec, exec, s[6:7]
	s_cbranch_execnz .LBB59_65
; %bb.66:                               ;   in Loop: Header=BB59_17 Depth=1
	s_or_b64 exec, exec, s[6:7]
	s_mov_b32 s56, s4
.LBB59_67:                              ;   in Loop: Header=BB59_17 Depth=1
	s_or_b64 exec, exec, s[82:83]
	v_add_u32_e32 v8, s12, v0
	v_cmp_gt_i32_e32 vcc, s73, v8
	s_and_saveexec_b64 s[6:7], vcc
	s_cbranch_execz .LBB59_71
; %bb.68:                               ;   in Loop: Header=BB59_17 Depth=1
	s_and_b32 s12, s78, 0xfe
	v_lshlrev_b32_e32 v16, 1, v8
	s_mov_b64 s[28:29], 0
.LBB59_69:                              ;   Parent Loop BB59_17 Depth=1
                                        ; =>  This Inner Loop Header: Depth=2
	ds_read_u16 v17, v16
	v_add_u32_e32 v8, s66, v8
	v_cmp_le_i32_e32 vcc, s73, v8
	v_add_u32_e32 v16, s76, v16
	s_waitcnt lgkmcnt(0)
	v_cmp_lt_i16_e64 s[18:19], -1, v17
	v_cndmask_b32_e64 v18, v33, v34, s[18:19]
	v_xor_b32_sdwa v18, v18, v17 dst_sel:DWORD dst_unused:UNUSED_PAD src0_sel:DWORD src1_sel:WORD_0
	v_cmp_o_f16_e64 s[18:19], v17, v17
	v_cndmask_b32_e64 v17, v33, v18, s[18:19]
	v_and_b32_e32 v18, s10, v17
	v_bfe_u32 v17, v17, s12, 2
	v_cmp_eq_u32_e64 s[18:19], s11, v18
	v_cmp_eq_u32_e64 s[20:21], 0, v17
	;; [unrolled: 1-line block ×3, first 2 shown]
	s_and_b64 s[14:15], s[18:19], s[20:21]
	v_cmp_eq_u32_e64 s[24:25], 2, v17
	v_cmp_eq_u32_e64 s[26:27], 3, v17
	v_cndmask_b32_e64 v17, 0, 1, s[14:15]
	s_and_b64 s[14:15], s[18:19], s[22:23]
	v_cndmask_b32_e64 v18, 0, 1, s[14:15]
	s_and_b64 s[14:15], s[18:19], s[24:25]
	;; [unrolled: 2-line block ×3, first 2 shown]
	v_cndmask_b32_e64 v39, 0, 1, s[14:15]
	v_cmp_ne_u32_e64 s[18:19], 0, v17
	v_cmp_ne_u32_e64 s[20:21], 0, v18
	;; [unrolled: 1-line block ×4, first 2 shown]
	s_bcnt1_i32_b64 s13, s[18:19]
	s_bcnt1_i32_b64 s14, s[20:21]
	;; [unrolled: 1-line block ×4, first 2 shown]
	v_add_u32_e32 v2, s13, v2
	v_add_u32_e32 v3, s14, v3
	;; [unrolled: 1-line block ×3, first 2 shown]
	s_or_b64 s[28:29], vcc, s[28:29]
	v_add_u32_e32 v5, s16, v5
	s_andn2_b64 exec, exec, s[28:29]
	s_cbranch_execnz .LBB59_69
; %bb.70:                               ;   in Loop: Header=BB59_17 Depth=1
	s_or_b64 exec, exec, s[28:29]
	s_or_b64 s[88:89], s[88:89], exec
.LBB59_71:                              ;   in Loop: Header=BB59_17 Depth=1
	s_or_b64 exec, exec, s[6:7]
.LBB59_72:                              ;   in Loop: Header=BB59_17 Depth=1
	s_and_saveexec_b64 s[6:7], s[88:89]
	s_or_b64 exec, exec, s[6:7]
	s_lshl_b32 s12, s79, 6
	s_and_saveexec_b64 s[6:7], s[2:3]
	s_cbranch_execz .LBB59_74
; %bb.73:                               ;   in Loop: Header=BB59_17 Depth=1
	s_waitcnt vmcnt(0)
	v_or_b32_e32 v8, s12, v23
	v_lshlrev_b32_e32 v8, 2, v8
	ds_write_b128 v8, v[2:5] offset:3072
.LBB59_74:                              ;   in Loop: Header=BB59_17 Depth=1
	s_or_b64 exec, exec, s[6:7]
	s_waitcnt lgkmcnt(0)
	s_barrier
	s_and_saveexec_b64 s[6:7], s[74:75]
	s_cbranch_execz .LBB59_88
; %bb.75:                               ;   in Loop: Header=BB59_17 Depth=1
	v_readlane_b32 s14, v52, 11
	v_readlane_b32 s15, v52, 12
	v_add_u32_e32 v4, s12, v13
	s_andn2_b64 vcc, exec, s[14:15]
	s_waitcnt vmcnt(0)
	v_mov_b32_e32 v2, 0
	s_cbranch_vccnz .LBB59_87
; %bb.76:                               ;   in Loop: Header=BB59_17 Depth=1
	v_readlane_b32 s14, v52, 15
	v_readlane_b32 s15, v52, 16
	s_mov_b32 s13, 0
	s_and_b64 vcc, exec, s[14:15]
	v_mov_b32_e32 v2, 0
	s_cbranch_vccz .LBB59_80
; %bb.77:                               ;   in Loop: Header=BB59_17 Depth=1
	v_readlane_b32 s14, v52, 23
	v_readlane_b32 s15, v52, 24
	v_lshl_add_u32 v5, v4, 2, v36
	s_andn2_b64 vcc, exec, s[14:15]
	s_cbranch_vccnz .LBB59_81
; %bb.78:                               ;   in Loop: Header=BB59_17 Depth=1
	s_mov_b32 s19, 1
	s_mov_b32 s18, 0
	v_mov_b32_e32 v2, 0
	v_readlane_b32 s13, v52, 25
	v_mov_b32_e32 v3, 0
.LBB59_79:                              ;   Parent Loop BB59_17 Depth=1
                                        ; =>  This Inner Loop Header: Depth=2
	v_lshl_add_u32 v8, s18, 4, v5
	v_lshl_add_u32 v39, s19, 4, v5
	ds_read2_b32 v[16:17], v8 offset1:8
	ds_read2_b32 v[18:19], v39 offset1:8
	ds_read2_b32 v[40:41], v8 offset0:16 offset1:24
	ds_read2_b32 v[42:43], v39 offset0:16 offset1:24
	;; [unrolled: 1-line block ×6, first 2 shown]
	s_waitcnt lgkmcnt(7)
	v_add3_u32 v2, v16, v2, v17
	s_waitcnt lgkmcnt(6)
	v_add3_u32 v3, v18, v3, v19
	;; [unrolled: 2-line block ×3, first 2 shown]
	v_add3_u32 v2, v40, v2, v41
	s_add_i32 s19, s19, 16
	s_add_i32 s18, s18, 16
	s_add_i32 s13, s13, -8
	s_waitcnt lgkmcnt(3)
	v_add3_u32 v2, v44, v2, v45
	s_waitcnt lgkmcnt(2)
	v_add3_u32 v3, v46, v3, v47
	s_cmp_lg_u32 s13, 0
	s_waitcnt lgkmcnt(0)
	v_add3_u32 v3, v50, v3, v51
	v_add3_u32 v2, v48, v2, v49
	s_cbranch_scc1 .LBB59_79
	s_branch .LBB59_82
.LBB59_80:                              ;   in Loop: Header=BB59_17 Depth=1
	s_cbranch_execnz .LBB59_85
	s_branch .LBB59_87
.LBB59_81:                              ;   in Loop: Header=BB59_17 Depth=1
	s_mov_b32 s57, s56
	v_pk_mov_b32 v[2:3], s[56:57], s[56:57] op_sel:[0,1]
	s_mov_b32 s57, 1
	s_mov_b64 s[18:19], s[56:57]
.LBB59_82:                              ;   in Loop: Header=BB59_17 Depth=1
	v_readlane_b32 s14, v52, 27
	v_readlane_b32 s15, v52, 28
	s_andn2_b64 vcc, exec, s[14:15]
	v_readlane_b32 s13, v52, 26
	s_cbranch_vccnz .LBB59_84
.LBB59_83:                              ;   Parent Loop BB59_17 Depth=1
                                        ; =>  This Inner Loop Header: Depth=2
	v_lshl_add_u32 v8, s18, 4, v5
	v_lshl_add_u32 v16, s19, 4, v5
	ds_read_b32 v16, v16
	ds_read_b32 v8, v8
	s_add_i32 s19, s19, 2
	s_add_i32 s18, s18, 2
	s_add_i32 s13, s13, -1
	s_cmp_lg_u32 s13, 0
	s_waitcnt lgkmcnt(1)
	v_add_u32_e32 v3, v16, v3
	s_waitcnt lgkmcnt(0)
	v_add_u32_e32 v2, v8, v2
	s_cbranch_scc1 .LBB59_83
.LBB59_84:                              ;   in Loop: Header=BB59_17 Depth=1
	v_readlane_b32 s18, v52, 31
	v_add_u32_e32 v2, v2, v3
	v_readlane_b32 s13, v52, 30
	v_readlane_b32 s19, v52, 32
	s_and_b64 vcc, exec, s[18:19]
	s_cbranch_vccz .LBB59_87
.LBB59_85:                              ;   in Loop: Header=BB59_17 Depth=1
	s_lshl_b32 s14, s79, 8
	s_lshl_b32 s15, s13, 4
	s_add_i32 s14, s14, s15
	v_readlane_b32 s4, v52, 29
	v_add_u32_e32 v3, s14, v32
	s_sub_i32 s13, s4, s13
.LBB59_86:                              ;   Parent Loop BB59_17 Depth=1
                                        ; =>  This Inner Loop Header: Depth=2
	ds_read_b32 v5, v3
	s_add_i32 s13, s13, -1
	v_add_u32_e32 v3, 16, v3
	s_cmp_eq_u32 s13, 0
	s_waitcnt lgkmcnt(0)
	v_add_u32_e32 v2, v5, v2
	s_cbranch_scc0 .LBB59_86
.LBB59_87:                              ;   in Loop: Header=BB59_17 Depth=1
	v_lshlrev_b32_e32 v3, 2, v4
	ds_write_b32 v3, v2 offset:3072
.LBB59_88:                              ;   in Loop: Header=BB59_17 Depth=1
	s_or_b64 exec, exec, s[6:7]
	s_lshl_b32 s6, s12, 2
	s_waitcnt vmcnt(0)
	v_mov_b32_e32 v2, s6
	s_waitcnt lgkmcnt(0)
	s_barrier
	ds_read_b128 v[2:5], v2 offset:3072
	s_and_b32 s45, s78, 0xfe
	s_lshl_b32 s53, 3, s45
	s_not_b32 s46, s53
	s_mov_b64 s[22:23], -1
	s_waitcnt lgkmcnt(0)
	v_readfirstlane_b32 s30, v2
	s_cmp_eq_u32 s30, 1
	s_cselect_b64 s[6:7], -1, 0
	s_cmp_eq_u32 s61, 1
	s_cselect_b64 s[12:13], -1, 0
	s_and_b64 s[24:25], s[6:7], s[12:13]
	v_readfirstlane_b32 s36, v3
	v_readfirstlane_b32 s44, v4
	;; [unrolled: 1-line block ×3, first 2 shown]
	s_and_b64 vcc, exec, s[24:25]
	s_cbranch_vccz .LBB59_100
; %bb.89:                               ;   in Loop: Header=BB59_17 Depth=1
	ds_read_b32 v2, v9 offset:4096
	s_waitcnt lgkmcnt(0)
	s_barrier
	v_readfirstlane_b32 s12, v2
	s_mov_b64 s[6:7], exec
	v_readlane_b32 s14, v52, 17
	v_readlane_b32 s15, v52, 18
	s_and_b64 s[14:15], s[6:7], s[14:15]
	s_mov_b64 exec, s[14:15]
	s_cbranch_execz .LBB59_91
; %bb.90:                               ;   in Loop: Header=BB59_17 Depth=1
	ds_write_b16 v22, v9
.LBB59_91:                              ;   in Loop: Header=BB59_17 Depth=1
	s_or_b64 exec, exec, s[6:7]
	s_and_b32 s11, s11, s46
	s_or_b32 s10, s10, s53
	s_cmp_lt_i32 s12, 1
	s_waitcnt lgkmcnt(0)
	s_barrier
	s_cbranch_scc0 .LBB59_101
; %bb.92:                               ;   in Loop: Header=BB59_17 Depth=1
	s_mov_b64 s[6:7], 0
                                        ; implicit-def: $vgpr38
	s_mov_b64 s[20:21], exec
	v_readlane_b32 s14, v52, 40
	v_readlane_b32 s15, v52, 41
	s_and_b64 s[14:15], s[20:21], s[14:15]
	s_mov_b64 exec, s[14:15]
	s_cbranch_execz .LBB59_103
; %bb.93:                               ;   in Loop: Header=BB59_17 Depth=1
	v_mov_b32_e32 v2, v6
	v_mov_b32_e32 v4, v0
                                        ; implicit-def: $sgpr26_sgpr27
	s_branch .LBB59_95
.LBB59_94:                              ;   in Loop: Header=BB59_95 Depth=2
	s_or_b64 exec, exec, s[18:19]
	s_waitcnt lgkmcnt(0)
	s_barrier
	s_waitcnt vmcnt(0)
	ds_read_b32 v3, v9 offset:3072
	v_add_u32_e32 v4, s66, v4
	v_cmp_le_i32_e64 s[18:19], s9, v4
	v_add_u32_e32 v2, s81, v2
	s_waitcnt lgkmcnt(0)
	v_cmp_neq_f16_e32 vcc, 0, v3
	s_or_b64 s[14:15], s[18:19], vcc
	s_and_b64 s[14:15], exec, s[14:15]
	s_or_b64 s[6:7], s[14:15], s[6:7]
	s_andn2_b64 s[14:15], s[26:27], exec
	s_and_b64 s[18:19], vcc, exec
	s_or_b64 s[26:27], s[14:15], s[18:19]
	s_barrier
	s_andn2_b64 exec, exec, s[6:7]
	s_cbranch_execz .LBB59_102
.LBB59_95:                              ;   Parent Loop BB59_17 Depth=1
                                        ; =>  This Inner Loop Header: Depth=2
	v_cmp_gt_i32_e32 vcc, s60, v4
	v_mov_b32_e32 v3, 0
	s_and_saveexec_b64 s[28:29], vcc
	s_cbranch_execz .LBB59_97
; %bb.96:                               ;   in Loop: Header=BB59_95 Depth=2
	v_ashrrev_i32_e32 v3, 31, v2
	v_lshlrev_b64 v[16:17], 1, v[2:3]
	v_mov_b32_e32 v3, s80
	v_add_co_u32_e64 v16, s[18:19], s64, v16
	v_addc_co_u32_e64 v17, s[18:19], v3, v17, s[18:19]
	global_load_ushort v3, v[16:17], off
.LBB59_97:                              ;   in Loop: Header=BB59_95 Depth=2
	s_or_b64 exec, exec, s[28:29]
	s_and_saveexec_b64 s[18:19], vcc
	s_cbranch_execz .LBB59_94
; %bb.98:                               ;   in Loop: Header=BB59_95 Depth=2
	s_waitcnt vmcnt(0)
	v_cmp_lt_i16_e32 vcc, -1, v3
	v_cndmask_b32_e32 v5, v33, v34, vcc
	v_xor_b32_sdwa v5, v5, v3 dst_sel:DWORD dst_unused:UNUSED_PAD src0_sel:DWORD src1_sel:WORD_0
	v_cmp_o_f16_e32 vcc, v3, v3
	v_cndmask_b32_e32 v5, v33, v5, vcc
	v_and_b32_e32 v5, s10, v5
	v_cmp_eq_u32_e32 vcc, s11, v5
	s_and_b64 exec, exec, vcc
	s_cbranch_execz .LBB59_94
; %bb.99:                               ;   in Loop: Header=BB59_95 Depth=2
	v_perm_b32 v3, v3, s77, v37
	ds_write_b32 v9, v3 offset:3072
	s_branch .LBB59_94
.LBB59_100:                             ;   in Loop: Header=BB59_17 Depth=1
	s_mov_b64 s[6:7], -1
                                        ; implicit-def: $sgpr18_sgpr19
                                        ; implicit-def: $sgpr26_sgpr27
                                        ; implicit-def: $sgpr20_sgpr21
	s_branch .LBB59_114
.LBB59_101:                             ;   in Loop: Header=BB59_17 Depth=1
	s_mov_b64 s[18:19], -1
	s_mov_b64 s[6:7], 0
                                        ; implicit-def: $sgpr20_sgpr21
                                        ; implicit-def: $vgpr38
	s_mov_b64 s[26:27], s[18:19]
	s_cbranch_execnz .LBB59_104
	s_branch .LBB59_114
.LBB59_102:                             ;   in Loop: Header=BB59_17 Depth=1
	s_or_b64 exec, exec, s[6:7]
	v_lshrrev_b32_e32 v38, 16, v3
	s_and_b64 s[6:7], s[26:27], exec
.LBB59_103:                             ;   in Loop: Header=BB59_17 Depth=1
	s_or_b64 exec, exec, s[20:21]
	s_mov_b64 s[20:21], -1
	s_mov_b64 s[18:19], 0
	s_mov_b64 s[26:27], s[18:19]
	s_branch .LBB59_114
.LBB59_104:                             ;   in Loop: Header=BB59_17 Depth=1
	v_readlane_b32 s4, v52, 8
	s_add_i32 s13, s12, s4
	s_abs_i32 s7, s13
	v_readlane_b32 s4, v52, 39
	s_mul_hi_u32 s14, s7, s4
	s_mul_i32 s14, s14, s66
	s_sub_i32 s7, s7, s14
	s_ashr_i32 s6, s13, 31
	s_sub_i32 s14, s7, s66
	s_cmp_ge_u32 s7, s66
	s_cselect_b32 s7, s14, s7
	s_sub_i32 s14, s7, s66
	s_cmp_ge_u32 s7, s66
	s_cselect_b32 s7, s14, s7
	s_xor_b32 s7, s7, s6
	s_sub_i32 s6, s6, s7
	s_add_i32 s13, s13, s6
	v_cmp_gt_i32_e32 vcc, s13, v0
	s_mov_b64 s[6:7], 0
                                        ; implicit-def: $vgpr38
	s_and_saveexec_b64 s[20:21], vcc
	s_cbranch_execz .LBB59_113
; %bb.105:                              ;   in Loop: Header=BB59_17 Depth=1
	v_mov_b32_e32 v2, v21
	v_mov_b32_e32 v3, v0
                                        ; implicit-def: $sgpr26_sgpr27
	s_branch .LBB59_107
.LBB59_106:                             ;   in Loop: Header=BB59_107 Depth=2
	s_or_b64 exec, exec, s[18:19]
	s_waitcnt lgkmcnt(0)
	s_barrier
	ds_read_b32 v4, v9 offset:3072
	v_add_u32_e32 v3, s66, v3
	v_cmp_le_i32_e64 s[18:19], s13, v3
	v_add_u32_e32 v2, s76, v2
	s_waitcnt lgkmcnt(0)
	v_cmp_neq_f16_e32 vcc, 0, v4
	s_or_b64 s[14:15], s[18:19], vcc
	s_and_b64 s[14:15], exec, s[14:15]
	s_or_b64 s[6:7], s[14:15], s[6:7]
	s_andn2_b64 s[14:15], s[26:27], exec
	s_and_b64 s[18:19], vcc, exec
	s_or_b64 s[26:27], s[14:15], s[18:19]
	s_barrier
	s_andn2_b64 exec, exec, s[6:7]
	s_cbranch_execz .LBB59_112
.LBB59_107:                             ;   Parent Loop BB59_17 Depth=1
                                        ; =>  This Inner Loop Header: Depth=2
	v_cmp_gt_i32_e32 vcc, s12, v3
	v_mov_b32_e32 v4, 0
	s_and_saveexec_b64 s[18:19], vcc
	s_cbranch_execz .LBB59_109
; %bb.108:                              ;   in Loop: Header=BB59_107 Depth=2
	ds_read_u16 v4, v2
.LBB59_109:                             ;   in Loop: Header=BB59_107 Depth=2
	s_or_b64 exec, exec, s[18:19]
	s_and_saveexec_b64 s[18:19], vcc
	s_cbranch_execz .LBB59_106
; %bb.110:                              ;   in Loop: Header=BB59_107 Depth=2
	s_waitcnt lgkmcnt(0)
	v_cmp_lt_i16_e32 vcc, -1, v4
	v_cndmask_b32_e32 v5, v33, v34, vcc
	v_xor_b32_sdwa v5, v5, v4 dst_sel:DWORD dst_unused:UNUSED_PAD src0_sel:DWORD src1_sel:WORD_0
	v_cmp_o_f16_e32 vcc, v4, v4
	v_cndmask_b32_e32 v5, v33, v5, vcc
	v_and_b32_e32 v5, s10, v5
	v_cmp_eq_u32_e32 vcc, s11, v5
	s_and_b64 exec, exec, vcc
	s_cbranch_execz .LBB59_106
; %bb.111:                              ;   in Loop: Header=BB59_107 Depth=2
	v_perm_b32 v4, v4, s77, v37
	ds_write_b32 v9, v4 offset:3072
	s_branch .LBB59_106
.LBB59_112:                             ;   in Loop: Header=BB59_17 Depth=1
	s_or_b64 exec, exec, s[6:7]
	v_lshrrev_b32_e32 v38, 16, v4
	s_and_b64 s[6:7], s[26:27], exec
.LBB59_113:                             ;   in Loop: Header=BB59_17 Depth=1
	s_or_b64 exec, exec, s[20:21]
	s_mov_b64 s[26:27], -1
	s_mov_b64 s[18:19], 0
	s_mov_b64 s[20:21], 0
.LBB59_114:                             ;   in Loop: Header=BB59_17 Depth=1
	s_andn2_b64 s[12:13], s[86:87], exec
	s_and_b64 s[14:15], s[18:19], exec
	s_or_b64 s[86:87], s[12:13], s[14:15]
	s_andn2_b64 s[12:13], s[84:85], exec
	s_and_b64 s[14:15], s[26:27], exec
	s_or_b64 s[84:85], s[12:13], s[14:15]
	s_andn2_b64 s[12:13], s[70:71], exec
	s_and_b64 s[14:15], s[20:21], exec
	s_or_b64 s[70:71], s[12:13], s[14:15]
	s_and_saveexec_b64 s[20:21], s[6:7]
	s_cbranch_execz .LBB59_16
; %bb.115:                              ;   in Loop: Header=BB59_17 Depth=1
	s_xor_b64 s[12:13], s[24:25], -1
	s_mov_b64 s[6:7], 0
	s_andn2_b64 vcc, exec, s[12:13]
	s_mov_b32 s37, 1
	s_cbranch_vccnz .LBB59_126
; %bb.116:                              ;   in Loop: Header=BB59_17 Depth=1
	s_cmp_gt_i32 s61, s30
	s_mov_b64 s[6:7], -1
                                        ; implicit-def: $sgpr55
                                        ; implicit-def: $sgpr12
                                        ; implicit-def: $sgpr13
	s_cbranch_scc1 .LBB59_122
; %bb.117:                              ;   in Loop: Header=BB59_17 Depth=1
	ds_read_b32 v2, v9 offset:4096
	s_waitcnt lgkmcnt(0)
	v_cmp_ne_u32_e32 vcc, 0, v2
	s_cbranch_vccnz .LBB59_121
; %bb.118:                              ;   in Loop: Header=BB59_17 Depth=1
	s_mov_b64 s[6:7], exec
	v_readlane_b32 s12, v52, 5
	v_readlane_b32 s13, v52, 6
	s_and_b64 s[12:13], s[6:7], s[12:13]
	s_mov_b64 exec, s[12:13]
	s_cbranch_execz .LBB59_120
; %bb.119:                              ;   in Loop: Header=BB59_17 Depth=1
	v_mov_b32_e32 v2, s30
	ds_write_b32 v9, v2 offset:4100
.LBB59_120:                             ;   in Loop: Header=BB59_17 Depth=1
	s_or_b64 exec, exec, s[6:7]
	s_waitcnt lgkmcnt(0)
	s_barrier
.LBB59_121:                             ;   in Loop: Header=BB59_17 Depth=1
	s_and_b32 s12, s11, s46
	s_or_b32 s13, s10, s53
	s_mov_b64 s[6:7], 0
	s_mov_b32 s55, 8
.LBB59_122:                             ;   in Loop: Header=BB59_17 Depth=1
	s_andn2_b64 vcc, exec, s[6:7]
	s_cbranch_vccnz .LBB59_124
; %bb.123:                              ;   in Loop: Header=BB59_17 Depth=1
	s_sub_i32 s61, s61, s30
	s_mov_b64 s[6:7], -1
	s_mov_b32 s55, 0
	s_mov_b32 s12, s11
	;; [unrolled: 1-line block ×3, first 2 shown]
.LBB59_124:                             ;   in Loop: Header=BB59_17 Depth=1
	s_mov_b32 s10, s13
	s_mov_b32 s11, s12
	;; [unrolled: 1-line block ×3, first 2 shown]
	s_mov_b64 s[22:23], -1
	s_and_b64 vcc, exec, s[6:7]
	s_cbranch_vccnz .LBB59_127
.LBB59_125:                             ;   in Loop: Header=BB59_17 Depth=1
	s_mov_b64 s[18:19], -1
                                        ; implicit-def: $sgpr24_sgpr25
                                        ; implicit-def: $sgpr28_sgpr29
                                        ; implicit-def: $sgpr26_sgpr27
	s_and_saveexec_b64 s[6:7], s[18:19]
	s_xor_b64 s[6:7], exec, s[6:7]
	s_cbranch_execz .LBB59_15
	s_branch .LBB59_250
.LBB59_126:                             ;   in Loop: Header=BB59_17 Depth=1
	s_mov_b32 s55, 1
	s_mov_b64 s[22:23], -1
	s_and_b64 vcc, exec, s[6:7]
	s_cbranch_vccz .LBB59_125
.LBB59_127:                             ;   in Loop: Header=BB59_17 Depth=1
	s_cmp_eq_u32 s36, 1
	s_cselect_b64 s[6:7], -1, 0
	s_cmp_eq_u32 s37, 1
	s_cselect_b64 s[12:13], -1, 0
	s_and_b64 s[34:35], s[6:7], s[12:13]
	s_mov_b64 s[6:7], -1
	s_and_b64 vcc, exec, s[34:35]
	s_cbranch_vccz .LBB59_139
; %bb.128:                              ;   in Loop: Header=BB59_17 Depth=1
	ds_read_b32 v2, v9 offset:4096
	s_waitcnt lgkmcnt(0)
	s_barrier
	v_readfirstlane_b32 s12, v2
	s_mov_b64 s[6:7], exec
	v_readlane_b32 s14, v52, 17
	v_readlane_b32 s15, v52, 18
	s_and_b64 s[14:15], s[6:7], s[14:15]
	s_mov_b64 exec, s[14:15]
	s_cbranch_execz .LBB59_130
; %bb.129:                              ;   in Loop: Header=BB59_17 Depth=1
	ds_write_b16 v22, v9
.LBB59_130:                             ;   in Loop: Header=BB59_17 Depth=1
	s_or_b64 exec, exec, s[6:7]
	s_lshl_b32 s6, 1, s45
	s_and_b32 s7, s11, s46
	s_or_b32 s11, s7, s6
	s_or_b32 s10, s10, s53
	s_cmp_gt_i32 s12, 0
	s_waitcnt lgkmcnt(0)
	s_barrier
	s_cbranch_scc1 .LBB59_140
; %bb.131:                              ;   in Loop: Header=BB59_17 Depth=1
	s_mov_b64 s[6:7], 0
                                        ; implicit-def: $vgpr38
	s_mov_b64 s[24:25], exec
	v_readlane_b32 s14, v52, 40
	v_readlane_b32 s15, v52, 41
	s_and_b64 s[14:15], s[24:25], s[14:15]
	s_mov_b64 exec, s[14:15]
	s_cbranch_execz .LBB59_142
; %bb.132:                              ;   in Loop: Header=BB59_17 Depth=1
	v_mov_b32_e32 v2, v6
	v_mov_b32_e32 v4, v0
                                        ; implicit-def: $sgpr26_sgpr27
	s_branch .LBB59_134
.LBB59_133:                             ;   in Loop: Header=BB59_134 Depth=2
	s_or_b64 exec, exec, s[18:19]
	s_waitcnt lgkmcnt(0)
	s_barrier
	s_waitcnt vmcnt(0)
	ds_read_b32 v3, v9 offset:3072
	v_add_u32_e32 v4, s66, v4
	v_cmp_le_i32_e64 s[18:19], s9, v4
	v_add_u32_e32 v2, s81, v2
	s_waitcnt lgkmcnt(0)
	v_cmp_neq_f16_e32 vcc, 0, v3
	s_or_b64 s[14:15], s[18:19], vcc
	s_and_b64 s[14:15], exec, s[14:15]
	s_or_b64 s[6:7], s[14:15], s[6:7]
	s_andn2_b64 s[14:15], s[26:27], exec
	s_and_b64 s[18:19], vcc, exec
	s_or_b64 s[26:27], s[14:15], s[18:19]
	s_barrier
	s_andn2_b64 exec, exec, s[6:7]
	s_cbranch_execz .LBB59_141
.LBB59_134:                             ;   Parent Loop BB59_17 Depth=1
                                        ; =>  This Inner Loop Header: Depth=2
	v_cmp_gt_i32_e32 vcc, s60, v4
	v_mov_b32_e32 v3, 0
	s_and_saveexec_b64 s[28:29], vcc
	s_cbranch_execz .LBB59_136
; %bb.135:                              ;   in Loop: Header=BB59_134 Depth=2
	v_ashrrev_i32_e32 v3, 31, v2
	v_lshlrev_b64 v[16:17], 1, v[2:3]
	v_mov_b32_e32 v3, s80
	v_add_co_u32_e64 v16, s[18:19], s64, v16
	v_addc_co_u32_e64 v17, s[18:19], v3, v17, s[18:19]
	global_load_ushort v3, v[16:17], off
.LBB59_136:                             ;   in Loop: Header=BB59_134 Depth=2
	s_or_b64 exec, exec, s[28:29]
	s_and_saveexec_b64 s[18:19], vcc
	s_cbranch_execz .LBB59_133
; %bb.137:                              ;   in Loop: Header=BB59_134 Depth=2
	s_waitcnt vmcnt(0)
	v_cmp_lt_i16_e32 vcc, -1, v3
	v_cndmask_b32_e32 v5, v33, v34, vcc
	v_xor_b32_sdwa v5, v5, v3 dst_sel:DWORD dst_unused:UNUSED_PAD src0_sel:DWORD src1_sel:WORD_0
	v_cmp_o_f16_e32 vcc, v3, v3
	v_cndmask_b32_e32 v5, v33, v5, vcc
	v_and_b32_e32 v5, s10, v5
	v_cmp_eq_u32_e32 vcc, s11, v5
	s_and_b64 exec, exec, vcc
	s_cbranch_execz .LBB59_133
; %bb.138:                              ;   in Loop: Header=BB59_134 Depth=2
	v_perm_b32 v3, v3, s77, v37
	ds_write_b32 v9, v3 offset:3072
	s_branch .LBB59_133
.LBB59_139:                             ;   in Loop: Header=BB59_17 Depth=1
                                        ; implicit-def: $sgpr26_sgpr27
                                        ; implicit-def: $sgpr28_sgpr29
                                        ; implicit-def: $sgpr24_sgpr25
	s_branch .LBB59_153
.LBB59_140:                             ;   in Loop: Header=BB59_17 Depth=1
	s_mov_b64 s[26:27], -1
	s_mov_b64 s[6:7], 0
                                        ; implicit-def: $sgpr24_sgpr25
                                        ; implicit-def: $vgpr38
	s_mov_b64 s[28:29], s[26:27]
	s_cbranch_execnz .LBB59_143
	s_branch .LBB59_153
.LBB59_141:                             ;   in Loop: Header=BB59_17 Depth=1
	s_or_b64 exec, exec, s[6:7]
	v_lshrrev_b32_e32 v38, 16, v3
	s_and_b64 s[6:7], s[26:27], exec
.LBB59_142:                             ;   in Loop: Header=BB59_17 Depth=1
	s_or_b64 exec, exec, s[24:25]
	s_mov_b64 s[24:25], -1
	s_mov_b64 s[26:27], 0
	s_mov_b64 s[28:29], s[26:27]
	s_branch .LBB59_153
.LBB59_143:                             ;   in Loop: Header=BB59_17 Depth=1
	v_readlane_b32 s4, v52, 8
	s_add_i32 s13, s12, s4
	s_abs_i32 s7, s13
	v_readlane_b32 s4, v52, 39
	s_mul_hi_u32 s14, s7, s4
	s_mul_i32 s14, s14, s66
	s_sub_i32 s7, s7, s14
	s_ashr_i32 s6, s13, 31
	s_sub_i32 s14, s7, s66
	s_cmp_ge_u32 s7, s66
	s_cselect_b32 s7, s14, s7
	s_sub_i32 s14, s7, s66
	s_cmp_ge_u32 s7, s66
	s_cselect_b32 s7, s14, s7
	s_xor_b32 s7, s7, s6
	s_sub_i32 s6, s6, s7
	s_add_i32 s13, s13, s6
	v_cmp_gt_i32_e32 vcc, s13, v0
	s_mov_b64 s[6:7], 0
                                        ; implicit-def: $vgpr38
	s_and_saveexec_b64 s[24:25], vcc
	s_cbranch_execz .LBB59_152
; %bb.144:                              ;   in Loop: Header=BB59_17 Depth=1
	v_mov_b32_e32 v2, v21
	v_mov_b32_e32 v3, v0
                                        ; implicit-def: $sgpr26_sgpr27
	s_branch .LBB59_146
.LBB59_145:                             ;   in Loop: Header=BB59_146 Depth=2
	s_or_b64 exec, exec, s[18:19]
	s_waitcnt lgkmcnt(0)
	s_barrier
	ds_read_b32 v4, v9 offset:3072
	v_add_u32_e32 v3, s66, v3
	v_cmp_le_i32_e64 s[18:19], s13, v3
	v_add_u32_e32 v2, s76, v2
	s_waitcnt lgkmcnt(0)
	v_cmp_neq_f16_e32 vcc, 0, v4
	s_or_b64 s[14:15], s[18:19], vcc
	s_and_b64 s[14:15], exec, s[14:15]
	s_or_b64 s[6:7], s[14:15], s[6:7]
	s_andn2_b64 s[14:15], s[26:27], exec
	s_and_b64 s[18:19], vcc, exec
	s_or_b64 s[26:27], s[14:15], s[18:19]
	s_barrier
	s_andn2_b64 exec, exec, s[6:7]
	s_cbranch_execz .LBB59_151
.LBB59_146:                             ;   Parent Loop BB59_17 Depth=1
                                        ; =>  This Inner Loop Header: Depth=2
	v_cmp_gt_i32_e32 vcc, s12, v3
	v_mov_b32_e32 v4, 0
	s_and_saveexec_b64 s[18:19], vcc
	s_cbranch_execz .LBB59_148
; %bb.147:                              ;   in Loop: Header=BB59_146 Depth=2
	ds_read_u16 v4, v2
.LBB59_148:                             ;   in Loop: Header=BB59_146 Depth=2
	s_or_b64 exec, exec, s[18:19]
	s_and_saveexec_b64 s[18:19], vcc
	s_cbranch_execz .LBB59_145
; %bb.149:                              ;   in Loop: Header=BB59_146 Depth=2
	s_waitcnt lgkmcnt(0)
	v_cmp_lt_i16_e32 vcc, -1, v4
	v_cndmask_b32_e32 v5, v33, v34, vcc
	v_xor_b32_sdwa v5, v5, v4 dst_sel:DWORD dst_unused:UNUSED_PAD src0_sel:DWORD src1_sel:WORD_0
	v_cmp_o_f16_e32 vcc, v4, v4
	v_cndmask_b32_e32 v5, v33, v5, vcc
	v_and_b32_e32 v5, s10, v5
	v_cmp_eq_u32_e32 vcc, s11, v5
	s_and_b64 exec, exec, vcc
	s_cbranch_execz .LBB59_145
; %bb.150:                              ;   in Loop: Header=BB59_146 Depth=2
	v_perm_b32 v4, v4, s77, v37
	ds_write_b32 v9, v4 offset:3072
	s_branch .LBB59_145
.LBB59_151:                             ;   in Loop: Header=BB59_17 Depth=1
	s_or_b64 exec, exec, s[6:7]
	v_lshrrev_b32_e32 v38, 16, v4
	s_and_b64 s[6:7], s[26:27], exec
.LBB59_152:                             ;   in Loop: Header=BB59_17 Depth=1
	s_or_b64 exec, exec, s[24:25]
	s_mov_b64 s[28:29], -1
	s_mov_b64 s[26:27], 0
	s_mov_b64 s[24:25], 0
.LBB59_153:                             ;   in Loop: Header=BB59_17 Depth=1
	s_mov_b64 s[18:19], 0
                                        ; implicit-def: $sgpr55
	s_and_saveexec_b64 s[30:31], s[6:7]
	s_cbranch_execz .LBB59_249
; %bb.154:                              ;   in Loop: Header=BB59_17 Depth=1
	s_xor_b64 s[12:13], s[34:35], -1
	s_mov_b64 s[6:7], 0
	s_andn2_b64 vcc, exec, s[12:13]
	s_mov_b32 s47, 1
	s_cbranch_vccnz .LBB59_165
; %bb.155:                              ;   in Loop: Header=BB59_17 Depth=1
	s_cmp_gt_i32 s37, s36
	s_mov_b64 s[6:7], -1
                                        ; implicit-def: $sgpr55
                                        ; implicit-def: $sgpr12
                                        ; implicit-def: $sgpr13
	s_cbranch_scc1 .LBB59_161
; %bb.156:                              ;   in Loop: Header=BB59_17 Depth=1
	ds_read_b32 v2, v9 offset:4096
	s_waitcnt lgkmcnt(0)
	v_cmp_ne_u32_e32 vcc, 0, v2
	s_cbranch_vccnz .LBB59_160
; %bb.157:                              ;   in Loop: Header=BB59_17 Depth=1
	s_mov_b64 s[6:7], exec
	v_readlane_b32 s12, v52, 5
	v_readlane_b32 s13, v52, 6
	s_and_b64 s[12:13], s[6:7], s[12:13]
	s_mov_b64 exec, s[12:13]
	s_cbranch_execz .LBB59_159
; %bb.158:                              ;   in Loop: Header=BB59_17 Depth=1
	v_mov_b32_e32 v2, s36
	ds_write_b32 v9, v2 offset:4100
.LBB59_159:                             ;   in Loop: Header=BB59_17 Depth=1
	s_or_b64 exec, exec, s[6:7]
	s_waitcnt lgkmcnt(0)
	s_barrier
.LBB59_160:                             ;   in Loop: Header=BB59_17 Depth=1
	s_lshl_b32 s6, 1, s45
	s_and_b32 s7, s11, s46
	s_or_b32 s12, s7, s6
	s_or_b32 s13, s10, s53
	s_mov_b64 s[6:7], 0
	s_mov_b32 s55, 8
.LBB59_161:                             ;   in Loop: Header=BB59_17 Depth=1
	s_andn2_b64 vcc, exec, s[6:7]
	s_cbranch_vccnz .LBB59_163
; %bb.162:                              ;   in Loop: Header=BB59_17 Depth=1
	s_sub_i32 s37, s37, s36
	s_mov_b64 s[6:7], -1
	s_mov_b32 s55, 0
	s_mov_b32 s12, s11
	;; [unrolled: 1-line block ×3, first 2 shown]
.LBB59_163:                             ;   in Loop: Header=BB59_17 Depth=1
	s_mov_b32 s10, s13
	s_mov_b32 s11, s12
	;; [unrolled: 1-line block ×3, first 2 shown]
	s_andn2_b64 vcc, exec, s[6:7]
	s_mov_b64 s[18:19], -1
	s_cbranch_vccz .LBB59_166
.LBB59_164:                             ;   in Loop: Header=BB59_17 Depth=1
                                        ; implicit-def: $sgpr36_sgpr37
                                        ; implicit-def: $sgpr38_sgpr39
                                        ; implicit-def: $sgpr34_sgpr35
	s_branch .LBB59_248
.LBB59_165:                             ;   in Loop: Header=BB59_17 Depth=1
	s_mov_b32 s55, 1
	s_andn2_b64 vcc, exec, s[6:7]
	s_mov_b64 s[18:19], -1
	s_cbranch_vccnz .LBB59_164
.LBB59_166:                             ;   in Loop: Header=BB59_17 Depth=1
	s_cmp_eq_u32 s44, 1
	s_cselect_b64 s[6:7], -1, 0
	s_cmp_eq_u32 s47, 1
	s_cselect_b64 s[12:13], -1, 0
	s_and_b64 s[42:43], s[6:7], s[12:13]
	s_mov_b64 s[6:7], -1
	s_and_b64 vcc, exec, s[42:43]
	s_cbranch_vccz .LBB59_178
; %bb.167:                              ;   in Loop: Header=BB59_17 Depth=1
	ds_read_b32 v2, v9 offset:4096
	s_waitcnt lgkmcnt(0)
	s_barrier
	v_readfirstlane_b32 s12, v2
	s_mov_b64 s[6:7], exec
	v_readlane_b32 s14, v52, 17
	v_readlane_b32 s15, v52, 18
	s_and_b64 s[14:15], s[6:7], s[14:15]
	s_mov_b64 exec, s[14:15]
	s_cbranch_execz .LBB59_169
; %bb.168:                              ;   in Loop: Header=BB59_17 Depth=1
	ds_write_b16 v22, v9
.LBB59_169:                             ;   in Loop: Header=BB59_17 Depth=1
	s_or_b64 exec, exec, s[6:7]
	s_lshl_b32 s6, 2, s45
	s_and_b32 s7, s11, s46
	s_or_b32 s11, s7, s6
	s_or_b32 s10, s10, s53
	s_cmp_gt_i32 s12, 0
	s_waitcnt lgkmcnt(0)
	s_barrier
	s_cbranch_scc1 .LBB59_179
; %bb.170:                              ;   in Loop: Header=BB59_17 Depth=1
	s_mov_b64 s[6:7], 0
                                        ; implicit-def: $vgpr38
	s_mov_b64 s[34:35], exec
	v_readlane_b32 s14, v52, 40
	v_readlane_b32 s15, v52, 41
	s_and_b64 s[14:15], s[34:35], s[14:15]
	s_mov_b64 exec, s[14:15]
	s_cbranch_execz .LBB59_181
; %bb.171:                              ;   in Loop: Header=BB59_17 Depth=1
	v_mov_b32_e32 v2, v6
	v_mov_b32_e32 v4, v0
                                        ; implicit-def: $sgpr36_sgpr37
	s_branch .LBB59_173
.LBB59_172:                             ;   in Loop: Header=BB59_173 Depth=2
	s_or_b64 exec, exec, s[18:19]
	s_waitcnt lgkmcnt(0)
	s_barrier
	s_waitcnt vmcnt(0)
	ds_read_b32 v3, v9 offset:3072
	v_add_u32_e32 v4, s66, v4
	v_cmp_le_i32_e64 s[18:19], s9, v4
	v_add_u32_e32 v2, s81, v2
	s_waitcnt lgkmcnt(0)
	v_cmp_neq_f16_e32 vcc, 0, v3
	s_or_b64 s[14:15], s[18:19], vcc
	s_and_b64 s[14:15], exec, s[14:15]
	s_or_b64 s[6:7], s[14:15], s[6:7]
	s_andn2_b64 s[14:15], s[36:37], exec
	s_and_b64 s[18:19], vcc, exec
	s_or_b64 s[36:37], s[14:15], s[18:19]
	s_barrier
	s_andn2_b64 exec, exec, s[6:7]
	s_cbranch_execz .LBB59_180
.LBB59_173:                             ;   Parent Loop BB59_17 Depth=1
                                        ; =>  This Inner Loop Header: Depth=2
	v_cmp_gt_i32_e32 vcc, s60, v4
	v_mov_b32_e32 v3, 0
	s_and_saveexec_b64 s[38:39], vcc
	s_cbranch_execz .LBB59_175
; %bb.174:                              ;   in Loop: Header=BB59_173 Depth=2
	v_ashrrev_i32_e32 v3, 31, v2
	v_lshlrev_b64 v[16:17], 1, v[2:3]
	v_mov_b32_e32 v3, s80
	v_add_co_u32_e64 v16, s[18:19], s64, v16
	v_addc_co_u32_e64 v17, s[18:19], v3, v17, s[18:19]
	global_load_ushort v3, v[16:17], off
.LBB59_175:                             ;   in Loop: Header=BB59_173 Depth=2
	s_or_b64 exec, exec, s[38:39]
	s_and_saveexec_b64 s[18:19], vcc
	s_cbranch_execz .LBB59_172
; %bb.176:                              ;   in Loop: Header=BB59_173 Depth=2
	s_waitcnt vmcnt(0)
	v_cmp_lt_i16_e32 vcc, -1, v3
	v_cndmask_b32_e32 v5, v33, v34, vcc
	v_xor_b32_sdwa v5, v5, v3 dst_sel:DWORD dst_unused:UNUSED_PAD src0_sel:DWORD src1_sel:WORD_0
	v_cmp_o_f16_e32 vcc, v3, v3
	v_cndmask_b32_e32 v5, v33, v5, vcc
	v_and_b32_e32 v5, s10, v5
	v_cmp_eq_u32_e32 vcc, s11, v5
	s_and_b64 exec, exec, vcc
	s_cbranch_execz .LBB59_172
; %bb.177:                              ;   in Loop: Header=BB59_173 Depth=2
	v_perm_b32 v3, v3, s77, v37
	ds_write_b32 v9, v3 offset:3072
	s_branch .LBB59_172
.LBB59_178:                             ;   in Loop: Header=BB59_17 Depth=1
                                        ; implicit-def: $sgpr34_sgpr35
                                        ; implicit-def: $sgpr38_sgpr39
                                        ; implicit-def: $sgpr36_sgpr37
	s_branch .LBB59_192
.LBB59_179:                             ;   in Loop: Header=BB59_17 Depth=1
	s_mov_b64 s[34:35], -1
	s_mov_b64 s[6:7], 0
                                        ; implicit-def: $sgpr36_sgpr37
                                        ; implicit-def: $vgpr38
	s_mov_b64 s[38:39], s[34:35]
	s_cbranch_execnz .LBB59_182
	s_branch .LBB59_192
.LBB59_180:                             ;   in Loop: Header=BB59_17 Depth=1
	s_or_b64 exec, exec, s[6:7]
	v_lshrrev_b32_e32 v38, 16, v3
	s_and_b64 s[6:7], s[36:37], exec
.LBB59_181:                             ;   in Loop: Header=BB59_17 Depth=1
	s_or_b64 exec, exec, s[34:35]
	s_mov_b64 s[36:37], -1
	s_mov_b64 s[34:35], 0
	s_mov_b64 s[38:39], s[34:35]
	s_branch .LBB59_192
.LBB59_182:                             ;   in Loop: Header=BB59_17 Depth=1
	v_readlane_b32 s4, v52, 8
	s_add_i32 s13, s12, s4
	s_abs_i32 s7, s13
	v_readlane_b32 s4, v52, 39
	s_mul_hi_u32 s14, s7, s4
	s_mul_i32 s14, s14, s66
	s_sub_i32 s7, s7, s14
	s_ashr_i32 s6, s13, 31
	s_sub_i32 s14, s7, s66
	s_cmp_ge_u32 s7, s66
	s_cselect_b32 s7, s14, s7
	s_sub_i32 s14, s7, s66
	s_cmp_ge_u32 s7, s66
	s_cselect_b32 s7, s14, s7
	s_xor_b32 s7, s7, s6
	s_sub_i32 s6, s6, s7
	s_add_i32 s13, s13, s6
	v_cmp_gt_i32_e32 vcc, s13, v0
	s_mov_b64 s[6:7], 0
                                        ; implicit-def: $vgpr38
	s_and_saveexec_b64 s[34:35], vcc
	s_cbranch_execz .LBB59_191
; %bb.183:                              ;   in Loop: Header=BB59_17 Depth=1
	v_mov_b32_e32 v2, v21
	v_mov_b32_e32 v3, v0
                                        ; implicit-def: $sgpr36_sgpr37
	s_branch .LBB59_185
.LBB59_184:                             ;   in Loop: Header=BB59_185 Depth=2
	s_or_b64 exec, exec, s[18:19]
	s_waitcnt lgkmcnt(0)
	s_barrier
	ds_read_b32 v4, v9 offset:3072
	v_add_u32_e32 v3, s66, v3
	v_cmp_le_i32_e64 s[18:19], s13, v3
	v_add_u32_e32 v2, s76, v2
	s_waitcnt lgkmcnt(0)
	v_cmp_neq_f16_e32 vcc, 0, v4
	s_or_b64 s[14:15], s[18:19], vcc
	s_and_b64 s[14:15], exec, s[14:15]
	s_or_b64 s[6:7], s[14:15], s[6:7]
	s_andn2_b64 s[14:15], s[36:37], exec
	s_and_b64 s[18:19], vcc, exec
	s_or_b64 s[36:37], s[14:15], s[18:19]
	s_barrier
	s_andn2_b64 exec, exec, s[6:7]
	s_cbranch_execz .LBB59_190
.LBB59_185:                             ;   Parent Loop BB59_17 Depth=1
                                        ; =>  This Inner Loop Header: Depth=2
	v_cmp_gt_i32_e32 vcc, s12, v3
	v_mov_b32_e32 v4, 0
	s_and_saveexec_b64 s[18:19], vcc
	s_cbranch_execz .LBB59_187
; %bb.186:                              ;   in Loop: Header=BB59_185 Depth=2
	ds_read_u16 v4, v2
.LBB59_187:                             ;   in Loop: Header=BB59_185 Depth=2
	s_or_b64 exec, exec, s[18:19]
	s_and_saveexec_b64 s[18:19], vcc
	s_cbranch_execz .LBB59_184
; %bb.188:                              ;   in Loop: Header=BB59_185 Depth=2
	s_waitcnt lgkmcnt(0)
	v_cmp_lt_i16_e32 vcc, -1, v4
	v_cndmask_b32_e32 v5, v33, v34, vcc
	v_xor_b32_sdwa v5, v5, v4 dst_sel:DWORD dst_unused:UNUSED_PAD src0_sel:DWORD src1_sel:WORD_0
	v_cmp_o_f16_e32 vcc, v4, v4
	v_cndmask_b32_e32 v5, v33, v5, vcc
	v_and_b32_e32 v5, s10, v5
	v_cmp_eq_u32_e32 vcc, s11, v5
	s_and_b64 exec, exec, vcc
	s_cbranch_execz .LBB59_184
; %bb.189:                              ;   in Loop: Header=BB59_185 Depth=2
	v_perm_b32 v4, v4, s77, v37
	ds_write_b32 v9, v4 offset:3072
	s_branch .LBB59_184
.LBB59_190:                             ;   in Loop: Header=BB59_17 Depth=1
	s_or_b64 exec, exec, s[6:7]
	v_lshrrev_b32_e32 v38, 16, v4
	s_and_b64 s[6:7], s[36:37], exec
.LBB59_191:                             ;   in Loop: Header=BB59_17 Depth=1
	s_or_b64 exec, exec, s[34:35]
	s_mov_b64 s[38:39], -1
	s_mov_b64 s[34:35], 0
	s_mov_b64 s[36:37], 0
.LBB59_192:                             ;   in Loop: Header=BB59_17 Depth=1
	s_mov_b64 s[18:19], 0
                                        ; implicit-def: $sgpr55
	s_and_saveexec_b64 s[40:41], s[6:7]
	s_cbranch_execz .LBB59_247
; %bb.193:                              ;   in Loop: Header=BB59_17 Depth=1
	s_xor_b64 s[12:13], s[42:43], -1
	s_mov_b64 s[6:7], 0
	s_andn2_b64 vcc, exec, s[12:13]
	s_mov_b32 s54, 1
	s_cbranch_vccnz .LBB59_204
; %bb.194:                              ;   in Loop: Header=BB59_17 Depth=1
	s_cmp_gt_i32 s47, s44
	s_mov_b64 s[6:7], -1
                                        ; implicit-def: $sgpr55
                                        ; implicit-def: $sgpr12
                                        ; implicit-def: $sgpr13
	s_cbranch_scc1 .LBB59_200
; %bb.195:                              ;   in Loop: Header=BB59_17 Depth=1
	ds_read_b32 v2, v9 offset:4096
	s_waitcnt lgkmcnt(0)
	v_cmp_ne_u32_e32 vcc, 0, v2
	s_cbranch_vccnz .LBB59_199
; %bb.196:                              ;   in Loop: Header=BB59_17 Depth=1
	s_mov_b64 s[6:7], exec
	v_readlane_b32 s12, v52, 5
	v_readlane_b32 s13, v52, 6
	s_and_b64 s[12:13], s[6:7], s[12:13]
	s_mov_b64 exec, s[12:13]
	s_cbranch_execz .LBB59_198
; %bb.197:                              ;   in Loop: Header=BB59_17 Depth=1
	v_mov_b32_e32 v2, s44
	ds_write_b32 v9, v2 offset:4100
.LBB59_198:                             ;   in Loop: Header=BB59_17 Depth=1
	s_or_b64 exec, exec, s[6:7]
	s_waitcnt lgkmcnt(0)
	s_barrier
.LBB59_199:                             ;   in Loop: Header=BB59_17 Depth=1
	s_lshl_b32 s6, 2, s45
	s_and_b32 s7, s11, s46
	s_or_b32 s12, s7, s6
	s_or_b32 s13, s10, s53
	s_mov_b64 s[6:7], 0
	s_mov_b32 s55, 8
.LBB59_200:                             ;   in Loop: Header=BB59_17 Depth=1
	s_andn2_b64 vcc, exec, s[6:7]
	s_cbranch_vccnz .LBB59_202
; %bb.201:                              ;   in Loop: Header=BB59_17 Depth=1
	s_sub_i32 s47, s47, s44
	s_mov_b64 s[6:7], -1
	s_mov_b32 s55, 0
	s_mov_b32 s12, s11
	;; [unrolled: 1-line block ×3, first 2 shown]
.LBB59_202:                             ;   in Loop: Header=BB59_17 Depth=1
	s_mov_b32 s10, s13
	s_mov_b32 s11, s12
	s_mov_b32 s54, s47
	s_andn2_b64 vcc, exec, s[6:7]
	s_mov_b64 s[50:51], -1
	s_cbranch_vccz .LBB59_205
.LBB59_203:                             ;   in Loop: Header=BB59_17 Depth=1
                                        ; implicit-def: $sgpr6_sgpr7
                                        ; implicit-def: $sgpr44_sgpr45
                                        ; implicit-def: $sgpr18_sgpr19
	s_branch .LBB59_246
.LBB59_204:                             ;   in Loop: Header=BB59_17 Depth=1
	s_mov_b32 s55, 1
	s_andn2_b64 vcc, exec, s[6:7]
	s_mov_b64 s[50:51], -1
	s_cbranch_vccnz .LBB59_203
.LBB59_205:                             ;   in Loop: Header=BB59_17 Depth=1
	s_cmp_eq_u32 s52, 1
	s_cselect_b64 s[6:7], -1, 0
	s_cmp_eq_u32 s54, 1
	s_cselect_b64 s[12:13], -1, 0
	s_and_b64 s[42:43], s[6:7], s[12:13]
	s_mov_b64 s[46:47], -1
	s_and_b64 vcc, exec, s[42:43]
	s_cbranch_vccz .LBB59_217
; %bb.206:                              ;   in Loop: Header=BB59_17 Depth=1
	ds_read_b32 v2, v9 offset:4096
	s_waitcnt lgkmcnt(0)
	s_barrier
	v_readfirstlane_b32 s12, v2
	s_mov_b64 s[6:7], exec
	v_readlane_b32 s14, v52, 17
	v_readlane_b32 s15, v52, 18
	s_and_b64 s[14:15], s[6:7], s[14:15]
	s_mov_b64 exec, s[14:15]
	s_cbranch_execz .LBB59_208
; %bb.207:                              ;   in Loop: Header=BB59_17 Depth=1
	ds_write_b16 v22, v9
.LBB59_208:                             ;   in Loop: Header=BB59_17 Depth=1
	s_or_b64 exec, exec, s[6:7]
	s_or_b32 s11, s11, s53
	s_or_b32 s10, s10, s53
	s_cmp_gt_i32 s12, 0
	s_waitcnt lgkmcnt(0)
	s_barrier
	s_cbranch_scc1 .LBB59_218
; %bb.209:                              ;   in Loop: Header=BB59_17 Depth=1
	s_mov_b64 s[46:47], 0
                                        ; implicit-def: $vgpr38
	s_mov_b64 s[6:7], exec
	v_readlane_b32 s14, v52, 40
	v_readlane_b32 s15, v52, 41
	s_and_b64 s[14:15], s[6:7], s[14:15]
	s_mov_b64 exec, s[14:15]
	s_cbranch_execz .LBB59_220
; %bb.210:                              ;   in Loop: Header=BB59_17 Depth=1
	s_mov_b64 s[44:45], 0
	v_mov_b32_e32 v2, v6
	v_mov_b32_e32 v4, v0
                                        ; implicit-def: $sgpr46_sgpr47
	s_branch .LBB59_212
.LBB59_211:                             ;   in Loop: Header=BB59_212 Depth=2
	s_or_b64 exec, exec, s[18:19]
	s_waitcnt lgkmcnt(0)
	s_barrier
	s_waitcnt vmcnt(0)
	ds_read_b32 v3, v9 offset:3072
	v_add_u32_e32 v4, s66, v4
	v_cmp_le_i32_e64 s[18:19], s9, v4
	v_add_u32_e32 v2, s81, v2
	s_waitcnt lgkmcnt(0)
	v_cmp_neq_f16_e32 vcc, 0, v3
	s_or_b64 s[14:15], s[18:19], vcc
	s_and_b64 s[14:15], exec, s[14:15]
	s_or_b64 s[44:45], s[14:15], s[44:45]
	s_andn2_b64 s[14:15], s[46:47], exec
	s_and_b64 s[18:19], vcc, exec
	s_or_b64 s[46:47], s[14:15], s[18:19]
	s_barrier
	s_andn2_b64 exec, exec, s[44:45]
	s_cbranch_execz .LBB59_219
.LBB59_212:                             ;   Parent Loop BB59_17 Depth=1
                                        ; =>  This Inner Loop Header: Depth=2
	v_cmp_gt_i32_e32 vcc, s60, v4
	v_mov_b32_e32 v3, 0
	s_and_saveexec_b64 s[48:49], vcc
	s_cbranch_execz .LBB59_214
; %bb.213:                              ;   in Loop: Header=BB59_212 Depth=2
	v_ashrrev_i32_e32 v3, 31, v2
	v_lshlrev_b64 v[16:17], 1, v[2:3]
	v_mov_b32_e32 v3, s80
	v_add_co_u32_e64 v16, s[18:19], s64, v16
	v_addc_co_u32_e64 v17, s[18:19], v3, v17, s[18:19]
	global_load_ushort v3, v[16:17], off
.LBB59_214:                             ;   in Loop: Header=BB59_212 Depth=2
	s_or_b64 exec, exec, s[48:49]
	s_and_saveexec_b64 s[18:19], vcc
	s_cbranch_execz .LBB59_211
; %bb.215:                              ;   in Loop: Header=BB59_212 Depth=2
	s_waitcnt vmcnt(0)
	v_cmp_lt_i16_e32 vcc, -1, v3
	v_cndmask_b32_e32 v5, v33, v34, vcc
	v_xor_b32_sdwa v5, v5, v3 dst_sel:DWORD dst_unused:UNUSED_PAD src0_sel:DWORD src1_sel:WORD_0
	v_cmp_o_f16_e32 vcc, v3, v3
	v_cndmask_b32_e32 v5, v33, v5, vcc
	v_and_b32_e32 v5, s10, v5
	v_cmp_eq_u32_e32 vcc, s11, v5
	s_and_b64 exec, exec, vcc
	s_cbranch_execz .LBB59_211
; %bb.216:                              ;   in Loop: Header=BB59_212 Depth=2
	v_perm_b32 v3, v3, s77, v37
	ds_write_b32 v9, v3 offset:3072
	s_branch .LBB59_211
.LBB59_217:                             ;   in Loop: Header=BB59_17 Depth=1
                                        ; implicit-def: $sgpr6_sgpr7
                                        ; implicit-def: $sgpr44_sgpr45
                                        ; implicit-def: $sgpr18_sgpr19
	s_branch .LBB59_231
.LBB59_218:                             ;   in Loop: Header=BB59_17 Depth=1
	s_mov_b64 s[6:7], -1
	s_mov_b64 s[46:47], 0
                                        ; implicit-def: $sgpr18_sgpr19
                                        ; implicit-def: $vgpr38
	s_mov_b64 s[44:45], s[6:7]
	s_cbranch_execnz .LBB59_221
	s_branch .LBB59_231
.LBB59_219:                             ;   in Loop: Header=BB59_17 Depth=1
	s_or_b64 exec, exec, s[44:45]
	v_lshrrev_b32_e32 v38, 16, v3
	s_and_b64 s[46:47], s[46:47], exec
.LBB59_220:                             ;   in Loop: Header=BB59_17 Depth=1
	s_or_b64 exec, exec, s[6:7]
	s_mov_b64 s[18:19], -1
	s_mov_b64 s[6:7], 0
	s_mov_b64 s[44:45], s[6:7]
	s_branch .LBB59_231
.LBB59_221:                             ;   in Loop: Header=BB59_17 Depth=1
	v_readlane_b32 s4, v52, 8
	s_add_i32 s13, s12, s4
	s_abs_i32 s7, s13
	v_readlane_b32 s4, v52, 39
	s_mul_hi_u32 s14, s7, s4
	s_mul_i32 s14, s14, s66
	s_sub_i32 s7, s7, s14
	s_ashr_i32 s6, s13, 31
	s_sub_i32 s14, s7, s66
	s_cmp_ge_u32 s7, s66
	s_cselect_b32 s7, s14, s7
	s_sub_i32 s14, s7, s66
	s_cmp_ge_u32 s7, s66
	s_cselect_b32 s7, s14, s7
	s_xor_b32 s7, s7, s6
	s_sub_i32 s6, s6, s7
	s_add_i32 s13, s13, s6
	v_cmp_gt_i32_e32 vcc, s13, v0
	s_mov_b64 s[46:47], 0
                                        ; implicit-def: $vgpr38
	s_and_saveexec_b64 s[6:7], vcc
	s_cbranch_execz .LBB59_230
; %bb.222:                              ;   in Loop: Header=BB59_17 Depth=1
	s_mov_b64 s[44:45], 0
	v_mov_b32_e32 v2, v21
	v_mov_b32_e32 v3, v0
                                        ; implicit-def: $sgpr46_sgpr47
	s_branch .LBB59_224
.LBB59_223:                             ;   in Loop: Header=BB59_224 Depth=2
	s_or_b64 exec, exec, s[18:19]
	s_waitcnt lgkmcnt(0)
	s_barrier
	ds_read_b32 v4, v9 offset:3072
	v_add_u32_e32 v3, s66, v3
	v_cmp_le_i32_e64 s[18:19], s13, v3
	v_add_u32_e32 v2, s76, v2
	s_waitcnt lgkmcnt(0)
	v_cmp_neq_f16_e32 vcc, 0, v4
	s_or_b64 s[14:15], s[18:19], vcc
	s_and_b64 s[14:15], exec, s[14:15]
	s_or_b64 s[44:45], s[14:15], s[44:45]
	s_andn2_b64 s[14:15], s[46:47], exec
	s_and_b64 s[18:19], vcc, exec
	s_or_b64 s[46:47], s[14:15], s[18:19]
	s_barrier
	s_andn2_b64 exec, exec, s[44:45]
	s_cbranch_execz .LBB59_229
.LBB59_224:                             ;   Parent Loop BB59_17 Depth=1
                                        ; =>  This Inner Loop Header: Depth=2
	v_cmp_gt_i32_e32 vcc, s12, v3
	v_mov_b32_e32 v4, 0
	s_and_saveexec_b64 s[18:19], vcc
	s_cbranch_execz .LBB59_226
; %bb.225:                              ;   in Loop: Header=BB59_224 Depth=2
	ds_read_u16 v4, v2
.LBB59_226:                             ;   in Loop: Header=BB59_224 Depth=2
	s_or_b64 exec, exec, s[18:19]
	s_and_saveexec_b64 s[18:19], vcc
	s_cbranch_execz .LBB59_223
; %bb.227:                              ;   in Loop: Header=BB59_224 Depth=2
	s_waitcnt lgkmcnt(0)
	v_cmp_lt_i16_e32 vcc, -1, v4
	v_cndmask_b32_e32 v5, v33, v34, vcc
	v_xor_b32_sdwa v5, v5, v4 dst_sel:DWORD dst_unused:UNUSED_PAD src0_sel:DWORD src1_sel:WORD_0
	v_cmp_o_f16_e32 vcc, v4, v4
	v_cndmask_b32_e32 v5, v33, v5, vcc
	v_and_b32_e32 v5, s10, v5
	v_cmp_eq_u32_e32 vcc, s11, v5
	s_and_b64 exec, exec, vcc
	s_cbranch_execz .LBB59_223
; %bb.228:                              ;   in Loop: Header=BB59_224 Depth=2
	v_perm_b32 v4, v4, s77, v37
	ds_write_b32 v9, v4 offset:3072
	s_branch .LBB59_223
.LBB59_229:                             ;   in Loop: Header=BB59_17 Depth=1
	s_or_b64 exec, exec, s[44:45]
	v_lshrrev_b32_e32 v38, 16, v4
	s_and_b64 s[46:47], s[46:47], exec
.LBB59_230:                             ;   in Loop: Header=BB59_17 Depth=1
	s_or_b64 exec, exec, s[6:7]
	s_mov_b64 s[44:45], -1
	s_mov_b64 s[6:7], 0
	s_mov_b64 s[18:19], 0
.LBB59_231:                             ;   in Loop: Header=BB59_17 Depth=1
	s_mov_b64 s[50:51], 0
                                        ; implicit-def: $sgpr55
	s_and_saveexec_b64 s[48:49], s[46:47]
	s_cbranch_execz .LBB59_245
; %bb.232:                              ;   in Loop: Header=BB59_17 Depth=1
	s_xor_b64 s[12:13], s[42:43], -1
	s_andn2_b64 vcc, exec, s[12:13]
	s_mov_b32 s55, 1
	s_cbranch_vccnz .LBB59_239
; %bb.233:                              ;   in Loop: Header=BB59_17 Depth=1
	s_cmp_gt_i32 s54, s52
	s_cbranch_scc1 .LBB59_240
; %bb.234:                              ;   in Loop: Header=BB59_17 Depth=1
	ds_read_b32 v2, v9 offset:4096
	s_waitcnt lgkmcnt(0)
	v_cmp_ne_u32_e32 vcc, 0, v2
	s_cbranch_vccnz .LBB59_238
; %bb.235:                              ;   in Loop: Header=BB59_17 Depth=1
	s_mov_b64 s[42:43], exec
	v_readlane_b32 s12, v52, 5
	v_readlane_b32 s13, v52, 6
	s_and_b64 s[12:13], s[42:43], s[12:13]
	s_mov_b64 exec, s[12:13]
	s_cbranch_execz .LBB59_237
; %bb.236:                              ;   in Loop: Header=BB59_17 Depth=1
	v_mov_b32_e32 v2, s52
	ds_write_b32 v9, v2 offset:4100
.LBB59_237:                             ;   in Loop: Header=BB59_17 Depth=1
	s_or_b64 exec, exec, s[42:43]
	s_waitcnt lgkmcnt(0)
	s_barrier
.LBB59_238:                             ;   in Loop: Header=BB59_17 Depth=1
	s_or_b32 s12, s11, s53
	s_or_b32 s13, s10, s53
	s_mov_b64 s[42:43], 0
	s_mov_b32 s55, 8
	s_branch .LBB59_241
.LBB59_239:                             ;   in Loop: Header=BB59_17 Depth=1
	s_mov_b32 s54, 1
	s_branch .LBB59_244
.LBB59_240:                             ;   in Loop: Header=BB59_17 Depth=1
	s_mov_b64 s[42:43], -1
                                        ; implicit-def: $sgpr55
                                        ; implicit-def: $sgpr12
                                        ; implicit-def: $sgpr13
.LBB59_241:                             ;   in Loop: Header=BB59_17 Depth=1
	s_andn2_b64 vcc, exec, s[42:43]
	s_cbranch_vccnz .LBB59_243
; %bb.242:                              ;   in Loop: Header=BB59_17 Depth=1
	s_sub_i32 s54, s54, s52
	s_mov_b32 s55, 8
	s_mov_b32 s12, s11
	s_mov_b32 s13, s10
.LBB59_243:                             ;   in Loop: Header=BB59_17 Depth=1
	s_mov_b32 s11, s12
	s_mov_b32 s10, s13
.LBB59_244:                             ;   in Loop: Header=BB59_17 Depth=1
	s_mov_b64 s[50:51], exec
.LBB59_245:                             ;   in Loop: Header=BB59_17 Depth=1
	s_or_b64 exec, exec, s[48:49]
.LBB59_246:                             ;   in Loop: Header=BB59_17 Depth=1
	s_andn2_b64 s[12:13], s[34:35], exec
	s_and_b64 s[6:7], s[6:7], exec
	s_or_b64 s[34:35], s[12:13], s[6:7]
	s_andn2_b64 s[6:7], s[38:39], exec
	s_and_b64 s[12:13], s[44:45], exec
	s_or_b64 s[38:39], s[6:7], s[12:13]
	s_andn2_b64 s[6:7], s[36:37], exec
	s_and_b64 s[12:13], s[18:19], exec
	s_or_b64 s[36:37], s[6:7], s[12:13]
	s_and_b64 s[18:19], s[50:51], exec
	s_mov_b32 s47, s54
.LBB59_247:                             ;   in Loop: Header=BB59_17 Depth=1
	s_or_b64 exec, exec, s[40:41]
.LBB59_248:                             ;   in Loop: Header=BB59_17 Depth=1
	s_andn2_b64 s[6:7], s[26:27], exec
	s_and_b64 s[12:13], s[34:35], exec
	s_or_b64 s[26:27], s[6:7], s[12:13]
	s_andn2_b64 s[6:7], s[28:29], exec
	s_and_b64 s[12:13], s[38:39], exec
	s_or_b64 s[28:29], s[6:7], s[12:13]
	;; [unrolled: 3-line block ×3, first 2 shown]
	s_and_b64 s[18:19], s[18:19], exec
	s_mov_b32 s37, s47
.LBB59_249:                             ;   in Loop: Header=BB59_17 Depth=1
	s_or_b64 exec, exec, s[30:31]
	s_and_saveexec_b64 s[6:7], s[18:19]
	s_xor_b64 s[6:7], exec, s[6:7]
	s_cbranch_execz .LBB59_15
.LBB59_250:                             ;   in Loop: Header=BB59_17 Depth=1
	s_and_b32 s12, s55, -9
	s_cmp_eq_u32 s12, 0
	s_cbranch_scc1 .LBB59_13
; %bb.251:                              ;   in Loop: Header=BB59_17 Depth=1
	s_mov_b64 s[18:19], -1
                                        ; implicit-def: $sgpr10
                                        ; implicit-def: $sgpr37
                                        ; implicit-def: $sgpr78
                                        ; implicit-def: $sgpr79
	s_mov_b64 s[22:23], -1
	s_branch .LBB59_14
.LBB59_252:
	s_or_b64 exec, exec, s[90:91]
	s_xor_b64 s[6:7], s[68:69], -1
	s_xor_b64 s[0:1], s[92:93], -1
	;; [unrolled: 1-line block ×3, first 2 shown]
	s_mov_b64 s[2:3], 0
	s_and_saveexec_b64 s[4:5], s[0:1]
	s_xor_b64 s[4:5], exec, s[4:5]
	s_cbranch_execnz .LBB59_257
; %bb.253:
	s_andn2_saveexec_b64 s[0:1], s[4:5]
	s_cbranch_execnz .LBB59_277
.LBB59_254:
	s_or_b64 exec, exec, s[0:1]
	s_and_saveexec_b64 s[0:1], s[2:3]
.LBB59_255:
	; divergent unreachable
.LBB59_256:
	s_endpgm
.LBB59_257:
	s_and_saveexec_b64 s[0:1], s[6:7]
	s_xor_b64 s[6:7], exec, s[0:1]
	s_cbranch_execz .LBB59_275
; %bb.258:
	s_and_saveexec_b64 s[0:1], s[8:9]
	s_xor_b64 s[2:3], exec, s[0:1]
; %bb.259:
	v_and_b32_e32 v1, 0x8000, v2
	v_mov_b32_e32 v3, 0x8000
	v_mov_b32_e32 v4, 0xffff
	v_cmp_eq_u32_e32 vcc, 0, v1
	v_cndmask_b32_e32 v1, v3, v4, vcc
	v_xor_b32_e32 v38, v1, v2
; %bb.260:
	s_or_b64 exec, exec, s[2:3]
	s_mov_b64 s[2:3], exec
	v_readlane_b32 s0, v52, 5
	v_readlane_b32 s1, v52, 6
	s_and_b64 s[0:1], s[2:3], s[0:1]
	s_mov_b64 exec, s[0:1]
	s_cbranch_execz .LBB59_262
; %bb.261:
	v_mov_b32_e32 v1, 0
	v_mov_b32_e32 v2, s60
	ds_write_b32 v1, v2 offset:4108
.LBB59_262:
	s_or_b64 exec, exec, s[2:3]
	v_mov_b32_e32 v1, 0
	s_waitcnt lgkmcnt(0)
	s_barrier
	ds_read_b32 v1, v1 offset:4108
	s_waitcnt lgkmcnt(0)
	v_min_i32_e32 v1, s60, v1
	v_cmp_lt_i32_e32 vcc, v0, v1
	s_and_saveexec_b64 s[8:9], vcc
	s_cbranch_execz .LBB59_272
; %bb.263:
	v_cmp_u_f16_e32 vcc, v38, v38
	s_mov_b64 s[10:11], 0
	v_mov_b32_e32 v3, s80
	s_xor_b64 s[14:15], vcc, -1
                                        ; implicit-def: $sgpr12_sgpr13
                                        ; implicit-def: $sgpr18_sgpr19
                                        ; implicit-def: $sgpr16_sgpr17
	s_branch .LBB59_265
.LBB59_264:                             ;   in Loop: Header=BB59_265 Depth=1
	s_or_b64 exec, exec, s[2:3]
	s_and_b64 s[0:1], exec, s[18:19]
	s_or_b64 s[10:11], s[0:1], s[10:11]
	s_andn2_b64 s[0:1], s[12:13], exec
	s_and_b64 s[2:3], s[16:17], exec
	s_or_b64 s[12:13], s[0:1], s[2:3]
	s_andn2_b64 exec, exec, s[10:11]
	s_cbranch_execz .LBB59_267
.LBB59_265:                             ; =>This Inner Loop Header: Depth=1
	v_ashrrev_i32_e32 v7, 31, v6
	v_lshlrev_b64 v[4:5], 1, v[6:7]
	v_add_co_u32_e32 v4, vcc, s64, v4
	v_addc_co_u32_e32 v5, vcc, v3, v5, vcc
	global_load_ushort v4, v[4:5], off
	v_mov_b32_e32 v2, v0
	s_or_b64 s[16:17], s[16:17], exec
	s_or_b64 s[18:19], s[18:19], exec
                                        ; implicit-def: $vgpr0
	s_waitcnt vmcnt(0)
	v_cmp_o_f16_e64 s[2:3], v4, v4
	v_cmp_neq_f16_e32 vcc, v4, v38
	s_or_b64 s[0:1], s[14:15], s[2:3]
	s_and_b64 s[0:1], vcc, s[0:1]
	s_and_saveexec_b64 s[2:3], s[0:1]
	s_cbranch_execz .LBB59_264
; %bb.266:                              ;   in Loop: Header=BB59_265 Depth=1
	v_add_u32_e32 v0, s66, v2
	v_cmp_ge_i32_e32 vcc, v0, v1
	s_andn2_b64 s[0:1], s[18:19], exec
	s_and_b64 s[18:19], vcc, exec
	v_add_u32_e32 v6, s81, v6
	s_andn2_b64 s[16:17], s[16:17], exec
	s_or_b64 s[18:19], s[0:1], s[18:19]
	s_branch .LBB59_264
.LBB59_267:
	s_or_b64 exec, exec, s[10:11]
	s_and_saveexec_b64 s[0:1], s[12:13]
	s_xor_b64 s[0:1], exec, s[0:1]
	s_cbranch_execz .LBB59_272
; %bb.268:
	s_mov_b64 s[2:3], exec
	s_brev_b32 s0, -2
.LBB59_269:                             ; =>This Inner Loop Header: Depth=1
	s_ff1_i32_b64 s1, s[2:3]
	v_readlane_b32 s12, v2, s1
	s_lshl_b64 s[10:11], 1, s1
	s_min_i32 s0, s0, s12
	s_andn2_b64 s[2:3], s[2:3], s[10:11]
	s_cmp_lg_u64 s[2:3], 0
	s_cbranch_scc1 .LBB59_269
; %bb.270:
	v_mbcnt_lo_u32_b32 v0, exec_lo, 0
	v_mbcnt_hi_u32_b32 v0, exec_hi, v0
	v_cmp_eq_u32_e32 vcc, 0, v0
	s_and_saveexec_b64 s[2:3], vcc
	s_xor_b64 s[2:3], exec, s[2:3]
	s_cbranch_execz .LBB59_272
; %bb.271:
	v_mov_b32_e32 v0, 0
	v_mov_b32_e32 v1, s0
	ds_min_i32 v0, v1 offset:4108
.LBB59_272:
	s_or_b64 exec, exec, s[8:9]
	s_waitcnt lgkmcnt(0)
	s_barrier
	s_mov_b64 s[2:3], exec
	v_readlane_b32 s0, v52, 5
	v_readlane_b32 s1, v52, 6
	s_and_b64 s[0:1], s[2:3], s[0:1]
	s_mov_b64 exec, s[0:1]
	s_cbranch_execz .LBB59_274
; %bb.273:
	v_readlane_b32 s0, v52, 0
	s_mul_i32 s0, s0, s62
	v_readlane_b32 s1, v52, 7
	s_add_i32 s0, s0, s65
	s_mul_i32 s1, s1, s33
	s_add_i32 s8, s1, s67
	s_ashr_i32 s1, s0, 31
	v_mov_b32_e32 v2, 0
	s_lshl_b64 s[0:1], s[0:1], 1
	v_readlane_b32 s10, v52, 1
	ds_read_b32 v0, v2 offset:4108
	v_readlane_b32 s11, v52, 2
	s_add_u32 s0, s10, s0
	s_addc_u32 s1, s11, s1
	s_ashr_i32 s9, s8, 31
	s_lshl_b64 s[8:9], s[8:9], 3
	v_readlane_b32 s10, v52, 3
	v_readlane_b32 s11, v52, 4
	s_add_u32 s8, s10, s8
	s_addc_u32 s9, s11, s9
	s_waitcnt lgkmcnt(0)
	v_ashrrev_i32_e32 v1, 31, v0
	global_store_dwordx2 v2, v[0:1], s[8:9]
	global_store_short v2, v38, s[0:1]
.LBB59_274:
	s_or_b64 exec, exec, s[2:3]
.LBB59_275:
	s_or_saveexec_b64 s[0:1], s[6:7]
	s_mov_b64 s[2:3], 0
	s_xor_b64 exec, exec, s[0:1]
	s_cbranch_execnz .LBB59_278
.LBB59_276:
	s_or_b64 exec, exec, s[0:1]
	s_and_b64 s[2:3], s[2:3], exec
	s_andn2_saveexec_b64 s[0:1], s[4:5]
	s_cbranch_execz .LBB59_254
.LBB59_277:
	s_or_b64 s[2:3], s[2:3], exec
	s_trap 2
	s_or_b64 exec, exec, s[0:1]
	s_and_saveexec_b64 s[0:1], s[2:3]
	s_cbranch_execnz .LBB59_255
	s_branch .LBB59_256
.LBB59_278:
	s_mov_b64 s[2:3], exec
	s_trap 2
	s_branch .LBB59_276
	.section	.rodata,"a",@progbits
	.p2align	6, 0x0
	.amdhsa_kernel _ZN2at6native12_GLOBAL__N_114gatherKthValueIN3c104HalfEiLin1EEEvNS_4cuda6detail10TensorInfoIKT_T0_EESA_SA_SA_SA_NS7_IS8_SA_EENS7_IlSA_EE
		.amdhsa_group_segment_fixed_size 4112
		.amdhsa_private_segment_fixed_size 0
		.amdhsa_kernarg_size 920
		.amdhsa_user_sgpr_count 6
		.amdhsa_user_sgpr_private_segment_buffer 1
		.amdhsa_user_sgpr_dispatch_ptr 0
		.amdhsa_user_sgpr_queue_ptr 0
		.amdhsa_user_sgpr_kernarg_segment_ptr 1
		.amdhsa_user_sgpr_dispatch_id 0
		.amdhsa_user_sgpr_flat_scratch_init 0
		.amdhsa_user_sgpr_kernarg_preload_length 0
		.amdhsa_user_sgpr_kernarg_preload_offset 0
		.amdhsa_user_sgpr_private_segment_size 0
		.amdhsa_uses_dynamic_stack 0
		.amdhsa_system_sgpr_private_segment_wavefront_offset 0
		.amdhsa_system_sgpr_workgroup_id_x 1
		.amdhsa_system_sgpr_workgroup_id_y 1
		.amdhsa_system_sgpr_workgroup_id_z 1
		.amdhsa_system_sgpr_workgroup_info 0
		.amdhsa_system_vgpr_workitem_id 0
		.amdhsa_next_free_vgpr 53
		.amdhsa_next_free_sgpr 96
		.amdhsa_accum_offset 56
		.amdhsa_reserve_vcc 1
		.amdhsa_reserve_flat_scratch 0
		.amdhsa_float_round_mode_32 0
		.amdhsa_float_round_mode_16_64 0
		.amdhsa_float_denorm_mode_32 3
		.amdhsa_float_denorm_mode_16_64 3
		.amdhsa_dx10_clamp 1
		.amdhsa_ieee_mode 1
		.amdhsa_fp16_overflow 0
		.amdhsa_tg_split 0
		.amdhsa_exception_fp_ieee_invalid_op 0
		.amdhsa_exception_fp_denorm_src 0
		.amdhsa_exception_fp_ieee_div_zero 0
		.amdhsa_exception_fp_ieee_overflow 0
		.amdhsa_exception_fp_ieee_underflow 0
		.amdhsa_exception_fp_ieee_inexact 0
		.amdhsa_exception_int_div_zero 0
	.end_amdhsa_kernel
	.section	.text._ZN2at6native12_GLOBAL__N_114gatherKthValueIN3c104HalfEiLin1EEEvNS_4cuda6detail10TensorInfoIKT_T0_EESA_SA_SA_SA_NS7_IS8_SA_EENS7_IlSA_EE,"axG",@progbits,_ZN2at6native12_GLOBAL__N_114gatherKthValueIN3c104HalfEiLin1EEEvNS_4cuda6detail10TensorInfoIKT_T0_EESA_SA_SA_SA_NS7_IS8_SA_EENS7_IlSA_EE,comdat
.Lfunc_end59:
	.size	_ZN2at6native12_GLOBAL__N_114gatherKthValueIN3c104HalfEiLin1EEEvNS_4cuda6detail10TensorInfoIKT_T0_EESA_SA_SA_SA_NS7_IS8_SA_EENS7_IlSA_EE, .Lfunc_end59-_ZN2at6native12_GLOBAL__N_114gatherKthValueIN3c104HalfEiLin1EEEvNS_4cuda6detail10TensorInfoIKT_T0_EESA_SA_SA_SA_NS7_IS8_SA_EENS7_IlSA_EE
                                        ; -- End function
	.section	.AMDGPU.csdata,"",@progbits
; Kernel info:
; codeLenInByte = 11244
; NumSgprs: 100
; NumVgprs: 53
; NumAgprs: 0
; TotalNumVgprs: 53
; ScratchSize: 0
; MemoryBound: 0
; FloatMode: 240
; IeeeMode: 1
; LDSByteSize: 4112 bytes/workgroup (compile time only)
; SGPRBlocks: 12
; VGPRBlocks: 6
; NumSGPRsForWavesPerEU: 100
; NumVGPRsForWavesPerEU: 53
; AccumOffset: 56
; Occupancy: 8
; WaveLimiterHint : 1
; COMPUTE_PGM_RSRC2:SCRATCH_EN: 0
; COMPUTE_PGM_RSRC2:USER_SGPR: 6
; COMPUTE_PGM_RSRC2:TRAP_HANDLER: 0
; COMPUTE_PGM_RSRC2:TGID_X_EN: 1
; COMPUTE_PGM_RSRC2:TGID_Y_EN: 1
; COMPUTE_PGM_RSRC2:TGID_Z_EN: 1
; COMPUTE_PGM_RSRC2:TIDIG_COMP_CNT: 0
; COMPUTE_PGM_RSRC3_GFX90A:ACCUM_OFFSET: 13
; COMPUTE_PGM_RSRC3_GFX90A:TG_SPLIT: 0
	.section	.text._ZN2at6native12_GLOBAL__N_114gatherKthValueIN3c104HalfElLi1EEEvNS_4cuda6detail10TensorInfoIKT_T0_EESA_SA_SA_SA_NS7_IS8_SA_EENS7_IlSA_EE,"axG",@progbits,_ZN2at6native12_GLOBAL__N_114gatherKthValueIN3c104HalfElLi1EEEvNS_4cuda6detail10TensorInfoIKT_T0_EESA_SA_SA_SA_NS7_IS8_SA_EENS7_IlSA_EE,comdat
	.globl	_ZN2at6native12_GLOBAL__N_114gatherKthValueIN3c104HalfElLi1EEEvNS_4cuda6detail10TensorInfoIKT_T0_EESA_SA_SA_SA_NS7_IS8_SA_EENS7_IlSA_EE ; -- Begin function _ZN2at6native12_GLOBAL__N_114gatherKthValueIN3c104HalfElLi1EEEvNS_4cuda6detail10TensorInfoIKT_T0_EESA_SA_SA_SA_NS7_IS8_SA_EENS7_IlSA_EE
	.p2align	8
	.type	_ZN2at6native12_GLOBAL__N_114gatherKthValueIN3c104HalfElLi1EEEvNS_4cuda6detail10TensorInfoIKT_T0_EESA_SA_SA_SA_NS7_IS8_SA_EENS7_IlSA_EE,@function
_ZN2at6native12_GLOBAL__N_114gatherKthValueIN3c104HalfElLi1EEEvNS_4cuda6detail10TensorInfoIKT_T0_EESA_SA_SA_SA_NS7_IS8_SA_EENS7_IlSA_EE: ; @_ZN2at6native12_GLOBAL__N_114gatherKthValueIN3c104HalfElLi1EEEvNS_4cuda6detail10TensorInfoIKT_T0_EESA_SA_SA_SA_NS7_IS8_SA_EENS7_IlSA_EE
; %bb.0:
	s_load_dwordx8 s[52:59], s[4:5], 0x1a0
	s_load_dwordx2 s[12:13], s[4:5], 0x500
	s_add_u32 s10, s4, 0x500
	s_addc_u32 s11, s5, 0
	s_mov_b32 s15, 0
	s_waitcnt lgkmcnt(0)
	v_mov_b32_e32 v2, s56
	s_mul_i32 s0, s13, s8
	s_add_i32 s0, s0, s7
	s_mul_i32 s0, s0, s12
	v_mov_b32_e32 v3, s57
	s_add_i32 s14, s0, s6
	v_cmp_ge_i64_e32 vcc, s[14:15], v[2:3]
	s_cbranch_vccnz .LBB60_279
; %bb.1:
	s_load_dwordx2 s[0:1], s[4:5], 0x430
                                        ; implicit-def: $vgpr56 : SGPR spill to VGPR lane
	v_cmp_eq_u32_e64 s[8:9], 0, v0
	s_waitcnt lgkmcnt(0)
	v_writelane_b32 v56, s0, 0
	v_writelane_b32 v56, s1, 1
	s_load_dwordx2 s[0:1], s[4:5], 0x360
	s_waitcnt lgkmcnt(0)
	v_writelane_b32 v56, s0, 2
	v_writelane_b32 v56, s1, 3
	s_load_dwordx2 s[0:1], s[4:5], 0x290
	;; [unrolled: 4-line block ×4, first 2 shown]
	s_load_dwordx2 s[0:1], s[4:5], 0x0
	s_mov_b64 s[4:5], exec
	v_writelane_b32 v56, s8, 8
	v_writelane_b32 v56, s9, 9
	s_and_b64 s[8:9], s[4:5], s[8:9]
	s_mov_b64 exec, s[8:9]
	s_cbranch_execz .LBB60_3
; %bb.2:
	v_mov_b32_e32 v2, 0
	v_mov_b32_e32 v4, s52
	;; [unrolled: 1-line block ×4, first 2 shown]
	ds_write_b32 v2, v2 offset:5136
	ds_write_b128 v2, v[2:5] offset:5120
.LBB60_3:
	s_or_b64 exec, exec, s[4:5]
	s_waitcnt lgkmcnt(0)
	s_mul_i32 s3, s3, s14
	s_mul_hi_u32 s4, s2, s14
	s_add_i32 s3, s4, s3
	s_mul_i32 s2, s2, s14
	s_mov_b32 s4, s14
	s_lshl_b64 s[2:3], s[2:3], 1
	v_writelane_b32 v56, s4, 10
	s_add_u32 s70, s0, s2
	v_writelane_b32 v56, s5, 11
	s_addc_u32 s71, s1, s3
	v_cmp_gt_u32_e64 s[0:1], 2, v0
	v_mov_b32_e32 v2, 0x600
	v_writelane_b32 v56, s0, 12
	v_mov_b32_e32 v3, 0
	v_writelane_b32 v56, s1, 13
	v_cmp_gt_i64_e64 s[0:1], s[52:53], v[2:3]
	v_writelane_b32 v56, s0, 14
	v_writelane_b32 v56, s1, 15
	v_mad_u64_u32 v[2:3], s[0:1], v0, s58, 0
	v_mov_b32_e32 v13, 0
	v_mbcnt_lo_u32_b32 v1, -1, 0
	v_mov_b32_e32 v4, v3
	v_mbcnt_hi_u32_b32 v32, -1, v1
	v_mov_b32_e32 v1, v13
	v_mad_u64_u32 v[4:5], s[0:1], v0, s59, v[4:5]
	v_cmp_gt_i64_e64 s[0:1], s[52:53], v[0:1]
	v_writelane_b32 v56, s0, 16
	s_barrier
	v_writelane_b32 v56, s1, 17
	s_load_dword s0, s[10:11], 0xc
	v_cmp_gt_u32_e32 vcc, 64, v0
	v_cmp_gt_i32_e64 s[2:3], 4, v32
	s_and_b64 s[46:47], vcc, s[2:3]
	v_mov_b32_e32 v3, v4
	s_waitcnt lgkmcnt(0)
	s_and_b32 s33, s0, 0xffff
	s_bfe_u32 s1, s0, 0xa0006
	v_cmp_gt_u16_e64 s[2:3], s0, 63
	v_writelane_b32 v56, s2, 18
	s_add_u32 s0, s33, -1
	v_writelane_b32 v56, s3, 19
	s_addc_u32 s2, 0, -1
	s_add_u32 s81, s0, s52
	s_addc_u32 s45, s2, s53
	s_cmp_lt_u32 s6, s12
	v_writelane_b32 v56, s0, 20
	s_cselect_b32 s0, 12, 18
	s_add_u32 s48, s10, s0
	s_addc_u32 s49, s11, 0
	s_add_i32 s0, s1, -1
	s_bfe_u32 s6, s33, 0x30006
	s_cmp_gt_u32 s0, 6
	v_writelane_b32 v56, s2, 21
	s_cselect_b64 s[2:3], -1, 0
	v_writelane_b32 v56, s2, 22
	s_and_b32 s89, s1, 0x3f8
	v_lshlrev_b64 v[4:5], 1, v[2:3]
	v_writelane_b32 v56, s3, 23
	s_cmp_lg_u32 s6, 0
	v_add_co_u32_e32 v10, vcc, s70, v4
	v_lshrrev_b32_e32 v4, 4, v0
	v_writelane_b32 v56, s6, 24
	s_cselect_b64 s[0:1], -1, 0
	v_mov_b32_e32 v6, s71
	v_and_b32_e32 v35, 60, v4
	v_lshlrev_b32_e32 v4, 2, v32
	v_writelane_b32 v56, s0, 25
	v_addc_co_u32_e32 v11, vcc, v6, v5, vcc
	v_and_b32_e32 v36, 0x100, v4
	v_lshlrev_b64 v[4:5], v32, -1
	v_writelane_b32 v56, s1, 26
	s_lshl_b64 s[0:1], s[58:59], 1
	v_lshlrev_b32_e32 v37, 3, v0
	v_not_b32_e32 v17, v5
	v_writelane_b32 v56, s0, 27
	v_or_b32_e32 v5, 6, v37
	v_writelane_b32 v56, s1, 28
	v_mad_u64_u32 v[18:19], s[0:1], s58, v5, 0
	v_not_b32_e32 v16, v4
	v_mov_b32_e32 v4, v19
	v_mad_u64_u32 v[4:5], s[0:1], s59, v5, v[4:5]
	s_lshl_b64 s[0:1], s[58:59], 3
	v_writelane_b32 v56, s0, 29
	v_or_b32_e32 v5, 4, v37
	v_writelane_b32 v56, s1, 30
	v_mad_u64_u32 v[20:21], s[0:1], s58, v5, 0
	v_mov_b32_e32 v19, v4
	v_mov_b32_e32 v4, v21
	v_mad_u64_u32 v[4:5], s[0:1], s59, v5, v[4:5]
	v_or_b32_e32 v5, 2, v37
	v_mad_u64_u32 v[22:23], s[0:1], s58, v5, 0
	v_mov_b32_e32 v21, v4
	v_mov_b32_e32 v4, v23
	v_writelane_b32 v56, s70, 31
	v_mad_u64_u32 v[4:5], s[0:1], s59, v5, v[4:5]
	v_writelane_b32 v56, s71, 32
	v_lshlrev_b64 v[24:25], 3, v[2:3]
	v_mov_b32_e32 v2, s53
	v_add_co_u32_e32 v38, vcc, s52, v0
	s_mul_i32 s0, s59, s33
	s_mul_hi_u32 s1, s58, s33
	v_writelane_b32 v56, s46, 33
	s_mov_b32 s73, 0
	v_lshlrev_b32_e32 v33, 1, v0
	v_addc_co_u32_e32 v39, vcc, 0, v2, vcc
	v_mov_b32_e32 v2, 0xc00
	s_add_i32 s1, s1, s0
	s_mul_i32 s0, s58, s33
	v_writelane_b32 v56, s47, 34
	v_cmp_eq_u32_e64 s[4:5], 0, v32
	v_add_u32_e32 v34, 0xc00, v33
	v_lshlrev_b32_e32 v14, 2, v0
	v_mov_b32_e32 v15, v13
	s_mov_b32 s88, s73
	v_mov_b32_e32 v23, v4
	v_lshl_or_b32 v40, v32, 3, v2
	s_lshl_b64 s[68:69], s[0:1], 1
	s_lshl_b32 s74, s33, 1
	s_mov_b32 s80, 14
	s_mov_b64 s[90:91], 0
	s_movk_i32 s50, 0x3c00
	v_mov_b32_e32 v41, 0xffff
	v_mov_b32_e32 v42, 0x8000
	v_cvt_f32_ubyte0_e32 v43, 0
	v_mov_b32_e32 v44, -1
	v_mov_b32_e32 v45, 0x5040100
	v_mov_b32_e32 v46, 0
	s_mov_b32 s86, 0
	s_mov_b32 s0, 0
	;; [unrolled: 1-line block ×3, first 2 shown]
	v_writelane_b32 v56, s48, 35
                                        ; implicit-def: $sgpr94_sgpr95
                                        ; implicit-def: $sgpr62_sgpr63
                                        ; implicit-def: $sgpr56_sgpr57
                                        ; implicit-def: $sgpr64_sgpr65
                                        ; implicit-def: $sgpr66_sgpr67
                                        ; implicit-def: $sgpr92_sgpr93
	v_writelane_b32 v56, s49, 36
	s_branch .LBB60_8
.LBB60_4:                               ;   in Loop: Header=BB60_8 Depth=1
	s_xor_b32 s86, s86, 1
	s_add_i32 s1, s80, -2
	s_cmp_eq_u32 s80, 0
	s_mov_b64 s[6:7], 0
	s_cselect_b64 s[8:9], -1, 0
	s_mov_b32 s80, s1
.LBB60_5:                               ;   in Loop: Header=BB60_8 Depth=1
	s_andn2_b64 s[10:11], s[20:21], exec
	s_and_b64 s[6:7], s[6:7], exec
	s_or_b64 s[20:21], s[10:11], s[6:7]
	s_andn2_b64 s[22:23], s[22:23], exec
	s_andn2_b64 s[18:19], s[18:19], exec
	s_orn2_b64 s[14:15], s[8:9], exec
.LBB60_6:                               ;   in Loop: Header=BB60_8 Depth=1
	s_or_b64 exec, exec, s[2:3]
	s_andn2_b64 s[2:3], s[92:93], exec
	s_and_b64 s[6:7], s[20:21], exec
	s_or_b64 s[92:93], s[2:3], s[6:7]
	s_andn2_b64 s[2:3], s[66:67], exec
	s_and_b64 s[6:7], s[22:23], exec
	s_or_b64 s[66:67], s[2:3], s[6:7]
	;; [unrolled: 3-line block ×3, first 2 shown]
	s_orn2_b64 s[18:19], s[14:15], exec
.LBB60_7:                               ;   in Loop: Header=BB60_8 Depth=1
	s_or_b64 exec, exec, s[12:13]
	s_and_b64 s[2:3], exec, s[18:19]
	s_or_b64 s[90:91], s[2:3], s[90:91]
	s_andn2_b64 s[2:3], s[56:57], exec
	s_and_b64 s[6:7], s[92:93], exec
	s_or_b64 s[56:57], s[2:3], s[6:7]
	s_andn2_b64 s[2:3], s[62:63], exec
	s_and_b64 s[6:7], s[66:67], exec
	;; [unrolled: 3-line block ×3, first 2 shown]
	v_mov_b32_e32 v2, s0
	s_or_b64 s[94:95], s[2:3], s[6:7]
	s_andn2_b64 exec, exec, s[90:91]
	s_cbranch_execz .LBB60_275
.LBB60_8:                               ; =>This Loop Header: Depth=1
                                        ;     Child Loop BB60_13 Depth 2
                                        ;     Child Loop BB60_32 Depth 2
	;; [unrolled: 1-line block ×16, first 2 shown]
	ds_read_b128 v[2:5], v13 offset:5120
	s_waitcnt lgkmcnt(0)
	v_readfirstlane_b32 s83, v3
	v_readfirstlane_b32 s82, v2
	v_cmp_gt_i64_e64 s[2:3], s[82:83], 0
	s_and_b64 vcc, exec, s[2:3]
	s_cbranch_vccnz .LBB60_39
; %bb.9:                                ;   in Loop: Header=BB60_8 Depth=1
	v_readlane_b32 s2, v56, 14
	v_readlane_b32 s3, v56, 15
	s_and_b64 vcc, exec, s[2:3]
	s_cbranch_vccz .LBB60_21
; %bb.10:                               ;   in Loop: Header=BB60_8 Depth=1
	s_mov_b64 s[2:3], 0x601
	v_cmp_gt_i64_e32 vcc, s[2:3], v[4:5]
	s_mov_b64 s[2:3], 0
	s_mov_b64 s[6:7], 0
	s_cbranch_vccz .LBB60_26
; %bb.11:                               ;   in Loop: Header=BB60_8 Depth=1
	global_load_ushort v6, v13, s[48:49]
	global_load_ushort v7, v[10:11], off
	v_pk_mov_b32 v[2:3], s[70:71], s[70:71] op_sel:[0,1]
	v_readlane_b32 s12, v56, 27
	v_readlane_b32 s13, v56, 28
	s_mov_b64 s[8:9], 0
	s_waitcnt vmcnt(1)
	v_readfirstlane_b32 s1, v6
	s_and_b32 s1, 0xffff, s1
	v_add_u32_e32 v5, s1, v0
	v_mad_u64_u32 v[2:3], s[6:7], s12, v5, v[2:3]
	v_mov_b32_e32 v4, v3
	s_mul_i32 s10, s13, s1
	s_mul_hi_u32 s11, s12, s1
	v_mad_u64_u32 v[4:5], s[6:7], s13, v5, v[4:5]
	s_mul_i32 s1, s12, s1
	s_add_i32 s18, s11, s10
	v_mov_b32_e32 v3, v4
	v_pk_mov_b32 v[4:5], v[0:1], v[0:1] op_sel:[0,1]
	s_branch .LBB60_13
.LBB60_12:                              ;   in Loop: Header=BB60_13 Depth=2
	s_or_b64 exec, exec, s[6:7]
	v_mov_b32_e32 v7, s18
	v_add_co_u32_e32 v2, vcc, s1, v2
	v_addc_co_u32_e32 v3, vcc, v3, v7, vcc
	v_mov_b32_e32 v7, v8
	s_andn2_b64 exec, exec, s[8:9]
	s_cbranch_execz .LBB60_22
.LBB60_13:                              ;   Parent Loop BB60_8 Depth=1
                                        ; =>  This Inner Loop Header: Depth=2
	v_add_co_u32_sdwa v4, vcc, v4, v6 dst_sel:DWORD dst_unused:UNUSED_PAD src0_sel:DWORD src1_sel:WORD_0
	v_addc_co_u32_e32 v5, vcc, 0, v5, vcc
	v_cmp_gt_i64_e64 s[6:7], s[52:53], v[4:5]
	v_cmp_le_i64_e32 vcc, s[52:53], v[4:5]
	s_waitcnt lgkmcnt(0)
	v_mov_b32_e32 v9, 0
	v_mov_b32_e32 v8, 0
	s_and_saveexec_b64 s[10:11], s[6:7]
	s_cbranch_execz .LBB60_15
; %bb.14:                               ;   in Loop: Header=BB60_13 Depth=2
	global_load_ushort v8, v[2:3], off
.LBB60_15:                              ;   in Loop: Header=BB60_13 Depth=2
	s_or_b64 exec, exec, s[10:11]
	s_waitcnt vmcnt(0)
	v_cmp_lt_i16_e64 s[6:7], -1, v7
	v_cndmask_b32_e64 v12, v41, v42, s[6:7]
	v_xor_b32_sdwa v12, v12, v7 dst_sel:DWORD dst_unused:UNUSED_PAD src0_sel:DWORD src1_sel:WORD_0
	v_cmp_o_f16_e64 s[6:7], v7, v7
	v_cndmask_b32_e64 v12, v41, v12, s[6:7]
	v_and_b32_e32 v12, s75, v12
	v_cmp_eq_u32_e64 s[10:11], s0, v12
	s_cmp_lg_u64 s[10:11], 0
	s_cselect_b64 s[6:7], -1, 0
	s_and_b64 s[6:7], s[4:5], s[6:7]
	s_and_saveexec_b64 s[12:13], s[6:7]
	s_cbranch_execz .LBB60_19
; %bb.16:                               ;   in Loop: Header=BB60_13 Depth=2
	s_mov_b64 s[16:17], exec
	v_mbcnt_lo_u32_b32 v9, s16, 0
	v_mbcnt_hi_u32_b32 v9, s17, v9
	s_bcnt1_i32_b64 s19, s[10:11]
	v_cmp_eq_u32_e64 s[6:7], 0, v9
                                        ; implicit-def: $vgpr12
	s_and_saveexec_b64 s[14:15], s[6:7]
	s_cbranch_execz .LBB60_18
; %bb.17:                               ;   in Loop: Header=BB60_13 Depth=2
	s_bcnt1_i32_b64 s6, s[16:17]
	s_mul_i32 s6, s19, s6
	v_mov_b32_e32 v12, s6
	ds_add_rtn_u32 v12, v13, v12 offset:5136
.LBB60_18:                              ;   in Loop: Header=BB60_13 Depth=2
	s_or_b64 exec, exec, s[14:15]
	s_waitcnt lgkmcnt(0)
	v_readfirstlane_b32 s6, v12
	v_mov_b32_e32 v12, s6
	v_mad_u32_u24 v9, s19, v9, v12
.LBB60_19:                              ;   in Loop: Header=BB60_13 Depth=2
	s_or_b64 exec, exec, s[12:13]
	ds_bpermute_b32 v9, v36, v9
	s_and_b64 s[6:7], exec, vcc
	s_or_b64 s[8:9], s[6:7], s[8:9]
	s_and_saveexec_b64 s[6:7], s[10:11]
	s_cbranch_execz .LBB60_12
; %bb.20:                               ;   in Loop: Header=BB60_13 Depth=2
	v_and_b32_e32 v26, s10, v16
	v_and_b32_e32 v12, s11, v17
	v_bcnt_u32_b32 v26, v26, 0
	v_bcnt_u32_b32 v12, v12, v26
	v_lshlrev_b32_e32 v12, 1, v12
	s_waitcnt lgkmcnt(0)
	v_lshl_add_u32 v9, v9, 1, v12
	ds_write_b16 v9, v7
	s_branch .LBB60_12
.LBB60_21:                              ;   in Loop: Header=BB60_8 Depth=1
	s_mov_b64 s[2:3], -1
	s_mov_b64 s[6:7], 0
	s_branch .LBB60_25
.LBB60_22:                              ;   in Loop: Header=BB60_8 Depth=1
	s_or_b64 exec, exec, s[8:9]
	s_waitcnt lgkmcnt(0)
	s_barrier
	s_mov_b64 s[6:7], exec
	v_readlane_b32 s8, v56, 8
	v_readlane_b32 s9, v56, 9
	s_and_b64 s[8:9], s[6:7], s[8:9]
	s_mov_b64 exec, s[8:9]
	s_cbranch_execz .LBB60_24
; %bb.23:                               ;   in Loop: Header=BB60_8 Depth=1
	ds_read_b32 v2, v13 offset:5136
	s_waitcnt lgkmcnt(0)
	v_ashrrev_i32_e32 v3, 31, v2
	ds_write_b64 v13, v[2:3] offset:5120
.LBB60_24:                              ;   in Loop: Header=BB60_8 Depth=1
	s_or_b64 exec, exec, s[6:7]
	s_waitcnt lgkmcnt(0)
	s_barrier
	s_mov_b64 s[6:7], -1
.LBB60_25:                              ;   in Loop: Header=BB60_8 Depth=1
                                        ; implicit-def: $sgpr82_sgpr83
.LBB60_26:                              ;   in Loop: Header=BB60_8 Depth=1
	s_and_b64 vcc, exec, s[2:3]
	s_cbranch_vccz .LBB60_37
; %bb.27:                               ;   in Loop: Header=BB60_8 Depth=1
	v_mov_b32_e32 v6, 0
	s_mov_b64 s[2:3], exec
	v_readlane_b32 s6, v56, 16
	v_readlane_b32 s7, v56, 17
	s_and_b64 s[6:7], s[2:3], s[6:7]
	s_mov_b64 exec, s[6:7]
	s_cbranch_execz .LBB60_29
; %bb.28:                               ;   in Loop: Header=BB60_8 Depth=1
	global_load_ushort v6, v[10:11], off
.LBB60_29:                              ;   in Loop: Header=BB60_8 Depth=1
	s_or_b64 exec, exec, s[2:3]
	s_mov_b64 s[2:3], exec
	v_readlane_b32 s6, v56, 16
	v_readlane_b32 s7, v56, 17
	s_and_b64 s[6:7], s[2:3], s[6:7]
	s_mov_b64 exec, s[6:7]
	s_cbranch_execz .LBB60_34
; %bb.30:                               ;   in Loop: Header=BB60_8 Depth=1
	global_load_ushort v7, v13, s[48:49]
	v_readlane_b32 s14, v56, 27
	v_pk_mov_b32 v[2:3], s[70:71], s[70:71] op_sel:[0,1]
	v_readlane_b32 s15, v56, 28
	s_mov_b64 s[8:9], 0
	v_mov_b32_e32 v8, v33
	s_waitcnt vmcnt(0)
	v_readfirstlane_b32 s1, v7
	s_and_b32 s6, 0xffff, s1
	v_add_u32_e32 v5, s6, v0
	s_lshl_b32 s1, s6, 1
	s_mul_i32 s10, s15, s6
	s_mul_hi_u32 s11, s14, s6
	s_mul_i32 s12, s14, s6
	v_mad_u64_u32 v[2:3], s[6:7], s14, v5, v[2:3]
	v_mov_b32_e32 v4, v3
	v_mad_u64_u32 v[4:5], s[6:7], s15, v5, v[4:5]
	s_add_i32 s13, s11, s10
	v_mov_b32_e32 v3, v4
	v_pk_mov_b32 v[4:5], v[0:1], v[0:1] op_sel:[0,1]
	s_branch .LBB60_32
.LBB60_31:                              ;   in Loop: Header=BB60_32 Depth=2
	s_or_b64 exec, exec, s[10:11]
	s_and_b64 s[6:7], exec, vcc
	ds_write_b16 v8, v6
	v_mov_b32_e32 v6, s13
	v_add_co_u32_e32 v2, vcc, s12, v2
	s_or_b64 s[8:9], s[6:7], s[8:9]
	v_add_u32_e32 v8, s1, v8
	v_addc_co_u32_e32 v3, vcc, v3, v6, vcc
	s_waitcnt vmcnt(0)
	v_mov_b32_e32 v6, v9
	s_andn2_b64 exec, exec, s[8:9]
	s_cbranch_execz .LBB60_34
.LBB60_32:                              ;   Parent Loop BB60_8 Depth=1
                                        ; =>  This Inner Loop Header: Depth=2
	v_add_co_u32_sdwa v4, vcc, v4, v7 dst_sel:DWORD dst_unused:UNUSED_PAD src0_sel:DWORD src1_sel:WORD_0
	v_addc_co_u32_e32 v5, vcc, 0, v5, vcc
	v_cmp_gt_i64_e64 s[6:7], s[52:53], v[4:5]
	v_cmp_le_i64_e32 vcc, s[52:53], v[4:5]
	v_mov_b32_e32 v9, 0
	s_and_saveexec_b64 s[10:11], s[6:7]
	s_cbranch_execz .LBB60_31
; %bb.33:                               ;   in Loop: Header=BB60_32 Depth=2
	global_load_ushort v9, v[2:3], off
	s_branch .LBB60_31
.LBB60_34:                              ;   in Loop: Header=BB60_8 Depth=1
	s_or_b64 exec, exec, s[2:3]
	s_waitcnt lgkmcnt(0)
	s_barrier
	s_mov_b64 s[2:3], exec
	v_readlane_b32 s6, v56, 8
	v_readlane_b32 s7, v56, 9
	s_and_b64 s[6:7], s[2:3], s[6:7]
	s_mov_b64 exec, s[6:7]
	s_cbranch_execz .LBB60_36
; %bb.35:                               ;   in Loop: Header=BB60_8 Depth=1
	v_pk_mov_b32 v[2:3], s[52:53], s[52:53] op_sel:[0,1]
	ds_write_b64 v13, v[2:3] offset:5120
.LBB60_36:                              ;   in Loop: Header=BB60_8 Depth=1
	s_or_b64 exec, exec, s[2:3]
	s_mov_b64 s[6:7], -1
	s_waitcnt lgkmcnt(0)
	s_barrier
                                        ; implicit-def: $sgpr82_sgpr83
.LBB60_37:                              ;   in Loop: Header=BB60_8 Depth=1
	s_and_b64 vcc, exec, s[6:7]
	s_cbranch_vccz .LBB60_39
; %bb.38:                               ;   in Loop: Header=BB60_8 Depth=1
	ds_read_b64 v[2:3], v13 offset:5120
	s_waitcnt lgkmcnt(0)
	v_readfirstlane_b32 s82, v2
.LBB60_39:                              ;   in Loop: Header=BB60_8 Depth=1
	s_cmp_lt_i32 s82, 1
	s_cbranch_scc0 .LBB60_54
; %bb.40:                               ;   in Loop: Header=BB60_8 Depth=1
	global_load_ushort v2, v13, s[48:49]
	s_mov_b32 s2, s73
	s_mov_b32 s3, s53
	s_waitcnt vmcnt(0)
	v_readfirstlane_b32 s1, v2
	s_and_b32 s1, s1, 0xffff
	s_lshl_b32 s72, s1, 2
	s_cmp_lg_u64 s[2:3], 0
	s_cbranch_scc0 .LBB60_74
; %bb.41:                               ;   in Loop: Header=BB60_8 Depth=1
	v_cvt_f32_u32_e32 v2, s72
	s_sub_u32 s2, 0, s72
	s_subb_u32 s3, 0, 0
	v_mac_f32_e32 v2, 0x4f800000, v43
	v_rcp_f32_e32 v2, v2
	v_mul_f32_e32 v2, 0x5f7ffffc, v2
	v_mul_f32_e32 v3, 0x2f800000, v2
	v_trunc_f32_e32 v3, v3
	v_mac_f32_e32 v2, 0xcf800000, v3
	v_cvt_u32_f32_e32 v3, v3
	v_cvt_u32_f32_e32 v2, v2
	v_readfirstlane_b32 s6, v3
	v_readfirstlane_b32 s7, v2
	s_mul_i32 s8, s2, s6
	s_mul_hi_u32 s10, s2, s7
	s_mul_i32 s9, s3, s7
	s_add_i32 s8, s10, s8
	s_mul_i32 s11, s2, s7
	s_add_i32 s8, s8, s9
	s_mul_hi_u32 s10, s7, s11
	s_mul_hi_u32 s9, s7, s8
	s_mul_i32 s7, s7, s8
	s_add_u32 s7, s10, s7
	s_addc_u32 s9, 0, s9
	s_mul_hi_u32 s12, s6, s11
	s_mul_i32 s11, s6, s11
	s_add_u32 s7, s7, s11
	s_mul_hi_u32 s10, s6, s8
	s_addc_u32 s7, s9, s12
	s_addc_u32 s9, s10, 0
	s_mul_i32 s8, s6, s8
	s_add_u32 s7, s7, s8
	s_addc_u32 s8, 0, s9
	v_add_co_u32_e32 v2, vcc, s7, v2
	s_cmp_lg_u64 vcc, 0
	s_addc_u32 s6, s6, s8
	v_readfirstlane_b32 s8, v2
	s_mul_i32 s7, s2, s6
	s_mul_hi_u32 s9, s2, s8
	s_add_i32 s7, s9, s7
	s_mul_i32 s3, s3, s8
	s_add_i32 s7, s7, s3
	s_mul_i32 s2, s2, s8
	s_mul_hi_u32 s9, s6, s2
	s_mul_i32 s10, s6, s2
	s_mul_i32 s12, s8, s7
	s_mul_hi_u32 s2, s8, s2
	s_mul_hi_u32 s11, s8, s7
	s_add_u32 s2, s2, s12
	s_addc_u32 s8, 0, s11
	s_add_u32 s2, s2, s10
	s_mul_hi_u32 s3, s6, s7
	s_addc_u32 s2, s8, s9
	s_addc_u32 s3, s3, 0
	s_mul_i32 s7, s6, s7
	s_add_u32 s2, s2, s7
	s_addc_u32 s3, 0, s3
	v_add_co_u32_e32 v2, vcc, s2, v2
	s_cmp_lg_u64 vcc, 0
	s_addc_u32 s8, s6, s3
	s_ashr_i32 s2, s53, 31
	s_add_u32 s6, s52, s2
	s_mov_b32 s3, s2
	s_addc_u32 s7, s53, s2
	s_xor_b64 s[6:7], s[6:7], s[2:3]
	v_readfirstlane_b32 s10, v2
	s_mul_i32 s9, s6, s8
	s_mul_hi_u32 s11, s6, s10
	s_mul_hi_u32 s3, s6, s8
	s_add_u32 s9, s11, s9
	s_addc_u32 s3, 0, s3
	s_mul_hi_u32 s12, s7, s10
	s_mul_i32 s10, s7, s10
	s_add_u32 s9, s9, s10
	s_mul_hi_u32 s11, s7, s8
	s_addc_u32 s3, s3, s12
	s_addc_u32 s9, s11, 0
	s_mul_i32 s8, s7, s8
	s_add_u32 s3, s3, s8
	s_addc_u32 s8, 0, s9
	s_mul_hi_u32 s9, s72, s3
	s_mul_i32 s3, s72, s3
	s_mul_i32 s8, s72, s8
	v_mov_b32_e32 v2, s3
	s_add_i32 s9, s9, s8
	v_sub_co_u32_e32 v2, vcc, s6, v2
	s_cmp_lg_u64 vcc, 0
	s_subb_u32 s3, s7, s9
	v_subrev_co_u32_e32 v3, vcc, s72, v2
	s_cmp_lg_u64 vcc, 0
	s_subb_u32 s6, s3, 0
	v_subrev_co_u32_e32 v4, vcc, s72, v3
	s_cmp_lg_u64 vcc, 0
	s_subb_u32 s7, s6, 0
	v_cmp_le_u32_e32 vcc, s72, v3
	s_cmp_eq_u32 s6, 0
	v_cndmask_b32_e64 v5, 0, -1, vcc
	s_cselect_b64 vcc, -1, 0
	v_cndmask_b32_e32 v5, -1, v5, vcc
	v_mov_b32_e32 v6, s6
	v_mov_b32_e32 v7, s7
	v_cmp_ne_u32_e32 vcc, 0, v5
	v_cndmask_b32_e32 v5, v6, v7, vcc
	v_cndmask_b32_e32 v3, v3, v4, vcc
	v_cmp_le_u32_e32 vcc, s72, v2
	s_cmp_eq_u32 s3, 0
	v_cndmask_b32_e64 v4, 0, -1, vcc
	s_cselect_b64 vcc, -1, 0
	v_cndmask_b32_e32 v4, -1, v4, vcc
	v_cmp_ne_u32_e32 vcc, 0, v4
	v_mov_b32_e32 v6, s3
	v_cndmask_b32_e32 v2, v2, v3, vcc
	v_cndmask_b32_e32 v4, v6, v5, vcc
	v_xor_b32_e32 v2, s2, v2
	v_xor_b32_e32 v3, s2, v4
	v_mov_b32_e32 v4, s2
	v_subrev_co_u32_e32 v26, vcc, s2, v2
	v_subb_co_u32_e32 v27, vcc, v3, v4, vcc
	s_cbranch_execnz .LBB60_43
.LBB60_42:                              ;   in Loop: Header=BB60_8 Depth=1
	v_cvt_f32_u32_e32 v2, s72
	s_sub_i32 s2, 0, s72
	v_rcp_iflag_f32_e32 v2, v2
	v_mul_f32_e32 v2, 0x4f7ffffe, v2
	v_cvt_u32_f32_e32 v2, v2
	v_mul_lo_u32 v3, s2, v2
	v_mul_hi_u32 v3, v2, v3
	v_add_u32_e32 v2, v2, v3
	v_mul_hi_u32 v2, s52, v2
	v_mul_lo_u32 v2, v2, s72
	v_sub_u32_e32 v2, s52, v2
	v_subrev_u32_e32 v3, s72, v2
	v_cmp_le_u32_e32 vcc, s72, v2
	v_cndmask_b32_e32 v2, v2, v3, vcc
	v_subrev_u32_e32 v3, s72, v2
	v_cmp_le_u32_e32 vcc, s72, v2
	v_cndmask_b32_e32 v12, v2, v3, vcc
	v_pk_mov_b32 v[26:27], v[12:13], v[12:13] op_sel:[0,1]
.LBB60_43:                              ;   in Loop: Header=BB60_8 Depth=1
	v_mov_b32_e32 v2, s53
	v_sub_co_u32_e32 v28, vcc, s52, v26
	v_subb_co_u32_e32 v29, vcc, v2, v27, vcc
	v_pk_mov_b32 v[2:3], 0, 0
	v_cmp_gt_i64_e32 vcc, v[28:29], v[14:15]
	s_mov_b64 s[60:61], 0
	v_pk_mov_b32 v[4:5], v[2:3], v[2:3] op_sel:[0,1]
	v_pk_mov_b32 v[6:7], v[2:3], v[2:3] op_sel:[0,1]
	;; [unrolled: 1-line block ×3, first 2 shown]
	s_and_saveexec_b64 s[84:85], vcc
	s_cbranch_execz .LBB60_47
; %bb.44:                               ;   in Loop: Header=BB60_8 Depth=1
	v_readlane_b32 s6, v56, 29
	v_readlane_b32 s7, v56, 30
	s_mul_i32 s2, s7, s1
	s_mul_hi_u32 s3, s6, s1
	s_mov_b32 s87, s45
	s_mov_b32 s79, s81
	s_and_b32 s78, s80, 0xfe
	s_add_i32 s83, s3, s2
	s_mul_i32 s81, s6, s1
	s_mov_b64 s[8:9], 0
	s_mov_b64 s[76:77], 0
	s_mov_b64 s[2:3], 0
	s_mov_b64 s[26:27], 0
	v_pk_mov_b32 v[30:31], v[14:15], v[14:15] op_sel:[0,1]
.LBB60_45:                              ;   Parent Loop BB60_8 Depth=1
                                        ; =>  This Inner Loop Header: Depth=2
	v_add_co_u32_e64 v30, s[6:7], s72, v30
	v_addc_co_u32_e64 v31, s[6:7], 0, v31, s[6:7]
	v_mov_b32_e32 v7, s71
	v_add_co_u32_e32 v2, vcc, s70, v22
	v_add_co_u32_e64 v8, s[6:7], s70, v24
	v_add_co_u32_e64 v4, s[10:11], s70, v20
	v_add_co_u32_e64 v6, s[12:13], s70, v18
	v_addc_co_u32_e64 v9, s[6:7], v7, v25, s[6:7]
	v_addc_co_u32_e32 v3, vcc, v7, v23, vcc
	v_addc_co_u32_e64 v5, vcc, v7, v21, s[10:11]
	v_addc_co_u32_e64 v7, vcc, v7, v19, s[12:13]
	global_load_ushort v8, v[8:9], off
	s_nop 0
	global_load_ushort v2, v[2:3], off
	s_nop 0
	;; [unrolled: 2-line block ×3, first 2 shown]
	global_load_ushort v4, v[6:7], off
	v_cmp_ge_i64_e32 vcc, v[30:31], v[28:29]
	s_waitcnt vmcnt(3)
	v_cmp_lt_i16_e64 s[6:7], -1, v8
	v_cndmask_b32_e64 v5, v41, v42, s[6:7]
	s_waitcnt vmcnt(2)
	v_cmp_lt_i16_e64 s[6:7], -1, v2
	v_cndmask_b32_e64 v6, v41, v42, s[6:7]
	;; [unrolled: 3-line block ×4, first 2 shown]
	v_xor_b32_sdwa v6, v6, v2 dst_sel:DWORD dst_unused:UNUSED_PAD src0_sel:DWORD src1_sel:WORD_0
	v_cmp_o_f16_e64 s[6:7], v2, v2
	v_xor_b32_sdwa v2, v7, v3 dst_sel:DWORD dst_unused:UNUSED_PAD src0_sel:DWORD src1_sel:WORD_0
	v_cmp_o_f16_e64 s[10:11], v3, v3
	;; [unrolled: 2-line block ×4, first 2 shown]
	v_cndmask_b32_e64 v4, v41, v4, s[14:15]
	v_cndmask_b32_e64 v5, v41, v6, s[6:7]
	v_and_b32_e32 v6, s75, v4
	v_bfe_u32 v4, v4, s78, 2
	v_cndmask_b32_e64 v2, v41, v2, s[10:11]
	v_and_b32_e32 v7, s75, v5
	v_bfe_u32 v5, v5, s78, 2
	v_cmp_eq_u32_e64 s[16:17], s0, v6
	v_cmp_eq_u32_e64 s[6:7], 0, v4
	v_cndmask_b32_e64 v3, v41, v3, s[12:13]
	v_and_b32_e32 v8, s75, v2
	v_bfe_u32 v2, v2, s78, 2
	v_cmp_eq_u32_e64 s[14:15], s0, v7
	v_cmp_eq_u32_e64 s[28:29], 0, v5
	s_and_b64 s[6:7], s[16:17], s[6:7]
	v_and_b32_e32 v9, s75, v3
	v_bfe_u32 v3, v3, s78, 2
	v_cmp_eq_u32_e64 s[12:13], s0, v8
	v_cmp_eq_u32_e64 s[30:31], 0, v2
	;; [unrolled: 1-line block ×5, first 2 shown]
	v_cndmask_b32_e64 v2, 0, 1, s[6:7]
	s_and_b64 s[6:7], s[14:15], s[28:29]
	v_cmp_eq_u32_e64 s[10:11], s0, v9
	v_cmp_eq_u32_e64 s[34:35], 0, v3
	;; [unrolled: 1-line block ×5, first 2 shown]
	v_cndmask_b32_e64 v3, 0, 1, s[6:7]
	s_and_b64 s[6:7], s[12:13], s[30:31]
	v_cmp_eq_u32_e64 s[36:37], 1, v4
	v_cmp_eq_u32_e64 s[44:45], 2, v4
	;; [unrolled: 1-line block ×3, first 2 shown]
	v_cndmask_b32_e64 v4, 0, 1, s[6:7]
	s_and_b64 s[6:7], s[10:11], s[34:35]
	v_cmp_eq_u32_e64 s[38:39], 1, v5
	v_cmp_eq_u32_e64 s[46:47], 2, v5
	v_cmp_eq_u32_e64 s[22:23], 3, v5
	v_cndmask_b32_e64 v5, 0, 1, s[6:7]
	v_cmp_ne_u32_e64 s[6:7], 0, v2
	v_cmp_ne_u32_e64 s[28:29], 0, v3
	v_cmp_ne_u32_e64 s[30:31], 0, v4
	v_cmp_ne_u32_e64 s[34:35], 0, v5
	s_bcnt1_i32_b64 s6, s[6:7]
	s_bcnt1_i32_b64 s7, s[28:29]
	s_bcnt1_i32_b64 s28, s[30:31]
	s_bcnt1_i32_b64 s29, s[34:35]
	s_add_u32 s6, s6, s26
	s_addc_u32 s26, 0, s27
	s_add_u32 s6, s6, s7
	s_addc_u32 s7, s26, 0
	s_add_u32 s6, s6, s28
	s_addc_u32 s7, s7, 0
	s_add_u32 s26, s6, s29
	s_addc_u32 s27, s7, 0
	s_and_b64 s[6:7], s[16:17], s[36:37]
	v_cndmask_b32_e64 v4, 0, 1, s[6:7]
	s_and_b64 s[6:7], s[14:15], s[38:39]
	v_cndmask_b32_e64 v5, 0, 1, s[6:7]
	s_and_b64 s[6:7], s[12:13], s[40:41]
	v_cndmask_b32_e64 v6, 0, 1, s[6:7]
	s_and_b64 s[6:7], s[10:11], s[42:43]
	v_cndmask_b32_e64 v7, 0, 1, s[6:7]
	v_cmp_ne_u32_e64 s[6:7], 0, v4
	v_cmp_ne_u32_e64 s[28:29], 0, v5
	v_cmp_ne_u32_e64 s[30:31], 0, v6
	v_cmp_ne_u32_e64 s[34:35], 0, v7
	s_bcnt1_i32_b64 s6, s[6:7]
	s_bcnt1_i32_b64 s7, s[28:29]
	s_bcnt1_i32_b64 s28, s[30:31]
	s_bcnt1_i32_b64 s29, s[34:35]
	s_add_u32 s2, s6, s2
	s_addc_u32 s3, 0, s3
	s_add_u32 s2, s2, s7
	s_addc_u32 s3, s3, 0
	s_add_u32 s2, s2, s28
	s_addc_u32 s3, s3, 0
	s_add_u32 s2, s2, s29
	s_addc_u32 s3, s3, 0
	s_and_b64 s[6:7], s[16:17], s[44:45]
	v_cndmask_b32_e64 v6, 0, 1, s[6:7]
	s_and_b64 s[6:7], s[14:15], s[46:47]
	v_cndmask_b32_e64 v7, 0, 1, s[6:7]
	s_and_b64 s[6:7], s[12:13], s[48:49]
	v_cndmask_b32_e64 v8, 0, 1, s[6:7]
	s_and_b64 s[6:7], s[10:11], s[50:51]
	;; [unrolled: 24-line block ×3, first 2 shown]
	v_cndmask_b32_e64 v47, 0, 1, s[6:7]
	v_cmp_ne_u32_e64 s[6:7], 0, v8
	v_cmp_ne_u32_e64 s[10:11], 0, v9
	;; [unrolled: 1-line block ×4, first 2 shown]
	s_bcnt1_i32_b64 s6, s[6:7]
	s_bcnt1_i32_b64 s7, s[10:11]
	;; [unrolled: 1-line block ×4, first 2 shown]
	s_add_u32 s6, s6, s8
	s_addc_u32 s8, 0, s9
	s_add_u32 s6, s6, s7
	s_addc_u32 s7, s8, 0
	;; [unrolled: 2-line block ×5, first 2 shown]
	v_pk_mov_b32 v[2:3], s[26:27], s[26:27] op_sel:[0,1]
	v_pk_mov_b32 v[4:5], s[2:3], s[2:3] op_sel:[0,1]
	;; [unrolled: 1-line block ×3, first 2 shown]
	s_or_b64 s[60:61], vcc, s[60:61]
	v_pk_mov_b32 v[8:9], s[8:9], s[8:9] op_sel:[0,1]
	s_andn2_b64 exec, exec, s[60:61]
	s_cbranch_execnz .LBB60_45
; %bb.46:                               ;   in Loop: Header=BB60_8 Depth=1
	s_or_b64 exec, exec, s[60:61]
	v_readlane_b32 s70, v56, 31
	v_readlane_b32 s46, v56, 33
	;; [unrolled: 1-line block ×5, first 2 shown]
	s_mov_b32 s81, s79
	s_mov_b32 s45, s87
	v_readlane_b32 s49, v56, 36
	s_movk_i32 s50, 0x3c00
.LBB60_47:                              ;   in Loop: Header=BB60_8 Depth=1
	s_or_b64 exec, exec, s[84:85]
	v_add_co_u32_e32 v28, vcc, v28, v0
	v_addc_co_u32_e32 v29, vcc, 0, v29, vcc
	v_cmp_gt_i64_e32 vcc, s[52:53], v[28:29]
	v_mov_b32_e32 v12, 0
	s_and_saveexec_b64 s[2:3], vcc
	s_cbranch_execz .LBB60_49
; %bb.48:                               ;   in Loop: Header=BB60_8 Depth=1
	v_mul_lo_u32 v12, v29, s58
	v_mul_lo_u32 v47, v28, s59
	v_mad_u64_u32 v[30:31], s[6:7], v28, s58, 0
	v_add3_u32 v31, v31, v47, v12
	v_lshlrev_b64 v[30:31], 1, v[30:31]
	v_mov_b32_e32 v12, s71
	v_add_co_u32_e64 v30, s[6:7], s70, v30
	v_addc_co_u32_e64 v31, s[6:7], v12, v31, s[6:7]
	global_load_ushort v12, v[30:31], off
.LBB60_49:                              ;   in Loop: Header=BB60_8 Depth=1
	s_or_b64 exec, exec, s[2:3]
	s_and_saveexec_b64 s[2:3], vcc
	s_cbranch_execz .LBB60_56
; %bb.50:                               ;   in Loop: Header=BB60_8 Depth=1
	v_mov_b32_e32 v30, s73
	v_add_co_u32_e32 v31, vcc, s1, v38
	v_addc_co_u32_e32 v30, vcc, v39, v30, vcc
	v_sub_co_u32_e32 v31, vcc, v31, v26
	v_subb_co_u32_e32 v26, vcc, v30, v27, vcc
	v_readlane_b32 s8, v56, 27
	v_mul_lo_u32 v30, s8, v26
	v_pk_mov_b32 v[26:27], s[70:71], s[70:71] op_sel:[0,1]
	v_readlane_b32 s9, v56, 28
	v_mad_u64_u32 v[26:27], s[6:7], s8, v31, v[26:27]
	v_mul_lo_u32 v47, s9, v31
	s_mul_i32 s6, s9, s1
	s_mul_hi_u32 s7, s8, s1
	s_and_b32 s12, s80, 0xfe
	v_add3_u32 v27, v47, v27, v30
	s_add_i32 s13, s7, s6
	s_mul_i32 s14, s8, s1
	s_mov_b64 s[8:9], 0
	s_branch .LBB60_52
.LBB60_51:                              ;   in Loop: Header=BB60_52 Depth=2
	s_or_b64 exec, exec, s[10:11]
	s_and_b64 s[6:7], exec, vcc
	s_waitcnt vmcnt(0)
	v_cmp_lt_i16_e32 vcc, -1, v12
	v_cndmask_b32_e32 v31, v41, v42, vcc
	v_xor_b32_sdwa v31, v31, v12 dst_sel:DWORD dst_unused:UNUSED_PAD src0_sel:DWORD src1_sel:WORD_0
	v_cmp_o_f16_e32 vcc, v12, v12
	v_cndmask_b32_e32 v12, v41, v31, vcc
	v_and_b32_e32 v31, s75, v12
	v_bfe_u32 v12, v12, s12, 2
	s_or_b64 s[8:9], s[6:7], s[8:9]
	v_cmp_eq_u32_e32 vcc, s0, v31
	v_cmp_eq_u32_e64 s[6:7], 0, v12
	s_and_b64 s[6:7], vcc, s[6:7]
	v_cndmask_b32_e64 v31, 0, 1, s[6:7]
	v_cmp_ne_u32_e64 s[6:7], 0, v31
	s_bcnt1_i32_b64 s6, s[6:7]
	v_add_co_u32_e64 v2, s[6:7], s6, v2
	v_addc_co_u32_e64 v3, s[6:7], 0, v3, s[6:7]
	v_cmp_eq_u32_e64 s[6:7], 1, v12
	s_and_b64 s[6:7], vcc, s[6:7]
	v_cndmask_b32_e64 v31, 0, 1, s[6:7]
	v_cmp_ne_u32_e64 s[6:7], 0, v31
	s_bcnt1_i32_b64 s6, s[6:7]
	v_add_co_u32_e64 v4, s[6:7], s6, v4
	v_addc_co_u32_e64 v5, s[6:7], 0, v5, s[6:7]
	;; [unrolled: 7-line block ×3, first 2 shown]
	v_cmp_eq_u32_e64 s[6:7], 3, v12
	s_and_b64 s[6:7], vcc, s[6:7]
	v_cndmask_b32_e64 v12, 0, 1, s[6:7]
	v_cmp_ne_u32_e32 vcc, 0, v12
	s_bcnt1_i32_b64 s6, vcc
	v_add_co_u32_e32 v8, vcc, s6, v8
	v_addc_co_u32_e32 v9, vcc, 0, v9, vcc
	v_mov_b32_e32 v12, s13
	v_add_co_u32_e32 v26, vcc, s14, v26
	v_addc_co_u32_e32 v27, vcc, v27, v12, vcc
	v_mov_b32_e32 v12, v30
	s_andn2_b64 exec, exec, s[8:9]
	s_cbranch_execz .LBB60_55
.LBB60_52:                              ;   Parent Loop BB60_8 Depth=1
                                        ; =>  This Inner Loop Header: Depth=2
	v_mov_b32_e32 v30, s73
	v_add_co_u32_e32 v28, vcc, s1, v28
	v_addc_co_u32_e32 v29, vcc, v29, v30, vcc
	v_cmp_gt_i64_e64 s[6:7], s[52:53], v[28:29]
	v_cmp_le_i64_e32 vcc, s[52:53], v[28:29]
	v_mov_b32_e32 v30, 0
	s_and_saveexec_b64 s[10:11], s[6:7]
	s_cbranch_execz .LBB60_51
; %bb.53:                               ;   in Loop: Header=BB60_52 Depth=2
	global_load_ushort v30, v[26:27], off
	s_branch .LBB60_51
.LBB60_54:                              ;   in Loop: Header=BB60_8 Depth=1
                                        ; implicit-def: $vgpr8_vgpr9
                                        ; implicit-def: $vgpr4_vgpr5
	s_cbranch_execnz .LBB60_57
	s_branch .LBB60_66
.LBB60_55:                              ;   in Loop: Header=BB60_8 Depth=1
	s_or_b64 exec, exec, s[8:9]
.LBB60_56:                              ;   in Loop: Header=BB60_8 Depth=1
	s_or_b64 exec, exec, s[2:3]
	s_branch .LBB60_66
.LBB60_57:                              ;   in Loop: Header=BB60_8 Depth=1
	global_load_ushort v8, v13, s[48:49]
	s_mov_b64 s[60:61], 0
	s_waitcnt vmcnt(0)
	v_readfirstlane_b32 s1, v8
	s_and_b32 s1, 0xffff, s1
	s_lshl_b32 s1, s1, 2
	v_cvt_f32_u32_e32 v2, s1
	s_sub_i32 s2, 0, s1
	v_and_b32_e32 v28, 0xffff, v8
	v_rcp_iflag_f32_e32 v6, v2
	v_pk_mov_b32 v[2:3], 0, 0
	v_pk_mov_b32 v[4:5], v[2:3], v[2:3] op_sel:[0,1]
	v_mul_f32_e32 v6, 0x4f7ffffe, v6
	v_cvt_u32_f32_e32 v9, v6
	v_pk_mov_b32 v[6:7], v[2:3], v[2:3] op_sel:[0,1]
	v_readfirstlane_b32 s3, v9
	s_mul_i32 s2, s2, s3
	s_mul_hi_u32 s2, s3, s2
	s_add_i32 s3, s3, s2
	s_mul_hi_u32 s2, s82, s3
	s_mul_i32 s2, s2, s1
	s_sub_i32 s2, s82, s2
	s_sub_i32 s3, s2, s1
	s_cmp_ge_u32 s2, s1
	s_cselect_b32 s2, s3, s2
	s_sub_i32 s3, s2, s1
	s_cmp_ge_u32 s2, s1
	s_cselect_b32 s2, s3, s2
	s_sub_i32 s72, s82, s2
	v_cmp_gt_u32_e32 vcc, s72, v14
	v_pk_mov_b32 v[8:9], v[2:3], v[2:3] op_sel:[0,1]
	s_and_saveexec_b64 s[2:3], vcc
	s_cbranch_execz .LBB60_61
; %bb.58:                               ;   in Loop: Header=BB60_8 Depth=1
	s_mov_b32 s79, s45
	s_and_b32 s78, s80, 0xfe
	v_lshlrev_b32_e32 v12, 3, v28
	v_mov_b32_e32 v29, v37
	s_mov_b64 s[8:9], 0
	s_mov_b64 s[26:27], 0
	;; [unrolled: 1-line block ×4, first 2 shown]
	v_pk_mov_b32 v[26:27], v[14:15], v[14:15] op_sel:[0,1]
.LBB60_59:                              ;   Parent Loop BB60_8 Depth=1
                                        ; =>  This Inner Loop Header: Depth=2
	ds_read_b64 v[2:3], v29
	v_add_co_u32_e32 v26, vcc, s1, v26
	v_addc_co_u32_e32 v27, vcc, 0, v27, vcc
	s_waitcnt lgkmcnt(0)
	v_cmp_lt_i16_e64 s[6:7], -1, v2
	v_cndmask_b32_e64 v4, v41, v42, s[6:7]
	v_cmp_gt_i16_sdwa s[6:7], v2, v44 src0_sel:WORD_1 src1_sel:DWORD
	v_cndmask_b32_e64 v5, v41, v42, s[6:7]
	v_cmp_lt_i16_e64 s[6:7], -1, v3
	v_cndmask_b32_e64 v6, v41, v42, s[6:7]
	v_cmp_gt_i16_sdwa s[6:7], v3, v44 src0_sel:WORD_1 src1_sel:DWORD
	v_cndmask_b32_e64 v7, v41, v42, s[6:7]
	v_xor_b32_sdwa v6, v6, v3 dst_sel:DWORD dst_unused:UNUSED_PAD src0_sel:DWORD src1_sel:WORD_0
	v_cmp_o_f16_e64 s[10:11], v3, v3
	v_xor_b32_sdwa v7, v7, v3 dst_sel:DWORD dst_unused:UNUSED_PAD src0_sel:DWORD src1_sel:WORD_1
	v_cmp_o_f16_sdwa s[12:13], v3, v3 src0_sel:WORD_1 src1_sel:WORD_1
	v_xor_b32_sdwa v3, v4, v2 dst_sel:DWORD dst_unused:UNUSED_PAD src0_sel:DWORD src1_sel:WORD_0
	v_cmp_o_f16_e64 s[14:15], v2, v2
	v_xor_b32_sdwa v5, v5, v2 dst_sel:DWORD dst_unused:UNUSED_PAD src0_sel:DWORD src1_sel:WORD_1
	v_cmp_o_f16_sdwa s[6:7], v2, v2 src0_sel:WORD_1 src1_sel:WORD_1
	v_cndmask_b32_e64 v2, v41, v3, s[14:15]
	v_cndmask_b32_e64 v3, v41, v5, s[6:7]
	;; [unrolled: 1-line block ×3, first 2 shown]
	v_and_b32_e32 v6, s75, v2
	v_bfe_u32 v2, v2, s78, 2
	v_cndmask_b32_e64 v5, v41, v7, s[12:13]
	v_and_b32_e32 v7, s75, v3
	v_bfe_u32 v3, v3, s78, 2
	v_cmp_eq_u32_e64 s[16:17], s0, v6
	v_cmp_eq_u32_e64 s[6:7], 0, v2
	v_and_b32_e32 v8, s75, v4
	v_bfe_u32 v4, v4, s78, 2
	v_cmp_eq_u32_e64 s[14:15], s0, v7
	v_cmp_eq_u32_e64 s[28:29], 0, v3
	s_and_b64 s[6:7], s[16:17], s[6:7]
	v_and_b32_e32 v9, s75, v5
	v_bfe_u32 v5, v5, s78, 2
	v_cmp_eq_u32_e64 s[12:13], s0, v8
	v_cmp_eq_u32_e64 s[30:31], 0, v4
	;; [unrolled: 1-line block ×5, first 2 shown]
	v_cndmask_b32_e64 v2, 0, 1, s[6:7]
	s_and_b64 s[6:7], s[14:15], s[28:29]
	v_cmp_eq_u32_e64 s[10:11], s0, v9
	v_cmp_eq_u32_e64 s[34:35], 0, v5
	;; [unrolled: 1-line block ×5, first 2 shown]
	v_cndmask_b32_e64 v3, 0, 1, s[6:7]
	s_and_b64 s[6:7], s[12:13], s[30:31]
	v_cmp_eq_u32_e64 s[40:41], 1, v4
	v_cmp_eq_u32_e64 s[48:49], 2, v4
	;; [unrolled: 1-line block ×3, first 2 shown]
	v_cndmask_b32_e64 v4, 0, 1, s[6:7]
	s_and_b64 s[6:7], s[10:11], s[34:35]
	v_cmp_eq_u32_e64 s[42:43], 1, v5
	v_cmp_eq_u32_e64 s[50:51], 2, v5
	;; [unrolled: 1-line block ×3, first 2 shown]
	v_cndmask_b32_e64 v5, 0, 1, s[6:7]
	v_cmp_ne_u32_e64 s[6:7], 0, v2
	v_cmp_ne_u32_e64 s[28:29], 0, v3
	v_cmp_ne_u32_e64 s[30:31], 0, v4
	v_cmp_ne_u32_e64 s[34:35], 0, v5
	s_bcnt1_i32_b64 s6, s[6:7]
	s_bcnt1_i32_b64 s7, s[28:29]
	s_bcnt1_i32_b64 s28, s[30:31]
	s_bcnt1_i32_b64 s29, s[34:35]
	s_add_u32 s6, s6, s76
	s_addc_u32 s30, 0, s77
	s_add_u32 s6, s6, s7
	s_addc_u32 s7, s30, 0
	s_add_u32 s6, s6, s28
	s_addc_u32 s7, s7, 0
	s_add_u32 s76, s6, s29
	s_addc_u32 s77, s7, 0
	s_and_b64 s[6:7], s[16:17], s[36:37]
	v_cndmask_b32_e64 v4, 0, 1, s[6:7]
	s_and_b64 s[6:7], s[14:15], s[38:39]
	v_cndmask_b32_e64 v5, 0, 1, s[6:7]
	s_and_b64 s[6:7], s[12:13], s[40:41]
	v_cndmask_b32_e64 v6, 0, 1, s[6:7]
	s_and_b64 s[6:7], s[10:11], s[42:43]
	v_cndmask_b32_e64 v7, 0, 1, s[6:7]
	v_cmp_ne_u32_e64 s[6:7], 0, v4
	v_cmp_ne_u32_e64 s[28:29], 0, v5
	v_cmp_ne_u32_e64 s[30:31], 0, v6
	v_cmp_ne_u32_e64 s[34:35], 0, v7
	s_bcnt1_i32_b64 s6, s[6:7]
	s_bcnt1_i32_b64 s7, s[28:29]
	s_bcnt1_i32_b64 s28, s[30:31]
	s_bcnt1_i32_b64 s29, s[34:35]
	s_add_u32 s6, s6, s70
	s_addc_u32 s30, 0, s71
	s_add_u32 s6, s6, s7
	s_addc_u32 s7, s30, 0
	s_add_u32 s6, s6, s28
	s_addc_u32 s7, s7, 0
	s_add_u32 s70, s6, s29
	s_addc_u32 s71, s7, 0
	s_and_b64 s[6:7], s[16:17], s[44:45]
	v_cndmask_b32_e64 v6, 0, 1, s[6:7]
	s_and_b64 s[6:7], s[14:15], s[46:47]
	v_cndmask_b32_e64 v7, 0, 1, s[6:7]
	s_and_b64 s[6:7], s[12:13], s[48:49]
	v_cndmask_b32_e64 v8, 0, 1, s[6:7]
	s_and_b64 s[6:7], s[10:11], s[50:51]
	;; [unrolled: 24-line block ×3, first 2 shown]
	v_cndmask_b32_e64 v31, 0, 1, s[6:7]
	v_cmp_ne_u32_e64 s[6:7], 0, v8
	v_cmp_ne_u32_e64 s[10:11], 0, v9
	v_cmp_ne_u32_e64 s[12:13], 0, v30
	v_cmp_ne_u32_e64 s[14:15], 0, v31
	s_bcnt1_i32_b64 s6, s[6:7]
	s_bcnt1_i32_b64 s7, s[10:11]
	;; [unrolled: 1-line block ×4, first 2 shown]
	s_add_u32 s6, s6, s8
	s_addc_u32 s8, 0, s9
	s_add_u32 s6, s6, s7
	s_addc_u32 s7, s8, 0
	;; [unrolled: 2-line block ×3, first 2 shown]
	s_add_u32 s8, s6, s11
	v_cmp_le_u64_e32 vcc, s[72:73], v[26:27]
	s_addc_u32 s9, s7, 0
	v_add_u32_e32 v29, v29, v12
	v_pk_mov_b32 v[2:3], s[76:77], s[76:77] op_sel:[0,1]
	v_pk_mov_b32 v[4:5], s[70:71], s[70:71] op_sel:[0,1]
	;; [unrolled: 1-line block ×3, first 2 shown]
	s_or_b64 s[60:61], vcc, s[60:61]
	v_pk_mov_b32 v[8:9], s[8:9], s[8:9] op_sel:[0,1]
	s_andn2_b64 exec, exec, s[60:61]
	s_cbranch_execnz .LBB60_59
; %bb.60:                               ;   in Loop: Header=BB60_8 Depth=1
	s_or_b64 exec, exec, s[60:61]
	v_readlane_b32 s70, v56, 31
	v_readlane_b32 s46, v56, 33
	;; [unrolled: 1-line block ×5, first 2 shown]
	s_mov_b32 s45, s79
	v_readlane_b32 s49, v56, 36
	s_movk_i32 s50, 0x3c00
.LBB60_61:                              ;   in Loop: Header=BB60_8 Depth=1
	s_or_b64 exec, exec, s[2:3]
	v_add_u32_e32 v12, s72, v0
	v_cmp_gt_u32_e32 vcc, s82, v12
	s_and_saveexec_b64 s[2:3], vcc
	s_cbranch_execz .LBB60_65
; %bb.62:                               ;   in Loop: Header=BB60_8 Depth=1
	s_and_b32 s72, s82, 0x7fffffff
	s_and_b32 s1, s80, 0xfe
	v_lshlrev_b32_e32 v29, 1, v12
	v_lshlrev_b32_e32 v30, 1, v28
	s_mov_b64 s[8:9], 0
	v_pk_mov_b32 v[26:27], v[12:13], v[12:13] op_sel:[0,1]
.LBB60_63:                              ;   Parent Loop BB60_8 Depth=1
                                        ; =>  This Inner Loop Header: Depth=2
	ds_read_u16 v12, v29
	v_add_co_u32_e32 v26, vcc, v26, v28
	v_addc_co_u32_e32 v27, vcc, 0, v27, vcc
	s_waitcnt lgkmcnt(0)
	v_cmp_lt_i16_e64 s[6:7], -1, v12
	v_cndmask_b32_e64 v31, v41, v42, s[6:7]
	v_xor_b32_sdwa v31, v31, v12 dst_sel:DWORD dst_unused:UNUSED_PAD src0_sel:DWORD src1_sel:WORD_0
	v_cmp_o_f16_e64 s[6:7], v12, v12
	v_cndmask_b32_e64 v12, v41, v31, s[6:7]
	v_and_b32_e32 v31, s75, v12
	v_bfe_u32 v12, v12, s1, 2
	v_cmp_eq_u32_e64 s[6:7], s0, v31
	v_cmp_eq_u32_e64 s[10:11], 0, v12
	;; [unrolled: 1-line block ×3, first 2 shown]
	s_and_b64 s[10:11], s[6:7], s[10:11]
	v_cmp_eq_u32_e64 s[14:15], 2, v12
	v_cmp_eq_u32_e64 s[16:17], 3, v12
	v_cndmask_b32_e64 v12, 0, 1, s[10:11]
	s_and_b64 s[10:11], s[6:7], s[12:13]
	v_cndmask_b32_e64 v31, 0, 1, s[10:11]
	s_and_b64 s[10:11], s[6:7], s[14:15]
	s_and_b64 s[6:7], s[6:7], s[16:17]
	v_cndmask_b32_e64 v48, 0, 1, s[6:7]
	v_cmp_ne_u32_e64 s[6:7], 0, v12
	s_bcnt1_i32_b64 s6, s[6:7]
	v_cndmask_b32_e64 v47, 0, 1, s[10:11]
	v_cmp_ne_u32_e64 s[10:11], 0, v31
	v_add_co_u32_e64 v2, s[6:7], s6, v2
	s_bcnt1_i32_b64 s10, s[10:11]
	v_addc_co_u32_e64 v3, s[6:7], 0, v3, s[6:7]
	v_cmp_ne_u32_e64 s[12:13], 0, v47
	v_cmp_ne_u32_e64 s[14:15], 0, v48
	v_add_co_u32_e64 v4, s[6:7], s10, v4
	v_cmp_le_u64_e32 vcc, s[72:73], v[26:27]
	s_bcnt1_i32_b64 s11, s[12:13]
	s_bcnt1_i32_b64 s12, s[14:15]
	v_addc_co_u32_e64 v5, s[6:7], 0, v5, s[6:7]
	v_add_co_u32_e64 v6, s[6:7], s11, v6
	s_or_b64 s[8:9], vcc, s[8:9]
	v_add_co_u32_e32 v8, vcc, s12, v8
	v_add_u32_e32 v29, v29, v30
	v_addc_co_u32_e64 v7, s[6:7], 0, v7, s[6:7]
	v_addc_co_u32_e32 v9, vcc, 0, v9, vcc
	s_andn2_b64 exec, exec, s[8:9]
	s_cbranch_execnz .LBB60_63
; %bb.64:                               ;   in Loop: Header=BB60_8 Depth=1
	s_or_b64 exec, exec, s[8:9]
.LBB60_65:                              ;   in Loop: Header=BB60_8 Depth=1
	s_or_b64 exec, exec, s[2:3]
.LBB60_66:                              ;   in Loop: Header=BB60_8 Depth=1
	s_lshl_b32 s1, s86, 6
	s_and_saveexec_b64 s[2:3], s[4:5]
	s_cbranch_execz .LBB60_68
; %bb.67:                               ;   in Loop: Header=BB60_8 Depth=1
	s_waitcnt vmcnt(0)
	v_or_b32_e32 v12, s1, v35
	v_lshlrev_b32_e32 v12, 3, v12
	ds_write_b128 v12, v[2:5] offset:3072
	ds_write_b128 v12, v[6:9] offset:3088
.LBB60_68:                              ;   in Loop: Header=BB60_8 Depth=1
	s_or_b64 exec, exec, s[2:3]
	s_waitcnt lgkmcnt(0)
	s_barrier
	s_and_saveexec_b64 s[2:3], s[46:47]
	s_cbranch_execz .LBB60_80
; %bb.69:                               ;   in Loop: Header=BB60_8 Depth=1
	v_readlane_b32 s6, v56, 18
	v_readlane_b32 s7, v56, 19
	s_andn2_b64 vcc, exec, s[6:7]
	v_pk_mov_b32 v[2:3], 0, 0
	s_cbranch_vccnz .LBB60_79
; %bb.70:                               ;   in Loop: Header=BB60_8 Depth=1
	v_readlane_b32 s6, v56, 22
	v_readlane_b32 s7, v56, 23
	s_andn2_b64 vcc, exec, s[6:7]
	s_cbranch_vccnz .LBB60_75
; %bb.71:                               ;   in Loop: Header=BB60_8 Depth=1
	v_lshl_add_u32 v4, s86, 9, v40
	s_mov_b32 s6, 0
	v_pk_mov_b32 v[2:3], 0, 0
.LBB60_72:                              ;   Parent Loop BB60_8 Depth=1
                                        ; =>  This Inner Loop Header: Depth=2
	s_waitcnt vmcnt(0)
	ds_read2_b64 v[6:9], v4 offset1:4
	ds_read2_b64 v[26:29], v4 offset0:8 offset1:12
	ds_read2_b64 v[48:51], v4 offset0:16 offset1:20
	;; [unrolled: 1-line block ×3, first 2 shown]
	s_add_i32 s6, s6, 8
	s_waitcnt lgkmcnt(3)
	v_add_co_u32_e32 v2, vcc, v6, v2
	v_addc_co_u32_e32 v3, vcc, v7, v3, vcc
	v_add_co_u32_e32 v2, vcc, v8, v2
	v_addc_co_u32_e32 v3, vcc, v9, v3, vcc
	s_waitcnt lgkmcnt(2)
	v_add_co_u32_e32 v2, vcc, v26, v2
	v_addc_co_u32_e32 v3, vcc, v27, v3, vcc
	v_add_co_u32_e32 v2, vcc, v28, v2
	v_addc_co_u32_e32 v3, vcc, v29, v3, vcc
	;; [unrolled: 5-line block ×3, first 2 shown]
	s_waitcnt lgkmcnt(0)
	v_add_co_u32_e32 v2, vcc, v52, v2
	v_addc_co_u32_e32 v3, vcc, v53, v3, vcc
	v_add_co_u32_e32 v2, vcc, v54, v2
	v_add_u32_e32 v4, 0x100, v4
	s_cmp_eq_u32 s89, s6
	v_addc_co_u32_e32 v3, vcc, v55, v3, vcc
	s_cbranch_scc0 .LBB60_72
; %bb.73:                               ;   in Loop: Header=BB60_8 Depth=1
	s_mov_b32 s6, s89
	s_branch .LBB60_76
.LBB60_74:                              ;   in Loop: Header=BB60_8 Depth=1
                                        ; implicit-def: $vgpr26_vgpr27
	s_branch .LBB60_42
.LBB60_75:                              ;   in Loop: Header=BB60_8 Depth=1
	s_mov_b32 s6, 0
	v_pk_mov_b32 v[2:3], 0, 0
.LBB60_76:                              ;   in Loop: Header=BB60_8 Depth=1
	v_readlane_b32 s8, v56, 25
	v_readlane_b32 s9, v56, 26
	s_andn2_b64 vcc, exec, s[8:9]
	s_cbranch_vccnz .LBB60_79
; %bb.77:                               ;   in Loop: Header=BB60_8 Depth=1
	s_lshl_b32 s7, s86, 9
	s_lshl_b32 s6, s6, 5
	s_add_i32 s7, s7, s6
	v_add_u32_e32 v4, s7, v40
	v_readlane_b32 s6, v56, 24
.LBB60_78:                              ;   Parent Loop BB60_8 Depth=1
                                        ; =>  This Inner Loop Header: Depth=2
	s_waitcnt vmcnt(0)
	ds_read_b64 v[6:7], v4
	s_add_i32 s6, s6, -1
	v_add_u32_e32 v4, 32, v4
	s_cmp_lg_u32 s6, 0
	s_waitcnt lgkmcnt(0)
	v_add_co_u32_e32 v2, vcc, v6, v2
	v_addc_co_u32_e32 v3, vcc, v7, v3, vcc
	s_cbranch_scc1 .LBB60_78
.LBB60_79:                              ;   in Loop: Header=BB60_8 Depth=1
	v_add_lshl_u32 v4, s1, v32, 3
	ds_write_b64 v4, v[2:3] offset:3072
.LBB60_80:                              ;   in Loop: Header=BB60_8 Depth=1
	s_or_b64 exec, exec, s[2:3]
	s_lshl_b32 s1, s1, 3
	s_waitcnt vmcnt(0)
	v_mov_b32_e32 v6, s1
	s_waitcnt lgkmcnt(0)
	s_barrier
	ds_read_b128 v[2:5], v6 offset:3072
	ds_read_b128 v[6:9], v6 offset:3088
	s_and_b32 s40, s80, 0xfe
	s_lshl_b32 s1, 3, s40
	s_not_b32 s41, s1
	s_waitcnt lgkmcnt(1)
	v_readfirstlane_b32 s15, v3
	v_readfirstlane_b32 s14, v2
	s_cmp_eq_u64 s[14:15], 1
	s_cselect_b64 s[2:3], -1, 0
	s_cmp_eq_u64 s[54:55], 1
	s_cselect_b64 s[6:7], -1, 0
	s_and_b64 s[20:21], s[2:3], s[6:7]
	v_readfirstlane_b32 s28, v4
	v_readfirstlane_b32 s29, v5
	s_waitcnt lgkmcnt(0)
	v_readfirstlane_b32 s16, v6
	v_readfirstlane_b32 s17, v7
	;; [unrolled: 1-line block ×4, first 2 shown]
	s_mov_b64 s[18:19], -1
	s_and_b64 vcc, exec, s[20:21]
	s_cbranch_vccz .LBB60_95
; %bb.81:                               ;   in Loop: Header=BB60_8 Depth=1
	ds_read_b64 v[2:3], v13 offset:5120
	s_waitcnt lgkmcnt(0)
	s_barrier
	v_readfirstlane_b32 s12, v2
	v_readfirstlane_b32 s13, v3
	s_mov_b64 s[2:3], exec
	v_readlane_b32 s6, v56, 12
	v_readlane_b32 s7, v56, 13
	s_and_b64 s[6:7], s[2:3], s[6:7]
	s_mov_b64 exec, s[6:7]
	s_cbranch_execz .LBB60_83
; %bb.82:                               ;   in Loop: Header=BB60_8 Depth=1
	ds_write_b16 v34, v13
.LBB60_83:                              ;   in Loop: Header=BB60_8 Depth=1
	s_or_b64 exec, exec, s[2:3]
	v_cmp_lt_i64_e64 s[2:3], s[12:13], 1
	s_and_b32 s0, s0, s41
	s_or_b32 s75, s75, s1
	s_and_b64 vcc, exec, s[2:3]
	s_waitcnt lgkmcnt(0)
	s_barrier
	s_cbranch_vccz .LBB60_96
; %bb.84:                               ;   in Loop: Header=BB60_8 Depth=1
	s_mov_b32 s44, s73
	s_cmp_lg_u64 s[44:45], 0
	s_cbranch_scc0 .LBB60_141
; %bb.85:                               ;   in Loop: Header=BB60_8 Depth=1
	v_cvt_f32_u32_e32 v2, s33
	s_sub_u32 s2, 0, s33
	s_subb_u32 s3, 0, 0
	v_mac_f32_e32 v2, 0x4f800000, v43
	v_rcp_f32_e32 v2, v2
	v_mul_f32_e32 v2, 0x5f7ffffc, v2
	v_mul_f32_e32 v3, 0x2f800000, v2
	v_trunc_f32_e32 v3, v3
	v_mac_f32_e32 v2, 0xcf800000, v3
	v_cvt_u32_f32_e32 v3, v3
	v_cvt_u32_f32_e32 v2, v2
	v_readfirstlane_b32 s6, v3
	v_readfirstlane_b32 s7, v2
	s_mul_i32 s8, s2, s6
	s_mul_hi_u32 s22, s2, s7
	s_mul_i32 s9, s3, s7
	s_add_i32 s8, s22, s8
	s_mul_i32 s23, s2, s7
	s_add_i32 s8, s8, s9
	s_mul_hi_u32 s22, s7, s23
	s_mul_hi_u32 s9, s7, s8
	s_mul_i32 s7, s7, s8
	s_add_u32 s7, s22, s7
	s_addc_u32 s9, 0, s9
	s_mul_hi_u32 s24, s6, s23
	s_mul_i32 s23, s6, s23
	s_add_u32 s7, s7, s23
	s_mul_hi_u32 s22, s6, s8
	s_addc_u32 s7, s9, s24
	s_addc_u32 s9, s22, 0
	s_mul_i32 s8, s6, s8
	s_add_u32 s7, s7, s8
	s_addc_u32 s8, 0, s9
	v_add_co_u32_e32 v2, vcc, s7, v2
	s_cmp_lg_u64 vcc, 0
	s_addc_u32 s6, s6, s8
	v_readfirstlane_b32 s8, v2
	s_mul_i32 s7, s2, s6
	s_mul_hi_u32 s9, s2, s8
	s_add_i32 s7, s9, s7
	s_mul_i32 s3, s3, s8
	s_add_i32 s7, s7, s3
	s_mul_i32 s2, s2, s8
	s_mul_hi_u32 s9, s6, s2
	s_mul_i32 s22, s6, s2
	s_mul_i32 s24, s8, s7
	s_mul_hi_u32 s2, s8, s2
	s_mul_hi_u32 s23, s8, s7
	s_add_u32 s2, s2, s24
	s_addc_u32 s8, 0, s23
	s_add_u32 s2, s2, s22
	s_mul_hi_u32 s3, s6, s7
	s_addc_u32 s2, s8, s9
	s_addc_u32 s3, s3, 0
	s_mul_i32 s7, s6, s7
	s_add_u32 s2, s2, s7
	s_addc_u32 s3, 0, s3
	v_add_co_u32_e32 v2, vcc, s2, v2
	s_cmp_lg_u64 vcc, 0
	s_addc_u32 s8, s6, s3
	s_ashr_i32 s2, s45, 31
	s_add_u32 s6, s81, s2
	s_mov_b32 s3, s2
	s_addc_u32 s7, s45, s2
	s_xor_b64 s[6:7], s[6:7], s[2:3]
	v_readfirstlane_b32 s22, v2
	s_mul_i32 s9, s6, s8
	s_mul_hi_u32 s23, s6, s22
	s_mul_hi_u32 s3, s6, s8
	s_add_u32 s9, s23, s9
	s_addc_u32 s3, 0, s3
	s_mul_hi_u32 s24, s7, s22
	s_mul_i32 s22, s7, s22
	s_add_u32 s9, s9, s22
	s_mul_hi_u32 s23, s7, s8
	s_addc_u32 s3, s3, s24
	s_addc_u32 s9, s23, 0
	s_mul_i32 s8, s7, s8
	s_add_u32 s3, s3, s8
	s_addc_u32 s8, 0, s9
	s_mul_hi_u32 s9, s33, s3
	s_mul_i32 s3, s33, s3
	s_mul_i32 s8, s33, s8
	v_mov_b32_e32 v2, s3
	s_add_i32 s9, s9, s8
	v_sub_co_u32_e32 v2, vcc, s6, v2
	s_cmp_lg_u64 vcc, 0
	s_subb_u32 s3, s7, s9
	v_subrev_co_u32_e32 v3, vcc, s33, v2
	s_cmp_lg_u64 vcc, 0
	s_subb_u32 s6, s3, 0
	v_subrev_co_u32_e32 v4, vcc, s33, v3
	s_cmp_lg_u64 vcc, 0
	s_subb_u32 s7, s6, 0
	v_cmp_le_u32_e32 vcc, s33, v3
	s_cmp_eq_u32 s6, 0
	v_cndmask_b32_e64 v5, 0, -1, vcc
	s_cselect_b64 vcc, -1, 0
	v_cndmask_b32_e32 v5, -1, v5, vcc
	v_mov_b32_e32 v6, s6
	v_mov_b32_e32 v7, s7
	v_cmp_ne_u32_e32 vcc, 0, v5
	v_cndmask_b32_e32 v5, v6, v7, vcc
	v_cndmask_b32_e32 v3, v3, v4, vcc
	v_cmp_le_u32_e32 vcc, s33, v2
	s_cmp_eq_u32 s3, 0
	v_cndmask_b32_e64 v4, 0, -1, vcc
	s_cselect_b64 vcc, -1, 0
	v_cndmask_b32_e32 v4, -1, v4, vcc
	v_cmp_ne_u32_e32 vcc, 0, v4
	v_mov_b32_e32 v6, s3
	v_cndmask_b32_e32 v2, v2, v3, vcc
	v_cndmask_b32_e32 v4, v6, v5, vcc
	v_xor_b32_e32 v2, s2, v2
	v_xor_b32_e32 v3, s2, v4
	v_mov_b32_e32 v4, s2
	v_subrev_co_u32_e32 v2, vcc, s2, v2
	v_subb_co_u32_e32 v3, vcc, v3, v4, vcc
	s_cbranch_execnz .LBB60_87
.LBB60_86:                              ;   in Loop: Header=BB60_8 Depth=1
	v_cvt_f32_u32_e32 v2, s33
	s_sub_i32 s2, 0, s33
	v_rcp_iflag_f32_e32 v2, v2
	v_mul_f32_e32 v2, 0x4f7ffffe, v2
	v_cvt_u32_f32_e32 v2, v2
	v_mul_lo_u32 v3, s2, v2
	v_mul_hi_u32 v3, v2, v3
	v_add_u32_e32 v2, v2, v3
	v_mul_hi_u32 v2, s81, v2
	v_mul_lo_u32 v2, v2, s33
	v_sub_u32_e32 v2, s81, v2
	v_subrev_u32_e32 v3, s33, v2
	v_cmp_le_u32_e32 vcc, s33, v2
	v_cndmask_b32_e32 v2, v2, v3, vcc
	v_subrev_u32_e32 v3, s33, v2
	v_cmp_le_u32_e32 vcc, s33, v2
	v_cndmask_b32_e32 v12, v2, v3, vcc
	v_pk_mov_b32 v[2:3], v[12:13], v[12:13] op_sel:[0,1]
.LBB60_87:                              ;   in Loop: Header=BB60_8 Depth=1
	v_mov_b32_e32 v4, s45
	v_sub_co_u32_e32 v2, vcc, s81, v2
	v_subb_co_u32_e32 v3, vcc, v4, v3, vcc
	v_cmp_gt_i64_e32 vcc, v[2:3], v[0:1]
	s_mov_b64 s[2:3], 0
                                        ; implicit-def: $vgpr46
	s_and_saveexec_b64 s[8:9], vcc
	s_cbranch_execz .LBB60_98
; %bb.88:                               ;   in Loop: Header=BB60_8 Depth=1
	v_pk_mov_b32 v[4:5], v[10:11], v[10:11] op_sel:[0,1]
	v_pk_mov_b32 v[6:7], v[0:1], v[0:1] op_sel:[0,1]
                                        ; implicit-def: $sgpr22_sgpr23
	s_branch .LBB60_90
.LBB60_89:                              ;   in Loop: Header=BB60_90 Depth=2
	s_or_b64 exec, exec, s[6:7]
	s_waitcnt lgkmcnt(0)
	s_barrier
	s_waitcnt vmcnt(0)
	ds_read_b32 v8, v13 offset:3072
	v_mov_b32_e32 v9, s88
	v_add_co_u32_e64 v6, s[6:7], s33, v6
	v_addc_co_u32_e64 v7, s[6:7], v7, v9, s[6:7]
	s_waitcnt lgkmcnt(0)
	v_cmp_neq_f16_e32 vcc, 0, v8
	v_cmp_ge_i64_e64 s[6:7], v[6:7], v[2:3]
	s_or_b64 s[24:25], vcc, s[6:7]
	v_mov_b32_e32 v9, s69
	v_add_co_u32_e64 v4, s[6:7], s68, v4
	v_addc_co_u32_e64 v5, s[6:7], v5, v9, s[6:7]
	s_and_b64 s[6:7], exec, s[24:25]
	s_or_b64 s[2:3], s[6:7], s[2:3]
	s_andn2_b64 s[6:7], s[22:23], exec
	s_and_b64 s[22:23], vcc, exec
	s_or_b64 s[22:23], s[6:7], s[22:23]
	s_barrier
	s_andn2_b64 exec, exec, s[2:3]
	s_cbranch_execz .LBB60_97
.LBB60_90:                              ;   Parent Loop BB60_8 Depth=1
                                        ; =>  This Inner Loop Header: Depth=2
	v_cmp_gt_i64_e32 vcc, s[52:53], v[6:7]
	v_mov_b32_e32 v8, 0
	s_and_saveexec_b64 s[6:7], vcc
	s_cbranch_execz .LBB60_92
; %bb.91:                               ;   in Loop: Header=BB60_90 Depth=2
	global_load_ushort v8, v[4:5], off
.LBB60_92:                              ;   in Loop: Header=BB60_90 Depth=2
	s_or_b64 exec, exec, s[6:7]
	s_and_saveexec_b64 s[6:7], vcc
	s_cbranch_execz .LBB60_89
; %bb.93:                               ;   in Loop: Header=BB60_90 Depth=2
	s_waitcnt vmcnt(0)
	v_cmp_lt_i16_e32 vcc, -1, v8
	v_cndmask_b32_e32 v9, v41, v42, vcc
	v_xor_b32_sdwa v9, v9, v8 dst_sel:DWORD dst_unused:UNUSED_PAD src0_sel:DWORD src1_sel:WORD_0
	v_cmp_o_f16_e32 vcc, v8, v8
	v_cndmask_b32_e32 v9, v41, v9, vcc
	v_and_b32_e32 v9, s75, v9
	v_cmp_eq_u32_e32 vcc, s0, v9
	s_and_b64 exec, exec, vcc
	s_cbranch_execz .LBB60_89
; %bb.94:                               ;   in Loop: Header=BB60_90 Depth=2
	v_perm_b32 v8, v8, s50, v45
	ds_write_b32 v13, v8 offset:3072
	s_branch .LBB60_89
.LBB60_95:                              ;   in Loop: Header=BB60_8 Depth=1
	s_mov_b64 s[2:3], -1
                                        ; implicit-def: $sgpr6_sgpr7
                                        ; implicit-def: $sgpr22_sgpr23
                                        ; implicit-def: $sgpr8_sgpr9
	s_branch .LBB60_112
.LBB60_96:                              ;   in Loop: Header=BB60_8 Depth=1
	s_mov_b64 s[6:7], -1
	s_mov_b64 s[2:3], 0
                                        ; implicit-def: $sgpr8_sgpr9
                                        ; implicit-def: $vgpr46
	s_mov_b64 s[22:23], s[6:7]
	s_cbranch_execnz .LBB60_99
	s_branch .LBB60_112
.LBB60_97:                              ;   in Loop: Header=BB60_8 Depth=1
	s_or_b64 exec, exec, s[2:3]
	v_lshrrev_b32_e32 v46, 16, v8
	s_and_b64 s[2:3], s[22:23], exec
.LBB60_98:                              ;   in Loop: Header=BB60_8 Depth=1
	s_or_b64 exec, exec, s[8:9]
	s_mov_b64 s[8:9], -1
	s_mov_b64 s[6:7], 0
	s_mov_b64 s[22:23], s[6:7]
	s_branch .LBB60_112
.LBB60_99:                              ;   in Loop: Header=BB60_8 Depth=1
	v_readlane_b32 s2, v56, 20
	s_add_u32 s8, s2, s12
	v_readlane_b32 s2, v56, 21
	s_addc_u32 s3, s2, s13
	s_mov_b32 s2, s73
	s_cmp_lg_u64 s[2:3], 0
	s_cbranch_scc0 .LBB60_142
; %bb.100:                              ;   in Loop: Header=BB60_8 Depth=1
	v_cvt_f32_u32_e32 v2, s33
	s_sub_u32 s2, 0, s33
	s_subb_u32 s6, 0, 0
	v_mac_f32_e32 v2, 0x4f800000, v43
	v_rcp_f32_e32 v2, v2
	v_mul_f32_e32 v2, 0x5f7ffffc, v2
	v_mul_f32_e32 v3, 0x2f800000, v2
	v_trunc_f32_e32 v3, v3
	v_mac_f32_e32 v2, 0xcf800000, v3
	v_cvt_u32_f32_e32 v3, v3
	v_cvt_u32_f32_e32 v2, v2
	v_readfirstlane_b32 s7, v3
	v_readfirstlane_b32 s9, v2
	s_mul_i32 s22, s2, s7
	s_mul_hi_u32 s24, s2, s9
	s_mul_i32 s23, s6, s9
	s_add_i32 s22, s24, s22
	s_mul_i32 s25, s2, s9
	s_add_i32 s22, s22, s23
	s_mul_hi_u32 s24, s9, s25
	s_mul_hi_u32 s23, s9, s22
	s_mul_i32 s9, s9, s22
	s_add_u32 s9, s24, s9
	s_addc_u32 s23, 0, s23
	s_mul_hi_u32 s26, s7, s25
	s_mul_i32 s25, s7, s25
	s_add_u32 s9, s9, s25
	s_mul_hi_u32 s24, s7, s22
	s_addc_u32 s9, s23, s26
	s_addc_u32 s23, s24, 0
	s_mul_i32 s22, s7, s22
	s_add_u32 s9, s9, s22
	s_addc_u32 s22, 0, s23
	v_add_co_u32_e32 v2, vcc, s9, v2
	s_cmp_lg_u64 vcc, 0
	s_addc_u32 s7, s7, s22
	v_readfirstlane_b32 s22, v2
	s_mul_i32 s9, s2, s7
	s_mul_hi_u32 s23, s2, s22
	s_add_i32 s9, s23, s9
	s_mul_i32 s6, s6, s22
	s_add_i32 s9, s9, s6
	s_mul_i32 s2, s2, s22
	s_mul_hi_u32 s23, s7, s2
	s_mul_i32 s24, s7, s2
	s_mul_i32 s26, s22, s9
	s_mul_hi_u32 s2, s22, s2
	s_mul_hi_u32 s25, s22, s9
	s_add_u32 s2, s2, s26
	s_addc_u32 s22, 0, s25
	s_add_u32 s2, s2, s24
	s_mul_hi_u32 s6, s7, s9
	s_addc_u32 s2, s22, s23
	s_addc_u32 s6, s6, 0
	s_mul_i32 s9, s7, s9
	s_add_u32 s2, s2, s9
	s_addc_u32 s6, 0, s6
	v_add_co_u32_e32 v2, vcc, s2, v2
	s_cmp_lg_u64 vcc, 0
	s_addc_u32 s2, s7, s6
	s_ashr_i32 s6, s3, 31
	s_add_u32 s22, s8, s6
	s_mov_b32 s7, s6
	s_addc_u32 s23, s3, s6
	s_xor_b64 s[22:23], s[22:23], s[6:7]
	v_readfirstlane_b32 s24, v2
	s_mul_i32 s9, s22, s2
	s_mul_hi_u32 s25, s22, s24
	s_mul_hi_u32 s7, s22, s2
	s_add_u32 s9, s25, s9
	s_addc_u32 s7, 0, s7
	s_mul_hi_u32 s26, s23, s24
	s_mul_i32 s24, s23, s24
	s_add_u32 s9, s9, s24
	s_mul_hi_u32 s25, s23, s2
	s_addc_u32 s7, s7, s26
	s_addc_u32 s9, s25, 0
	s_mul_i32 s2, s23, s2
	s_add_u32 s2, s7, s2
	s_addc_u32 s7, 0, s9
	s_mul_hi_u32 s9, s33, s2
	s_mul_i32 s2, s33, s2
	s_mul_i32 s7, s33, s7
	v_mov_b32_e32 v2, s2
	s_add_i32 s9, s9, s7
	v_sub_co_u32_e32 v2, vcc, s22, v2
	s_cmp_lg_u64 vcc, 0
	s_subb_u32 s2, s23, s9
	v_subrev_co_u32_e32 v3, vcc, s33, v2
	s_cmp_lg_u64 vcc, 0
	s_subb_u32 s7, s2, 0
	v_subrev_co_u32_e32 v4, vcc, s33, v3
	s_cmp_lg_u64 vcc, 0
	s_subb_u32 s9, s7, 0
	v_cmp_le_u32_e32 vcc, s33, v3
	s_cmp_eq_u32 s7, 0
	v_cndmask_b32_e64 v5, 0, -1, vcc
	s_cselect_b64 vcc, -1, 0
	v_cndmask_b32_e32 v5, -1, v5, vcc
	v_mov_b32_e32 v6, s7
	v_mov_b32_e32 v7, s9
	v_cmp_ne_u32_e32 vcc, 0, v5
	v_cndmask_b32_e32 v5, v6, v7, vcc
	v_cndmask_b32_e32 v3, v3, v4, vcc
	v_cmp_le_u32_e32 vcc, s33, v2
	s_cmp_eq_u32 s2, 0
	v_cndmask_b32_e64 v4, 0, -1, vcc
	s_cselect_b64 vcc, -1, 0
	v_cndmask_b32_e32 v4, -1, v4, vcc
	v_cmp_ne_u32_e32 vcc, 0, v4
	v_mov_b32_e32 v6, s2
	v_cndmask_b32_e32 v2, v2, v3, vcc
	v_cndmask_b32_e32 v4, v6, v5, vcc
	v_xor_b32_e32 v2, s6, v2
	v_xor_b32_e32 v3, s6, v4
	v_mov_b32_e32 v4, s6
	v_subrev_co_u32_e32 v2, vcc, s6, v2
	v_subb_co_u32_e32 v3, vcc, v3, v4, vcc
	s_cbranch_execnz .LBB60_102
.LBB60_101:                             ;   in Loop: Header=BB60_8 Depth=1
	v_cvt_f32_u32_e32 v2, s33
	s_sub_i32 s2, 0, s33
	v_rcp_iflag_f32_e32 v2, v2
	v_mul_f32_e32 v2, 0x4f7ffffe, v2
	v_cvt_u32_f32_e32 v2, v2
	v_mul_lo_u32 v3, s2, v2
	v_mul_hi_u32 v3, v2, v3
	v_add_u32_e32 v2, v2, v3
	v_mul_hi_u32 v2, s8, v2
	v_mul_lo_u32 v2, v2, s33
	v_sub_u32_e32 v2, s8, v2
	v_subrev_u32_e32 v3, s33, v2
	v_cmp_le_u32_e32 vcc, s33, v2
	v_cndmask_b32_e32 v2, v2, v3, vcc
	v_subrev_u32_e32 v3, s33, v2
	v_cmp_le_u32_e32 vcc, s33, v2
	v_cndmask_b32_e32 v12, v2, v3, vcc
	v_pk_mov_b32 v[2:3], v[12:13], v[12:13] op_sel:[0,1]
.LBB60_102:                             ;   in Loop: Header=BB60_8 Depth=1
	v_mov_b32_e32 v4, s3
	v_sub_co_u32_e32 v2, vcc, s8, v2
	v_subb_co_u32_e32 v3, vcc, v4, v3, vcc
	v_cmp_gt_i64_e32 vcc, v[2:3], v[0:1]
	s_mov_b64 s[2:3], 0
                                        ; implicit-def: $vgpr46
	s_and_saveexec_b64 s[8:9], vcc
	s_cbranch_execz .LBB60_111
; %bb.103:                              ;   in Loop: Header=BB60_8 Depth=1
	v_mov_b32_e32 v6, v33
	v_pk_mov_b32 v[4:5], v[0:1], v[0:1] op_sel:[0,1]
                                        ; implicit-def: $sgpr22_sgpr23
	s_branch .LBB60_105
.LBB60_104:                             ;   in Loop: Header=BB60_105 Depth=2
	s_or_b64 exec, exec, s[6:7]
	s_waitcnt lgkmcnt(0)
	s_barrier
	ds_read_b32 v7, v13 offset:3072
	v_mov_b32_e32 v8, s88
	v_add_co_u32_e64 v4, s[6:7], s33, v4
	v_addc_co_u32_e64 v5, s[6:7], v5, v8, s[6:7]
	s_waitcnt lgkmcnt(0)
	v_cmp_neq_f16_e32 vcc, 0, v7
	v_cmp_ge_i64_e64 s[6:7], v[4:5], v[2:3]
	s_or_b64 s[6:7], vcc, s[6:7]
	s_and_b64 s[6:7], exec, s[6:7]
	s_or_b64 s[2:3], s[6:7], s[2:3]
	s_andn2_b64 s[6:7], s[22:23], exec
	s_and_b64 s[22:23], vcc, exec
	v_add_u32_e32 v6, s74, v6
	s_or_b64 s[22:23], s[6:7], s[22:23]
	s_barrier
	s_andn2_b64 exec, exec, s[2:3]
	s_cbranch_execz .LBB60_110
.LBB60_105:                             ;   Parent Loop BB60_8 Depth=1
                                        ; =>  This Inner Loop Header: Depth=2
	v_cmp_gt_i64_e32 vcc, s[12:13], v[4:5]
	v_mov_b32_e32 v7, 0
	s_and_saveexec_b64 s[6:7], vcc
	s_cbranch_execz .LBB60_107
; %bb.106:                              ;   in Loop: Header=BB60_105 Depth=2
	ds_read_u16 v7, v6
.LBB60_107:                             ;   in Loop: Header=BB60_105 Depth=2
	s_or_b64 exec, exec, s[6:7]
	s_and_saveexec_b64 s[6:7], vcc
	s_cbranch_execz .LBB60_104
; %bb.108:                              ;   in Loop: Header=BB60_105 Depth=2
	s_waitcnt lgkmcnt(0)
	v_cmp_lt_i16_e32 vcc, -1, v7
	v_cndmask_b32_e32 v8, v41, v42, vcc
	v_xor_b32_sdwa v8, v8, v7 dst_sel:DWORD dst_unused:UNUSED_PAD src0_sel:DWORD src1_sel:WORD_0
	v_cmp_o_f16_e32 vcc, v7, v7
	v_cndmask_b32_e32 v8, v41, v8, vcc
	v_and_b32_e32 v8, s75, v8
	v_cmp_eq_u32_e32 vcc, s0, v8
	s_and_b64 exec, exec, vcc
	s_cbranch_execz .LBB60_104
; %bb.109:                              ;   in Loop: Header=BB60_105 Depth=2
	v_perm_b32 v7, v7, s50, v45
	ds_write_b32 v13, v7 offset:3072
	s_branch .LBB60_104
.LBB60_110:                             ;   in Loop: Header=BB60_8 Depth=1
	s_or_b64 exec, exec, s[2:3]
	v_lshrrev_b32_e32 v46, 16, v7
	s_and_b64 s[2:3], s[22:23], exec
.LBB60_111:                             ;   in Loop: Header=BB60_8 Depth=1
	s_or_b64 exec, exec, s[8:9]
	s_mov_b64 s[22:23], -1
	s_mov_b64 s[6:7], 0
	s_mov_b64 s[8:9], 0
.LBB60_112:                             ;   in Loop: Header=BB60_8 Depth=1
	s_andn2_b64 s[12:13], s[92:93], exec
	s_and_b64 s[6:7], s[6:7], exec
	s_or_b64 s[92:93], s[12:13], s[6:7]
	s_andn2_b64 s[6:7], s[66:67], exec
	s_and_b64 s[12:13], s[22:23], exec
	s_or_b64 s[66:67], s[6:7], s[12:13]
	s_andn2_b64 s[6:7], s[64:65], exec
	s_and_b64 s[8:9], s[8:9], exec
	s_or_b64 s[64:65], s[6:7], s[8:9]
	s_and_saveexec_b64 s[12:13], s[2:3]
	s_cbranch_execz .LBB60_7
; %bb.113:                              ;   in Loop: Header=BB60_8 Depth=1
	s_xor_b64 s[2:3], s[20:21], -1
	s_andn2_b64 vcc, exec, s[2:3]
	s_mov_b32 s44, 1
	s_cbranch_vccnz .LBB60_124
; %bb.114:                              ;   in Loop: Header=BB60_8 Depth=1
	v_pk_mov_b32 v[2:3], s[14:15], s[14:15] op_sel:[0,1]
	v_cmp_gt_i64_e32 vcc, s[54:55], v[2:3]
	s_mov_b64 s[2:3], -1
                                        ; implicit-def: $sgpr44
                                        ; implicit-def: $sgpr6
                                        ; implicit-def: $sgpr7
	s_cbranch_vccnz .LBB60_120
; %bb.115:                              ;   in Loop: Header=BB60_8 Depth=1
	ds_read_b64 v[2:3], v13 offset:5120
	s_waitcnt lgkmcnt(0)
	v_cmp_ne_u64_e32 vcc, 0, v[2:3]
	s_cbranch_vccnz .LBB60_119
; %bb.116:                              ;   in Loop: Header=BB60_8 Depth=1
	s_mov_b64 s[2:3], exec
	v_readlane_b32 s6, v56, 8
	v_readlane_b32 s7, v56, 9
	s_and_b64 s[6:7], s[2:3], s[6:7]
	s_mov_b64 exec, s[6:7]
	s_cbranch_execz .LBB60_118
; %bb.117:                              ;   in Loop: Header=BB60_8 Depth=1
	v_pk_mov_b32 v[2:3], s[14:15], s[14:15] op_sel:[0,1]
	ds_write_b64 v13, v[2:3] offset:5128
.LBB60_118:                             ;   in Loop: Header=BB60_8 Depth=1
	s_or_b64 exec, exec, s[2:3]
	s_waitcnt lgkmcnt(0)
	s_barrier
.LBB60_119:                             ;   in Loop: Header=BB60_8 Depth=1
	s_and_b32 s6, s0, s41
	s_or_b32 s7, s75, s1
	s_mov_b64 s[2:3], 0
	s_mov_b32 s44, 8
.LBB60_120:                             ;   in Loop: Header=BB60_8 Depth=1
	s_andn2_b64 vcc, exec, s[2:3]
	s_cbranch_vccnz .LBB60_122
; %bb.121:                              ;   in Loop: Header=BB60_8 Depth=1
	s_sub_u32 s54, s54, s14
	s_subb_u32 s55, s55, s15
	s_mov_b64 s[2:3], -1
	s_mov_b32 s44, 0
	s_mov_b32 s6, s0
	;; [unrolled: 1-line block ×3, first 2 shown]
.LBB60_122:                             ;   in Loop: Header=BB60_8 Depth=1
	s_mov_b32 s75, s7
	s_mov_b32 s0, s6
	s_mov_b64 s[14:15], -1
	s_and_b64 vcc, exec, s[2:3]
	s_cbranch_vccnz .LBB60_125
.LBB60_123:                             ;   in Loop: Header=BB60_8 Depth=1
	s_mov_b64 s[6:7], -1
                                        ; implicit-def: $sgpr18_sgpr19
                                        ; implicit-def: $sgpr22_sgpr23
                                        ; implicit-def: $sgpr20_sgpr21
	s_and_saveexec_b64 s[2:3], s[6:7]
	s_xor_b64 s[2:3], exec, s[2:3]
	s_cbranch_execz .LBB60_6
	s_branch .LBB60_271
.LBB60_124:                             ;   in Loop: Header=BB60_8 Depth=1
	s_mov_b64 s[54:55], 1
	s_mov_b64 s[14:15], -1
	s_branch .LBB60_123
.LBB60_125:                             ;   in Loop: Header=BB60_8 Depth=1
	s_cmp_eq_u64 s[28:29], 1
	s_cselect_b64 s[2:3], -1, 0
	s_cmp_eq_u64 s[54:55], 1
	s_cselect_b64 s[6:7], -1, 0
	s_and_b64 s[30:31], s[2:3], s[6:7]
	s_mov_b64 s[2:3], -1
	s_and_b64 vcc, exec, s[30:31]
	s_cbranch_vccz .LBB60_140
; %bb.126:                              ;   in Loop: Header=BB60_8 Depth=1
	ds_read_b64 v[2:3], v13 offset:5120
	s_waitcnt lgkmcnt(0)
	s_barrier
	v_readfirstlane_b32 s24, v2
	v_readfirstlane_b32 s25, v3
	s_mov_b64 s[2:3], exec
	v_readlane_b32 s6, v56, 12
	v_readlane_b32 s7, v56, 13
	s_and_b64 s[6:7], s[2:3], s[6:7]
	s_mov_b64 exec, s[6:7]
	s_cbranch_execz .LBB60_128
; %bb.127:                              ;   in Loop: Header=BB60_8 Depth=1
	ds_write_b16 v34, v13
.LBB60_128:                             ;   in Loop: Header=BB60_8 Depth=1
	s_or_b64 exec, exec, s[2:3]
	s_lshl_b32 s2, 1, s40
	s_and_b32 s0, s0, s41
	s_or_b32 s0, s0, s2
	v_cmp_gt_i64_e64 s[2:3], s[24:25], 0
	s_or_b32 s75, s75, s1
	s_and_b64 vcc, exec, s[2:3]
	s_waitcnt lgkmcnt(0)
	s_barrier
	s_cbranch_vccnz .LBB60_143
; %bb.129:                              ;   in Loop: Header=BB60_8 Depth=1
	s_mov_b32 s44, s73
	s_cmp_lg_u64 s[44:45], 0
	s_cbranch_scc0 .LBB60_188
; %bb.130:                              ;   in Loop: Header=BB60_8 Depth=1
	v_cvt_f32_u32_e32 v2, s33
	s_sub_u32 s2, 0, s33
	s_subb_u32 s3, 0, 0
	v_mac_f32_e32 v2, 0x4f800000, v43
	v_rcp_f32_e32 v2, v2
	v_mul_f32_e32 v2, 0x5f7ffffc, v2
	v_mul_f32_e32 v3, 0x2f800000, v2
	v_trunc_f32_e32 v3, v3
	v_mac_f32_e32 v2, 0xcf800000, v3
	v_cvt_u32_f32_e32 v3, v3
	v_cvt_u32_f32_e32 v2, v2
	v_readfirstlane_b32 s6, v3
	v_readfirstlane_b32 s7, v2
	s_mul_i32 s8, s2, s6
	s_mul_hi_u32 s18, s2, s7
	s_mul_i32 s9, s3, s7
	s_add_i32 s8, s18, s8
	s_mul_i32 s19, s2, s7
	s_add_i32 s8, s8, s9
	s_mul_hi_u32 s18, s7, s19
	s_mul_hi_u32 s9, s7, s8
	s_mul_i32 s7, s7, s8
	s_add_u32 s7, s18, s7
	s_addc_u32 s9, 0, s9
	s_mul_hi_u32 s20, s6, s19
	s_mul_i32 s19, s6, s19
	s_add_u32 s7, s7, s19
	s_mul_hi_u32 s18, s6, s8
	s_addc_u32 s7, s9, s20
	s_addc_u32 s9, s18, 0
	s_mul_i32 s8, s6, s8
	s_add_u32 s7, s7, s8
	s_addc_u32 s8, 0, s9
	v_add_co_u32_e32 v2, vcc, s7, v2
	s_cmp_lg_u64 vcc, 0
	s_addc_u32 s6, s6, s8
	v_readfirstlane_b32 s8, v2
	s_mul_i32 s7, s2, s6
	s_mul_hi_u32 s9, s2, s8
	s_add_i32 s7, s9, s7
	s_mul_i32 s3, s3, s8
	s_add_i32 s7, s7, s3
	s_mul_i32 s2, s2, s8
	s_mul_hi_u32 s9, s6, s2
	s_mul_i32 s18, s6, s2
	s_mul_i32 s20, s8, s7
	s_mul_hi_u32 s2, s8, s2
	s_mul_hi_u32 s19, s8, s7
	s_add_u32 s2, s2, s20
	s_addc_u32 s8, 0, s19
	s_add_u32 s2, s2, s18
	s_mul_hi_u32 s3, s6, s7
	s_addc_u32 s2, s8, s9
	s_addc_u32 s3, s3, 0
	s_mul_i32 s7, s6, s7
	s_add_u32 s2, s2, s7
	s_addc_u32 s3, 0, s3
	v_add_co_u32_e32 v2, vcc, s2, v2
	s_cmp_lg_u64 vcc, 0
	s_addc_u32 s8, s6, s3
	s_ashr_i32 s2, s45, 31
	s_add_u32 s6, s81, s2
	s_mov_b32 s3, s2
	s_addc_u32 s7, s45, s2
	s_xor_b64 s[6:7], s[6:7], s[2:3]
	v_readfirstlane_b32 s18, v2
	s_mul_i32 s9, s6, s8
	s_mul_hi_u32 s19, s6, s18
	s_mul_hi_u32 s3, s6, s8
	s_add_u32 s9, s19, s9
	s_addc_u32 s3, 0, s3
	s_mul_hi_u32 s20, s7, s18
	s_mul_i32 s18, s7, s18
	s_add_u32 s9, s9, s18
	s_mul_hi_u32 s19, s7, s8
	s_addc_u32 s3, s3, s20
	s_addc_u32 s9, s19, 0
	s_mul_i32 s8, s7, s8
	s_add_u32 s3, s3, s8
	s_addc_u32 s8, 0, s9
	s_mul_hi_u32 s9, s33, s3
	s_mul_i32 s3, s33, s3
	s_mul_i32 s8, s33, s8
	v_mov_b32_e32 v2, s3
	s_add_i32 s9, s9, s8
	v_sub_co_u32_e32 v2, vcc, s6, v2
	s_cmp_lg_u64 vcc, 0
	s_subb_u32 s3, s7, s9
	v_subrev_co_u32_e32 v3, vcc, s33, v2
	s_cmp_lg_u64 vcc, 0
	s_subb_u32 s6, s3, 0
	v_subrev_co_u32_e32 v4, vcc, s33, v3
	s_cmp_lg_u64 vcc, 0
	s_subb_u32 s7, s6, 0
	v_cmp_le_u32_e32 vcc, s33, v3
	s_cmp_eq_u32 s6, 0
	v_cndmask_b32_e64 v5, 0, -1, vcc
	s_cselect_b64 vcc, -1, 0
	v_cndmask_b32_e32 v5, -1, v5, vcc
	v_mov_b32_e32 v6, s6
	v_mov_b32_e32 v7, s7
	v_cmp_ne_u32_e32 vcc, 0, v5
	v_cndmask_b32_e32 v5, v6, v7, vcc
	v_cndmask_b32_e32 v3, v3, v4, vcc
	v_cmp_le_u32_e32 vcc, s33, v2
	s_cmp_eq_u32 s3, 0
	v_cndmask_b32_e64 v4, 0, -1, vcc
	s_cselect_b64 vcc, -1, 0
	v_cndmask_b32_e32 v4, -1, v4, vcc
	v_cmp_ne_u32_e32 vcc, 0, v4
	v_mov_b32_e32 v6, s3
	v_cndmask_b32_e32 v2, v2, v3, vcc
	v_cndmask_b32_e32 v4, v6, v5, vcc
	v_xor_b32_e32 v2, s2, v2
	v_xor_b32_e32 v3, s2, v4
	v_mov_b32_e32 v4, s2
	v_subrev_co_u32_e32 v2, vcc, s2, v2
	v_subb_co_u32_e32 v3, vcc, v3, v4, vcc
	s_cbranch_execnz .LBB60_132
.LBB60_131:                             ;   in Loop: Header=BB60_8 Depth=1
	v_cvt_f32_u32_e32 v2, s33
	s_sub_i32 s2, 0, s33
	v_rcp_iflag_f32_e32 v2, v2
	v_mul_f32_e32 v2, 0x4f7ffffe, v2
	v_cvt_u32_f32_e32 v2, v2
	v_mul_lo_u32 v3, s2, v2
	v_mul_hi_u32 v3, v2, v3
	v_add_u32_e32 v2, v2, v3
	v_mul_hi_u32 v2, s81, v2
	v_mul_lo_u32 v2, v2, s33
	v_sub_u32_e32 v2, s81, v2
	v_subrev_u32_e32 v3, s33, v2
	v_cmp_le_u32_e32 vcc, s33, v2
	v_cndmask_b32_e32 v2, v2, v3, vcc
	v_subrev_u32_e32 v3, s33, v2
	v_cmp_le_u32_e32 vcc, s33, v2
	v_cndmask_b32_e32 v12, v2, v3, vcc
	v_pk_mov_b32 v[2:3], v[12:13], v[12:13] op_sel:[0,1]
.LBB60_132:                             ;   in Loop: Header=BB60_8 Depth=1
	v_mov_b32_e32 v4, s45
	v_sub_co_u32_e32 v2, vcc, s81, v2
	v_subb_co_u32_e32 v3, vcc, v4, v3, vcc
	v_cmp_gt_i64_e32 vcc, v[2:3], v[0:1]
	s_mov_b64 s[2:3], 0
                                        ; implicit-def: $vgpr46
	s_and_saveexec_b64 s[8:9], vcc
	s_cbranch_execz .LBB60_145
; %bb.133:                              ;   in Loop: Header=BB60_8 Depth=1
	v_pk_mov_b32 v[4:5], v[10:11], v[10:11] op_sel:[0,1]
	v_pk_mov_b32 v[6:7], v[0:1], v[0:1] op_sel:[0,1]
                                        ; implicit-def: $sgpr18_sgpr19
	s_branch .LBB60_135
.LBB60_134:                             ;   in Loop: Header=BB60_135 Depth=2
	s_or_b64 exec, exec, s[6:7]
	s_waitcnt lgkmcnt(0)
	s_barrier
	s_waitcnt vmcnt(0)
	ds_read_b32 v8, v13 offset:3072
	v_mov_b32_e32 v9, s88
	v_add_co_u32_e64 v6, s[6:7], s33, v6
	v_addc_co_u32_e64 v7, s[6:7], v7, v9, s[6:7]
	s_waitcnt lgkmcnt(0)
	v_cmp_neq_f16_e32 vcc, 0, v8
	v_cmp_ge_i64_e64 s[6:7], v[6:7], v[2:3]
	s_or_b64 s[20:21], vcc, s[6:7]
	v_mov_b32_e32 v9, s69
	v_add_co_u32_e64 v4, s[6:7], s68, v4
	v_addc_co_u32_e64 v5, s[6:7], v5, v9, s[6:7]
	s_and_b64 s[6:7], exec, s[20:21]
	s_or_b64 s[2:3], s[6:7], s[2:3]
	s_andn2_b64 s[6:7], s[18:19], exec
	s_and_b64 s[18:19], vcc, exec
	s_or_b64 s[18:19], s[6:7], s[18:19]
	s_barrier
	s_andn2_b64 exec, exec, s[2:3]
	s_cbranch_execz .LBB60_144
.LBB60_135:                             ;   Parent Loop BB60_8 Depth=1
                                        ; =>  This Inner Loop Header: Depth=2
	v_cmp_gt_i64_e32 vcc, s[52:53], v[6:7]
	v_mov_b32_e32 v8, 0
	s_and_saveexec_b64 s[6:7], vcc
	s_cbranch_execz .LBB60_137
; %bb.136:                              ;   in Loop: Header=BB60_135 Depth=2
	global_load_ushort v8, v[4:5], off
.LBB60_137:                             ;   in Loop: Header=BB60_135 Depth=2
	s_or_b64 exec, exec, s[6:7]
	s_and_saveexec_b64 s[6:7], vcc
	s_cbranch_execz .LBB60_134
; %bb.138:                              ;   in Loop: Header=BB60_135 Depth=2
	s_waitcnt vmcnt(0)
	v_cmp_lt_i16_e32 vcc, -1, v8
	v_cndmask_b32_e32 v9, v41, v42, vcc
	v_xor_b32_sdwa v9, v9, v8 dst_sel:DWORD dst_unused:UNUSED_PAD src0_sel:DWORD src1_sel:WORD_0
	v_cmp_o_f16_e32 vcc, v8, v8
	v_cndmask_b32_e32 v9, v41, v9, vcc
	v_and_b32_e32 v9, s75, v9
	v_cmp_eq_u32_e32 vcc, s0, v9
	s_and_b64 exec, exec, vcc
	s_cbranch_execz .LBB60_134
; %bb.139:                              ;   in Loop: Header=BB60_135 Depth=2
	v_perm_b32 v8, v8, s50, v45
	ds_write_b32 v13, v8 offset:3072
	s_branch .LBB60_134
.LBB60_140:                             ;   in Loop: Header=BB60_8 Depth=1
                                        ; implicit-def: $sgpr20_sgpr21
                                        ; implicit-def: $sgpr22_sgpr23
                                        ; implicit-def: $sgpr18_sgpr19
	s_branch .LBB60_159
.LBB60_141:                             ;   in Loop: Header=BB60_8 Depth=1
                                        ; implicit-def: $vgpr2_vgpr3
	s_branch .LBB60_86
.LBB60_142:                             ;   in Loop: Header=BB60_8 Depth=1
                                        ; implicit-def: $vgpr2_vgpr3
	s_branch .LBB60_101
.LBB60_143:                             ;   in Loop: Header=BB60_8 Depth=1
	s_mov_b64 s[20:21], -1
	s_mov_b64 s[2:3], 0
                                        ; implicit-def: $sgpr18_sgpr19
                                        ; implicit-def: $vgpr46
	s_mov_b64 s[22:23], s[20:21]
	s_cbranch_execnz .LBB60_146
	s_branch .LBB60_159
.LBB60_144:                             ;   in Loop: Header=BB60_8 Depth=1
	s_or_b64 exec, exec, s[2:3]
	v_lshrrev_b32_e32 v46, 16, v8
	s_and_b64 s[2:3], s[18:19], exec
.LBB60_145:                             ;   in Loop: Header=BB60_8 Depth=1
	s_or_b64 exec, exec, s[8:9]
	s_mov_b64 s[18:19], -1
	s_mov_b64 s[20:21], 0
	s_mov_b64 s[22:23], s[20:21]
	s_branch .LBB60_159
.LBB60_146:                             ;   in Loop: Header=BB60_8 Depth=1
	v_readlane_b32 s2, v56, 20
	s_add_u32 s8, s2, s24
	v_readlane_b32 s2, v56, 21
	s_addc_u32 s3, s2, s25
	s_mov_b32 s2, s73
	s_cmp_lg_u64 s[2:3], 0
	s_cbranch_scc0 .LBB60_189
; %bb.147:                              ;   in Loop: Header=BB60_8 Depth=1
	v_cvt_f32_u32_e32 v2, s33
	s_sub_u32 s2, 0, s33
	s_subb_u32 s6, 0, 0
	v_mac_f32_e32 v2, 0x4f800000, v43
	v_rcp_f32_e32 v2, v2
	v_mul_f32_e32 v2, 0x5f7ffffc, v2
	v_mul_f32_e32 v3, 0x2f800000, v2
	v_trunc_f32_e32 v3, v3
	v_mac_f32_e32 v2, 0xcf800000, v3
	v_cvt_u32_f32_e32 v3, v3
	v_cvt_u32_f32_e32 v2, v2
	v_readfirstlane_b32 s7, v3
	v_readfirstlane_b32 s9, v2
	s_mul_i32 s18, s2, s7
	s_mul_hi_u32 s20, s2, s9
	s_mul_i32 s19, s6, s9
	s_add_i32 s18, s20, s18
	s_mul_i32 s21, s2, s9
	s_add_i32 s18, s18, s19
	s_mul_hi_u32 s20, s9, s21
	s_mul_hi_u32 s19, s9, s18
	s_mul_i32 s9, s9, s18
	s_add_u32 s9, s20, s9
	s_addc_u32 s19, 0, s19
	s_mul_hi_u32 s22, s7, s21
	s_mul_i32 s21, s7, s21
	s_add_u32 s9, s9, s21
	s_mul_hi_u32 s20, s7, s18
	s_addc_u32 s9, s19, s22
	s_addc_u32 s19, s20, 0
	s_mul_i32 s18, s7, s18
	s_add_u32 s9, s9, s18
	s_addc_u32 s18, 0, s19
	v_add_co_u32_e32 v2, vcc, s9, v2
	s_cmp_lg_u64 vcc, 0
	s_addc_u32 s7, s7, s18
	v_readfirstlane_b32 s18, v2
	s_mul_i32 s9, s2, s7
	s_mul_hi_u32 s19, s2, s18
	s_add_i32 s9, s19, s9
	s_mul_i32 s6, s6, s18
	s_add_i32 s9, s9, s6
	s_mul_i32 s2, s2, s18
	s_mul_hi_u32 s19, s7, s2
	s_mul_i32 s20, s7, s2
	s_mul_i32 s22, s18, s9
	s_mul_hi_u32 s2, s18, s2
	s_mul_hi_u32 s21, s18, s9
	s_add_u32 s2, s2, s22
	s_addc_u32 s18, 0, s21
	s_add_u32 s2, s2, s20
	s_mul_hi_u32 s6, s7, s9
	s_addc_u32 s2, s18, s19
	s_addc_u32 s6, s6, 0
	s_mul_i32 s9, s7, s9
	s_add_u32 s2, s2, s9
	s_addc_u32 s6, 0, s6
	v_add_co_u32_e32 v2, vcc, s2, v2
	s_cmp_lg_u64 vcc, 0
	s_addc_u32 s2, s7, s6
	s_ashr_i32 s6, s3, 31
	s_add_u32 s18, s8, s6
	s_mov_b32 s7, s6
	s_addc_u32 s19, s3, s6
	s_xor_b64 s[18:19], s[18:19], s[6:7]
	v_readfirstlane_b32 s20, v2
	s_mul_i32 s9, s18, s2
	s_mul_hi_u32 s21, s18, s20
	s_mul_hi_u32 s7, s18, s2
	s_add_u32 s9, s21, s9
	s_addc_u32 s7, 0, s7
	s_mul_hi_u32 s22, s19, s20
	s_mul_i32 s20, s19, s20
	s_add_u32 s9, s9, s20
	s_mul_hi_u32 s21, s19, s2
	s_addc_u32 s7, s7, s22
	s_addc_u32 s9, s21, 0
	s_mul_i32 s2, s19, s2
	s_add_u32 s2, s7, s2
	s_addc_u32 s7, 0, s9
	s_mul_hi_u32 s9, s33, s2
	s_mul_i32 s2, s33, s2
	s_mul_i32 s7, s33, s7
	v_mov_b32_e32 v2, s2
	s_add_i32 s9, s9, s7
	v_sub_co_u32_e32 v2, vcc, s18, v2
	s_cmp_lg_u64 vcc, 0
	s_subb_u32 s2, s19, s9
	v_subrev_co_u32_e32 v3, vcc, s33, v2
	s_cmp_lg_u64 vcc, 0
	s_subb_u32 s7, s2, 0
	v_subrev_co_u32_e32 v4, vcc, s33, v3
	s_cmp_lg_u64 vcc, 0
	s_subb_u32 s9, s7, 0
	v_cmp_le_u32_e32 vcc, s33, v3
	s_cmp_eq_u32 s7, 0
	v_cndmask_b32_e64 v5, 0, -1, vcc
	s_cselect_b64 vcc, -1, 0
	v_cndmask_b32_e32 v5, -1, v5, vcc
	v_mov_b32_e32 v6, s7
	v_mov_b32_e32 v7, s9
	v_cmp_ne_u32_e32 vcc, 0, v5
	v_cndmask_b32_e32 v5, v6, v7, vcc
	v_cndmask_b32_e32 v3, v3, v4, vcc
	v_cmp_le_u32_e32 vcc, s33, v2
	s_cmp_eq_u32 s2, 0
	v_cndmask_b32_e64 v4, 0, -1, vcc
	s_cselect_b64 vcc, -1, 0
	v_cndmask_b32_e32 v4, -1, v4, vcc
	v_cmp_ne_u32_e32 vcc, 0, v4
	v_mov_b32_e32 v6, s2
	v_cndmask_b32_e32 v2, v2, v3, vcc
	v_cndmask_b32_e32 v4, v6, v5, vcc
	v_xor_b32_e32 v2, s6, v2
	v_xor_b32_e32 v3, s6, v4
	v_mov_b32_e32 v4, s6
	v_subrev_co_u32_e32 v2, vcc, s6, v2
	v_subb_co_u32_e32 v3, vcc, v3, v4, vcc
	s_cbranch_execnz .LBB60_149
.LBB60_148:                             ;   in Loop: Header=BB60_8 Depth=1
	v_cvt_f32_u32_e32 v2, s33
	s_sub_i32 s2, 0, s33
	v_rcp_iflag_f32_e32 v2, v2
	v_mul_f32_e32 v2, 0x4f7ffffe, v2
	v_cvt_u32_f32_e32 v2, v2
	v_mul_lo_u32 v3, s2, v2
	v_mul_hi_u32 v3, v2, v3
	v_add_u32_e32 v2, v2, v3
	v_mul_hi_u32 v2, s8, v2
	v_mul_lo_u32 v2, v2, s33
	v_sub_u32_e32 v2, s8, v2
	v_subrev_u32_e32 v3, s33, v2
	v_cmp_le_u32_e32 vcc, s33, v2
	v_cndmask_b32_e32 v2, v2, v3, vcc
	v_subrev_u32_e32 v3, s33, v2
	v_cmp_le_u32_e32 vcc, s33, v2
	v_cndmask_b32_e32 v12, v2, v3, vcc
	v_pk_mov_b32 v[2:3], v[12:13], v[12:13] op_sel:[0,1]
.LBB60_149:                             ;   in Loop: Header=BB60_8 Depth=1
	v_mov_b32_e32 v4, s3
	v_sub_co_u32_e32 v2, vcc, s8, v2
	v_subb_co_u32_e32 v3, vcc, v4, v3, vcc
	v_cmp_gt_i64_e32 vcc, v[2:3], v[0:1]
	s_mov_b64 s[2:3], 0
                                        ; implicit-def: $vgpr46
	s_and_saveexec_b64 s[8:9], vcc
	s_cbranch_execz .LBB60_158
; %bb.150:                              ;   in Loop: Header=BB60_8 Depth=1
	v_mov_b32_e32 v6, v33
	v_pk_mov_b32 v[4:5], v[0:1], v[0:1] op_sel:[0,1]
                                        ; implicit-def: $sgpr18_sgpr19
	s_branch .LBB60_152
.LBB60_151:                             ;   in Loop: Header=BB60_152 Depth=2
	s_or_b64 exec, exec, s[6:7]
	s_waitcnt lgkmcnt(0)
	s_barrier
	ds_read_b32 v7, v13 offset:3072
	v_mov_b32_e32 v8, s88
	v_add_co_u32_e64 v4, s[6:7], s33, v4
	v_addc_co_u32_e64 v5, s[6:7], v5, v8, s[6:7]
	s_waitcnt lgkmcnt(0)
	v_cmp_neq_f16_e32 vcc, 0, v7
	v_cmp_ge_i64_e64 s[6:7], v[4:5], v[2:3]
	s_or_b64 s[6:7], vcc, s[6:7]
	s_and_b64 s[6:7], exec, s[6:7]
	s_or_b64 s[2:3], s[6:7], s[2:3]
	s_andn2_b64 s[6:7], s[18:19], exec
	s_and_b64 s[18:19], vcc, exec
	v_add_u32_e32 v6, s74, v6
	s_or_b64 s[18:19], s[6:7], s[18:19]
	s_barrier
	s_andn2_b64 exec, exec, s[2:3]
	s_cbranch_execz .LBB60_157
.LBB60_152:                             ;   Parent Loop BB60_8 Depth=1
                                        ; =>  This Inner Loop Header: Depth=2
	v_cmp_gt_i64_e32 vcc, s[24:25], v[4:5]
	v_mov_b32_e32 v7, 0
	s_and_saveexec_b64 s[6:7], vcc
	s_cbranch_execz .LBB60_154
; %bb.153:                              ;   in Loop: Header=BB60_152 Depth=2
	ds_read_u16 v7, v6
.LBB60_154:                             ;   in Loop: Header=BB60_152 Depth=2
	s_or_b64 exec, exec, s[6:7]
	s_and_saveexec_b64 s[6:7], vcc
	s_cbranch_execz .LBB60_151
; %bb.155:                              ;   in Loop: Header=BB60_152 Depth=2
	s_waitcnt lgkmcnt(0)
	v_cmp_lt_i16_e32 vcc, -1, v7
	v_cndmask_b32_e32 v8, v41, v42, vcc
	v_xor_b32_sdwa v8, v8, v7 dst_sel:DWORD dst_unused:UNUSED_PAD src0_sel:DWORD src1_sel:WORD_0
	v_cmp_o_f16_e32 vcc, v7, v7
	v_cndmask_b32_e32 v8, v41, v8, vcc
	v_and_b32_e32 v8, s75, v8
	v_cmp_eq_u32_e32 vcc, s0, v8
	s_and_b64 exec, exec, vcc
	s_cbranch_execz .LBB60_151
; %bb.156:                              ;   in Loop: Header=BB60_152 Depth=2
	v_perm_b32 v7, v7, s50, v45
	ds_write_b32 v13, v7 offset:3072
	s_branch .LBB60_151
.LBB60_157:                             ;   in Loop: Header=BB60_8 Depth=1
	s_or_b64 exec, exec, s[2:3]
	v_lshrrev_b32_e32 v46, 16, v7
	s_and_b64 s[2:3], s[18:19], exec
.LBB60_158:                             ;   in Loop: Header=BB60_8 Depth=1
	s_or_b64 exec, exec, s[8:9]
	s_mov_b64 s[22:23], -1
	s_mov_b64 s[20:21], 0
	s_mov_b64 s[18:19], 0
.LBB60_159:                             ;   in Loop: Header=BB60_8 Depth=1
	s_mov_b64 s[6:7], 0
                                        ; implicit-def: $sgpr44
	s_and_saveexec_b64 s[24:25], s[2:3]
	s_cbranch_execz .LBB60_270
; %bb.160:                              ;   in Loop: Header=BB60_8 Depth=1
	s_xor_b64 s[2:3], s[30:31], -1
	s_andn2_b64 vcc, exec, s[2:3]
	s_mov_b32 s44, 1
	s_cbranch_vccnz .LBB60_171
; %bb.161:                              ;   in Loop: Header=BB60_8 Depth=1
	v_pk_mov_b32 v[2:3], s[28:29], s[28:29] op_sel:[0,1]
	v_cmp_gt_i64_e32 vcc, s[54:55], v[2:3]
	s_mov_b64 s[2:3], -1
                                        ; implicit-def: $sgpr44
                                        ; implicit-def: $sgpr6
                                        ; implicit-def: $sgpr7
	s_cbranch_vccnz .LBB60_167
; %bb.162:                              ;   in Loop: Header=BB60_8 Depth=1
	ds_read_b64 v[2:3], v13 offset:5120
	s_waitcnt lgkmcnt(0)
	v_cmp_ne_u64_e32 vcc, 0, v[2:3]
	s_cbranch_vccnz .LBB60_166
; %bb.163:                              ;   in Loop: Header=BB60_8 Depth=1
	s_mov_b64 s[2:3], exec
	v_readlane_b32 s6, v56, 8
	v_readlane_b32 s7, v56, 9
	s_and_b64 s[6:7], s[2:3], s[6:7]
	s_mov_b64 exec, s[6:7]
	s_cbranch_execz .LBB60_165
; %bb.164:                              ;   in Loop: Header=BB60_8 Depth=1
	v_pk_mov_b32 v[2:3], s[28:29], s[28:29] op_sel:[0,1]
	ds_write_b64 v13, v[2:3] offset:5128
.LBB60_165:                             ;   in Loop: Header=BB60_8 Depth=1
	s_or_b64 exec, exec, s[2:3]
	s_waitcnt lgkmcnt(0)
	s_barrier
.LBB60_166:                             ;   in Loop: Header=BB60_8 Depth=1
	s_lshl_b32 s2, 1, s40
	s_and_b32 s3, s0, s41
	s_or_b32 s6, s3, s2
	s_or_b32 s7, s75, s1
	s_mov_b64 s[2:3], 0
	s_mov_b32 s44, 8
.LBB60_167:                             ;   in Loop: Header=BB60_8 Depth=1
	s_andn2_b64 vcc, exec, s[2:3]
	s_cbranch_vccnz .LBB60_169
; %bb.168:                              ;   in Loop: Header=BB60_8 Depth=1
	s_sub_u32 s54, s54, s28
	s_subb_u32 s55, s55, s29
	s_mov_b64 s[2:3], -1
	s_mov_b32 s44, 0
	s_mov_b32 s6, s0
	;; [unrolled: 1-line block ×3, first 2 shown]
.LBB60_169:                             ;   in Loop: Header=BB60_8 Depth=1
	s_mov_b32 s75, s7
	s_mov_b32 s0, s6
	s_andn2_b64 vcc, exec, s[2:3]
	s_mov_b64 s[6:7], -1
	s_cbranch_vccz .LBB60_172
.LBB60_170:                             ;   in Loop: Header=BB60_8 Depth=1
                                        ; implicit-def: $sgpr30_sgpr31
                                        ; implicit-def: $sgpr34_sgpr35
                                        ; implicit-def: $sgpr28_sgpr29
	s_branch .LBB60_269
.LBB60_171:                             ;   in Loop: Header=BB60_8 Depth=1
	s_mov_b64 s[54:55], 1
	s_mov_b64 s[6:7], -1
	s_cbranch_execnz .LBB60_170
.LBB60_172:                             ;   in Loop: Header=BB60_8 Depth=1
	s_cmp_eq_u64 s[16:17], 1
	s_cselect_b64 s[2:3], -1, 0
	s_cmp_eq_u64 s[54:55], 1
	s_cselect_b64 s[6:7], -1, 0
	s_and_b64 s[38:39], s[2:3], s[6:7]
	s_mov_b64 s[2:3], -1
	s_and_b64 vcc, exec, s[38:39]
	s_cbranch_vccz .LBB60_187
; %bb.173:                              ;   in Loop: Header=BB60_8 Depth=1
	ds_read_b64 v[2:3], v13 offset:5120
	s_waitcnt lgkmcnt(0)
	s_barrier
	v_readfirstlane_b32 s36, v2
	v_readfirstlane_b32 s37, v3
	s_mov_b64 s[2:3], exec
	v_readlane_b32 s6, v56, 12
	v_readlane_b32 s7, v56, 13
	s_and_b64 s[6:7], s[2:3], s[6:7]
	s_mov_b64 exec, s[6:7]
	s_cbranch_execz .LBB60_175
; %bb.174:                              ;   in Loop: Header=BB60_8 Depth=1
	ds_write_b16 v34, v13
.LBB60_175:                             ;   in Loop: Header=BB60_8 Depth=1
	s_or_b64 exec, exec, s[2:3]
	s_lshl_b32 s2, 2, s40
	s_and_b32 s0, s0, s41
	s_or_b32 s0, s0, s2
	v_cmp_gt_i64_e64 s[2:3], s[36:37], 0
	s_or_b32 s75, s75, s1
	s_and_b64 vcc, exec, s[2:3]
	s_waitcnt lgkmcnt(0)
	s_barrier
	s_cbranch_vccnz .LBB60_190
; %bb.176:                              ;   in Loop: Header=BB60_8 Depth=1
	s_mov_b32 s44, s73
	s_cmp_lg_u64 s[44:45], 0
	s_cbranch_scc0 .LBB60_235
; %bb.177:                              ;   in Loop: Header=BB60_8 Depth=1
	v_cvt_f32_u32_e32 v2, s33
	s_sub_u32 s2, 0, s33
	s_subb_u32 s3, 0, 0
	v_mac_f32_e32 v2, 0x4f800000, v43
	v_rcp_f32_e32 v2, v2
	v_mul_f32_e32 v2, 0x5f7ffffc, v2
	v_mul_f32_e32 v3, 0x2f800000, v2
	v_trunc_f32_e32 v3, v3
	v_mac_f32_e32 v2, 0xcf800000, v3
	v_cvt_u32_f32_e32 v3, v3
	v_cvt_u32_f32_e32 v2, v2
	v_readfirstlane_b32 s6, v3
	v_readfirstlane_b32 s7, v2
	s_mul_i32 s8, s2, s6
	s_mul_hi_u32 s26, s2, s7
	s_mul_i32 s9, s3, s7
	s_add_i32 s8, s26, s8
	s_mul_i32 s27, s2, s7
	s_add_i32 s8, s8, s9
	s_mul_hi_u32 s26, s7, s27
	s_mul_hi_u32 s9, s7, s8
	s_mul_i32 s7, s7, s8
	s_add_u32 s7, s26, s7
	s_addc_u32 s9, 0, s9
	s_mul_hi_u32 s28, s6, s27
	s_mul_i32 s27, s6, s27
	s_add_u32 s7, s7, s27
	s_mul_hi_u32 s26, s6, s8
	s_addc_u32 s7, s9, s28
	s_addc_u32 s9, s26, 0
	s_mul_i32 s8, s6, s8
	s_add_u32 s7, s7, s8
	s_addc_u32 s8, 0, s9
	v_add_co_u32_e32 v2, vcc, s7, v2
	s_cmp_lg_u64 vcc, 0
	s_addc_u32 s6, s6, s8
	v_readfirstlane_b32 s8, v2
	s_mul_i32 s7, s2, s6
	s_mul_hi_u32 s9, s2, s8
	s_add_i32 s7, s9, s7
	s_mul_i32 s3, s3, s8
	s_add_i32 s7, s7, s3
	s_mul_i32 s2, s2, s8
	s_mul_hi_u32 s9, s6, s2
	s_mul_i32 s26, s6, s2
	s_mul_i32 s28, s8, s7
	s_mul_hi_u32 s2, s8, s2
	s_mul_hi_u32 s27, s8, s7
	s_add_u32 s2, s2, s28
	s_addc_u32 s8, 0, s27
	s_add_u32 s2, s2, s26
	s_mul_hi_u32 s3, s6, s7
	s_addc_u32 s2, s8, s9
	s_addc_u32 s3, s3, 0
	s_mul_i32 s7, s6, s7
	s_add_u32 s2, s2, s7
	s_addc_u32 s3, 0, s3
	v_add_co_u32_e32 v2, vcc, s2, v2
	s_cmp_lg_u64 vcc, 0
	s_addc_u32 s8, s6, s3
	s_ashr_i32 s2, s45, 31
	s_add_u32 s6, s81, s2
	s_mov_b32 s3, s2
	s_addc_u32 s7, s45, s2
	s_xor_b64 s[6:7], s[6:7], s[2:3]
	v_readfirstlane_b32 s26, v2
	s_mul_i32 s9, s6, s8
	s_mul_hi_u32 s27, s6, s26
	s_mul_hi_u32 s3, s6, s8
	s_add_u32 s9, s27, s9
	s_addc_u32 s3, 0, s3
	s_mul_hi_u32 s28, s7, s26
	s_mul_i32 s26, s7, s26
	s_add_u32 s9, s9, s26
	s_mul_hi_u32 s27, s7, s8
	s_addc_u32 s3, s3, s28
	s_addc_u32 s9, s27, 0
	s_mul_i32 s8, s7, s8
	s_add_u32 s3, s3, s8
	s_addc_u32 s8, 0, s9
	s_mul_hi_u32 s9, s33, s3
	s_mul_i32 s3, s33, s3
	s_mul_i32 s8, s33, s8
	v_mov_b32_e32 v2, s3
	s_add_i32 s9, s9, s8
	v_sub_co_u32_e32 v2, vcc, s6, v2
	s_cmp_lg_u64 vcc, 0
	s_subb_u32 s3, s7, s9
	v_subrev_co_u32_e32 v3, vcc, s33, v2
	s_cmp_lg_u64 vcc, 0
	s_subb_u32 s6, s3, 0
	v_subrev_co_u32_e32 v4, vcc, s33, v3
	s_cmp_lg_u64 vcc, 0
	s_subb_u32 s7, s6, 0
	v_cmp_le_u32_e32 vcc, s33, v3
	s_cmp_eq_u32 s6, 0
	v_cndmask_b32_e64 v5, 0, -1, vcc
	s_cselect_b64 vcc, -1, 0
	v_cndmask_b32_e32 v5, -1, v5, vcc
	v_mov_b32_e32 v6, s6
	v_mov_b32_e32 v7, s7
	v_cmp_ne_u32_e32 vcc, 0, v5
	v_cndmask_b32_e32 v5, v6, v7, vcc
	v_cndmask_b32_e32 v3, v3, v4, vcc
	v_cmp_le_u32_e32 vcc, s33, v2
	s_cmp_eq_u32 s3, 0
	v_cndmask_b32_e64 v4, 0, -1, vcc
	s_cselect_b64 vcc, -1, 0
	v_cndmask_b32_e32 v4, -1, v4, vcc
	v_cmp_ne_u32_e32 vcc, 0, v4
	v_mov_b32_e32 v6, s3
	v_cndmask_b32_e32 v2, v2, v3, vcc
	v_cndmask_b32_e32 v4, v6, v5, vcc
	v_xor_b32_e32 v2, s2, v2
	v_xor_b32_e32 v3, s2, v4
	v_mov_b32_e32 v4, s2
	v_subrev_co_u32_e32 v2, vcc, s2, v2
	v_subb_co_u32_e32 v3, vcc, v3, v4, vcc
	s_cbranch_execnz .LBB60_179
.LBB60_178:                             ;   in Loop: Header=BB60_8 Depth=1
	v_cvt_f32_u32_e32 v2, s33
	s_sub_i32 s2, 0, s33
	v_rcp_iflag_f32_e32 v2, v2
	v_mul_f32_e32 v2, 0x4f7ffffe, v2
	v_cvt_u32_f32_e32 v2, v2
	v_mul_lo_u32 v3, s2, v2
	v_mul_hi_u32 v3, v2, v3
	v_add_u32_e32 v2, v2, v3
	v_mul_hi_u32 v2, s81, v2
	v_mul_lo_u32 v2, v2, s33
	v_sub_u32_e32 v2, s81, v2
	v_subrev_u32_e32 v3, s33, v2
	v_cmp_le_u32_e32 vcc, s33, v2
	v_cndmask_b32_e32 v2, v2, v3, vcc
	v_subrev_u32_e32 v3, s33, v2
	v_cmp_le_u32_e32 vcc, s33, v2
	v_cndmask_b32_e32 v12, v2, v3, vcc
	v_pk_mov_b32 v[2:3], v[12:13], v[12:13] op_sel:[0,1]
.LBB60_179:                             ;   in Loop: Header=BB60_8 Depth=1
	v_mov_b32_e32 v4, s45
	v_sub_co_u32_e32 v2, vcc, s81, v2
	v_subb_co_u32_e32 v3, vcc, v4, v3, vcc
	v_cmp_gt_i64_e32 vcc, v[2:3], v[0:1]
	s_mov_b64 s[2:3], 0
                                        ; implicit-def: $vgpr46
	s_and_saveexec_b64 s[8:9], vcc
	s_cbranch_execz .LBB60_192
; %bb.180:                              ;   in Loop: Header=BB60_8 Depth=1
	v_pk_mov_b32 v[4:5], v[10:11], v[10:11] op_sel:[0,1]
	v_pk_mov_b32 v[6:7], v[0:1], v[0:1] op_sel:[0,1]
                                        ; implicit-def: $sgpr26_sgpr27
	s_branch .LBB60_182
.LBB60_181:                             ;   in Loop: Header=BB60_182 Depth=2
	s_or_b64 exec, exec, s[6:7]
	s_waitcnt lgkmcnt(0)
	s_barrier
	s_waitcnt vmcnt(0)
	ds_read_b32 v8, v13 offset:3072
	v_mov_b32_e32 v9, s88
	v_add_co_u32_e64 v6, s[6:7], s33, v6
	v_addc_co_u32_e64 v7, s[6:7], v7, v9, s[6:7]
	s_waitcnt lgkmcnt(0)
	v_cmp_neq_f16_e32 vcc, 0, v8
	v_cmp_ge_i64_e64 s[6:7], v[6:7], v[2:3]
	s_or_b64 s[28:29], vcc, s[6:7]
	v_mov_b32_e32 v9, s69
	v_add_co_u32_e64 v4, s[6:7], s68, v4
	v_addc_co_u32_e64 v5, s[6:7], v5, v9, s[6:7]
	s_and_b64 s[6:7], exec, s[28:29]
	s_or_b64 s[2:3], s[6:7], s[2:3]
	s_andn2_b64 s[6:7], s[26:27], exec
	s_and_b64 s[26:27], vcc, exec
	s_or_b64 s[26:27], s[6:7], s[26:27]
	s_barrier
	s_andn2_b64 exec, exec, s[2:3]
	s_cbranch_execz .LBB60_191
.LBB60_182:                             ;   Parent Loop BB60_8 Depth=1
                                        ; =>  This Inner Loop Header: Depth=2
	v_cmp_gt_i64_e32 vcc, s[52:53], v[6:7]
	v_mov_b32_e32 v8, 0
	s_and_saveexec_b64 s[6:7], vcc
	s_cbranch_execz .LBB60_184
; %bb.183:                              ;   in Loop: Header=BB60_182 Depth=2
	global_load_ushort v8, v[4:5], off
.LBB60_184:                             ;   in Loop: Header=BB60_182 Depth=2
	s_or_b64 exec, exec, s[6:7]
	s_and_saveexec_b64 s[6:7], vcc
	s_cbranch_execz .LBB60_181
; %bb.185:                              ;   in Loop: Header=BB60_182 Depth=2
	s_waitcnt vmcnt(0)
	v_cmp_lt_i16_e32 vcc, -1, v8
	v_cndmask_b32_e32 v9, v41, v42, vcc
	v_xor_b32_sdwa v9, v9, v8 dst_sel:DWORD dst_unused:UNUSED_PAD src0_sel:DWORD src1_sel:WORD_0
	v_cmp_o_f16_e32 vcc, v8, v8
	v_cndmask_b32_e32 v9, v41, v9, vcc
	v_and_b32_e32 v9, s75, v9
	v_cmp_eq_u32_e32 vcc, s0, v9
	s_and_b64 exec, exec, vcc
	s_cbranch_execz .LBB60_181
; %bb.186:                              ;   in Loop: Header=BB60_182 Depth=2
	v_perm_b32 v8, v8, s50, v45
	ds_write_b32 v13, v8 offset:3072
	s_branch .LBB60_181
.LBB60_187:                             ;   in Loop: Header=BB60_8 Depth=1
                                        ; implicit-def: $sgpr28_sgpr29
                                        ; implicit-def: $sgpr34_sgpr35
                                        ; implicit-def: $sgpr30_sgpr31
	s_branch .LBB60_206
.LBB60_188:                             ;   in Loop: Header=BB60_8 Depth=1
                                        ; implicit-def: $vgpr2_vgpr3
	s_branch .LBB60_131
.LBB60_189:                             ;   in Loop: Header=BB60_8 Depth=1
                                        ; implicit-def: $vgpr2_vgpr3
	s_branch .LBB60_148
.LBB60_190:                             ;   in Loop: Header=BB60_8 Depth=1
	s_mov_b64 s[28:29], -1
	s_mov_b64 s[2:3], 0
                                        ; implicit-def: $sgpr30_sgpr31
                                        ; implicit-def: $vgpr46
	s_mov_b64 s[34:35], s[28:29]
	s_cbranch_execnz .LBB60_193
	s_branch .LBB60_206
.LBB60_191:                             ;   in Loop: Header=BB60_8 Depth=1
	s_or_b64 exec, exec, s[2:3]
	v_lshrrev_b32_e32 v46, 16, v8
	s_and_b64 s[2:3], s[26:27], exec
.LBB60_192:                             ;   in Loop: Header=BB60_8 Depth=1
	s_or_b64 exec, exec, s[8:9]
	s_mov_b64 s[30:31], -1
	s_mov_b64 s[28:29], 0
	s_mov_b64 s[34:35], s[28:29]
	s_branch .LBB60_206
.LBB60_193:                             ;   in Loop: Header=BB60_8 Depth=1
	v_readlane_b32 s2, v56, 20
	s_add_u32 s8, s2, s36
	v_readlane_b32 s2, v56, 21
	s_addc_u32 s3, s2, s37
	s_mov_b32 s2, s73
	s_cmp_lg_u64 s[2:3], 0
	s_cbranch_scc0 .LBB60_236
; %bb.194:                              ;   in Loop: Header=BB60_8 Depth=1
	v_cvt_f32_u32_e32 v2, s33
	s_sub_u32 s2, 0, s33
	s_subb_u32 s6, 0, 0
	v_mac_f32_e32 v2, 0x4f800000, v43
	v_rcp_f32_e32 v2, v2
	v_mul_f32_e32 v2, 0x5f7ffffc, v2
	v_mul_f32_e32 v3, 0x2f800000, v2
	v_trunc_f32_e32 v3, v3
	v_mac_f32_e32 v2, 0xcf800000, v3
	v_cvt_u32_f32_e32 v3, v3
	v_cvt_u32_f32_e32 v2, v2
	v_readfirstlane_b32 s7, v3
	v_readfirstlane_b32 s9, v2
	s_mul_i32 s26, s2, s7
	s_mul_hi_u32 s28, s2, s9
	s_mul_i32 s27, s6, s9
	s_add_i32 s26, s28, s26
	s_mul_i32 s29, s2, s9
	s_add_i32 s26, s26, s27
	s_mul_hi_u32 s28, s9, s29
	s_mul_hi_u32 s27, s9, s26
	s_mul_i32 s9, s9, s26
	s_add_u32 s9, s28, s9
	s_addc_u32 s27, 0, s27
	s_mul_hi_u32 s30, s7, s29
	s_mul_i32 s29, s7, s29
	s_add_u32 s9, s9, s29
	s_mul_hi_u32 s28, s7, s26
	s_addc_u32 s9, s27, s30
	s_addc_u32 s27, s28, 0
	s_mul_i32 s26, s7, s26
	s_add_u32 s9, s9, s26
	s_addc_u32 s26, 0, s27
	v_add_co_u32_e32 v2, vcc, s9, v2
	s_cmp_lg_u64 vcc, 0
	s_addc_u32 s7, s7, s26
	v_readfirstlane_b32 s26, v2
	s_mul_i32 s9, s2, s7
	s_mul_hi_u32 s27, s2, s26
	s_add_i32 s9, s27, s9
	s_mul_i32 s6, s6, s26
	s_add_i32 s9, s9, s6
	s_mul_i32 s2, s2, s26
	s_mul_hi_u32 s27, s7, s2
	s_mul_i32 s28, s7, s2
	s_mul_i32 s30, s26, s9
	s_mul_hi_u32 s2, s26, s2
	s_mul_hi_u32 s29, s26, s9
	s_add_u32 s2, s2, s30
	s_addc_u32 s26, 0, s29
	s_add_u32 s2, s2, s28
	s_mul_hi_u32 s6, s7, s9
	s_addc_u32 s2, s26, s27
	s_addc_u32 s6, s6, 0
	s_mul_i32 s9, s7, s9
	s_add_u32 s2, s2, s9
	s_addc_u32 s6, 0, s6
	v_add_co_u32_e32 v2, vcc, s2, v2
	s_cmp_lg_u64 vcc, 0
	s_addc_u32 s2, s7, s6
	s_ashr_i32 s6, s3, 31
	s_add_u32 s26, s8, s6
	s_mov_b32 s7, s6
	s_addc_u32 s27, s3, s6
	s_xor_b64 s[26:27], s[26:27], s[6:7]
	v_readfirstlane_b32 s28, v2
	s_mul_i32 s9, s26, s2
	s_mul_hi_u32 s29, s26, s28
	s_mul_hi_u32 s7, s26, s2
	s_add_u32 s9, s29, s9
	s_addc_u32 s7, 0, s7
	s_mul_hi_u32 s30, s27, s28
	s_mul_i32 s28, s27, s28
	s_add_u32 s9, s9, s28
	s_mul_hi_u32 s29, s27, s2
	s_addc_u32 s7, s7, s30
	s_addc_u32 s9, s29, 0
	s_mul_i32 s2, s27, s2
	s_add_u32 s2, s7, s2
	s_addc_u32 s7, 0, s9
	s_mul_hi_u32 s9, s33, s2
	s_mul_i32 s2, s33, s2
	s_mul_i32 s7, s33, s7
	v_mov_b32_e32 v2, s2
	s_add_i32 s9, s9, s7
	v_sub_co_u32_e32 v2, vcc, s26, v2
	s_cmp_lg_u64 vcc, 0
	s_subb_u32 s2, s27, s9
	v_subrev_co_u32_e32 v3, vcc, s33, v2
	s_cmp_lg_u64 vcc, 0
	s_subb_u32 s7, s2, 0
	v_subrev_co_u32_e32 v4, vcc, s33, v3
	s_cmp_lg_u64 vcc, 0
	s_subb_u32 s9, s7, 0
	v_cmp_le_u32_e32 vcc, s33, v3
	s_cmp_eq_u32 s7, 0
	v_cndmask_b32_e64 v5, 0, -1, vcc
	s_cselect_b64 vcc, -1, 0
	v_cndmask_b32_e32 v5, -1, v5, vcc
	v_mov_b32_e32 v6, s7
	v_mov_b32_e32 v7, s9
	v_cmp_ne_u32_e32 vcc, 0, v5
	v_cndmask_b32_e32 v5, v6, v7, vcc
	v_cndmask_b32_e32 v3, v3, v4, vcc
	v_cmp_le_u32_e32 vcc, s33, v2
	s_cmp_eq_u32 s2, 0
	v_cndmask_b32_e64 v4, 0, -1, vcc
	s_cselect_b64 vcc, -1, 0
	v_cndmask_b32_e32 v4, -1, v4, vcc
	v_cmp_ne_u32_e32 vcc, 0, v4
	v_mov_b32_e32 v6, s2
	v_cndmask_b32_e32 v2, v2, v3, vcc
	v_cndmask_b32_e32 v4, v6, v5, vcc
	v_xor_b32_e32 v2, s6, v2
	v_xor_b32_e32 v3, s6, v4
	v_mov_b32_e32 v4, s6
	v_subrev_co_u32_e32 v2, vcc, s6, v2
	v_subb_co_u32_e32 v3, vcc, v3, v4, vcc
	s_cbranch_execnz .LBB60_196
.LBB60_195:                             ;   in Loop: Header=BB60_8 Depth=1
	v_cvt_f32_u32_e32 v2, s33
	s_sub_i32 s2, 0, s33
	v_rcp_iflag_f32_e32 v2, v2
	v_mul_f32_e32 v2, 0x4f7ffffe, v2
	v_cvt_u32_f32_e32 v2, v2
	v_mul_lo_u32 v3, s2, v2
	v_mul_hi_u32 v3, v2, v3
	v_add_u32_e32 v2, v2, v3
	v_mul_hi_u32 v2, s8, v2
	v_mul_lo_u32 v2, v2, s33
	v_sub_u32_e32 v2, s8, v2
	v_subrev_u32_e32 v3, s33, v2
	v_cmp_le_u32_e32 vcc, s33, v2
	v_cndmask_b32_e32 v2, v2, v3, vcc
	v_subrev_u32_e32 v3, s33, v2
	v_cmp_le_u32_e32 vcc, s33, v2
	v_cndmask_b32_e32 v12, v2, v3, vcc
	v_pk_mov_b32 v[2:3], v[12:13], v[12:13] op_sel:[0,1]
.LBB60_196:                             ;   in Loop: Header=BB60_8 Depth=1
	v_mov_b32_e32 v4, s3
	v_sub_co_u32_e32 v2, vcc, s8, v2
	v_subb_co_u32_e32 v3, vcc, v4, v3, vcc
	v_cmp_gt_i64_e32 vcc, v[2:3], v[0:1]
	s_mov_b64 s[2:3], 0
                                        ; implicit-def: $vgpr46
	s_and_saveexec_b64 s[8:9], vcc
	s_cbranch_execz .LBB60_205
; %bb.197:                              ;   in Loop: Header=BB60_8 Depth=1
	v_mov_b32_e32 v6, v33
	v_pk_mov_b32 v[4:5], v[0:1], v[0:1] op_sel:[0,1]
                                        ; implicit-def: $sgpr26_sgpr27
	s_branch .LBB60_199
.LBB60_198:                             ;   in Loop: Header=BB60_199 Depth=2
	s_or_b64 exec, exec, s[6:7]
	s_waitcnt lgkmcnt(0)
	s_barrier
	ds_read_b32 v7, v13 offset:3072
	v_mov_b32_e32 v8, s88
	v_add_co_u32_e64 v4, s[6:7], s33, v4
	v_addc_co_u32_e64 v5, s[6:7], v5, v8, s[6:7]
	s_waitcnt lgkmcnt(0)
	v_cmp_neq_f16_e32 vcc, 0, v7
	v_cmp_ge_i64_e64 s[6:7], v[4:5], v[2:3]
	s_or_b64 s[6:7], vcc, s[6:7]
	s_and_b64 s[6:7], exec, s[6:7]
	s_or_b64 s[2:3], s[6:7], s[2:3]
	s_andn2_b64 s[6:7], s[26:27], exec
	s_and_b64 s[26:27], vcc, exec
	v_add_u32_e32 v6, s74, v6
	s_or_b64 s[26:27], s[6:7], s[26:27]
	s_barrier
	s_andn2_b64 exec, exec, s[2:3]
	s_cbranch_execz .LBB60_204
.LBB60_199:                             ;   Parent Loop BB60_8 Depth=1
                                        ; =>  This Inner Loop Header: Depth=2
	v_cmp_gt_i64_e32 vcc, s[36:37], v[4:5]
	v_mov_b32_e32 v7, 0
	s_and_saveexec_b64 s[6:7], vcc
	s_cbranch_execz .LBB60_201
; %bb.200:                              ;   in Loop: Header=BB60_199 Depth=2
	ds_read_u16 v7, v6
.LBB60_201:                             ;   in Loop: Header=BB60_199 Depth=2
	s_or_b64 exec, exec, s[6:7]
	s_and_saveexec_b64 s[6:7], vcc
	s_cbranch_execz .LBB60_198
; %bb.202:                              ;   in Loop: Header=BB60_199 Depth=2
	s_waitcnt lgkmcnt(0)
	v_cmp_lt_i16_e32 vcc, -1, v7
	v_cndmask_b32_e32 v8, v41, v42, vcc
	v_xor_b32_sdwa v8, v8, v7 dst_sel:DWORD dst_unused:UNUSED_PAD src0_sel:DWORD src1_sel:WORD_0
	v_cmp_o_f16_e32 vcc, v7, v7
	v_cndmask_b32_e32 v8, v41, v8, vcc
	v_and_b32_e32 v8, s75, v8
	v_cmp_eq_u32_e32 vcc, s0, v8
	s_and_b64 exec, exec, vcc
	s_cbranch_execz .LBB60_198
; %bb.203:                              ;   in Loop: Header=BB60_199 Depth=2
	v_perm_b32 v7, v7, s50, v45
	ds_write_b32 v13, v7 offset:3072
	s_branch .LBB60_198
.LBB60_204:                             ;   in Loop: Header=BB60_8 Depth=1
	s_or_b64 exec, exec, s[2:3]
	v_lshrrev_b32_e32 v46, 16, v7
	s_and_b64 s[2:3], s[26:27], exec
.LBB60_205:                             ;   in Loop: Header=BB60_8 Depth=1
	s_or_b64 exec, exec, s[8:9]
	s_mov_b64 s[34:35], -1
	s_mov_b64 s[28:29], 0
	s_mov_b64 s[30:31], 0
.LBB60_206:                             ;   in Loop: Header=BB60_8 Depth=1
	s_mov_b64 s[6:7], 0
                                        ; implicit-def: $sgpr44
	s_and_saveexec_b64 s[36:37], s[2:3]
	s_cbranch_execz .LBB60_268
; %bb.207:                              ;   in Loop: Header=BB60_8 Depth=1
	s_xor_b64 s[2:3], s[38:39], -1
	s_andn2_b64 vcc, exec, s[2:3]
	s_mov_b32 s44, 1
	s_cbranch_vccnz .LBB60_218
; %bb.208:                              ;   in Loop: Header=BB60_8 Depth=1
	v_pk_mov_b32 v[2:3], s[16:17], s[16:17] op_sel:[0,1]
	v_cmp_gt_i64_e32 vcc, s[54:55], v[2:3]
	s_mov_b64 s[2:3], -1
                                        ; implicit-def: $sgpr44
                                        ; implicit-def: $sgpr6
                                        ; implicit-def: $sgpr7
	s_cbranch_vccnz .LBB60_214
; %bb.209:                              ;   in Loop: Header=BB60_8 Depth=1
	ds_read_b64 v[2:3], v13 offset:5120
	s_waitcnt lgkmcnt(0)
	v_cmp_ne_u64_e32 vcc, 0, v[2:3]
	s_cbranch_vccnz .LBB60_213
; %bb.210:                              ;   in Loop: Header=BB60_8 Depth=1
	s_mov_b64 s[2:3], exec
	v_readlane_b32 s6, v56, 8
	v_readlane_b32 s7, v56, 9
	s_and_b64 s[6:7], s[2:3], s[6:7]
	s_mov_b64 exec, s[6:7]
	s_cbranch_execz .LBB60_212
; %bb.211:                              ;   in Loop: Header=BB60_8 Depth=1
	v_pk_mov_b32 v[2:3], s[16:17], s[16:17] op_sel:[0,1]
	ds_write_b64 v13, v[2:3] offset:5128
.LBB60_212:                             ;   in Loop: Header=BB60_8 Depth=1
	s_or_b64 exec, exec, s[2:3]
	s_waitcnt lgkmcnt(0)
	s_barrier
.LBB60_213:                             ;   in Loop: Header=BB60_8 Depth=1
	s_lshl_b32 s2, 2, s40
	s_and_b32 s3, s0, s41
	s_or_b32 s6, s3, s2
	s_or_b32 s7, s75, s1
	s_mov_b64 s[2:3], 0
	s_mov_b32 s44, 8
.LBB60_214:                             ;   in Loop: Header=BB60_8 Depth=1
	s_andn2_b64 vcc, exec, s[2:3]
	s_cbranch_vccnz .LBB60_216
; %bb.215:                              ;   in Loop: Header=BB60_8 Depth=1
	s_sub_u32 s54, s54, s16
	s_subb_u32 s55, s55, s17
	s_mov_b64 s[2:3], -1
	s_mov_b32 s44, 0
	s_mov_b32 s6, s0
	;; [unrolled: 1-line block ×3, first 2 shown]
.LBB60_216:                             ;   in Loop: Header=BB60_8 Depth=1
	s_mov_b32 s75, s7
	s_mov_b32 s0, s6
	s_andn2_b64 vcc, exec, s[2:3]
	s_mov_b64 s[40:41], -1
	s_cbranch_vccz .LBB60_219
.LBB60_217:                             ;   in Loop: Header=BB60_8 Depth=1
                                        ; implicit-def: $sgpr2_sgpr3
                                        ; implicit-def: $sgpr8_sgpr9
                                        ; implicit-def: $sgpr6_sgpr7
	s_branch .LBB60_267
.LBB60_218:                             ;   in Loop: Header=BB60_8 Depth=1
	s_mov_b64 s[54:55], 1
	s_mov_b64 s[40:41], -1
	s_cbranch_execnz .LBB60_217
.LBB60_219:                             ;   in Loop: Header=BB60_8 Depth=1
	s_cmp_eq_u64 s[10:11], 1
	s_cselect_b64 s[2:3], -1, 0
	s_cmp_eq_u64 s[54:55], 1
	s_cselect_b64 s[6:7], -1, 0
	s_and_b64 s[16:17], s[2:3], s[6:7]
	s_mov_b64 s[26:27], -1
	s_and_b64 vcc, exec, s[16:17]
	s_cbranch_vccz .LBB60_234
; %bb.220:                              ;   in Loop: Header=BB60_8 Depth=1
	ds_read_b64 v[2:3], v13 offset:5120
	s_waitcnt lgkmcnt(0)
	s_barrier
	v_readfirstlane_b32 s38, v2
	v_readfirstlane_b32 s39, v3
	s_mov_b64 s[2:3], exec
	v_readlane_b32 s6, v56, 12
	v_readlane_b32 s7, v56, 13
	s_and_b64 s[6:7], s[2:3], s[6:7]
	s_mov_b64 exec, s[6:7]
	s_cbranch_execz .LBB60_222
; %bb.221:                              ;   in Loop: Header=BB60_8 Depth=1
	ds_write_b16 v34, v13
.LBB60_222:                             ;   in Loop: Header=BB60_8 Depth=1
	s_or_b64 exec, exec, s[2:3]
	v_cmp_gt_i64_e64 s[2:3], s[38:39], 0
	s_or_b32 s0, s0, s1
	s_or_b32 s75, s75, s1
	s_and_b64 vcc, exec, s[2:3]
	s_waitcnt lgkmcnt(0)
	s_barrier
	s_cbranch_vccnz .LBB60_237
; %bb.223:                              ;   in Loop: Header=BB60_8 Depth=1
	s_mov_b32 s44, s73
	s_cmp_lg_u64 s[44:45], 0
	s_cbranch_scc0 .LBB60_273
; %bb.224:                              ;   in Loop: Header=BB60_8 Depth=1
	v_cvt_f32_u32_e32 v2, s33
	s_sub_u32 s2, 0, s33
	s_subb_u32 s3, 0, 0
	v_mac_f32_e32 v2, 0x4f800000, v43
	v_rcp_f32_e32 v2, v2
	v_mul_f32_e32 v2, 0x5f7ffffc, v2
	v_mul_f32_e32 v3, 0x2f800000, v2
	v_trunc_f32_e32 v3, v3
	v_mac_f32_e32 v2, 0xcf800000, v3
	v_cvt_u32_f32_e32 v3, v3
	v_cvt_u32_f32_e32 v2, v2
	v_readfirstlane_b32 s6, v3
	v_readfirstlane_b32 s7, v2
	s_mul_i32 s8, s2, s6
	s_mul_hi_u32 s26, s2, s7
	s_mul_i32 s9, s3, s7
	s_add_i32 s8, s26, s8
	s_mul_i32 s27, s2, s7
	s_add_i32 s8, s8, s9
	s_mul_hi_u32 s26, s7, s27
	s_mul_hi_u32 s9, s7, s8
	s_mul_i32 s7, s7, s8
	s_add_u32 s7, s26, s7
	s_addc_u32 s9, 0, s9
	s_mul_hi_u32 s40, s6, s27
	s_mul_i32 s27, s6, s27
	s_add_u32 s7, s7, s27
	s_mul_hi_u32 s26, s6, s8
	s_addc_u32 s7, s9, s40
	s_addc_u32 s9, s26, 0
	s_mul_i32 s8, s6, s8
	s_add_u32 s7, s7, s8
	s_addc_u32 s8, 0, s9
	v_add_co_u32_e32 v2, vcc, s7, v2
	s_cmp_lg_u64 vcc, 0
	s_addc_u32 s6, s6, s8
	v_readfirstlane_b32 s8, v2
	s_mul_i32 s7, s2, s6
	s_mul_hi_u32 s9, s2, s8
	s_add_i32 s7, s9, s7
	s_mul_i32 s3, s3, s8
	s_add_i32 s7, s7, s3
	s_mul_i32 s2, s2, s8
	s_mul_hi_u32 s9, s6, s2
	s_mul_i32 s26, s6, s2
	s_mul_i32 s40, s8, s7
	s_mul_hi_u32 s2, s8, s2
	s_mul_hi_u32 s27, s8, s7
	s_add_u32 s2, s2, s40
	s_addc_u32 s8, 0, s27
	s_add_u32 s2, s2, s26
	s_mul_hi_u32 s3, s6, s7
	s_addc_u32 s2, s8, s9
	s_addc_u32 s3, s3, 0
	s_mul_i32 s7, s6, s7
	s_add_u32 s2, s2, s7
	s_addc_u32 s3, 0, s3
	v_add_co_u32_e32 v2, vcc, s2, v2
	s_cmp_lg_u64 vcc, 0
	s_addc_u32 s8, s6, s3
	s_ashr_i32 s2, s45, 31
	s_add_u32 s6, s81, s2
	s_mov_b32 s3, s2
	s_addc_u32 s7, s45, s2
	s_xor_b64 s[6:7], s[6:7], s[2:3]
	v_readfirstlane_b32 s26, v2
	s_mul_i32 s9, s6, s8
	s_mul_hi_u32 s27, s6, s26
	s_mul_hi_u32 s3, s6, s8
	s_add_u32 s9, s27, s9
	s_addc_u32 s3, 0, s3
	s_mul_hi_u32 s40, s7, s26
	s_mul_i32 s26, s7, s26
	s_add_u32 s9, s9, s26
	s_mul_hi_u32 s27, s7, s8
	s_addc_u32 s3, s3, s40
	s_addc_u32 s9, s27, 0
	s_mul_i32 s8, s7, s8
	s_add_u32 s3, s3, s8
	s_addc_u32 s8, 0, s9
	s_mul_hi_u32 s9, s33, s3
	s_mul_i32 s3, s33, s3
	s_mul_i32 s8, s33, s8
	v_mov_b32_e32 v2, s3
	s_add_i32 s9, s9, s8
	v_sub_co_u32_e32 v2, vcc, s6, v2
	s_cmp_lg_u64 vcc, 0
	s_subb_u32 s3, s7, s9
	v_subrev_co_u32_e32 v3, vcc, s33, v2
	s_cmp_lg_u64 vcc, 0
	s_subb_u32 s6, s3, 0
	v_subrev_co_u32_e32 v4, vcc, s33, v3
	s_cmp_lg_u64 vcc, 0
	s_subb_u32 s7, s6, 0
	v_cmp_le_u32_e32 vcc, s33, v3
	s_cmp_eq_u32 s6, 0
	v_cndmask_b32_e64 v5, 0, -1, vcc
	s_cselect_b64 vcc, -1, 0
	v_cndmask_b32_e32 v5, -1, v5, vcc
	v_mov_b32_e32 v6, s6
	v_mov_b32_e32 v7, s7
	v_cmp_ne_u32_e32 vcc, 0, v5
	v_cndmask_b32_e32 v5, v6, v7, vcc
	v_cndmask_b32_e32 v3, v3, v4, vcc
	v_cmp_le_u32_e32 vcc, s33, v2
	s_cmp_eq_u32 s3, 0
	v_cndmask_b32_e64 v4, 0, -1, vcc
	s_cselect_b64 vcc, -1, 0
	v_cndmask_b32_e32 v4, -1, v4, vcc
	v_cmp_ne_u32_e32 vcc, 0, v4
	v_mov_b32_e32 v6, s3
	v_cndmask_b32_e32 v2, v2, v3, vcc
	v_cndmask_b32_e32 v4, v6, v5, vcc
	v_xor_b32_e32 v2, s2, v2
	v_xor_b32_e32 v3, s2, v4
	v_mov_b32_e32 v4, s2
	v_subrev_co_u32_e32 v2, vcc, s2, v2
	v_subb_co_u32_e32 v3, vcc, v3, v4, vcc
	s_cbranch_execnz .LBB60_226
.LBB60_225:                             ;   in Loop: Header=BB60_8 Depth=1
	v_cvt_f32_u32_e32 v2, s33
	s_sub_i32 s2, 0, s33
	v_rcp_iflag_f32_e32 v2, v2
	v_mul_f32_e32 v2, 0x4f7ffffe, v2
	v_cvt_u32_f32_e32 v2, v2
	v_mul_lo_u32 v3, s2, v2
	v_mul_hi_u32 v3, v2, v3
	v_add_u32_e32 v2, v2, v3
	v_mul_hi_u32 v2, s81, v2
	v_mul_lo_u32 v2, v2, s33
	v_sub_u32_e32 v2, s81, v2
	v_subrev_u32_e32 v3, s33, v2
	v_cmp_le_u32_e32 vcc, s33, v2
	v_cndmask_b32_e32 v2, v2, v3, vcc
	v_subrev_u32_e32 v3, s33, v2
	v_cmp_le_u32_e32 vcc, s33, v2
	v_cndmask_b32_e32 v12, v2, v3, vcc
	v_pk_mov_b32 v[2:3], v[12:13], v[12:13] op_sel:[0,1]
.LBB60_226:                             ;   in Loop: Header=BB60_8 Depth=1
	v_mov_b32_e32 v4, s45
	v_sub_co_u32_e32 v2, vcc, s81, v2
	v_subb_co_u32_e32 v3, vcc, v4, v3, vcc
	v_cmp_gt_i64_e32 vcc, v[2:3], v[0:1]
	s_mov_b64 s[26:27], 0
                                        ; implicit-def: $vgpr46
	s_and_saveexec_b64 s[2:3], vcc
	s_cbranch_execz .LBB60_239
; %bb.227:                              ;   in Loop: Header=BB60_8 Depth=1
	s_mov_b64 s[8:9], 0
	v_pk_mov_b32 v[4:5], v[10:11], v[10:11] op_sel:[0,1]
	v_pk_mov_b32 v[6:7], v[0:1], v[0:1] op_sel:[0,1]
                                        ; implicit-def: $sgpr26_sgpr27
	s_branch .LBB60_229
.LBB60_228:                             ;   in Loop: Header=BB60_229 Depth=2
	s_or_b64 exec, exec, s[6:7]
	s_waitcnt lgkmcnt(0)
	s_barrier
	s_waitcnt vmcnt(0)
	ds_read_b32 v8, v13 offset:3072
	v_mov_b32_e32 v9, s88
	v_add_co_u32_e64 v6, s[6:7], s33, v6
	v_addc_co_u32_e64 v7, s[6:7], v7, v9, s[6:7]
	s_waitcnt lgkmcnt(0)
	v_cmp_neq_f16_e32 vcc, 0, v8
	v_cmp_ge_i64_e64 s[6:7], v[6:7], v[2:3]
	s_or_b64 s[40:41], vcc, s[6:7]
	v_mov_b32_e32 v9, s69
	v_add_co_u32_e64 v4, s[6:7], s68, v4
	v_addc_co_u32_e64 v5, s[6:7], v5, v9, s[6:7]
	s_and_b64 s[6:7], exec, s[40:41]
	s_or_b64 s[8:9], s[6:7], s[8:9]
	s_andn2_b64 s[6:7], s[26:27], exec
	s_and_b64 s[26:27], vcc, exec
	s_or_b64 s[26:27], s[6:7], s[26:27]
	s_barrier
	s_andn2_b64 exec, exec, s[8:9]
	s_cbranch_execz .LBB60_238
.LBB60_229:                             ;   Parent Loop BB60_8 Depth=1
                                        ; =>  This Inner Loop Header: Depth=2
	v_cmp_gt_i64_e32 vcc, s[52:53], v[6:7]
	v_mov_b32_e32 v8, 0
	s_and_saveexec_b64 s[6:7], vcc
	s_cbranch_execz .LBB60_231
; %bb.230:                              ;   in Loop: Header=BB60_229 Depth=2
	global_load_ushort v8, v[4:5], off
.LBB60_231:                             ;   in Loop: Header=BB60_229 Depth=2
	s_or_b64 exec, exec, s[6:7]
	s_and_saveexec_b64 s[6:7], vcc
	s_cbranch_execz .LBB60_228
; %bb.232:                              ;   in Loop: Header=BB60_229 Depth=2
	s_waitcnt vmcnt(0)
	v_cmp_lt_i16_e32 vcc, -1, v8
	v_cndmask_b32_e32 v9, v41, v42, vcc
	v_xor_b32_sdwa v9, v9, v8 dst_sel:DWORD dst_unused:UNUSED_PAD src0_sel:DWORD src1_sel:WORD_0
	v_cmp_o_f16_e32 vcc, v8, v8
	v_cndmask_b32_e32 v9, v41, v9, vcc
	v_and_b32_e32 v9, s75, v9
	v_cmp_eq_u32_e32 vcc, s0, v9
	s_and_b64 exec, exec, vcc
	s_cbranch_execz .LBB60_228
; %bb.233:                              ;   in Loop: Header=BB60_229 Depth=2
	v_perm_b32 v8, v8, s50, v45
	ds_write_b32 v13, v8 offset:3072
	s_branch .LBB60_228
.LBB60_234:                             ;   in Loop: Header=BB60_8 Depth=1
                                        ; implicit-def: $sgpr2_sgpr3
                                        ; implicit-def: $sgpr8_sgpr9
                                        ; implicit-def: $sgpr6_sgpr7
	s_branch .LBB60_253
.LBB60_235:                             ;   in Loop: Header=BB60_8 Depth=1
                                        ; implicit-def: $vgpr2_vgpr3
	s_branch .LBB60_178
.LBB60_236:                             ;   in Loop: Header=BB60_8 Depth=1
                                        ; implicit-def: $vgpr2_vgpr3
	s_branch .LBB60_195
.LBB60_237:                             ;   in Loop: Header=BB60_8 Depth=1
	s_mov_b64 s[2:3], -1
	s_mov_b64 s[26:27], 0
                                        ; implicit-def: $sgpr6_sgpr7
                                        ; implicit-def: $vgpr46
	s_mov_b64 s[8:9], s[2:3]
	s_cbranch_execnz .LBB60_240
	s_branch .LBB60_253
.LBB60_238:                             ;   in Loop: Header=BB60_8 Depth=1
	s_or_b64 exec, exec, s[8:9]
	v_lshrrev_b32_e32 v46, 16, v8
	s_and_b64 s[26:27], s[26:27], exec
.LBB60_239:                             ;   in Loop: Header=BB60_8 Depth=1
	s_or_b64 exec, exec, s[2:3]
	s_mov_b64 s[6:7], -1
	s_mov_b64 s[2:3], 0
	s_mov_b64 s[8:9], s[2:3]
	s_branch .LBB60_253
.LBB60_240:                             ;   in Loop: Header=BB60_8 Depth=1
	v_readlane_b32 s2, v56, 20
	s_add_u32 s8, s2, s38
	v_readlane_b32 s2, v56, 21
	s_addc_u32 s3, s2, s39
	s_mov_b32 s2, s73
	s_cmp_lg_u64 s[2:3], 0
	s_cbranch_scc0 .LBB60_274
; %bb.241:                              ;   in Loop: Header=BB60_8 Depth=1
	v_cvt_f32_u32_e32 v2, s33
	s_sub_u32 s2, 0, s33
	s_subb_u32 s6, 0, 0
	v_mac_f32_e32 v2, 0x4f800000, v43
	v_rcp_f32_e32 v2, v2
	v_mul_f32_e32 v2, 0x5f7ffffc, v2
	v_mul_f32_e32 v3, 0x2f800000, v2
	v_trunc_f32_e32 v3, v3
	v_mac_f32_e32 v2, 0xcf800000, v3
	v_cvt_u32_f32_e32 v3, v3
	v_cvt_u32_f32_e32 v2, v2
	v_readfirstlane_b32 s7, v3
	v_readfirstlane_b32 s9, v2
	s_mul_i32 s26, s2, s7
	s_mul_hi_u32 s40, s2, s9
	s_mul_i32 s27, s6, s9
	s_add_i32 s26, s40, s26
	s_mul_i32 s41, s2, s9
	s_add_i32 s26, s26, s27
	s_mul_hi_u32 s40, s9, s41
	s_mul_hi_u32 s27, s9, s26
	s_mul_i32 s9, s9, s26
	s_add_u32 s9, s40, s9
	s_addc_u32 s27, 0, s27
	s_mul_hi_u32 s42, s7, s41
	s_mul_i32 s41, s7, s41
	s_add_u32 s9, s9, s41
	s_mul_hi_u32 s40, s7, s26
	s_addc_u32 s9, s27, s42
	s_addc_u32 s27, s40, 0
	s_mul_i32 s26, s7, s26
	s_add_u32 s9, s9, s26
	s_addc_u32 s26, 0, s27
	v_add_co_u32_e32 v2, vcc, s9, v2
	s_cmp_lg_u64 vcc, 0
	s_addc_u32 s7, s7, s26
	v_readfirstlane_b32 s26, v2
	s_mul_i32 s9, s2, s7
	s_mul_hi_u32 s27, s2, s26
	s_add_i32 s9, s27, s9
	s_mul_i32 s6, s6, s26
	s_add_i32 s9, s9, s6
	s_mul_i32 s2, s2, s26
	s_mul_hi_u32 s27, s7, s2
	s_mul_i32 s40, s7, s2
	s_mul_i32 s42, s26, s9
	s_mul_hi_u32 s2, s26, s2
	s_mul_hi_u32 s41, s26, s9
	s_add_u32 s2, s2, s42
	s_addc_u32 s26, 0, s41
	s_add_u32 s2, s2, s40
	s_mul_hi_u32 s6, s7, s9
	s_addc_u32 s2, s26, s27
	s_addc_u32 s6, s6, 0
	s_mul_i32 s9, s7, s9
	s_add_u32 s2, s2, s9
	s_addc_u32 s6, 0, s6
	v_add_co_u32_e32 v2, vcc, s2, v2
	s_cmp_lg_u64 vcc, 0
	s_addc_u32 s2, s7, s6
	s_ashr_i32 s6, s3, 31
	s_add_u32 s26, s8, s6
	s_mov_b32 s7, s6
	s_addc_u32 s27, s3, s6
	s_xor_b64 s[26:27], s[26:27], s[6:7]
	v_readfirstlane_b32 s40, v2
	s_mul_i32 s9, s26, s2
	s_mul_hi_u32 s41, s26, s40
	s_mul_hi_u32 s7, s26, s2
	s_add_u32 s9, s41, s9
	s_addc_u32 s7, 0, s7
	s_mul_hi_u32 s42, s27, s40
	s_mul_i32 s40, s27, s40
	s_add_u32 s9, s9, s40
	s_mul_hi_u32 s41, s27, s2
	s_addc_u32 s7, s7, s42
	s_addc_u32 s9, s41, 0
	s_mul_i32 s2, s27, s2
	s_add_u32 s2, s7, s2
	s_addc_u32 s7, 0, s9
	s_mul_hi_u32 s9, s33, s2
	s_mul_i32 s2, s33, s2
	s_mul_i32 s7, s33, s7
	v_mov_b32_e32 v2, s2
	s_add_i32 s9, s9, s7
	v_sub_co_u32_e32 v2, vcc, s26, v2
	s_cmp_lg_u64 vcc, 0
	s_subb_u32 s2, s27, s9
	v_subrev_co_u32_e32 v3, vcc, s33, v2
	s_cmp_lg_u64 vcc, 0
	s_subb_u32 s7, s2, 0
	v_subrev_co_u32_e32 v4, vcc, s33, v3
	s_cmp_lg_u64 vcc, 0
	s_subb_u32 s9, s7, 0
	v_cmp_le_u32_e32 vcc, s33, v3
	s_cmp_eq_u32 s7, 0
	v_cndmask_b32_e64 v5, 0, -1, vcc
	s_cselect_b64 vcc, -1, 0
	v_cndmask_b32_e32 v5, -1, v5, vcc
	v_mov_b32_e32 v6, s7
	v_mov_b32_e32 v7, s9
	v_cmp_ne_u32_e32 vcc, 0, v5
	v_cndmask_b32_e32 v5, v6, v7, vcc
	v_cndmask_b32_e32 v3, v3, v4, vcc
	v_cmp_le_u32_e32 vcc, s33, v2
	s_cmp_eq_u32 s2, 0
	v_cndmask_b32_e64 v4, 0, -1, vcc
	s_cselect_b64 vcc, -1, 0
	v_cndmask_b32_e32 v4, -1, v4, vcc
	v_cmp_ne_u32_e32 vcc, 0, v4
	v_mov_b32_e32 v6, s2
	v_cndmask_b32_e32 v2, v2, v3, vcc
	v_cndmask_b32_e32 v4, v6, v5, vcc
	v_xor_b32_e32 v2, s6, v2
	v_xor_b32_e32 v3, s6, v4
	v_mov_b32_e32 v4, s6
	v_subrev_co_u32_e32 v2, vcc, s6, v2
	v_subb_co_u32_e32 v3, vcc, v3, v4, vcc
	s_cbranch_execnz .LBB60_243
.LBB60_242:                             ;   in Loop: Header=BB60_8 Depth=1
	v_cvt_f32_u32_e32 v2, s33
	s_sub_i32 s2, 0, s33
	v_rcp_iflag_f32_e32 v2, v2
	v_mul_f32_e32 v2, 0x4f7ffffe, v2
	v_cvt_u32_f32_e32 v2, v2
	v_mul_lo_u32 v3, s2, v2
	v_mul_hi_u32 v3, v2, v3
	v_add_u32_e32 v2, v2, v3
	v_mul_hi_u32 v2, s8, v2
	v_mul_lo_u32 v2, v2, s33
	v_sub_u32_e32 v2, s8, v2
	v_subrev_u32_e32 v3, s33, v2
	v_cmp_le_u32_e32 vcc, s33, v2
	v_cndmask_b32_e32 v2, v2, v3, vcc
	v_subrev_u32_e32 v3, s33, v2
	v_cmp_le_u32_e32 vcc, s33, v2
	v_cndmask_b32_e32 v12, v2, v3, vcc
	v_pk_mov_b32 v[2:3], v[12:13], v[12:13] op_sel:[0,1]
.LBB60_243:                             ;   in Loop: Header=BB60_8 Depth=1
	v_mov_b32_e32 v4, s3
	v_sub_co_u32_e32 v2, vcc, s8, v2
	v_subb_co_u32_e32 v3, vcc, v4, v3, vcc
	v_cmp_gt_i64_e32 vcc, v[2:3], v[0:1]
	s_mov_b64 s[26:27], 0
                                        ; implicit-def: $vgpr46
	s_and_saveexec_b64 s[2:3], vcc
	s_cbranch_execz .LBB60_252
; %bb.244:                              ;   in Loop: Header=BB60_8 Depth=1
	s_mov_b64 s[8:9], 0
	v_mov_b32_e32 v6, v33
	v_pk_mov_b32 v[4:5], v[0:1], v[0:1] op_sel:[0,1]
                                        ; implicit-def: $sgpr26_sgpr27
	s_branch .LBB60_246
.LBB60_245:                             ;   in Loop: Header=BB60_246 Depth=2
	s_or_b64 exec, exec, s[6:7]
	s_waitcnt lgkmcnt(0)
	s_barrier
	ds_read_b32 v7, v13 offset:3072
	v_mov_b32_e32 v8, s88
	v_add_co_u32_e64 v4, s[6:7], s33, v4
	v_addc_co_u32_e64 v5, s[6:7], v5, v8, s[6:7]
	s_waitcnt lgkmcnt(0)
	v_cmp_neq_f16_e32 vcc, 0, v7
	v_cmp_ge_i64_e64 s[6:7], v[4:5], v[2:3]
	s_or_b64 s[6:7], vcc, s[6:7]
	s_and_b64 s[6:7], exec, s[6:7]
	s_or_b64 s[8:9], s[6:7], s[8:9]
	s_andn2_b64 s[6:7], s[26:27], exec
	s_and_b64 s[26:27], vcc, exec
	v_add_u32_e32 v6, s74, v6
	s_or_b64 s[26:27], s[6:7], s[26:27]
	s_barrier
	s_andn2_b64 exec, exec, s[8:9]
	s_cbranch_execz .LBB60_251
.LBB60_246:                             ;   Parent Loop BB60_8 Depth=1
                                        ; =>  This Inner Loop Header: Depth=2
	v_cmp_gt_i64_e32 vcc, s[38:39], v[4:5]
	v_mov_b32_e32 v7, 0
	s_and_saveexec_b64 s[6:7], vcc
	s_cbranch_execz .LBB60_248
; %bb.247:                              ;   in Loop: Header=BB60_246 Depth=2
	ds_read_u16 v7, v6
.LBB60_248:                             ;   in Loop: Header=BB60_246 Depth=2
	s_or_b64 exec, exec, s[6:7]
	s_and_saveexec_b64 s[6:7], vcc
	s_cbranch_execz .LBB60_245
; %bb.249:                              ;   in Loop: Header=BB60_246 Depth=2
	s_waitcnt lgkmcnt(0)
	v_cmp_lt_i16_e32 vcc, -1, v7
	v_cndmask_b32_e32 v8, v41, v42, vcc
	v_xor_b32_sdwa v8, v8, v7 dst_sel:DWORD dst_unused:UNUSED_PAD src0_sel:DWORD src1_sel:WORD_0
	v_cmp_o_f16_e32 vcc, v7, v7
	v_cndmask_b32_e32 v8, v41, v8, vcc
	v_and_b32_e32 v8, s75, v8
	v_cmp_eq_u32_e32 vcc, s0, v8
	s_and_b64 exec, exec, vcc
	s_cbranch_execz .LBB60_245
; %bb.250:                              ;   in Loop: Header=BB60_246 Depth=2
	v_perm_b32 v7, v7, s50, v45
	ds_write_b32 v13, v7 offset:3072
	s_branch .LBB60_245
.LBB60_251:                             ;   in Loop: Header=BB60_8 Depth=1
	s_or_b64 exec, exec, s[8:9]
	v_lshrrev_b32_e32 v46, 16, v7
	s_and_b64 s[26:27], s[26:27], exec
.LBB60_252:                             ;   in Loop: Header=BB60_8 Depth=1
	s_or_b64 exec, exec, s[2:3]
	s_mov_b64 s[8:9], -1
	s_mov_b64 s[2:3], 0
	s_mov_b64 s[6:7], 0
.LBB60_253:                             ;   in Loop: Header=BB60_8 Depth=1
	s_mov_b64 s[40:41], 0
                                        ; implicit-def: $sgpr44
                                        ; implicit-def: $sgpr42_sgpr43
	s_and_saveexec_b64 s[38:39], s[26:27]
	s_cbranch_execz .LBB60_266
; %bb.254:                              ;   in Loop: Header=BB60_8 Depth=1
	s_xor_b64 s[16:17], s[16:17], -1
	s_mov_b64 s[42:43], 1
	s_andn2_b64 vcc, exec, s[16:17]
	s_mov_b32 s44, 1
	s_cbranch_vccnz .LBB60_265
; %bb.255:                              ;   in Loop: Header=BB60_8 Depth=1
	v_pk_mov_b32 v[2:3], s[10:11], s[10:11] op_sel:[0,1]
	v_cmp_gt_i64_e32 vcc, s[54:55], v[2:3]
	s_cbranch_vccnz .LBB60_261
; %bb.256:                              ;   in Loop: Header=BB60_8 Depth=1
	ds_read_b64 v[2:3], v13 offset:5120
	s_waitcnt lgkmcnt(0)
	v_cmp_ne_u64_e32 vcc, 0, v[2:3]
	s_cbranch_vccnz .LBB60_260
; %bb.257:                              ;   in Loop: Header=BB60_8 Depth=1
	s_mov_b64 s[16:17], exec
	v_readlane_b32 s26, v56, 8
	v_readlane_b32 s27, v56, 9
	s_and_b64 s[26:27], s[16:17], s[26:27]
	s_mov_b64 exec, s[26:27]
	s_cbranch_execz .LBB60_259
; %bb.258:                              ;   in Loop: Header=BB60_8 Depth=1
	v_pk_mov_b32 v[2:3], s[10:11], s[10:11] op_sel:[0,1]
	ds_write_b64 v13, v[2:3] offset:5128
.LBB60_259:                             ;   in Loop: Header=BB60_8 Depth=1
	s_or_b64 exec, exec, s[16:17]
	s_waitcnt lgkmcnt(0)
	s_barrier
.LBB60_260:                             ;   in Loop: Header=BB60_8 Depth=1
	s_or_b32 s26, s0, s1
	s_or_b32 s1, s75, s1
	s_mov_b64 s[16:17], 0
	s_mov_b32 s44, 8
	s_branch .LBB60_262
.LBB60_261:                             ;   in Loop: Header=BB60_8 Depth=1
	s_mov_b64 s[16:17], -1
                                        ; implicit-def: $sgpr44
                                        ; implicit-def: $sgpr26
                                        ; implicit-def: $sgpr1
.LBB60_262:                             ;   in Loop: Header=BB60_8 Depth=1
	s_andn2_b64 vcc, exec, s[16:17]
	s_cbranch_vccnz .LBB60_264
; %bb.263:                              ;   in Loop: Header=BB60_8 Depth=1
	s_sub_u32 s54, s54, s10
	s_subb_u32 s55, s55, s11
	s_mov_b32 s44, 8
	s_mov_b32 s26, s0
	;; [unrolled: 1-line block ×3, first 2 shown]
.LBB60_264:                             ;   in Loop: Header=BB60_8 Depth=1
	s_mov_b64 s[42:43], s[54:55]
	s_mov_b32 s0, s26
	s_mov_b32 s75, s1
.LBB60_265:                             ;   in Loop: Header=BB60_8 Depth=1
	s_mov_b64 s[40:41], exec
.LBB60_266:                             ;   in Loop: Header=BB60_8 Depth=1
	s_or_b64 exec, exec, s[38:39]
	s_mov_b64 s[54:55], s[42:43]
.LBB60_267:                             ;   in Loop: Header=BB60_8 Depth=1
	s_andn2_b64 s[10:11], s[28:29], exec
	s_and_b64 s[2:3], s[2:3], exec
	s_or_b64 s[28:29], s[10:11], s[2:3]
	s_andn2_b64 s[2:3], s[34:35], exec
	s_and_b64 s[8:9], s[8:9], exec
	s_or_b64 s[34:35], s[2:3], s[8:9]
	;; [unrolled: 3-line block ×3, first 2 shown]
	s_and_b64 s[6:7], s[40:41], exec
.LBB60_268:                             ;   in Loop: Header=BB60_8 Depth=1
	s_or_b64 exec, exec, s[36:37]
.LBB60_269:                             ;   in Loop: Header=BB60_8 Depth=1
	s_andn2_b64 s[2:3], s[20:21], exec
	s_and_b64 s[8:9], s[28:29], exec
	s_or_b64 s[20:21], s[2:3], s[8:9]
	s_andn2_b64 s[2:3], s[22:23], exec
	s_and_b64 s[8:9], s[34:35], exec
	s_or_b64 s[22:23], s[2:3], s[8:9]
	;; [unrolled: 3-line block ×3, first 2 shown]
	s_and_b64 s[6:7], s[6:7], exec
.LBB60_270:                             ;   in Loop: Header=BB60_8 Depth=1
	s_or_b64 exec, exec, s[24:25]
	s_and_saveexec_b64 s[2:3], s[6:7]
	s_xor_b64 s[2:3], exec, s[2:3]
	s_cbranch_execz .LBB60_6
.LBB60_271:                             ;   in Loop: Header=BB60_8 Depth=1
	s_and_b32 s1, s44, -9
	s_cmp_eq_u32 s1, 0
	s_cbranch_scc1 .LBB60_4
; %bb.272:                              ;   in Loop: Header=BB60_8 Depth=1
	s_mov_b64 s[6:7], -1
                                        ; implicit-def: $sgpr75
                                        ; implicit-def: $sgpr80
                                        ; implicit-def: $sgpr86
	s_mov_b64 s[8:9], -1
	s_branch .LBB60_5
.LBB60_273:                             ;   in Loop: Header=BB60_8 Depth=1
                                        ; implicit-def: $vgpr2_vgpr3
	s_branch .LBB60_225
.LBB60_274:                             ;   in Loop: Header=BB60_8 Depth=1
                                        ; implicit-def: $vgpr2_vgpr3
	s_branch .LBB60_242
.LBB60_275:
	s_or_b64 exec, exec, s[90:91]
	s_xor_b64 s[4:5], s[62:63], -1
	s_xor_b64 s[0:1], s[94:95], -1
	;; [unrolled: 1-line block ×3, first 2 shown]
	s_mov_b64 s[2:3], 0
	s_and_saveexec_b64 s[8:9], s[0:1]
	s_xor_b64 s[0:1], exec, s[8:9]
	s_cbranch_execnz .LBB60_280
; %bb.276:
	s_andn2_saveexec_b64 s[0:1], s[0:1]
	s_cbranch_execnz .LBB60_302
.LBB60_277:
	s_or_b64 exec, exec, s[0:1]
	s_and_saveexec_b64 s[0:1], s[2:3]
.LBB60_278:
	; divergent unreachable
.LBB60_279:
	s_endpgm
.LBB60_280:
	s_and_saveexec_b64 s[2:3], s[4:5]
	s_xor_b64 s[4:5], exec, s[2:3]
	s_cbranch_execz .LBB60_300
; %bb.281:
	s_and_saveexec_b64 s[2:3], s[6:7]
	s_xor_b64 s[2:3], exec, s[2:3]
; %bb.282:
	v_and_b32_e32 v3, 0x8000, v2
	v_mov_b32_e32 v4, 0x8000
	v_mov_b32_e32 v5, 0xffff
	v_cmp_eq_u32_e32 vcc, 0, v3
	v_cndmask_b32_e32 v3, v4, v5, vcc
	v_xor_b32_e32 v46, v3, v2
; %bb.283:
	s_or_b64 exec, exec, s[2:3]
	s_mov_b64 s[2:3], exec
	v_readlane_b32 s6, v56, 8
	v_readlane_b32 s7, v56, 9
	s_and_b64 s[6:7], s[2:3], s[6:7]
	v_readlane_b32 s26, v56, 10
	v_readlane_b32 s27, v56, 11
	s_mov_b64 exec, s[6:7]
	s_cbranch_execz .LBB60_285
; %bb.284:
	v_mov_b32_e32 v2, 0
	v_mov_b32_e32 v3, s52
	ds_write_b32 v2, v3 offset:5140
.LBB60_285:
	s_or_b64 exec, exec, s[2:3]
	s_waitcnt lgkmcnt(0)
	s_barrier
	s_mov_b64 s[6:7], exec
	v_readlane_b32 s2, v56, 16
	v_readlane_b32 s3, v56, 17
	s_and_b64 s[2:3], s[6:7], s[2:3]
	s_mov_b64 exec, s[2:3]
	s_cbranch_execz .LBB60_297
; %bb.286:
	v_mov_b32_e32 v2, 0
	ds_read_b32 v4, v2 offset:5140
	v_cmp_u_f16_e32 vcc, v46, v46
	s_mov_b64 s[8:9], 0
	s_xor_b64 s[10:11], vcc, -1
                                        ; implicit-def: $sgpr12_sgpr13
                                        ; implicit-def: $sgpr14_sgpr15
                                        ; implicit-def: $sgpr16_sgpr17
	s_waitcnt lgkmcnt(0)
	v_ashrrev_i32_e32 v5, 31, v4
	s_branch .LBB60_289
.LBB60_287:                             ;   in Loop: Header=BB60_289 Depth=1
	s_or_b64 exec, exec, s[22:23]
	s_andn2_b64 s[16:17], s[16:17], exec
	s_and_b64 s[2:3], s[2:3], exec
	s_or_b64 s[16:17], s[16:17], s[2:3]
	s_andn2_b64 s[2:3], s[14:15], exec
	s_and_b64 s[14:15], s[20:21], exec
	s_or_b64 s[14:15], s[2:3], s[14:15]
.LBB60_288:                             ;   in Loop: Header=BB60_289 Depth=1
	s_or_b64 exec, exec, s[18:19]
	s_and_b64 s[2:3], exec, s[14:15]
	s_or_b64 s[8:9], s[2:3], s[8:9]
	s_andn2_b64 s[2:3], s[12:13], exec
	s_and_b64 s[12:13], s[16:17], exec
	s_or_b64 s[12:13], s[2:3], s[12:13]
	s_andn2_b64 exec, exec, s[8:9]
	s_cbranch_execz .LBB60_292
.LBB60_289:                             ; =>This Inner Loop Header: Depth=1
	v_pk_mov_b32 v[2:3], v[0:1], v[0:1] op_sel:[0,1]
	v_cmp_lt_i64_e32 vcc, v[2:3], v[4:5]
	s_or_b64 s[16:17], s[16:17], exec
	s_or_b64 s[14:15], s[14:15], exec
                                        ; implicit-def: $vgpr0_vgpr1
	s_and_saveexec_b64 s[18:19], vcc
	s_cbranch_execz .LBB60_288
; %bb.290:                              ;   in Loop: Header=BB60_289 Depth=1
	global_load_ushort v0, v[10:11], off
	s_mov_b64 s[20:21], -1
	s_waitcnt vmcnt(0)
	v_cmp_o_f16_e64 s[2:3], v0, v0
	v_cmp_neq_f16_e32 vcc, v0, v46
	s_or_b64 s[2:3], s[10:11], s[2:3]
	s_and_b64 s[24:25], vcc, s[2:3]
	s_mov_b64 s[2:3], 0
                                        ; implicit-def: $vgpr0_vgpr1
	s_and_saveexec_b64 s[22:23], s[24:25]
	s_cbranch_execz .LBB60_287
; %bb.291:                              ;   in Loop: Header=BB60_289 Depth=1
	v_mov_b32_e32 v1, s88
	v_add_co_u32_e32 v0, vcc, s33, v2
	v_addc_co_u32_e32 v1, vcc, v3, v1, vcc
	v_mov_b32_e32 v3, s69
	v_add_co_u32_e32 v10, vcc, s68, v10
	v_addc_co_u32_e32 v11, vcc, v11, v3, vcc
	v_cmp_le_i64_e32 vcc, s[52:53], v[0:1]
	s_mov_b64 s[2:3], exec
	s_orn2_b64 s[20:21], vcc, exec
	s_branch .LBB60_287
.LBB60_292:
	s_or_b64 exec, exec, s[8:9]
	s_xor_b64 s[2:3], s[12:13], -1
	s_and_saveexec_b64 s[8:9], s[2:3]
	s_xor_b64 s[8:9], exec, s[8:9]
	s_cbranch_execz .LBB60_297
; %bb.293:
	s_mov_b64 s[2:3], exec
	s_brev_b32 s8, -2
.LBB60_294:                             ; =>This Inner Loop Header: Depth=1
	s_ff1_i32_b64 s9, s[2:3]
	v_readlane_b32 s12, v2, s9
	s_lshl_b64 s[10:11], 1, s9
	s_min_i32 s8, s8, s12
	s_andn2_b64 s[2:3], s[2:3], s[10:11]
	s_cmp_lg_u64 s[2:3], 0
	s_cbranch_scc1 .LBB60_294
; %bb.295:
	v_mbcnt_lo_u32_b32 v0, exec_lo, 0
	v_mbcnt_hi_u32_b32 v0, exec_hi, v0
	v_cmp_eq_u32_e32 vcc, 0, v0
	s_and_saveexec_b64 s[2:3], vcc
	s_xor_b64 s[2:3], exec, s[2:3]
	s_cbranch_execz .LBB60_297
; %bb.296:
	v_mov_b32_e32 v0, 0
	v_mov_b32_e32 v1, s8
	ds_min_i32 v0, v1 offset:5140
.LBB60_297:
	s_or_b64 exec, exec, s[6:7]
	s_waitcnt lgkmcnt(0)
	s_barrier
	s_mov_b64 s[2:3], exec
	v_readlane_b32 s6, v56, 8
	v_readlane_b32 s7, v56, 9
	s_and_b64 s[6:7], s[2:3], s[6:7]
	s_mov_b64 exec, s[6:7]
	s_cbranch_execz .LBB60_299
; %bb.298:
	v_readlane_b32 s8, v56, 4
	v_readlane_b32 s9, v56, 5
	;; [unrolled: 1-line block ×3, first 2 shown]
	s_mul_i32 s6, s9, s26
	s_mul_hi_u32 s7, s8, s26
	v_readlane_b32 s11, v56, 1
	v_mov_b32_e32 v2, 0
	s_add_i32 s7, s7, s6
	s_mul_i32 s6, s8, s26
	s_mul_i32 s8, s11, s26
	s_mul_hi_u32 s9, s10, s26
	ds_read_b32 v0, v2 offset:5140
	s_add_i32 s9, s9, s8
	s_mul_i32 s8, s10, s26
	s_lshl_b64 s[6:7], s[6:7], 1
	v_readlane_b32 s10, v56, 6
	v_readlane_b32 s11, v56, 7
	s_add_u32 s6, s10, s6
	s_addc_u32 s7, s11, s7
	s_lshl_b64 s[8:9], s[8:9], 3
	v_readlane_b32 s10, v56, 2
	v_readlane_b32 s11, v56, 3
	s_add_u32 s8, s10, s8
	s_addc_u32 s9, s11, s9
	s_waitcnt lgkmcnt(0)
	v_ashrrev_i32_e32 v1, 31, v0
	global_store_dwordx2 v2, v[0:1], s[8:9]
	global_store_short v2, v46, s[6:7]
.LBB60_299:
	s_or_b64 exec, exec, s[2:3]
.LBB60_300:
	s_or_saveexec_b64 s[2:3], s[4:5]
	s_mov_b64 s[4:5], 0
	s_xor_b64 exec, exec, s[2:3]
	s_cbranch_execnz .LBB60_303
.LBB60_301:
	s_or_b64 exec, exec, s[2:3]
	s_and_b64 s[2:3], s[4:5], exec
	s_andn2_saveexec_b64 s[0:1], s[0:1]
	s_cbranch_execz .LBB60_277
.LBB60_302:
	s_or_b64 s[2:3], s[2:3], exec
	s_trap 2
	s_or_b64 exec, exec, s[0:1]
	s_and_saveexec_b64 s[0:1], s[2:3]
	s_cbranch_execnz .LBB60_278
	s_branch .LBB60_279
.LBB60_303:
	s_mov_b64 s[4:5], exec
	s_trap 2
	s_branch .LBB60_301
	.section	.rodata,"a",@progbits
	.p2align	6, 0x0
	.amdhsa_kernel _ZN2at6native12_GLOBAL__N_114gatherKthValueIN3c104HalfElLi1EEEvNS_4cuda6detail10TensorInfoIKT_T0_EESA_SA_SA_SA_NS7_IS8_SA_EENS7_IlSA_EE
		.amdhsa_group_segment_fixed_size 5144
		.amdhsa_private_segment_fixed_size 0
		.amdhsa_kernarg_size 1536
		.amdhsa_user_sgpr_count 6
		.amdhsa_user_sgpr_private_segment_buffer 1
		.amdhsa_user_sgpr_dispatch_ptr 0
		.amdhsa_user_sgpr_queue_ptr 0
		.amdhsa_user_sgpr_kernarg_segment_ptr 1
		.amdhsa_user_sgpr_dispatch_id 0
		.amdhsa_user_sgpr_flat_scratch_init 0
		.amdhsa_user_sgpr_kernarg_preload_length 0
		.amdhsa_user_sgpr_kernarg_preload_offset 0
		.amdhsa_user_sgpr_private_segment_size 0
		.amdhsa_uses_dynamic_stack 0
		.amdhsa_system_sgpr_private_segment_wavefront_offset 0
		.amdhsa_system_sgpr_workgroup_id_x 1
		.amdhsa_system_sgpr_workgroup_id_y 1
		.amdhsa_system_sgpr_workgroup_id_z 1
		.amdhsa_system_sgpr_workgroup_info 0
		.amdhsa_system_vgpr_workitem_id 0
		.amdhsa_next_free_vgpr 57
		.amdhsa_next_free_sgpr 96
		.amdhsa_accum_offset 60
		.amdhsa_reserve_vcc 1
		.amdhsa_reserve_flat_scratch 0
		.amdhsa_float_round_mode_32 0
		.amdhsa_float_round_mode_16_64 0
		.amdhsa_float_denorm_mode_32 3
		.amdhsa_float_denorm_mode_16_64 3
		.amdhsa_dx10_clamp 1
		.amdhsa_ieee_mode 1
		.amdhsa_fp16_overflow 0
		.amdhsa_tg_split 0
		.amdhsa_exception_fp_ieee_invalid_op 0
		.amdhsa_exception_fp_denorm_src 0
		.amdhsa_exception_fp_ieee_div_zero 0
		.amdhsa_exception_fp_ieee_overflow 0
		.amdhsa_exception_fp_ieee_underflow 0
		.amdhsa_exception_fp_ieee_inexact 0
		.amdhsa_exception_int_div_zero 0
	.end_amdhsa_kernel
	.section	.text._ZN2at6native12_GLOBAL__N_114gatherKthValueIN3c104HalfElLi1EEEvNS_4cuda6detail10TensorInfoIKT_T0_EESA_SA_SA_SA_NS7_IS8_SA_EENS7_IlSA_EE,"axG",@progbits,_ZN2at6native12_GLOBAL__N_114gatherKthValueIN3c104HalfElLi1EEEvNS_4cuda6detail10TensorInfoIKT_T0_EESA_SA_SA_SA_NS7_IS8_SA_EENS7_IlSA_EE,comdat
.Lfunc_end60:
	.size	_ZN2at6native12_GLOBAL__N_114gatherKthValueIN3c104HalfElLi1EEEvNS_4cuda6detail10TensorInfoIKT_T0_EESA_SA_SA_SA_NS7_IS8_SA_EENS7_IlSA_EE, .Lfunc_end60-_ZN2at6native12_GLOBAL__N_114gatherKthValueIN3c104HalfElLi1EEEvNS_4cuda6detail10TensorInfoIKT_T0_EESA_SA_SA_SA_NS7_IS8_SA_EENS7_IlSA_EE
                                        ; -- End function
	.section	.AMDGPU.csdata,"",@progbits
; Kernel info:
; codeLenInByte = 16484
; NumSgprs: 100
; NumVgprs: 57
; NumAgprs: 0
; TotalNumVgprs: 57
; ScratchSize: 0
; MemoryBound: 0
; FloatMode: 240
; IeeeMode: 1
; LDSByteSize: 5144 bytes/workgroup (compile time only)
; SGPRBlocks: 12
; VGPRBlocks: 7
; NumSGPRsForWavesPerEU: 100
; NumVGPRsForWavesPerEU: 57
; AccumOffset: 60
; Occupancy: 8
; WaveLimiterHint : 1
; COMPUTE_PGM_RSRC2:SCRATCH_EN: 0
; COMPUTE_PGM_RSRC2:USER_SGPR: 6
; COMPUTE_PGM_RSRC2:TRAP_HANDLER: 0
; COMPUTE_PGM_RSRC2:TGID_X_EN: 1
; COMPUTE_PGM_RSRC2:TGID_Y_EN: 1
; COMPUTE_PGM_RSRC2:TGID_Z_EN: 1
; COMPUTE_PGM_RSRC2:TIDIG_COMP_CNT: 0
; COMPUTE_PGM_RSRC3_GFX90A:ACCUM_OFFSET: 14
; COMPUTE_PGM_RSRC3_GFX90A:TG_SPLIT: 0
	.section	.text._ZN2at6native12_GLOBAL__N_114gatherKthValueIN3c104HalfElLi2EEEvNS_4cuda6detail10TensorInfoIKT_T0_EESA_SA_SA_SA_NS7_IS8_SA_EENS7_IlSA_EE,"axG",@progbits,_ZN2at6native12_GLOBAL__N_114gatherKthValueIN3c104HalfElLi2EEEvNS_4cuda6detail10TensorInfoIKT_T0_EESA_SA_SA_SA_NS7_IS8_SA_EENS7_IlSA_EE,comdat
	.globl	_ZN2at6native12_GLOBAL__N_114gatherKthValueIN3c104HalfElLi2EEEvNS_4cuda6detail10TensorInfoIKT_T0_EESA_SA_SA_SA_NS7_IS8_SA_EENS7_IlSA_EE ; -- Begin function _ZN2at6native12_GLOBAL__N_114gatherKthValueIN3c104HalfElLi2EEEvNS_4cuda6detail10TensorInfoIKT_T0_EESA_SA_SA_SA_NS7_IS8_SA_EENS7_IlSA_EE
	.p2align	8
	.type	_ZN2at6native12_GLOBAL__N_114gatherKthValueIN3c104HalfElLi2EEEvNS_4cuda6detail10TensorInfoIKT_T0_EESA_SA_SA_SA_NS7_IS8_SA_EENS7_IlSA_EE,@function
_ZN2at6native12_GLOBAL__N_114gatherKthValueIN3c104HalfElLi2EEEvNS_4cuda6detail10TensorInfoIKT_T0_EESA_SA_SA_SA_NS7_IS8_SA_EENS7_IlSA_EE: ; @_ZN2at6native12_GLOBAL__N_114gatherKthValueIN3c104HalfElLi2EEEvNS_4cuda6detail10TensorInfoIKT_T0_EESA_SA_SA_SA_NS7_IS8_SA_EENS7_IlSA_EE
; %bb.0:
	s_load_dwordx8 s[52:59], s[4:5], 0x1a0
	s_load_dwordx2 s[14:15], s[4:5], 0x500
	s_add_u32 s12, s4, 0x500
	s_addc_u32 s13, s5, 0
	s_mov_b32 s29, 0
	s_waitcnt lgkmcnt(0)
	v_mov_b32_e32 v2, s56
	s_mul_i32 s0, s15, s8
	s_add_i32 s0, s0, s7
	s_mul_i32 s0, s0, s14
	v_mov_b32_e32 v3, s57
	s_add_i32 s28, s0, s6
	v_cmp_ge_i64_e32 vcc, s[28:29], v[2:3]
	s_cbranch_vccnz .LBB61_288
; %bb.1:
	s_load_dwordx2 s[2:3], s[4:5], 0x10
	s_load_dwordx2 s[0:1], s[4:5], 0x1d0
                                        ; implicit-def: $vgpr54 : SGPR spill to VGPR lane
	s_waitcnt lgkmcnt(0)
	v_writelane_b32 v54, s0, 0
	v_writelane_b32 v54, s1, 1
	s_mov_b32 s0, s29
	s_mov_b32 s1, s3
	s_cmp_lg_u64 s[0:1], 0
	s_cbranch_scc0 .LBB61_301
; %bb.2:
	s_ashr_i32 s8, s3, 31
	s_add_u32 s0, s2, s8
	s_mov_b32 s9, s8
	s_addc_u32 s1, s3, s8
	s_xor_b64 s[16:17], s[0:1], s[8:9]
	v_cvt_f32_u32_e32 v1, s16
	v_cvt_f32_u32_e32 v2, s17
	s_sub_u32 s0, 0, s16
	s_subb_u32 s1, 0, s17
	v_madmk_f32 v1, v2, 0x4f800000, v1
	v_rcp_f32_e32 v1, v1
	v_mul_f32_e32 v1, 0x5f7ffffc, v1
	v_mul_f32_e32 v2, 0x2f800000, v1
	v_trunc_f32_e32 v2, v2
	v_madmk_f32 v1, v2, 0xcf800000, v1
	v_cvt_u32_f32_e32 v2, v2
	v_cvt_u32_f32_e32 v1, v1
	v_readfirstlane_b32 s7, v2
	v_readfirstlane_b32 s15, v1
	s_mul_i32 s18, s0, s7
	s_mul_hi_u32 s20, s0, s15
	s_mul_i32 s19, s1, s15
	s_add_i32 s18, s20, s18
	s_add_i32 s18, s18, s19
	s_mul_i32 s21, s0, s15
	s_mul_hi_u32 s19, s15, s18
	s_mul_i32 s20, s15, s18
	s_mul_hi_u32 s15, s15, s21
	s_add_u32 s15, s15, s20
	s_addc_u32 s19, 0, s19
	s_mul_hi_u32 s22, s7, s21
	s_mul_i32 s21, s7, s21
	s_add_u32 s15, s15, s21
	s_mul_hi_u32 s20, s7, s18
	s_addc_u32 s15, s19, s22
	s_addc_u32 s19, s20, 0
	s_mul_i32 s18, s7, s18
	s_add_u32 s15, s15, s18
	s_addc_u32 s18, 0, s19
	v_add_co_u32_e32 v1, vcc, s15, v1
	s_cmp_lg_u64 vcc, 0
	s_addc_u32 s7, s7, s18
	v_readfirstlane_b32 s18, v1
	s_mul_i32 s15, s0, s7
	s_mul_hi_u32 s19, s0, s18
	s_add_i32 s15, s19, s15
	s_mul_i32 s1, s1, s18
	s_add_i32 s15, s15, s1
	s_mul_i32 s0, s0, s18
	s_mul_hi_u32 s19, s7, s0
	s_mul_i32 s20, s7, s0
	s_mul_i32 s22, s18, s15
	s_mul_hi_u32 s0, s18, s0
	s_mul_hi_u32 s21, s18, s15
	s_add_u32 s0, s0, s22
	s_addc_u32 s18, 0, s21
	s_add_u32 s0, s0, s20
	s_mul_hi_u32 s1, s7, s15
	s_addc_u32 s0, s18, s19
	s_addc_u32 s1, s1, 0
	s_mul_i32 s15, s7, s15
	s_add_u32 s0, s0, s15
	s_addc_u32 s1, 0, s1
	v_add_co_u32_e32 v1, vcc, s0, v1
	s_cmp_lg_u64 vcc, 0
	s_addc_u32 s7, s7, s1
	s_ashr_i32 s18, 0, 31
	s_add_u32 s0, s28, s18
	s_mov_b32 s19, s18
	s_addc_u32 s1, 0, s18
	s_xor_b64 s[20:21], s[0:1], s[18:19]
	v_readfirstlane_b32 s15, v1
	s_mul_i32 s1, s20, s7
	s_mul_hi_u32 s22, s20, s15
	s_mul_hi_u32 s0, s20, s7
	s_add_u32 s1, s22, s1
	s_addc_u32 s0, 0, s0
	s_mul_hi_u32 s23, s21, s15
	s_mul_i32 s15, s21, s15
	s_add_u32 s1, s1, s15
	s_mul_hi_u32 s22, s21, s7
	s_addc_u32 s0, s0, s23
	s_addc_u32 s1, s22, 0
	s_mul_i32 s7, s21, s7
	s_add_u32 s7, s0, s7
	s_addc_u32 s15, 0, s1
	s_mul_i32 s0, s16, s15
	s_mul_hi_u32 s1, s16, s7
	s_add_i32 s0, s1, s0
	s_mul_i32 s1, s17, s7
	s_add_i32 s22, s0, s1
	s_mul_i32 s1, s16, s7
	v_mov_b32_e32 v1, s1
	s_sub_i32 s0, s21, s22
	v_sub_co_u32_e32 v1, vcc, s20, v1
	s_cmp_lg_u64 vcc, 0
	s_subb_u32 s20, s0, s17
	v_subrev_co_u32_e64 v2, s[0:1], s16, v1
	s_cmp_lg_u64 s[0:1], 0
	s_subb_u32 s0, s20, 0
	s_cmp_ge_u32 s0, s17
	v_readfirstlane_b32 s20, v2
	s_cselect_b32 s1, -1, 0
	s_cmp_ge_u32 s20, s16
	s_cselect_b32 s20, -1, 0
	s_cmp_eq_u32 s0, s17
	s_cselect_b32 s0, s20, s1
	s_add_u32 s1, s7, 1
	s_addc_u32 s20, s15, 0
	s_add_u32 s23, s7, 2
	s_addc_u32 s24, s15, 0
	s_cmp_lg_u32 s0, 0
	s_cselect_b32 s0, s23, s1
	s_cselect_b32 s1, s24, s20
	s_cmp_lg_u64 vcc, 0
	s_subb_u32 s20, s21, s22
	s_cmp_ge_u32 s20, s17
	v_readfirstlane_b32 s22, v1
	s_cselect_b32 s21, -1, 0
	s_cmp_ge_u32 s22, s16
	s_cselect_b32 s16, -1, 0
	s_cmp_eq_u32 s20, s17
	s_cselect_b32 s16, s16, s21
	s_cmp_lg_u32 s16, 0
	s_cselect_b32 s1, s1, s15
	s_cselect_b32 s0, s0, s7
	s_xor_b64 s[8:9], s[18:19], s[8:9]
	s_xor_b64 s[0:1], s[0:1], s[8:9]
	s_sub_u32 s16, s0, s8
	s_subb_u32 s17, s1, s9
	s_cbranch_execnz .LBB61_4
.LBB61_3:
	v_cvt_f32_u32_e32 v1, s2
	s_sub_i32 s0, 0, s2
	s_mov_b32 s17, 0
	v_rcp_iflag_f32_e32 v1, v1
	v_mul_f32_e32 v1, 0x4f7ffffe, v1
	v_cvt_u32_f32_e32 v1, v1
	v_readfirstlane_b32 s1, v1
	s_mul_i32 s0, s0, s1
	s_mul_hi_u32 s0, s1, s0
	s_add_i32 s1, s1, s0
	s_mul_hi_u32 s0, s28, s1
	s_mul_i32 s7, s0, s2
	s_sub_i32 s7, s28, s7
	s_add_i32 s1, s0, 1
	s_sub_i32 s8, s7, s2
	s_cmp_ge_u32 s7, s2
	s_cselect_b32 s0, s1, s0
	s_cselect_b32 s7, s8, s7
	s_add_i32 s1, s0, 1
	s_cmp_ge_u32 s7, s2
	s_cselect_b32 s16, s1, s0
.LBB61_4:
	s_load_dwordx2 s[30:31], s[4:5], 0x370
	s_load_dwordx2 s[10:11], s[4:5], 0x1d0
	s_mov_b32 s0, 0
	s_waitcnt lgkmcnt(0)
	s_mov_b32 s1, s11
	s_cmp_lg_u64 s[0:1], 0
	s_cbranch_scc0 .LBB61_302
; %bb.5:
	s_ashr_i32 s8, s11, 31
	s_add_u32 s0, s10, s8
	s_mov_b32 s9, s8
	s_addc_u32 s1, s11, s8
	s_xor_b64 s[18:19], s[0:1], s[8:9]
	v_cvt_f32_u32_e32 v1, s18
	v_cvt_f32_u32_e32 v2, s19
	s_sub_u32 s0, 0, s18
	s_subb_u32 s1, 0, s19
	v_madmk_f32 v1, v2, 0x4f800000, v1
	v_rcp_f32_e32 v1, v1
	v_mul_f32_e32 v1, 0x5f7ffffc, v1
	v_mul_f32_e32 v2, 0x2f800000, v1
	v_trunc_f32_e32 v2, v2
	v_madmk_f32 v1, v2, 0xcf800000, v1
	v_cvt_u32_f32_e32 v2, v2
	v_cvt_u32_f32_e32 v1, v1
	v_readfirstlane_b32 s7, v2
	v_readfirstlane_b32 s15, v1
	s_mul_i32 s20, s0, s7
	s_mul_hi_u32 s22, s0, s15
	s_mul_i32 s21, s1, s15
	s_add_i32 s20, s22, s20
	s_add_i32 s20, s20, s21
	s_mul_i32 s23, s0, s15
	s_mul_hi_u32 s21, s15, s20
	s_mul_i32 s22, s15, s20
	s_mul_hi_u32 s15, s15, s23
	s_add_u32 s15, s15, s22
	s_addc_u32 s21, 0, s21
	s_mul_hi_u32 s24, s7, s23
	s_mul_i32 s23, s7, s23
	s_add_u32 s15, s15, s23
	s_mul_hi_u32 s22, s7, s20
	s_addc_u32 s15, s21, s24
	s_addc_u32 s21, s22, 0
	s_mul_i32 s20, s7, s20
	s_add_u32 s15, s15, s20
	s_addc_u32 s20, 0, s21
	v_add_co_u32_e32 v1, vcc, s15, v1
	s_cmp_lg_u64 vcc, 0
	s_addc_u32 s7, s7, s20
	v_readfirstlane_b32 s20, v1
	s_mul_i32 s15, s0, s7
	s_mul_hi_u32 s21, s0, s20
	s_add_i32 s15, s21, s15
	s_mul_i32 s1, s1, s20
	s_add_i32 s15, s15, s1
	s_mul_i32 s0, s0, s20
	s_mul_hi_u32 s21, s7, s0
	s_mul_i32 s22, s7, s0
	s_mul_i32 s24, s20, s15
	s_mul_hi_u32 s0, s20, s0
	s_mul_hi_u32 s23, s20, s15
	s_add_u32 s0, s0, s24
	s_addc_u32 s20, 0, s23
	s_add_u32 s0, s0, s22
	s_mul_hi_u32 s1, s7, s15
	s_addc_u32 s0, s20, s21
	s_addc_u32 s1, s1, 0
	s_mul_i32 s15, s7, s15
	s_add_u32 s0, s0, s15
	s_addc_u32 s1, 0, s1
	v_add_co_u32_e32 v1, vcc, s0, v1
	s_cmp_lg_u64 vcc, 0
	s_addc_u32 s7, s7, s1
	s_ashr_i32 s20, 0, 31
	s_add_u32 s0, s28, s20
	s_mov_b32 s21, s20
	s_addc_u32 s1, 0, s20
	s_xor_b64 s[22:23], s[0:1], s[20:21]
	v_readfirstlane_b32 s15, v1
	s_mul_i32 s1, s22, s7
	s_mul_hi_u32 s24, s22, s15
	s_mul_hi_u32 s0, s22, s7
	s_add_u32 s1, s24, s1
	s_addc_u32 s0, 0, s0
	s_mul_hi_u32 s25, s23, s15
	s_mul_i32 s15, s23, s15
	s_add_u32 s1, s1, s15
	s_mul_hi_u32 s24, s23, s7
	s_addc_u32 s0, s0, s25
	s_addc_u32 s1, s24, 0
	s_mul_i32 s7, s23, s7
	s_add_u32 s7, s0, s7
	s_addc_u32 s15, 0, s1
	s_mul_i32 s0, s18, s15
	s_mul_hi_u32 s1, s18, s7
	s_add_i32 s0, s1, s0
	s_mul_i32 s1, s19, s7
	s_add_i32 s24, s0, s1
	s_mul_i32 s1, s18, s7
	v_mov_b32_e32 v1, s1
	s_sub_i32 s0, s23, s24
	v_sub_co_u32_e32 v1, vcc, s22, v1
	s_cmp_lg_u64 vcc, 0
	s_subb_u32 s22, s0, s19
	v_subrev_co_u32_e64 v2, s[0:1], s18, v1
	s_cmp_lg_u64 s[0:1], 0
	s_subb_u32 s0, s22, 0
	s_cmp_ge_u32 s0, s19
	v_readfirstlane_b32 s22, v2
	s_cselect_b32 s1, -1, 0
	s_cmp_ge_u32 s22, s18
	s_cselect_b32 s22, -1, 0
	s_cmp_eq_u32 s0, s19
	s_cselect_b32 s0, s22, s1
	s_add_u32 s1, s7, 1
	s_addc_u32 s22, s15, 0
	s_add_u32 s25, s7, 2
	s_addc_u32 s26, s15, 0
	s_cmp_lg_u32 s0, 0
	s_cselect_b32 s0, s25, s1
	s_cselect_b32 s1, s26, s22
	s_cmp_lg_u64 vcc, 0
	s_subb_u32 s22, s23, s24
	s_cmp_ge_u32 s22, s19
	v_readfirstlane_b32 s24, v1
	s_cselect_b32 s23, -1, 0
	s_cmp_ge_u32 s24, s18
	s_cselect_b32 s18, -1, 0
	s_cmp_eq_u32 s22, s19
	s_cselect_b32 s18, s18, s23
	s_cmp_lg_u32 s18, 0
	s_cselect_b32 s1, s1, s15
	s_cselect_b32 s0, s0, s7
	s_xor_b64 s[8:9], s[20:21], s[8:9]
	s_xor_b64 s[0:1], s[0:1], s[8:9]
	s_sub_u32 s0, s0, s8
	s_subb_u32 s1, s1, s9
	v_writelane_b32 v54, s0, 2
	v_writelane_b32 v54, s1, 3
	s_cbranch_execnz .LBB61_7
.LBB61_6:
	s_load_dwordx2 s[10:11], s[4:5], 0x1d0
	s_mov_b32 s9, 0
	s_waitcnt lgkmcnt(0)
	v_cvt_f32_u32_e32 v1, s10
	s_sub_i32 s0, 0, s10
	v_rcp_iflag_f32_e32 v1, v1
	v_mul_f32_e32 v1, 0x4f7ffffe, v1
	v_cvt_u32_f32_e32 v1, v1
	v_readfirstlane_b32 s1, v1
	s_mul_i32 s0, s0, s1
	s_mul_hi_u32 s0, s1, s0
	s_add_i32 s1, s1, s0
	s_mul_hi_u32 s0, s28, s1
	s_mul_i32 s7, s0, s10
	s_sub_i32 s7, s28, s7
	s_add_i32 s1, s0, 1
	s_sub_i32 s8, s7, s10
	s_cmp_ge_u32 s7, s10
	s_cselect_b32 s0, s1, s0
	s_cselect_b32 s7, s8, s7
	s_add_i32 s1, s0, 1
	s_cmp_ge_u32 s7, s10
	s_cselect_b32 s8, s1, s0
	v_writelane_b32 v54, s8, 2
	v_writelane_b32 v54, s9, 3
.LBB61_7:
	s_mov_b32 s0, 0
	s_mov_b32 s1, s31
	s_cmp_lg_u64 s[0:1], 0
	s_cbranch_scc0 .LBB61_303
; %bb.8:
	s_ashr_i32 s10, s31, 31
	s_add_u32 s0, s30, s10
	s_mov_b32 s11, s10
	s_addc_u32 s1, s31, s10
	s_xor_b64 s[18:19], s[0:1], s[10:11]
	v_cvt_f32_u32_e32 v1, s18
	v_cvt_f32_u32_e32 v2, s19
	s_sub_u32 s0, 0, s18
	s_subb_u32 s1, 0, s19
	v_madmk_f32 v1, v2, 0x4f800000, v1
	v_rcp_f32_e32 v1, v1
	v_mul_f32_e32 v1, 0x5f7ffffc, v1
	v_mul_f32_e32 v2, 0x2f800000, v1
	v_trunc_f32_e32 v2, v2
	v_madmk_f32 v1, v2, 0xcf800000, v1
	v_cvt_u32_f32_e32 v2, v2
	v_cvt_u32_f32_e32 v1, v1
	v_readfirstlane_b32 s7, v2
	v_readfirstlane_b32 s15, v1
	s_mul_i32 s20, s0, s7
	s_mul_hi_u32 s22, s0, s15
	s_mul_i32 s21, s1, s15
	s_add_i32 s20, s22, s20
	s_add_i32 s20, s20, s21
	s_mul_i32 s23, s0, s15
	s_mul_hi_u32 s21, s15, s20
	s_mul_i32 s22, s15, s20
	s_mul_hi_u32 s15, s15, s23
	s_add_u32 s15, s15, s22
	s_addc_u32 s21, 0, s21
	s_mul_hi_u32 s24, s7, s23
	s_mul_i32 s23, s7, s23
	s_add_u32 s15, s15, s23
	s_mul_hi_u32 s22, s7, s20
	s_addc_u32 s15, s21, s24
	s_addc_u32 s21, s22, 0
	s_mul_i32 s20, s7, s20
	s_add_u32 s15, s15, s20
	s_addc_u32 s20, 0, s21
	v_add_co_u32_e32 v1, vcc, s15, v1
	s_cmp_lg_u64 vcc, 0
	s_addc_u32 s7, s7, s20
	v_readfirstlane_b32 s20, v1
	s_mul_i32 s15, s0, s7
	s_mul_hi_u32 s21, s0, s20
	s_add_i32 s15, s21, s15
	s_mul_i32 s1, s1, s20
	s_add_i32 s15, s15, s1
	s_mul_i32 s0, s0, s20
	s_mul_hi_u32 s21, s7, s0
	s_mul_i32 s22, s7, s0
	s_mul_i32 s24, s20, s15
	s_mul_hi_u32 s0, s20, s0
	s_mul_hi_u32 s23, s20, s15
	s_add_u32 s0, s0, s24
	s_addc_u32 s20, 0, s23
	s_add_u32 s0, s0, s22
	s_mul_hi_u32 s1, s7, s15
	s_addc_u32 s0, s20, s21
	s_addc_u32 s1, s1, 0
	s_mul_i32 s15, s7, s15
	s_add_u32 s0, s0, s15
	s_addc_u32 s1, 0, s1
	v_add_co_u32_e32 v1, vcc, s0, v1
	s_cmp_lg_u64 vcc, 0
	s_addc_u32 s7, s7, s1
	s_ashr_i32 s20, 0, 31
	s_add_u32 s0, s28, s20
	s_mov_b32 s21, s20
	s_addc_u32 s1, 0, s20
	s_xor_b64 s[22:23], s[0:1], s[20:21]
	v_readfirstlane_b32 s15, v1
	s_mul_i32 s1, s22, s7
	s_mul_hi_u32 s24, s22, s15
	s_mul_hi_u32 s0, s22, s7
	s_add_u32 s1, s24, s1
	s_addc_u32 s0, 0, s0
	s_mul_hi_u32 s25, s23, s15
	s_mul_i32 s15, s23, s15
	s_add_u32 s1, s1, s15
	s_mul_hi_u32 s24, s23, s7
	s_addc_u32 s0, s0, s25
	s_addc_u32 s1, s24, 0
	s_mul_i32 s7, s23, s7
	s_add_u32 s7, s0, s7
	s_addc_u32 s15, 0, s1
	s_mul_i32 s0, s18, s15
	s_mul_hi_u32 s1, s18, s7
	s_add_i32 s0, s1, s0
	s_mul_i32 s1, s19, s7
	s_add_i32 s24, s0, s1
	s_mul_i32 s1, s18, s7
	v_mov_b32_e32 v1, s1
	s_sub_i32 s0, s23, s24
	v_sub_co_u32_e32 v1, vcc, s22, v1
	s_cmp_lg_u64 vcc, 0
	s_subb_u32 s22, s0, s19
	v_subrev_co_u32_e64 v2, s[0:1], s18, v1
	s_cmp_lg_u64 s[0:1], 0
	s_subb_u32 s0, s22, 0
	s_cmp_ge_u32 s0, s19
	v_readfirstlane_b32 s22, v2
	s_cselect_b32 s1, -1, 0
	s_cmp_ge_u32 s22, s18
	s_cselect_b32 s22, -1, 0
	s_cmp_eq_u32 s0, s19
	s_cselect_b32 s0, s22, s1
	s_add_u32 s1, s7, 1
	s_addc_u32 s22, s15, 0
	s_add_u32 s25, s7, 2
	s_addc_u32 s26, s15, 0
	s_cmp_lg_u32 s0, 0
	s_cselect_b32 s0, s25, s1
	s_cselect_b32 s1, s26, s22
	s_cmp_lg_u64 vcc, 0
	s_subb_u32 s22, s23, s24
	s_cmp_ge_u32 s22, s19
	v_readfirstlane_b32 s24, v1
	s_cselect_b32 s23, -1, 0
	s_cmp_ge_u32 s24, s18
	s_cselect_b32 s18, -1, 0
	s_cmp_eq_u32 s22, s19
	s_cselect_b32 s18, s18, s23
	s_cmp_lg_u32 s18, 0
	s_cselect_b32 s1, s1, s15
	s_cselect_b32 s0, s0, s7
	s_xor_b64 s[10:11], s[20:21], s[10:11]
	s_xor_b64 s[0:1], s[0:1], s[10:11]
	s_sub_u32 s0, s0, s10
	s_subb_u32 s1, s1, s11
	v_writelane_b32 v54, s0, 4
	v_writelane_b32 v54, s1, 5
	s_load_dwordx2 s[0:1], s[4:5], 0x0
	s_cbranch_execnz .LBB61_10
.LBB61_9:
	v_cvt_f32_u32_e32 v1, s30
	s_sub_i32 s7, 0, s30
	s_mov_b32 s11, 0
	v_rcp_iflag_f32_e32 v1, v1
	v_mul_f32_e32 v1, 0x4f7ffffe, v1
	v_cvt_u32_f32_e32 v1, v1
	v_readfirstlane_b32 s8, v1
	s_mul_i32 s7, s7, s8
	s_mul_hi_u32 s7, s8, s7
	s_add_i32 s8, s8, s7
	s_mul_hi_u32 s7, s28, s8
	s_mul_i32 s9, s7, s30
	s_sub_i32 s9, s28, s9
	s_add_i32 s8, s7, 1
	s_sub_i32 s10, s9, s30
	s_cmp_ge_u32 s9, s30
	s_cselect_b32 s7, s8, s7
	s_cselect_b32 s9, s10, s9
	s_add_i32 s8, s7, 1
	s_cmp_ge_u32 s9, s30
	s_cselect_b32 s10, s8, s7
	v_writelane_b32 v54, s10, 4
	v_writelane_b32 v54, s11, 5
.LBB61_10:
	s_load_dwordx2 s[8:9], s[4:5], 0x360
	v_writelane_b32 v54, s30, 6
	v_writelane_b32 v54, s31, 7
	s_mov_b32 s83, 0
	v_cmp_eq_u32_e64 s[20:21], 0, v0
	s_waitcnt lgkmcnt(0)
	v_writelane_b32 v54, s8, 8
	v_writelane_b32 v54, s9, 9
	s_load_dwordx2 s[8:9], s[4:5], 0x1c0
	s_waitcnt lgkmcnt(0)
	v_writelane_b32 v54, s8, 10
	v_writelane_b32 v54, s9, 11
	s_load_dwordx4 s[8:11], s[4:5], 0xd0
	s_mov_b64 s[18:19], exec
	v_writelane_b32 v54, s20, 12
	v_writelane_b32 v54, s21, 13
	s_and_b64 s[20:21], s[18:19], s[20:21]
	s_mov_b64 exec, s[20:21]
	s_cbranch_execz .LBB61_12
; %bb.11:
	v_mov_b32_e32 v2, 0
	v_mov_b32_e32 v4, s52
	;; [unrolled: 1-line block ×4, first 2 shown]
	ds_write_b32 v2, v2 offset:5136
	ds_write_b128 v2, v[2:5] offset:5120
.LBB61_12:
	s_or_b64 exec, exec, s[18:19]
	s_load_dwordx4 s[20:23], s[4:5], 0x430
                                        ; kill: killed $sgpr4 killed $sgpr5
	s_mul_i32 s3, s16, s3
	v_mov_b32_e32 v2, 0x600
	v_mov_b32_e32 v3, 0
	;; [unrolled: 1-line block ×3, first 2 shown]
	s_waitcnt lgkmcnt(0)
	v_writelane_b32 v54, s20, 14
	v_writelane_b32 v54, s21, 15
	;; [unrolled: 1-line block ×4, first 2 shown]
	s_load_dwordx4 s[20:23], s[4:5], 0x290
	s_mul_hi_u32 s4, s16, s2
	s_add_i32 s3, s4, s3
	s_mul_i32 s4, s17, s2
	s_add_i32 s3, s3, s4
	s_waitcnt lgkmcnt(0)
	v_writelane_b32 v54, s20, 18
	v_writelane_b32 v54, s21, 19
	;; [unrolled: 1-line block ×4, first 2 shown]
	s_mul_i32 s2, s16, s2
	s_mov_b32 s4, s28
	v_writelane_b32 v54, s4, 22
	s_sub_u32 s2, s28, s2
	v_writelane_b32 v54, s5, 23
	s_subb_u32 s3, 0, s3
	s_mul_i32 s4, s2, s11
	s_mul_hi_u32 s5, s2, s10
	s_add_i32 s4, s5, s4
	s_mul_i32 s3, s3, s10
	s_add_i32 s3, s4, s3
	s_mul_i32 s4, s16, s9
	s_mul_hi_u32 s5, s16, s8
	s_add_i32 s4, s5, s4
	s_mul_i32 s5, s17, s8
	s_mul_i32 s2, s2, s10
	s_add_i32 s5, s4, s5
	s_mul_i32 s4, s16, s8
	s_lshl_b64 s[4:5], s[4:5], 1
	s_lshl_b64 s[2:3], s[2:3], 1
	s_add_u32 s2, s4, s2
	s_addc_u32 s3, s5, s3
	s_add_u32 s84, s0, s2
	s_addc_u32 s85, s1, s3
	v_cmp_gt_u32_e64 s[0:1], 2, v0
	v_writelane_b32 v54, s0, 24
	v_writelane_b32 v54, s1, 25
	v_cmp_gt_i64_e64 s[0:1], s[52:53], v[2:3]
	v_writelane_b32 v54, s0, 26
	v_writelane_b32 v54, s1, 27
	v_mad_u64_u32 v[2:3], s[0:1], v0, s58, 0
	v_mbcnt_lo_u32_b32 v1, -1, 0
	v_mov_b32_e32 v4, v3
	v_mbcnt_hi_u32_b32 v34, -1, v1
	v_mov_b32_e32 v1, v13
	v_mad_u64_u32 v[4:5], s[0:1], v0, s59, v[4:5]
	v_cmp_gt_i64_e64 s[0:1], s[52:53], v[0:1]
	v_writelane_b32 v54, s0, 28
	s_barrier
	v_writelane_b32 v54, s1, 29
	s_load_dword s0, s[12:13], 0xc
	v_cmp_gt_u32_e32 vcc, 64, v0
	v_cmp_gt_i32_e64 s[2:3], 4, v34
	s_and_b64 s[46:47], vcc, s[2:3]
	v_mov_b32_e32 v3, v4
	s_waitcnt lgkmcnt(0)
	s_and_b32 s33, s0, 0xffff
	s_bfe_u32 s1, s0, 0xa0006
	v_cmp_gt_u16_e64 s[2:3], s0, 63
	v_writelane_b32 v54, s2, 30
	s_add_u32 s0, s33, -1
	v_writelane_b32 v54, s3, 31
	s_addc_u32 s2, 0, -1
	v_writelane_b32 v54, s0, 32
	s_add_u32 s0, s0, s52
	s_addc_u32 s91, s2, s53
	s_cmp_lt_u32 s6, s14
	v_writelane_b32 v54, s0, 33
	s_cselect_b32 s0, 12, 18
	s_add_u32 s48, s12, s0
	v_writelane_b32 v54, s2, 34
	s_addc_u32 s49, s13, 0
	s_add_i32 s0, s1, -1
	s_bfe_u32 s2, s33, 0x30006
	s_cmp_gt_u32 s0, 6
	v_lshlrev_b64 v[4:5], 1, v[2:3]
	s_cselect_b64 s[6:7], -1, 0
	v_add_co_u32_e32 v10, vcc, s84, v4
	v_lshrrev_b32_e32 v4, 4, v0
	v_writelane_b32 v54, s6, 35
	s_and_b32 s60, s1, 0x3f8
	v_mov_b32_e32 v6, s85
	v_and_b32_e32 v37, 60, v4
	v_lshlrev_b32_e32 v4, 2, v34
	v_writelane_b32 v54, s7, 36
	s_cmp_lg_u32 s2, 0
	v_addc_co_u32_e32 v11, vcc, v6, v5, vcc
	v_and_b32_e32 v38, 0x100, v4
	v_lshlrev_b64 v[4:5], v34, -1
	v_writelane_b32 v54, s2, 37
	s_cselect_b64 s[0:1], -1, 0
	v_lshlrev_b32_e32 v39, 3, v0
	v_not_b32_e32 v17, v5
	v_writelane_b32 v54, s0, 38
	v_or_b32_e32 v5, 6, v39
	v_writelane_b32 v54, s1, 39
	v_mad_u64_u32 v[18:19], s[0:1], s58, v5, 0
	v_not_b32_e32 v16, v4
	v_mov_b32_e32 v4, v19
	v_mad_u64_u32 v[4:5], s[0:1], s59, v5, v[4:5]
	s_lshl_b64 s[0:1], s[58:59], 3
	v_writelane_b32 v54, s0, 40
	v_or_b32_e32 v5, 4, v39
	v_writelane_b32 v54, s1, 41
	v_mad_u64_u32 v[20:21], s[0:1], s58, v5, 0
	v_mov_b32_e32 v19, v4
	v_mov_b32_e32 v4, v21
	v_mad_u64_u32 v[4:5], s[0:1], s59, v5, v[4:5]
	v_or_b32_e32 v5, 2, v39
	v_mad_u64_u32 v[22:23], s[0:1], s58, v5, 0
	v_mov_b32_e32 v21, v4
	v_mov_b32_e32 v4, v23
	v_mad_u64_u32 v[4:5], s[0:1], s59, v5, v[4:5]
	v_lshlrev_b64 v[24:25], 3, v[2:3]
	v_mov_b32_e32 v2, s53
	v_add_co_u32_e32 v40, vcc, s52, v0
	s_mul_i32 s0, s59, s33
	s_mul_hi_u32 s1, s58, s33
	v_writelane_b32 v54, s46, 42
	v_lshlrev_b32_e32 v35, 1, v0
	v_addc_co_u32_e32 v41, vcc, 0, v2, vcc
	v_mov_b32_e32 v2, 0xc00
	s_add_i32 s1, s1, s0
	s_mul_i32 s0, s58, s33
	v_writelane_b32 v54, s47, 43
	v_cmp_eq_u32_e64 s[4:5], 0, v34
	v_add_u32_e32 v36, 0xc00, v35
	v_lshlrev_b32_e32 v14, 2, v0
	v_mov_b32_e32 v15, v13
	s_mov_b32 s26, s83
	s_lshl_b64 s[78:79], s[58:59], 1
	v_mov_b32_e32 v23, v4
	v_lshl_or_b32 v42, v34, 3, v2
	s_lshl_b64 s[80:81], s[0:1], 1
	s_lshl_b32 s61, s33, 1
	s_mov_b32 s86, 14
	s_mov_b64 s[62:63], 0
	s_movk_i32 s27, 0x3c00
	v_mov_b32_e32 v43, 0xffff
	v_mov_b32_e32 v44, 0x8000
	v_cvt_f32_ubyte0_e32 v45, 0
	v_mov_b32_e32 v46, -1
	v_mov_b32_e32 v47, 0x5040100
	v_mov_b32_e32 v48, 0
	s_mov_b32 s87, 0
	s_mov_b32 s93, 0
	;; [unrolled: 1-line block ×3, first 2 shown]
	v_writelane_b32 v54, s48, 44
                                        ; implicit-def: $sgpr66_sgpr67
                                        ; implicit-def: $sgpr70_sgpr71
                                        ; implicit-def: $sgpr68_sgpr69
                                        ; implicit-def: $sgpr72_sgpr73
                                        ; implicit-def: $sgpr74_sgpr75
                                        ; implicit-def: $sgpr64_sgpr65
	v_writelane_b32 v54, s49, 45
	s_branch .LBB61_17
.LBB61_13:                              ;   in Loop: Header=BB61_17 Depth=1
	s_xor_b32 s87, s87, 1
	s_add_i32 s8, s86, -2
	s_cmp_eq_u32 s86, 0
	s_mov_b64 s[2:3], 0
	s_cselect_b64 s[6:7], -1, 0
	s_mov_b32 s86, s8
.LBB61_14:                              ;   in Loop: Header=BB61_17 Depth=1
	s_andn2_b64 s[8:9], s[20:21], exec
	s_and_b64 s[2:3], s[2:3], exec
	s_or_b64 s[20:21], s[8:9], s[2:3]
	s_andn2_b64 s[22:23], s[22:23], exec
	s_andn2_b64 s[18:19], s[18:19], exec
	s_orn2_b64 s[14:15], s[6:7], exec
.LBB61_15:                              ;   in Loop: Header=BB61_17 Depth=1
	s_or_b64 exec, exec, s[0:1]
	s_andn2_b64 s[0:1], s[64:65], exec
	s_and_b64 s[2:3], s[20:21], exec
	s_or_b64 s[64:65], s[0:1], s[2:3]
	s_andn2_b64 s[0:1], s[74:75], exec
	s_and_b64 s[2:3], s[22:23], exec
	s_or_b64 s[74:75], s[0:1], s[2:3]
	;; [unrolled: 3-line block ×3, first 2 shown]
	s_orn2_b64 s[18:19], s[14:15], exec
.LBB61_16:                              ;   in Loop: Header=BB61_17 Depth=1
	s_or_b64 exec, exec, s[12:13]
	s_and_b64 s[0:1], exec, s[18:19]
	s_or_b64 s[62:63], s[0:1], s[62:63]
	s_andn2_b64 s[0:1], s[68:69], exec
	s_and_b64 s[2:3], s[64:65], exec
	s_or_b64 s[68:69], s[0:1], s[2:3]
	s_andn2_b64 s[0:1], s[70:71], exec
	s_and_b64 s[2:3], s[74:75], exec
	;; [unrolled: 3-line block ×3, first 2 shown]
	v_mov_b32_e32 v2, s93
	s_or_b64 s[66:67], s[0:1], s[2:3]
	s_andn2_b64 exec, exec, s[62:63]
	s_cbranch_execz .LBB61_284
.LBB61_17:                              ; =>This Loop Header: Depth=1
                                        ;     Child Loop BB61_22 Depth 2
                                        ;     Child Loop BB61_41 Depth 2
	;; [unrolled: 1-line block ×16, first 2 shown]
	ds_read_b128 v[2:5], v13 offset:5120
	s_waitcnt lgkmcnt(0)
	v_readfirstlane_b32 s95, v3
	v_readfirstlane_b32 s94, v2
	v_cmp_gt_i64_e64 s[0:1], s[94:95], 0
	s_and_b64 vcc, exec, s[0:1]
	s_cbranch_vccnz .LBB61_48
; %bb.18:                               ;   in Loop: Header=BB61_17 Depth=1
	v_readlane_b32 s0, v54, 26
	v_readlane_b32 s1, v54, 27
	s_and_b64 vcc, exec, s[0:1]
	s_cbranch_vccz .LBB61_30
; %bb.19:                               ;   in Loop: Header=BB61_17 Depth=1
	s_mov_b64 s[0:1], 0x601
	v_cmp_gt_i64_e32 vcc, s[0:1], v[4:5]
	s_mov_b64 s[0:1], 0
	s_mov_b64 s[2:3], 0
	s_cbranch_vccz .LBB61_35
; %bb.20:                               ;   in Loop: Header=BB61_17 Depth=1
	global_load_ushort v6, v13, s[48:49]
	global_load_ushort v7, v[10:11], off
	v_pk_mov_b32 v[2:3], s[84:85], s[84:85] op_sel:[0,1]
	s_waitcnt vmcnt(1)
	v_readfirstlane_b32 s6, v6
	s_and_b32 s6, 0xffff, s6
	v_add_u32_e32 v5, s6, v0
	s_mul_i32 s8, s79, s6
	s_mul_hi_u32 s9, s78, s6
	s_mul_i32 s16, s78, s6
	v_mad_u64_u32 v[2:3], s[6:7], s78, v5, v[2:3]
	v_mov_b32_e32 v4, v3
	v_mad_u64_u32 v[4:5], s[6:7], s79, v5, v[4:5]
	s_add_i32 s17, s9, s8
	v_mov_b32_e32 v3, v4
	v_pk_mov_b32 v[4:5], v[0:1], v[0:1] op_sel:[0,1]
	s_branch .LBB61_22
.LBB61_21:                              ;   in Loop: Header=BB61_22 Depth=2
	s_or_b64 exec, exec, s[6:7]
	v_mov_b32_e32 v7, s17
	v_add_co_u32_e32 v2, vcc, s16, v2
	v_addc_co_u32_e32 v3, vcc, v3, v7, vcc
	v_mov_b32_e32 v7, v8
	s_andn2_b64 exec, exec, s[2:3]
	s_cbranch_execz .LBB61_31
.LBB61_22:                              ;   Parent Loop BB61_17 Depth=1
                                        ; =>  This Inner Loop Header: Depth=2
	v_add_co_u32_sdwa v4, vcc, v4, v6 dst_sel:DWORD dst_unused:UNUSED_PAD src0_sel:DWORD src1_sel:WORD_0
	v_addc_co_u32_e32 v5, vcc, 0, v5, vcc
	v_cmp_gt_i64_e64 s[6:7], s[52:53], v[4:5]
	v_cmp_le_i64_e32 vcc, s[52:53], v[4:5]
	s_waitcnt lgkmcnt(0)
	v_mov_b32_e32 v9, 0
	v_mov_b32_e32 v8, 0
	s_and_saveexec_b64 s[8:9], s[6:7]
	s_cbranch_execz .LBB61_24
; %bb.23:                               ;   in Loop: Header=BB61_22 Depth=2
	global_load_ushort v8, v[2:3], off
.LBB61_24:                              ;   in Loop: Header=BB61_22 Depth=2
	s_or_b64 exec, exec, s[8:9]
	s_waitcnt vmcnt(0)
	v_cmp_lt_i16_e64 s[6:7], -1, v7
	v_cndmask_b32_e64 v12, v43, v44, s[6:7]
	v_xor_b32_sdwa v12, v12, v7 dst_sel:DWORD dst_unused:UNUSED_PAD src0_sel:DWORD src1_sel:WORD_0
	v_cmp_o_f16_e64 s[6:7], v7, v7
	v_cndmask_b32_e64 v12, v43, v12, s[6:7]
	v_and_b32_e32 v12, s92, v12
	v_cmp_eq_u32_e64 s[10:11], s93, v12
	s_cmp_lg_u64 s[10:11], 0
	s_cselect_b64 s[6:7], -1, 0
	s_and_b64 s[6:7], s[4:5], s[6:7]
	s_and_saveexec_b64 s[8:9], s[6:7]
	s_cbranch_execz .LBB61_28
; %bb.25:                               ;   in Loop: Header=BB61_22 Depth=2
	s_mov_b64 s[14:15], exec
	v_mbcnt_lo_u32_b32 v9, s14, 0
	v_mbcnt_hi_u32_b32 v9, s15, v9
	s_bcnt1_i32_b64 s18, s[10:11]
	v_cmp_eq_u32_e64 s[6:7], 0, v9
                                        ; implicit-def: $vgpr12
	s_and_saveexec_b64 s[12:13], s[6:7]
	s_cbranch_execz .LBB61_27
; %bb.26:                               ;   in Loop: Header=BB61_22 Depth=2
	s_bcnt1_i32_b64 s6, s[14:15]
	s_mul_i32 s6, s18, s6
	v_mov_b32_e32 v12, s6
	ds_add_rtn_u32 v12, v13, v12 offset:5136
.LBB61_27:                              ;   in Loop: Header=BB61_22 Depth=2
	s_or_b64 exec, exec, s[12:13]
	s_waitcnt lgkmcnt(0)
	v_readfirstlane_b32 s6, v12
	v_mov_b32_e32 v12, s6
	v_mad_u32_u24 v9, s18, v9, v12
.LBB61_28:                              ;   in Loop: Header=BB61_22 Depth=2
	s_or_b64 exec, exec, s[8:9]
	ds_bpermute_b32 v9, v38, v9
	s_and_b64 s[6:7], exec, vcc
	s_or_b64 s[2:3], s[6:7], s[2:3]
	s_and_saveexec_b64 s[6:7], s[10:11]
	s_cbranch_execz .LBB61_21
; %bb.29:                               ;   in Loop: Header=BB61_22 Depth=2
	v_and_b32_e32 v26, s10, v16
	v_and_b32_e32 v12, s11, v17
	v_bcnt_u32_b32 v26, v26, 0
	v_bcnt_u32_b32 v12, v12, v26
	v_lshlrev_b32_e32 v12, 1, v12
	s_waitcnt lgkmcnt(0)
	v_lshl_add_u32 v9, v9, 1, v12
	ds_write_b16 v9, v7
	s_branch .LBB61_21
.LBB61_30:                              ;   in Loop: Header=BB61_17 Depth=1
	s_mov_b64 s[0:1], -1
	s_mov_b64 s[2:3], 0
	s_branch .LBB61_34
.LBB61_31:                              ;   in Loop: Header=BB61_17 Depth=1
	s_or_b64 exec, exec, s[2:3]
	s_waitcnt lgkmcnt(0)
	s_barrier
	s_mov_b64 s[2:3], exec
	v_readlane_b32 s6, v54, 12
	v_readlane_b32 s7, v54, 13
	s_and_b64 s[6:7], s[2:3], s[6:7]
	s_mov_b64 exec, s[6:7]
	s_cbranch_execz .LBB61_33
; %bb.32:                               ;   in Loop: Header=BB61_17 Depth=1
	ds_read_b32 v2, v13 offset:5136
	s_waitcnt lgkmcnt(0)
	v_ashrrev_i32_e32 v3, 31, v2
	ds_write_b64 v13, v[2:3] offset:5120
.LBB61_33:                              ;   in Loop: Header=BB61_17 Depth=1
	s_or_b64 exec, exec, s[2:3]
	s_waitcnt lgkmcnt(0)
	s_barrier
	s_mov_b64 s[2:3], -1
.LBB61_34:                              ;   in Loop: Header=BB61_17 Depth=1
                                        ; implicit-def: $sgpr94_sgpr95
.LBB61_35:                              ;   in Loop: Header=BB61_17 Depth=1
	s_and_b64 vcc, exec, s[0:1]
	s_cbranch_vccz .LBB61_46
; %bb.36:                               ;   in Loop: Header=BB61_17 Depth=1
	v_mov_b32_e32 v6, 0
	s_mov_b64 s[0:1], exec
	v_readlane_b32 s2, v54, 28
	v_readlane_b32 s3, v54, 29
	s_and_b64 s[2:3], s[0:1], s[2:3]
	s_mov_b64 exec, s[2:3]
	s_cbranch_execz .LBB61_38
; %bb.37:                               ;   in Loop: Header=BB61_17 Depth=1
	global_load_ushort v6, v[10:11], off
.LBB61_38:                              ;   in Loop: Header=BB61_17 Depth=1
	s_or_b64 exec, exec, s[0:1]
	s_mov_b64 s[0:1], exec
	v_readlane_b32 s2, v54, 28
	v_readlane_b32 s3, v54, 29
	s_and_b64 s[2:3], s[0:1], s[2:3]
	s_mov_b64 exec, s[2:3]
	s_cbranch_execz .LBB61_43
; %bb.39:                               ;   in Loop: Header=BB61_17 Depth=1
	global_load_ushort v7, v13, s[48:49]
	v_pk_mov_b32 v[2:3], s[84:85], s[84:85] op_sel:[0,1]
	s_mov_b64 s[2:3], 0
	v_mov_b32_e32 v8, v35
	s_waitcnt vmcnt(0)
	v_readfirstlane_b32 s6, v7
	s_and_b32 s6, 0xffff, s6
	v_add_u32_e32 v5, s6, v0
	s_lshl_b32 s10, s6, 1
	s_mul_i32 s8, s79, s6
	s_mul_hi_u32 s9, s78, s6
	s_mul_i32 s11, s78, s6
	v_mad_u64_u32 v[2:3], s[6:7], s78, v5, v[2:3]
	v_mov_b32_e32 v4, v3
	v_mad_u64_u32 v[4:5], s[6:7], s79, v5, v[4:5]
	s_add_i32 s12, s9, s8
	v_mov_b32_e32 v3, v4
	v_pk_mov_b32 v[4:5], v[0:1], v[0:1] op_sel:[0,1]
	s_branch .LBB61_41
.LBB61_40:                              ;   in Loop: Header=BB61_41 Depth=2
	s_or_b64 exec, exec, s[8:9]
	s_and_b64 s[6:7], exec, vcc
	ds_write_b16 v8, v6
	v_mov_b32_e32 v6, s12
	v_add_co_u32_e32 v2, vcc, s11, v2
	s_or_b64 s[2:3], s[6:7], s[2:3]
	v_add_u32_e32 v8, s10, v8
	v_addc_co_u32_e32 v3, vcc, v3, v6, vcc
	s_waitcnt vmcnt(0)
	v_mov_b32_e32 v6, v9
	s_andn2_b64 exec, exec, s[2:3]
	s_cbranch_execz .LBB61_43
.LBB61_41:                              ;   Parent Loop BB61_17 Depth=1
                                        ; =>  This Inner Loop Header: Depth=2
	v_add_co_u32_sdwa v4, vcc, v4, v7 dst_sel:DWORD dst_unused:UNUSED_PAD src0_sel:DWORD src1_sel:WORD_0
	v_addc_co_u32_e32 v5, vcc, 0, v5, vcc
	v_cmp_gt_i64_e64 s[6:7], s[52:53], v[4:5]
	v_cmp_le_i64_e32 vcc, s[52:53], v[4:5]
	v_mov_b32_e32 v9, 0
	s_and_saveexec_b64 s[8:9], s[6:7]
	s_cbranch_execz .LBB61_40
; %bb.42:                               ;   in Loop: Header=BB61_41 Depth=2
	global_load_ushort v9, v[2:3], off
	s_branch .LBB61_40
.LBB61_43:                              ;   in Loop: Header=BB61_17 Depth=1
	s_or_b64 exec, exec, s[0:1]
	s_waitcnt lgkmcnt(0)
	s_barrier
	s_mov_b64 s[0:1], exec
	v_readlane_b32 s2, v54, 12
	v_readlane_b32 s3, v54, 13
	s_and_b64 s[2:3], s[0:1], s[2:3]
	s_mov_b64 exec, s[2:3]
	s_cbranch_execz .LBB61_45
; %bb.44:                               ;   in Loop: Header=BB61_17 Depth=1
	v_pk_mov_b32 v[2:3], s[52:53], s[52:53] op_sel:[0,1]
	ds_write_b64 v13, v[2:3] offset:5120
.LBB61_45:                              ;   in Loop: Header=BB61_17 Depth=1
	s_or_b64 exec, exec, s[0:1]
	s_mov_b64 s[2:3], -1
	s_waitcnt lgkmcnt(0)
	s_barrier
                                        ; implicit-def: $sgpr94_sgpr95
.LBB61_46:                              ;   in Loop: Header=BB61_17 Depth=1
	s_and_b64 vcc, exec, s[2:3]
	s_cbranch_vccz .LBB61_48
; %bb.47:                               ;   in Loop: Header=BB61_17 Depth=1
	ds_read_b64 v[2:3], v13 offset:5120
	s_waitcnt lgkmcnt(0)
	v_readfirstlane_b32 s94, v2
.LBB61_48:                              ;   in Loop: Header=BB61_17 Depth=1
	s_cmp_lt_i32 s94, 1
	s_cbranch_scc0 .LBB61_63
; %bb.49:                               ;   in Loop: Header=BB61_17 Depth=1
	global_load_ushort v2, v13, s[48:49]
	s_mov_b32 s0, s83
	s_waitcnt vmcnt(0)
	v_readfirstlane_b32 s1, v2
	s_and_b32 s1, 0xffff, s1
	s_lshl_b32 s82, s1, 2
	s_mov_b32 s1, s53
	s_cmp_lg_u64 s[0:1], 0
	s_cbranch_scc0 .LBB61_83
; %bb.50:                               ;   in Loop: Header=BB61_17 Depth=1
	v_cvt_f32_u32_e32 v3, s82
	s_sub_u32 s0, 0, s82
	s_subb_u32 s1, 0, 0
	v_mac_f32_e32 v3, 0x4f800000, v45
	v_rcp_f32_e32 v3, v3
	v_mul_f32_e32 v3, 0x5f7ffffc, v3
	v_mul_f32_e32 v4, 0x2f800000, v3
	v_trunc_f32_e32 v4, v4
	v_mac_f32_e32 v3, 0xcf800000, v4
	v_cvt_u32_f32_e32 v4, v4
	v_cvt_u32_f32_e32 v3, v3
	v_readfirstlane_b32 s2, v4
	v_readfirstlane_b32 s3, v3
	s_mul_i32 s6, s0, s2
	s_mul_hi_u32 s8, s0, s3
	s_mul_i32 s7, s1, s3
	s_add_i32 s6, s8, s6
	s_mul_i32 s9, s0, s3
	s_add_i32 s6, s6, s7
	s_mul_hi_u32 s8, s3, s9
	s_mul_hi_u32 s7, s3, s6
	s_mul_i32 s3, s3, s6
	s_add_u32 s3, s8, s3
	s_addc_u32 s7, 0, s7
	s_mul_hi_u32 s10, s2, s9
	s_mul_i32 s9, s2, s9
	s_add_u32 s3, s3, s9
	s_mul_hi_u32 s8, s2, s6
	s_addc_u32 s3, s7, s10
	s_addc_u32 s7, s8, 0
	s_mul_i32 s6, s2, s6
	s_add_u32 s3, s3, s6
	s_addc_u32 s6, 0, s7
	v_add_co_u32_e32 v3, vcc, s3, v3
	s_cmp_lg_u64 vcc, 0
	s_addc_u32 s2, s2, s6
	v_readfirstlane_b32 s6, v3
	s_mul_i32 s3, s0, s2
	s_mul_hi_u32 s7, s0, s6
	s_add_i32 s3, s7, s3
	s_mul_i32 s1, s1, s6
	s_add_i32 s3, s3, s1
	s_mul_i32 s0, s0, s6
	s_mul_hi_u32 s7, s2, s0
	s_mul_i32 s8, s2, s0
	s_mul_i32 s10, s6, s3
	s_mul_hi_u32 s0, s6, s0
	s_mul_hi_u32 s9, s6, s3
	s_add_u32 s0, s0, s10
	s_addc_u32 s6, 0, s9
	s_add_u32 s0, s0, s8
	s_mul_hi_u32 s1, s2, s3
	s_addc_u32 s0, s6, s7
	s_addc_u32 s1, s1, 0
	s_mul_i32 s3, s2, s3
	s_add_u32 s0, s0, s3
	s_addc_u32 s1, 0, s1
	v_add_co_u32_e32 v3, vcc, s0, v3
	s_cmp_lg_u64 vcc, 0
	s_addc_u32 s6, s2, s1
	s_ashr_i32 s0, s53, 31
	s_add_u32 s2, s52, s0
	s_mov_b32 s1, s0
	s_addc_u32 s3, s53, s0
	s_xor_b64 s[2:3], s[2:3], s[0:1]
	v_readfirstlane_b32 s8, v3
	s_mul_i32 s7, s2, s6
	s_mul_hi_u32 s9, s2, s8
	s_mul_hi_u32 s1, s2, s6
	s_add_u32 s7, s9, s7
	s_addc_u32 s1, 0, s1
	s_mul_hi_u32 s10, s3, s8
	s_mul_i32 s8, s3, s8
	s_add_u32 s7, s7, s8
	s_mul_hi_u32 s9, s3, s6
	s_addc_u32 s1, s1, s10
	s_addc_u32 s7, s9, 0
	s_mul_i32 s6, s3, s6
	s_add_u32 s1, s1, s6
	s_addc_u32 s6, 0, s7
	s_mul_hi_u32 s7, s82, s1
	s_mul_i32 s1, s82, s1
	s_mul_i32 s6, s82, s6
	v_mov_b32_e32 v3, s1
	s_add_i32 s7, s7, s6
	v_sub_co_u32_e32 v3, vcc, s2, v3
	s_cmp_lg_u64 vcc, 0
	s_subb_u32 s1, s3, s7
	v_subrev_co_u32_e32 v4, vcc, s82, v3
	s_cmp_lg_u64 vcc, 0
	s_subb_u32 s2, s1, 0
	v_subrev_co_u32_e32 v5, vcc, s82, v4
	s_cmp_lg_u64 vcc, 0
	s_subb_u32 s3, s2, 0
	v_cmp_le_u32_e32 vcc, s82, v4
	s_cmp_eq_u32 s2, 0
	v_cndmask_b32_e64 v6, 0, -1, vcc
	s_cselect_b64 vcc, -1, 0
	v_cndmask_b32_e32 v6, -1, v6, vcc
	v_mov_b32_e32 v7, s2
	v_mov_b32_e32 v8, s3
	v_cmp_ne_u32_e32 vcc, 0, v6
	v_cndmask_b32_e32 v6, v7, v8, vcc
	v_cndmask_b32_e32 v4, v4, v5, vcc
	v_cmp_le_u32_e32 vcc, s82, v3
	s_cmp_eq_u32 s1, 0
	v_cndmask_b32_e64 v5, 0, -1, vcc
	s_cselect_b64 vcc, -1, 0
	v_cndmask_b32_e32 v5, -1, v5, vcc
	v_cmp_ne_u32_e32 vcc, 0, v5
	v_mov_b32_e32 v7, s1
	v_cndmask_b32_e32 v3, v3, v4, vcc
	v_cndmask_b32_e32 v5, v7, v6, vcc
	v_xor_b32_e32 v3, s0, v3
	v_xor_b32_e32 v4, s0, v5
	v_mov_b32_e32 v5, s0
	v_subrev_co_u32_e32 v26, vcc, s0, v3
	v_subb_co_u32_e32 v27, vcc, v4, v5, vcc
	s_cbranch_execnz .LBB61_52
.LBB61_51:                              ;   in Loop: Header=BB61_17 Depth=1
	v_cvt_f32_u32_e32 v3, s82
	s_sub_i32 s0, 0, s82
	v_rcp_iflag_f32_e32 v3, v3
	v_mul_f32_e32 v3, 0x4f7ffffe, v3
	v_cvt_u32_f32_e32 v3, v3
	v_mul_lo_u32 v4, s0, v3
	v_mul_hi_u32 v4, v3, v4
	v_add_u32_e32 v3, v3, v4
	v_mul_hi_u32 v3, s52, v3
	v_mul_lo_u32 v3, v3, s82
	v_sub_u32_e32 v3, s52, v3
	v_subrev_u32_e32 v4, s82, v3
	v_cmp_le_u32_e32 vcc, s82, v3
	v_cndmask_b32_e32 v3, v3, v4, vcc
	v_subrev_u32_e32 v4, s82, v3
	v_cmp_le_u32_e32 vcc, s82, v3
	v_cndmask_b32_e32 v12, v3, v4, vcc
	v_pk_mov_b32 v[26:27], v[12:13], v[12:13] op_sel:[0,1]
.LBB61_52:                              ;   in Loop: Header=BB61_17 Depth=1
	v_and_b32_e32 v12, 0xffff, v2
	v_mov_b32_e32 v2, s53
	v_sub_co_u32_e32 v28, vcc, s52, v26
	v_subb_co_u32_e32 v29, vcc, v2, v27, vcc
	v_pk_mov_b32 v[2:3], 0, 0
	v_cmp_gt_i64_e32 vcc, v[28:29], v[14:15]
	s_mov_b64 s[56:57], 0
	v_pk_mov_b32 v[4:5], v[2:3], v[2:3] op_sel:[0,1]
	v_pk_mov_b32 v[6:7], v[2:3], v[2:3] op_sel:[0,1]
	;; [unrolled: 1-line block ×3, first 2 shown]
	s_and_saveexec_b64 s[76:77], vcc
	s_cbranch_execz .LBB61_56
; %bb.53:                               ;   in Loop: Header=BB61_17 Depth=1
	v_readlane_b32 s0, v54, 40
	v_readlane_b32 s1, v54, 41
	v_mul_lo_u32 v2, s1, v12
	v_mul_hi_u32 v3, s0, v12
	s_and_b32 s90, s86, 0xfe
	v_add_u32_e32 v49, v3, v2
	v_mul_lo_u32 v50, s0, v12
	v_pk_mov_b32 v[30:31], s[84:85], s[84:85] op_sel:[0,1]
	s_mov_b64 s[0:1], 0
	s_mov_b64 s[8:9], 0
	;; [unrolled: 1-line block ×4, first 2 shown]
	v_pk_mov_b32 v[32:33], v[14:15], v[14:15] op_sel:[0,1]
.LBB61_54:                              ;   Parent Loop BB61_17 Depth=1
                                        ; =>  This Inner Loop Header: Depth=2
	v_add_co_u32_e32 v2, vcc, v30, v24
	v_addc_co_u32_e32 v3, vcc, v31, v25, vcc
	v_add_co_u32_e32 v4, vcc, v30, v22
	v_addc_co_u32_e32 v5, vcc, v31, v23, vcc
	;; [unrolled: 2-line block ×4, first 2 shown]
	global_load_ushort v2, v[2:3], off
	s_nop 0
	global_load_ushort v3, v[4:5], off
	s_nop 0
	global_load_ushort v4, v[6:7], off
	global_load_ushort v5, v[8:9], off
	v_add_co_u32_e32 v32, vcc, s82, v32
	v_addc_co_u32_e32 v33, vcc, 0, v33, vcc
	v_add_co_u32_e32 v30, vcc, v30, v50
	v_addc_co_u32_e32 v31, vcc, v31, v49, vcc
	v_cmp_ge_i64_e32 vcc, v[32:33], v[28:29]
	s_waitcnt vmcnt(3)
	v_cmp_lt_i16_e64 s[6:7], -1, v2
	v_cndmask_b32_e64 v6, v43, v44, s[6:7]
	s_waitcnt vmcnt(2)
	v_cmp_lt_i16_e64 s[6:7], -1, v3
	v_cndmask_b32_e64 v7, v43, v44, s[6:7]
	s_waitcnt vmcnt(1)
	v_cmp_lt_i16_e64 s[6:7], -1, v4
	v_cndmask_b32_e64 v8, v43, v44, s[6:7]
	s_waitcnt vmcnt(0)
	v_cmp_lt_i16_e64 s[6:7], -1, v5
	v_cndmask_b32_e64 v9, v43, v44, s[6:7]
	v_xor_b32_sdwa v7, v7, v3 dst_sel:DWORD dst_unused:UNUSED_PAD src0_sel:DWORD src1_sel:WORD_0
	v_cmp_o_f16_e64 s[6:7], v3, v3
	v_xor_b32_sdwa v3, v8, v4 dst_sel:DWORD dst_unused:UNUSED_PAD src0_sel:DWORD src1_sel:WORD_0
	v_cmp_o_f16_e64 s[10:11], v4, v4
	;; [unrolled: 2-line block ×4, first 2 shown]
	v_cndmask_b32_e64 v2, v43, v5, s[14:15]
	v_cndmask_b32_e64 v5, v43, v7, s[6:7]
	v_and_b32_e32 v6, s92, v2
	v_bfe_u32 v2, v2, s90, 2
	v_cndmask_b32_e64 v3, v43, v3, s[10:11]
	v_and_b32_e32 v7, s92, v5
	v_bfe_u32 v5, v5, s90, 2
	v_cmp_eq_u32_e64 s[16:17], s93, v6
	v_cmp_eq_u32_e64 s[6:7], 0, v2
	v_cndmask_b32_e64 v4, v43, v4, s[12:13]
	v_and_b32_e32 v8, s92, v3
	v_bfe_u32 v3, v3, s90, 2
	v_cmp_eq_u32_e64 s[14:15], s93, v7
	v_cmp_eq_u32_e64 s[28:29], 0, v5
	s_and_b64 s[6:7], s[16:17], s[6:7]
	v_and_b32_e32 v9, s92, v4
	v_bfe_u32 v4, v4, s90, 2
	v_cmp_eq_u32_e64 s[12:13], s93, v8
	v_cmp_eq_u32_e64 s[30:31], 0, v3
	;; [unrolled: 1-line block ×5, first 2 shown]
	v_cndmask_b32_e64 v2, 0, 1, s[6:7]
	s_and_b64 s[6:7], s[14:15], s[28:29]
	v_cmp_eq_u32_e64 s[10:11], s93, v9
	v_cmp_eq_u32_e64 s[34:35], 0, v4
	;; [unrolled: 1-line block ×5, first 2 shown]
	v_cndmask_b32_e64 v3, 0, 1, s[6:7]
	s_and_b64 s[6:7], s[12:13], s[30:31]
	v_cmp_eq_u32_e64 s[42:43], 1, v4
	v_cmp_eq_u32_e64 s[50:51], 2, v4
	;; [unrolled: 1-line block ×3, first 2 shown]
	v_cndmask_b32_e64 v4, 0, 1, s[6:7]
	s_and_b64 s[6:7], s[10:11], s[34:35]
	v_cmp_eq_u32_e64 s[38:39], 1, v5
	v_cmp_eq_u32_e64 s[46:47], 2, v5
	;; [unrolled: 1-line block ×3, first 2 shown]
	v_cndmask_b32_e64 v5, 0, 1, s[6:7]
	v_cmp_ne_u32_e64 s[6:7], 0, v2
	v_cmp_ne_u32_e64 s[28:29], 0, v3
	v_cmp_ne_u32_e64 s[30:31], 0, v4
	v_cmp_ne_u32_e64 s[34:35], 0, v5
	s_bcnt1_i32_b64 s6, s[6:7]
	s_bcnt1_i32_b64 s7, s[28:29]
	s_bcnt1_i32_b64 s28, s[30:31]
	s_bcnt1_i32_b64 s29, s[34:35]
	s_add_u32 s2, s6, s2
	s_addc_u32 s3, 0, s3
	s_add_u32 s2, s2, s7
	s_addc_u32 s3, s3, 0
	s_add_u32 s2, s2, s28
	s_addc_u32 s3, s3, 0
	s_add_u32 s2, s2, s29
	s_addc_u32 s3, s3, 0
	s_and_b64 s[6:7], s[16:17], s[36:37]
	v_cndmask_b32_e64 v4, 0, 1, s[6:7]
	s_and_b64 s[6:7], s[14:15], s[38:39]
	v_cndmask_b32_e64 v5, 0, 1, s[6:7]
	s_and_b64 s[6:7], s[12:13], s[40:41]
	v_cndmask_b32_e64 v6, 0, 1, s[6:7]
	s_and_b64 s[6:7], s[10:11], s[42:43]
	v_cndmask_b32_e64 v7, 0, 1, s[6:7]
	v_cmp_ne_u32_e64 s[6:7], 0, v4
	v_cmp_ne_u32_e64 s[28:29], 0, v5
	v_cmp_ne_u32_e64 s[30:31], 0, v6
	v_cmp_ne_u32_e64 s[34:35], 0, v7
	s_bcnt1_i32_b64 s6, s[6:7]
	s_bcnt1_i32_b64 s7, s[28:29]
	s_bcnt1_i32_b64 s28, s[30:31]
	s_bcnt1_i32_b64 s29, s[34:35]
	s_add_u32 s6, s6, s88
	s_addc_u32 s30, 0, s89
	s_add_u32 s6, s6, s7
	s_addc_u32 s7, s30, 0
	s_add_u32 s6, s6, s28
	s_addc_u32 s7, s7, 0
	s_add_u32 s88, s6, s29
	s_addc_u32 s89, s7, 0
	s_and_b64 s[6:7], s[16:17], s[44:45]
	v_cndmask_b32_e64 v6, 0, 1, s[6:7]
	s_and_b64 s[6:7], s[14:15], s[46:47]
	v_cndmask_b32_e64 v7, 0, 1, s[6:7]
	s_and_b64 s[6:7], s[12:13], s[48:49]
	v_cndmask_b32_e64 v8, 0, 1, s[6:7]
	s_and_b64 s[6:7], s[10:11], s[50:51]
	;; [unrolled: 24-line block ×3, first 2 shown]
	v_cndmask_b32_e64 v52, 0, 1, s[6:7]
	v_cmp_ne_u32_e64 s[6:7], 0, v8
	v_cmp_ne_u32_e64 s[10:11], 0, v9
	;; [unrolled: 1-line block ×4, first 2 shown]
	s_bcnt1_i32_b64 s6, s[6:7]
	s_bcnt1_i32_b64 s7, s[10:11]
	;; [unrolled: 1-line block ×4, first 2 shown]
	s_add_u32 s0, s6, s0
	s_addc_u32 s1, 0, s1
	s_add_u32 s0, s0, s7
	s_addc_u32 s1, s1, 0
	;; [unrolled: 2-line block ×4, first 2 shown]
	v_pk_mov_b32 v[2:3], s[2:3], s[2:3] op_sel:[0,1]
	v_pk_mov_b32 v[4:5], s[88:89], s[88:89] op_sel:[0,1]
	;; [unrolled: 1-line block ×3, first 2 shown]
	s_or_b64 s[56:57], vcc, s[56:57]
	v_pk_mov_b32 v[8:9], s[0:1], s[0:1] op_sel:[0,1]
	s_andn2_b64 exec, exec, s[56:57]
	s_cbranch_execnz .LBB61_54
; %bb.55:                               ;   in Loop: Header=BB61_17 Depth=1
	s_or_b64 exec, exec, s[56:57]
	v_readlane_b32 s46, v54, 42
	v_readlane_b32 s48, v54, 44
	;; [unrolled: 1-line block ×4, first 2 shown]
.LBB61_56:                              ;   in Loop: Header=BB61_17 Depth=1
	s_or_b64 exec, exec, s[76:77]
	v_add_co_u32_e32 v28, vcc, v28, v0
	v_addc_co_u32_e32 v29, vcc, 0, v29, vcc
	v_cmp_gt_i64_e32 vcc, s[52:53], v[28:29]
	v_mov_b32_e32 v32, 0
	s_and_saveexec_b64 s[0:1], vcc
	s_cbranch_execz .LBB61_58
; %bb.57:                               ;   in Loop: Header=BB61_17 Depth=1
	v_mul_lo_u32 v32, v29, s58
	v_mul_lo_u32 v33, v28, s59
	v_mad_u64_u32 v[30:31], s[2:3], v28, s58, 0
	v_add3_u32 v31, v31, v33, v32
	v_lshlrev_b64 v[30:31], 1, v[30:31]
	v_mov_b32_e32 v32, s85
	v_add_co_u32_e64 v30, s[6:7], s84, v30
	v_addc_co_u32_e64 v31, s[6:7], v32, v31, s[6:7]
	global_load_ushort v32, v[30:31], off
.LBB61_58:                              ;   in Loop: Header=BB61_17 Depth=1
	s_or_b64 exec, exec, s[0:1]
	s_and_saveexec_b64 s[0:1], vcc
	s_cbranch_execz .LBB61_65
; %bb.59:                               ;   in Loop: Header=BB61_17 Depth=1
	v_add_co_u32_e32 v30, vcc, v40, v12
	v_addc_co_u32_e32 v31, vcc, 0, v41, vcc
	v_sub_co_u32_e32 v30, vcc, v30, v26
	v_subb_co_u32_e32 v26, vcc, v31, v27, vcc
	v_mul_lo_u32 v31, s78, v26
	v_pk_mov_b32 v[26:27], s[84:85], s[84:85] op_sel:[0,1]
	v_mul_lo_u32 v33, s79, v30
	v_mad_u64_u32 v[26:27], s[2:3], s78, v30, v[26:27]
	v_add3_u32 v27, v33, v27, v31
	v_mul_lo_u32 v30, s79, v12
	v_mul_hi_u32 v31, s78, v12
	s_and_b32 s10, s86, 0xfe
	v_add_u32_e32 v30, v31, v30
	v_mul_lo_u32 v31, s78, v12
	s_mov_b64 s[2:3], 0
	s_branch .LBB61_61
.LBB61_60:                              ;   in Loop: Header=BB61_61 Depth=2
	s_or_b64 exec, exec, s[8:9]
	s_and_b64 s[6:7], exec, vcc
	s_waitcnt vmcnt(0)
	v_cmp_lt_i16_e32 vcc, -1, v32
	v_cndmask_b32_e32 v49, v43, v44, vcc
	v_xor_b32_sdwa v49, v49, v32 dst_sel:DWORD dst_unused:UNUSED_PAD src0_sel:DWORD src1_sel:WORD_0
	v_cmp_o_f16_e32 vcc, v32, v32
	v_cndmask_b32_e32 v32, v43, v49, vcc
	v_and_b32_e32 v49, s92, v32
	v_bfe_u32 v32, v32, s10, 2
	s_or_b64 s[2:3], s[6:7], s[2:3]
	v_cmp_eq_u32_e32 vcc, s93, v49
	v_cmp_eq_u32_e64 s[6:7], 0, v32
	s_and_b64 s[6:7], vcc, s[6:7]
	v_cndmask_b32_e64 v49, 0, 1, s[6:7]
	v_cmp_ne_u32_e64 s[6:7], 0, v49
	s_bcnt1_i32_b64 s6, s[6:7]
	v_add_co_u32_e64 v2, s[6:7], s6, v2
	v_addc_co_u32_e64 v3, s[6:7], 0, v3, s[6:7]
	v_cmp_eq_u32_e64 s[6:7], 1, v32
	s_and_b64 s[6:7], vcc, s[6:7]
	v_cndmask_b32_e64 v49, 0, 1, s[6:7]
	v_cmp_ne_u32_e64 s[6:7], 0, v49
	s_bcnt1_i32_b64 s6, s[6:7]
	v_add_co_u32_e64 v4, s[6:7], s6, v4
	v_addc_co_u32_e64 v5, s[6:7], 0, v5, s[6:7]
	;; [unrolled: 7-line block ×3, first 2 shown]
	v_cmp_eq_u32_e64 s[6:7], 3, v32
	s_and_b64 s[6:7], vcc, s[6:7]
	v_cndmask_b32_e64 v32, 0, 1, s[6:7]
	v_cmp_ne_u32_e32 vcc, 0, v32
	s_bcnt1_i32_b64 s6, vcc
	v_add_co_u32_e32 v8, vcc, s6, v8
	v_addc_co_u32_e32 v9, vcc, 0, v9, vcc
	v_add_co_u32_e32 v26, vcc, v26, v31
	v_addc_co_u32_e32 v27, vcc, v27, v30, vcc
	v_mov_b32_e32 v32, v33
	s_andn2_b64 exec, exec, s[2:3]
	s_cbranch_execz .LBB61_64
.LBB61_61:                              ;   Parent Loop BB61_17 Depth=1
                                        ; =>  This Inner Loop Header: Depth=2
	v_add_co_u32_e32 v28, vcc, v28, v12
	v_addc_co_u32_e32 v29, vcc, 0, v29, vcc
	v_cmp_gt_i64_e64 s[6:7], s[52:53], v[28:29]
	v_cmp_le_i64_e32 vcc, s[52:53], v[28:29]
	v_mov_b32_e32 v33, 0
	s_and_saveexec_b64 s[8:9], s[6:7]
	s_cbranch_execz .LBB61_60
; %bb.62:                               ;   in Loop: Header=BB61_61 Depth=2
	global_load_ushort v33, v[26:27], off
	s_branch .LBB61_60
.LBB61_63:                              ;   in Loop: Header=BB61_17 Depth=1
                                        ; implicit-def: $vgpr8_vgpr9
                                        ; implicit-def: $vgpr4_vgpr5
	s_cbranch_execnz .LBB61_66
	s_branch .LBB61_75
.LBB61_64:                              ;   in Loop: Header=BB61_17 Depth=1
	s_or_b64 exec, exec, s[2:3]
.LBB61_65:                              ;   in Loop: Header=BB61_17 Depth=1
	s_or_b64 exec, exec, s[0:1]
	s_branch .LBB61_75
.LBB61_66:                              ;   in Loop: Header=BB61_17 Depth=1
	global_load_ushort v8, v13, s[48:49]
	s_mov_b64 s[56:57], 0
	s_waitcnt vmcnt(0)
	v_readfirstlane_b32 s0, v8
	s_and_b32 s0, 0xffff, s0
	s_lshl_b32 s90, s0, 2
	v_cvt_f32_u32_e32 v2, s90
	s_sub_i32 s0, 0, s90
	v_and_b32_e32 v28, 0xffff, v8
	v_rcp_iflag_f32_e32 v6, v2
	v_pk_mov_b32 v[2:3], 0, 0
	v_pk_mov_b32 v[4:5], v[2:3], v[2:3] op_sel:[0,1]
	v_mul_f32_e32 v6, 0x4f7ffffe, v6
	v_cvt_u32_f32_e32 v9, v6
	v_pk_mov_b32 v[6:7], v[2:3], v[2:3] op_sel:[0,1]
	v_readfirstlane_b32 s1, v9
	s_mul_i32 s0, s0, s1
	s_mul_hi_u32 s0, s1, s0
	s_add_i32 s1, s1, s0
	s_mul_hi_u32 s0, s94, s1
	s_mul_i32 s0, s0, s90
	s_sub_i32 s0, s94, s0
	s_sub_i32 s1, s0, s90
	s_cmp_ge_u32 s0, s90
	s_cselect_b32 s0, s1, s0
	s_sub_i32 s1, s0, s90
	s_cmp_ge_u32 s0, s90
	s_cselect_b32 s0, s1, s0
	s_sub_i32 s82, s94, s0
	v_cmp_gt_u32_e32 vcc, s82, v14
	v_pk_mov_b32 v[8:9], v[2:3], v[2:3] op_sel:[0,1]
	s_and_saveexec_b64 s[0:1], vcc
	s_cbranch_execz .LBB61_70
; %bb.67:                               ;   in Loop: Header=BB61_17 Depth=1
	s_and_b32 s95, s86, 0xfe
	v_lshlrev_b32_e32 v12, 3, v28
	v_mov_b32_e32 v29, v39
	s_mov_b64 s[2:3], 0
	s_mov_b64 s[8:9], 0
	;; [unrolled: 1-line block ×4, first 2 shown]
	v_pk_mov_b32 v[26:27], v[14:15], v[14:15] op_sel:[0,1]
.LBB61_68:                              ;   Parent Loop BB61_17 Depth=1
                                        ; =>  This Inner Loop Header: Depth=2
	ds_read_b64 v[2:3], v29
	v_add_co_u32_e32 v26, vcc, s90, v26
	v_addc_co_u32_e32 v27, vcc, 0, v27, vcc
	s_waitcnt lgkmcnt(0)
	v_cmp_lt_i16_e64 s[6:7], -1, v2
	v_cndmask_b32_e64 v4, v43, v44, s[6:7]
	v_cmp_gt_i16_sdwa s[6:7], v2, v46 src0_sel:WORD_1 src1_sel:DWORD
	v_cndmask_b32_e64 v5, v43, v44, s[6:7]
	v_cmp_lt_i16_e64 s[6:7], -1, v3
	v_cndmask_b32_e64 v6, v43, v44, s[6:7]
	v_cmp_gt_i16_sdwa s[6:7], v3, v46 src0_sel:WORD_1 src1_sel:DWORD
	v_cndmask_b32_e64 v7, v43, v44, s[6:7]
	v_xor_b32_sdwa v6, v6, v3 dst_sel:DWORD dst_unused:UNUSED_PAD src0_sel:DWORD src1_sel:WORD_0
	v_cmp_o_f16_e64 s[10:11], v3, v3
	v_xor_b32_sdwa v7, v7, v3 dst_sel:DWORD dst_unused:UNUSED_PAD src0_sel:DWORD src1_sel:WORD_1
	v_cmp_o_f16_sdwa s[12:13], v3, v3 src0_sel:WORD_1 src1_sel:WORD_1
	v_xor_b32_sdwa v3, v4, v2 dst_sel:DWORD dst_unused:UNUSED_PAD src0_sel:DWORD src1_sel:WORD_0
	v_cmp_o_f16_e64 s[14:15], v2, v2
	v_xor_b32_sdwa v5, v5, v2 dst_sel:DWORD dst_unused:UNUSED_PAD src0_sel:DWORD src1_sel:WORD_1
	v_cmp_o_f16_sdwa s[6:7], v2, v2 src0_sel:WORD_1 src1_sel:WORD_1
	v_cndmask_b32_e64 v2, v43, v3, s[14:15]
	v_cndmask_b32_e64 v3, v43, v5, s[6:7]
	;; [unrolled: 1-line block ×3, first 2 shown]
	v_and_b32_e32 v6, s92, v2
	v_bfe_u32 v2, v2, s95, 2
	v_cndmask_b32_e64 v5, v43, v7, s[12:13]
	v_and_b32_e32 v7, s92, v3
	v_bfe_u32 v3, v3, s95, 2
	v_cmp_eq_u32_e64 s[16:17], s93, v6
	v_cmp_eq_u32_e64 s[6:7], 0, v2
	v_and_b32_e32 v8, s92, v4
	v_bfe_u32 v4, v4, s95, 2
	v_cmp_eq_u32_e64 s[14:15], s93, v7
	v_cmp_eq_u32_e64 s[28:29], 0, v3
	s_and_b64 s[6:7], s[16:17], s[6:7]
	v_and_b32_e32 v9, s92, v5
	v_bfe_u32 v5, v5, s95, 2
	v_cmp_eq_u32_e64 s[12:13], s93, v8
	v_cmp_eq_u32_e64 s[30:31], 0, v4
	;; [unrolled: 1-line block ×5, first 2 shown]
	v_cndmask_b32_e64 v2, 0, 1, s[6:7]
	s_and_b64 s[6:7], s[14:15], s[28:29]
	v_cmp_eq_u32_e64 s[10:11], s93, v9
	v_cmp_eq_u32_e64 s[34:35], 0, v5
	;; [unrolled: 1-line block ×5, first 2 shown]
	v_cndmask_b32_e64 v3, 0, 1, s[6:7]
	s_and_b64 s[6:7], s[12:13], s[30:31]
	v_cmp_eq_u32_e64 s[40:41], 1, v4
	v_cmp_eq_u32_e64 s[48:49], 2, v4
	;; [unrolled: 1-line block ×3, first 2 shown]
	v_cndmask_b32_e64 v4, 0, 1, s[6:7]
	s_and_b64 s[6:7], s[10:11], s[34:35]
	v_cmp_eq_u32_e64 s[42:43], 1, v5
	v_cmp_eq_u32_e64 s[50:51], 2, v5
	;; [unrolled: 1-line block ×3, first 2 shown]
	v_cndmask_b32_e64 v5, 0, 1, s[6:7]
	v_cmp_ne_u32_e64 s[6:7], 0, v2
	v_cmp_ne_u32_e64 s[28:29], 0, v3
	v_cmp_ne_u32_e64 s[30:31], 0, v4
	v_cmp_ne_u32_e64 s[34:35], 0, v5
	s_bcnt1_i32_b64 s6, s[6:7]
	s_bcnt1_i32_b64 s7, s[28:29]
	s_bcnt1_i32_b64 s28, s[30:31]
	s_bcnt1_i32_b64 s29, s[34:35]
	s_add_u32 s6, s6, s88
	s_addc_u32 s30, 0, s89
	s_add_u32 s6, s6, s7
	s_addc_u32 s7, s30, 0
	s_add_u32 s6, s6, s28
	s_addc_u32 s7, s7, 0
	s_add_u32 s88, s6, s29
	s_addc_u32 s89, s7, 0
	s_and_b64 s[6:7], s[16:17], s[36:37]
	v_cndmask_b32_e64 v4, 0, 1, s[6:7]
	s_and_b64 s[6:7], s[14:15], s[38:39]
	v_cndmask_b32_e64 v5, 0, 1, s[6:7]
	s_and_b64 s[6:7], s[12:13], s[40:41]
	v_cndmask_b32_e64 v6, 0, 1, s[6:7]
	s_and_b64 s[6:7], s[10:11], s[42:43]
	v_cndmask_b32_e64 v7, 0, 1, s[6:7]
	v_cmp_ne_u32_e64 s[6:7], 0, v4
	v_cmp_ne_u32_e64 s[28:29], 0, v5
	v_cmp_ne_u32_e64 s[30:31], 0, v6
	v_cmp_ne_u32_e64 s[34:35], 0, v7
	s_bcnt1_i32_b64 s6, s[6:7]
	s_bcnt1_i32_b64 s7, s[28:29]
	s_bcnt1_i32_b64 s28, s[30:31]
	s_bcnt1_i32_b64 s29, s[34:35]
	s_add_u32 s6, s6, s76
	s_addc_u32 s30, 0, s77
	s_add_u32 s6, s6, s7
	s_addc_u32 s7, s30, 0
	s_add_u32 s6, s6, s28
	s_addc_u32 s7, s7, 0
	s_add_u32 s76, s6, s29
	s_addc_u32 s77, s7, 0
	s_and_b64 s[6:7], s[16:17], s[44:45]
	v_cndmask_b32_e64 v6, 0, 1, s[6:7]
	s_and_b64 s[6:7], s[14:15], s[46:47]
	v_cndmask_b32_e64 v7, 0, 1, s[6:7]
	s_and_b64 s[6:7], s[12:13], s[48:49]
	v_cndmask_b32_e64 v8, 0, 1, s[6:7]
	s_and_b64 s[6:7], s[10:11], s[50:51]
	;; [unrolled: 24-line block ×3, first 2 shown]
	v_cndmask_b32_e64 v31, 0, 1, s[6:7]
	v_cmp_ne_u32_e64 s[6:7], 0, v8
	v_cmp_ne_u32_e64 s[10:11], 0, v9
	;; [unrolled: 1-line block ×4, first 2 shown]
	s_bcnt1_i32_b64 s6, s[6:7]
	s_bcnt1_i32_b64 s7, s[10:11]
	;; [unrolled: 1-line block ×4, first 2 shown]
	s_add_u32 s2, s6, s2
	s_addc_u32 s3, 0, s3
	s_add_u32 s2, s2, s7
	s_addc_u32 s3, s3, 0
	s_add_u32 s2, s2, s10
	s_addc_u32 s3, s3, 0
	s_add_u32 s2, s2, s11
	v_cmp_le_u64_e32 vcc, s[82:83], v[26:27]
	s_addc_u32 s3, s3, 0
	v_add_u32_e32 v29, v29, v12
	v_pk_mov_b32 v[2:3], s[88:89], s[88:89] op_sel:[0,1]
	v_pk_mov_b32 v[4:5], s[76:77], s[76:77] op_sel:[0,1]
	;; [unrolled: 1-line block ×3, first 2 shown]
	s_or_b64 s[56:57], vcc, s[56:57]
	v_pk_mov_b32 v[8:9], s[2:3], s[2:3] op_sel:[0,1]
	s_andn2_b64 exec, exec, s[56:57]
	s_cbranch_execnz .LBB61_68
; %bb.69:                               ;   in Loop: Header=BB61_17 Depth=1
	s_or_b64 exec, exec, s[56:57]
	v_readlane_b32 s46, v54, 42
	v_readlane_b32 s48, v54, 44
	v_readlane_b32 s47, v54, 43
	v_readlane_b32 s49, v54, 45
.LBB61_70:                              ;   in Loop: Header=BB61_17 Depth=1
	s_or_b64 exec, exec, s[0:1]
	v_add_u32_e32 v12, s82, v0
	v_cmp_gt_u32_e32 vcc, s94, v12
	s_and_saveexec_b64 s[0:1], vcc
	s_cbranch_execz .LBB61_74
; %bb.71:                               ;   in Loop: Header=BB61_17 Depth=1
	s_and_b32 s82, s94, 0x7fffffff
	s_and_b32 s8, s86, 0xfe
	v_lshlrev_b32_e32 v29, 1, v12
	v_lshlrev_b32_e32 v30, 1, v28
	s_mov_b64 s[2:3], 0
	v_pk_mov_b32 v[26:27], v[12:13], v[12:13] op_sel:[0,1]
.LBB61_72:                              ;   Parent Loop BB61_17 Depth=1
                                        ; =>  This Inner Loop Header: Depth=2
	ds_read_u16 v12, v29
	v_add_co_u32_e32 v26, vcc, v26, v28
	v_addc_co_u32_e32 v27, vcc, 0, v27, vcc
	s_waitcnt lgkmcnt(0)
	v_cmp_lt_i16_e64 s[6:7], -1, v12
	v_cndmask_b32_e64 v31, v43, v44, s[6:7]
	v_xor_b32_sdwa v31, v31, v12 dst_sel:DWORD dst_unused:UNUSED_PAD src0_sel:DWORD src1_sel:WORD_0
	v_cmp_o_f16_e64 s[6:7], v12, v12
	v_cndmask_b32_e64 v12, v43, v31, s[6:7]
	v_and_b32_e32 v31, s92, v12
	v_bfe_u32 v12, v12, s8, 2
	v_cmp_eq_u32_e64 s[6:7], s93, v31
	v_cmp_eq_u32_e64 s[10:11], 0, v12
	;; [unrolled: 1-line block ×3, first 2 shown]
	s_and_b64 s[10:11], s[6:7], s[10:11]
	v_cmp_eq_u32_e64 s[14:15], 2, v12
	v_cmp_eq_u32_e64 s[16:17], 3, v12
	v_cndmask_b32_e64 v12, 0, 1, s[10:11]
	s_and_b64 s[10:11], s[6:7], s[12:13]
	v_cndmask_b32_e64 v31, 0, 1, s[10:11]
	s_and_b64 s[10:11], s[6:7], s[14:15]
	s_and_b64 s[6:7], s[6:7], s[16:17]
	v_cndmask_b32_e64 v32, 0, 1, s[10:11]
	v_cndmask_b32_e64 v33, 0, 1, s[6:7]
	v_cmp_ne_u32_e64 s[6:7], 0, v12
	v_cmp_ne_u32_e64 s[10:11], 0, v31
	;; [unrolled: 1-line block ×4, first 2 shown]
	v_cmp_le_u64_e32 vcc, s[82:83], v[26:27]
	s_bcnt1_i32_b64 s6, s[6:7]
	s_bcnt1_i32_b64 s7, s[10:11]
	;; [unrolled: 1-line block ×4, first 2 shown]
	s_or_b64 s[2:3], vcc, s[2:3]
	v_add_co_u32_e32 v2, vcc, s6, v2
	v_addc_co_u32_e32 v3, vcc, 0, v3, vcc
	v_add_co_u32_e32 v4, vcc, s7, v4
	v_addc_co_u32_e32 v5, vcc, 0, v5, vcc
	;; [unrolled: 2-line block ×3, first 2 shown]
	v_add_co_u32_e32 v8, vcc, s10, v8
	v_add_u32_e32 v29, v29, v30
	v_addc_co_u32_e32 v9, vcc, 0, v9, vcc
	s_andn2_b64 exec, exec, s[2:3]
	s_cbranch_execnz .LBB61_72
; %bb.73:                               ;   in Loop: Header=BB61_17 Depth=1
	s_or_b64 exec, exec, s[2:3]
.LBB61_74:                              ;   in Loop: Header=BB61_17 Depth=1
	s_or_b64 exec, exec, s[0:1]
.LBB61_75:                              ;   in Loop: Header=BB61_17 Depth=1
	s_lshl_b32 s2, s87, 6
	s_and_saveexec_b64 s[0:1], s[4:5]
	s_cbranch_execz .LBB61_77
; %bb.76:                               ;   in Loop: Header=BB61_17 Depth=1
	v_or_b32_e32 v12, s2, v37
	v_lshlrev_b32_e32 v12, 3, v12
	ds_write_b128 v12, v[2:5] offset:3072
	s_waitcnt vmcnt(0)
	ds_write_b128 v12, v[6:9] offset:3088
.LBB61_77:                              ;   in Loop: Header=BB61_17 Depth=1
	s_or_b64 exec, exec, s[0:1]
	s_waitcnt lgkmcnt(0)
	s_barrier
	s_and_saveexec_b64 s[0:1], s[46:47]
	s_cbranch_execz .LBB61_89
; %bb.78:                               ;   in Loop: Header=BB61_17 Depth=1
	v_readlane_b32 s6, v54, 30
	v_readlane_b32 s7, v54, 31
	s_andn2_b64 vcc, exec, s[6:7]
	v_pk_mov_b32 v[2:3], 0, 0
	s_cbranch_vccnz .LBB61_88
; %bb.79:                               ;   in Loop: Header=BB61_17 Depth=1
	v_readlane_b32 s6, v54, 35
	v_readlane_b32 s7, v54, 36
	s_andn2_b64 vcc, exec, s[6:7]
	s_cbranch_vccnz .LBB61_84
; %bb.80:                               ;   in Loop: Header=BB61_17 Depth=1
	v_lshl_add_u32 v4, s87, 9, v42
	s_mov_b32 s3, 0
	v_pk_mov_b32 v[2:3], 0, 0
.LBB61_81:                              ;   Parent Loop BB61_17 Depth=1
                                        ; =>  This Inner Loop Header: Depth=2
	s_waitcnt vmcnt(0)
	ds_read2_b64 v[6:9], v4 offset1:4
	ds_read2_b64 v[26:29], v4 offset0:8 offset1:12
	ds_read2_b64 v[30:33], v4 offset0:16 offset1:20
	;; [unrolled: 1-line block ×3, first 2 shown]
	s_add_i32 s3, s3, 8
	s_waitcnt lgkmcnt(3)
	v_add_co_u32_e32 v2, vcc, v6, v2
	v_addc_co_u32_e32 v3, vcc, v7, v3, vcc
	v_add_co_u32_e32 v2, vcc, v8, v2
	v_addc_co_u32_e32 v3, vcc, v9, v3, vcc
	s_waitcnt lgkmcnt(2)
	v_add_co_u32_e32 v2, vcc, v26, v2
	v_addc_co_u32_e32 v3, vcc, v27, v3, vcc
	v_add_co_u32_e32 v2, vcc, v28, v2
	v_addc_co_u32_e32 v3, vcc, v29, v3, vcc
	;; [unrolled: 5-line block ×3, first 2 shown]
	s_waitcnt lgkmcnt(0)
	v_add_co_u32_e32 v2, vcc, v50, v2
	v_addc_co_u32_e32 v3, vcc, v51, v3, vcc
	v_add_co_u32_e32 v2, vcc, v52, v2
	v_add_u32_e32 v4, 0x100, v4
	s_cmp_eq_u32 s60, s3
	v_addc_co_u32_e32 v3, vcc, v53, v3, vcc
	s_cbranch_scc0 .LBB61_81
; %bb.82:                               ;   in Loop: Header=BB61_17 Depth=1
	s_mov_b32 s3, s60
	s_branch .LBB61_85
.LBB61_83:                              ;   in Loop: Header=BB61_17 Depth=1
                                        ; implicit-def: $vgpr26_vgpr27
	s_branch .LBB61_51
.LBB61_84:                              ;   in Loop: Header=BB61_17 Depth=1
	s_mov_b32 s3, 0
	v_pk_mov_b32 v[2:3], 0, 0
.LBB61_85:                              ;   in Loop: Header=BB61_17 Depth=1
	v_readlane_b32 s6, v54, 38
	v_readlane_b32 s7, v54, 39
	s_andn2_b64 vcc, exec, s[6:7]
	s_cbranch_vccnz .LBB61_88
; %bb.86:                               ;   in Loop: Header=BB61_17 Depth=1
	s_lshl_b32 s6, s87, 9
	s_lshl_b32 s3, s3, 5
	s_add_i32 s6, s6, s3
	v_add_u32_e32 v4, s6, v42
	v_readlane_b32 s3, v54, 37
.LBB61_87:                              ;   Parent Loop BB61_17 Depth=1
                                        ; =>  This Inner Loop Header: Depth=2
	s_waitcnt vmcnt(0)
	ds_read_b64 v[6:7], v4
	s_add_i32 s3, s3, -1
	v_add_u32_e32 v4, 32, v4
	s_cmp_lg_u32 s3, 0
	s_waitcnt lgkmcnt(0)
	v_add_co_u32_e32 v2, vcc, v6, v2
	v_addc_co_u32_e32 v3, vcc, v7, v3, vcc
	s_cbranch_scc1 .LBB61_87
.LBB61_88:                              ;   in Loop: Header=BB61_17 Depth=1
	v_add_lshl_u32 v4, s2, v34, 3
	ds_write_b64 v4, v[2:3] offset:3072
.LBB61_89:                              ;   in Loop: Header=BB61_17 Depth=1
	s_or_b64 exec, exec, s[0:1]
	s_lshl_b32 s0, s2, 3
	s_waitcnt vmcnt(0)
	v_mov_b32_e32 v6, s0
	s_waitcnt lgkmcnt(0)
	s_barrier
	ds_read_b128 v[2:5], v6 offset:3072
	ds_read_b128 v[6:9], v6 offset:3088
	s_and_b32 s40, s86, 0xfe
	s_lshl_b32 s44, 3, s40
	s_not_b32 s41, s44
	s_waitcnt lgkmcnt(1)
	v_readfirstlane_b32 s15, v3
	v_readfirstlane_b32 s14, v2
	s_cmp_eq_u64 s[14:15], 1
	s_cselect_b64 s[0:1], -1, 0
	s_cmp_eq_u64 s[54:55], 1
	s_cselect_b64 s[2:3], -1, 0
	s_and_b64 s[20:21], s[0:1], s[2:3]
	v_readfirstlane_b32 s28, v4
	v_readfirstlane_b32 s29, v5
	s_waitcnt lgkmcnt(0)
	v_readfirstlane_b32 s16, v6
	v_readfirstlane_b32 s17, v7
	;; [unrolled: 1-line block ×4, first 2 shown]
	s_mov_b64 s[18:19], -1
	s_and_b64 vcc, exec, s[20:21]
	s_cbranch_vccz .LBB61_104
; %bb.90:                               ;   in Loop: Header=BB61_17 Depth=1
	ds_read_b64 v[2:3], v13 offset:5120
	s_waitcnt lgkmcnt(0)
	s_barrier
	v_readfirstlane_b32 s12, v2
	v_readfirstlane_b32 s13, v3
	s_mov_b64 s[0:1], exec
	v_readlane_b32 s2, v54, 24
	v_readlane_b32 s3, v54, 25
	s_and_b64 s[2:3], s[0:1], s[2:3]
	s_mov_b64 exec, s[2:3]
	s_cbranch_execz .LBB61_92
; %bb.91:                               ;   in Loop: Header=BB61_17 Depth=1
	ds_write_b16 v36, v13
.LBB61_92:                              ;   in Loop: Header=BB61_17 Depth=1
	s_or_b64 exec, exec, s[0:1]
	v_cmp_lt_i64_e64 s[0:1], s[12:13], 1
	s_and_b32 s93, s93, s41
	s_or_b32 s92, s92, s44
	s_and_b64 vcc, exec, s[0:1]
	s_waitcnt lgkmcnt(0)
	s_barrier
	s_cbranch_vccz .LBB61_105
; %bb.93:                               ;   in Loop: Header=BB61_17 Depth=1
	s_mov_b32 s90, s83
	s_cmp_lg_u64 s[90:91], 0
	s_cbranch_scc0 .LBB61_150
; %bb.94:                               ;   in Loop: Header=BB61_17 Depth=1
	v_cvt_f32_u32_e32 v2, s33
	s_sub_u32 s0, 0, s33
	s_subb_u32 s1, 0, 0
	v_mac_f32_e32 v2, 0x4f800000, v45
	v_rcp_f32_e32 v2, v2
	v_mul_f32_e32 v2, 0x5f7ffffc, v2
	v_mul_f32_e32 v3, 0x2f800000, v2
	v_trunc_f32_e32 v3, v3
	v_mac_f32_e32 v2, 0xcf800000, v3
	v_cvt_u32_f32_e32 v3, v3
	v_cvt_u32_f32_e32 v2, v2
	v_readfirstlane_b32 s2, v3
	v_readfirstlane_b32 s3, v2
	s_mul_i32 s6, s0, s2
	s_mul_hi_u32 s8, s0, s3
	s_mul_i32 s7, s1, s3
	s_add_i32 s6, s8, s6
	s_mul_i32 s9, s0, s3
	s_add_i32 s6, s6, s7
	s_mul_hi_u32 s8, s3, s9
	s_mul_hi_u32 s7, s3, s6
	s_mul_i32 s3, s3, s6
	s_add_u32 s3, s8, s3
	s_addc_u32 s7, 0, s7
	s_mul_hi_u32 s22, s2, s9
	s_mul_i32 s9, s2, s9
	s_add_u32 s3, s3, s9
	s_mul_hi_u32 s8, s2, s6
	s_addc_u32 s3, s7, s22
	s_addc_u32 s7, s8, 0
	s_mul_i32 s6, s2, s6
	s_add_u32 s3, s3, s6
	s_addc_u32 s6, 0, s7
	v_add_co_u32_e32 v2, vcc, s3, v2
	s_cmp_lg_u64 vcc, 0
	s_addc_u32 s2, s2, s6
	v_readfirstlane_b32 s6, v2
	s_mul_i32 s3, s0, s2
	s_mul_hi_u32 s7, s0, s6
	s_add_i32 s3, s7, s3
	s_mul_i32 s1, s1, s6
	s_add_i32 s3, s3, s1
	s_mul_i32 s0, s0, s6
	s_mul_hi_u32 s7, s2, s0
	s_mul_i32 s8, s2, s0
	s_mul_i32 s22, s6, s3
	s_mul_hi_u32 s0, s6, s0
	s_mul_hi_u32 s9, s6, s3
	s_add_u32 s0, s0, s22
	s_addc_u32 s6, 0, s9
	s_add_u32 s0, s0, s8
	s_mul_hi_u32 s1, s2, s3
	s_addc_u32 s0, s6, s7
	s_addc_u32 s1, s1, 0
	s_mul_i32 s3, s2, s3
	s_add_u32 s0, s0, s3
	s_addc_u32 s1, 0, s1
	v_add_co_u32_e32 v2, vcc, s0, v2
	s_cmp_lg_u64 vcc, 0
	s_addc_u32 s6, s2, s1
	s_ashr_i32 s0, s91, 31
	v_readlane_b32 s2, v54, 33
	s_add_u32 s2, s2, s0
	s_mov_b32 s1, s0
	s_addc_u32 s3, s91, s0
	s_xor_b64 s[2:3], s[2:3], s[0:1]
	v_readfirstlane_b32 s8, v2
	s_mul_i32 s7, s2, s6
	s_mul_hi_u32 s9, s2, s8
	s_mul_hi_u32 s1, s2, s6
	s_add_u32 s7, s9, s7
	s_addc_u32 s1, 0, s1
	s_mul_hi_u32 s22, s3, s8
	s_mul_i32 s8, s3, s8
	s_add_u32 s7, s7, s8
	s_mul_hi_u32 s9, s3, s6
	s_addc_u32 s1, s1, s22
	s_addc_u32 s7, s9, 0
	s_mul_i32 s6, s3, s6
	s_add_u32 s1, s1, s6
	s_addc_u32 s6, 0, s7
	s_mul_hi_u32 s7, s33, s1
	s_mul_i32 s1, s33, s1
	s_mul_i32 s6, s33, s6
	v_mov_b32_e32 v2, s1
	s_add_i32 s7, s7, s6
	v_sub_co_u32_e32 v2, vcc, s2, v2
	s_cmp_lg_u64 vcc, 0
	s_subb_u32 s1, s3, s7
	v_subrev_co_u32_e32 v3, vcc, s33, v2
	s_cmp_lg_u64 vcc, 0
	s_subb_u32 s2, s1, 0
	v_subrev_co_u32_e32 v4, vcc, s33, v3
	s_cmp_lg_u64 vcc, 0
	s_subb_u32 s3, s2, 0
	v_cmp_le_u32_e32 vcc, s33, v3
	s_cmp_eq_u32 s2, 0
	v_cndmask_b32_e64 v5, 0, -1, vcc
	s_cselect_b64 vcc, -1, 0
	v_cndmask_b32_e32 v5, -1, v5, vcc
	v_mov_b32_e32 v6, s2
	v_mov_b32_e32 v7, s3
	v_cmp_ne_u32_e32 vcc, 0, v5
	v_cndmask_b32_e32 v5, v6, v7, vcc
	v_cndmask_b32_e32 v3, v3, v4, vcc
	v_cmp_le_u32_e32 vcc, s33, v2
	s_cmp_eq_u32 s1, 0
	v_cndmask_b32_e64 v4, 0, -1, vcc
	s_cselect_b64 vcc, -1, 0
	v_cndmask_b32_e32 v4, -1, v4, vcc
	v_cmp_ne_u32_e32 vcc, 0, v4
	v_mov_b32_e32 v6, s1
	v_cndmask_b32_e32 v2, v2, v3, vcc
	v_cndmask_b32_e32 v4, v6, v5, vcc
	v_xor_b32_e32 v2, s0, v2
	v_xor_b32_e32 v3, s0, v4
	v_mov_b32_e32 v4, s0
	v_subrev_co_u32_e32 v2, vcc, s0, v2
	v_subb_co_u32_e32 v3, vcc, v3, v4, vcc
	s_cbranch_execnz .LBB61_96
.LBB61_95:                              ;   in Loop: Header=BB61_17 Depth=1
	v_cvt_f32_u32_e32 v2, s33
	s_sub_i32 s0, 0, s33
	v_rcp_iflag_f32_e32 v2, v2
	v_mul_f32_e32 v2, 0x4f7ffffe, v2
	v_cvt_u32_f32_e32 v2, v2
	v_mul_lo_u32 v3, s0, v2
	v_mul_hi_u32 v3, v2, v3
	v_add_u32_e32 v2, v2, v3
	v_readlane_b32 s0, v54, 33
	v_mul_hi_u32 v2, s0, v2
	v_mul_lo_u32 v2, v2, s33
	v_sub_u32_e32 v2, s0, v2
	v_subrev_u32_e32 v3, s33, v2
	v_cmp_le_u32_e32 vcc, s33, v2
	v_cndmask_b32_e32 v2, v2, v3, vcc
	v_subrev_u32_e32 v3, s33, v2
	v_cmp_le_u32_e32 vcc, s33, v2
	v_cndmask_b32_e32 v12, v2, v3, vcc
	v_pk_mov_b32 v[2:3], v[12:13], v[12:13] op_sel:[0,1]
.LBB61_96:                              ;   in Loop: Header=BB61_17 Depth=1
	v_readlane_b32 s0, v54, 33
	v_mov_b32_e32 v4, s91
	v_sub_co_u32_e32 v2, vcc, s0, v2
	v_subb_co_u32_e32 v3, vcc, v4, v3, vcc
	v_cmp_gt_i64_e32 vcc, v[2:3], v[0:1]
	s_mov_b64 s[0:1], 0
                                        ; implicit-def: $vgpr48
	s_and_saveexec_b64 s[2:3], vcc
	s_cbranch_execz .LBB61_107
; %bb.97:                               ;   in Loop: Header=BB61_17 Depth=1
	v_pk_mov_b32 v[4:5], v[10:11], v[10:11] op_sel:[0,1]
	v_pk_mov_b32 v[6:7], v[0:1], v[0:1] op_sel:[0,1]
                                        ; implicit-def: $sgpr8_sgpr9
	s_branch .LBB61_99
.LBB61_98:                              ;   in Loop: Header=BB61_99 Depth=2
	s_or_b64 exec, exec, s[6:7]
	s_waitcnt lgkmcnt(0)
	s_barrier
	s_waitcnt vmcnt(0)
	ds_read_b32 v8, v13 offset:3072
	v_mov_b32_e32 v9, s26
	v_add_co_u32_e64 v6, s[6:7], s33, v6
	v_addc_co_u32_e64 v7, s[6:7], v7, v9, s[6:7]
	s_waitcnt lgkmcnt(0)
	v_cmp_neq_f16_e32 vcc, 0, v8
	v_cmp_ge_i64_e64 s[6:7], v[6:7], v[2:3]
	s_or_b64 s[22:23], vcc, s[6:7]
	v_mov_b32_e32 v9, s81
	v_add_co_u32_e64 v4, s[6:7], s80, v4
	v_addc_co_u32_e64 v5, s[6:7], v5, v9, s[6:7]
	s_and_b64 s[6:7], exec, s[22:23]
	s_or_b64 s[0:1], s[6:7], s[0:1]
	s_andn2_b64 s[6:7], s[8:9], exec
	s_and_b64 s[8:9], vcc, exec
	s_or_b64 s[8:9], s[6:7], s[8:9]
	s_barrier
	s_andn2_b64 exec, exec, s[0:1]
	s_cbranch_execz .LBB61_106
.LBB61_99:                              ;   Parent Loop BB61_17 Depth=1
                                        ; =>  This Inner Loop Header: Depth=2
	v_cmp_gt_i64_e32 vcc, s[52:53], v[6:7]
	v_mov_b32_e32 v8, 0
	s_and_saveexec_b64 s[6:7], vcc
	s_cbranch_execz .LBB61_101
; %bb.100:                              ;   in Loop: Header=BB61_99 Depth=2
	global_load_ushort v8, v[4:5], off
.LBB61_101:                             ;   in Loop: Header=BB61_99 Depth=2
	s_or_b64 exec, exec, s[6:7]
	s_and_saveexec_b64 s[6:7], vcc
	s_cbranch_execz .LBB61_98
; %bb.102:                              ;   in Loop: Header=BB61_99 Depth=2
	s_waitcnt vmcnt(0)
	v_cmp_lt_i16_e32 vcc, -1, v8
	v_cndmask_b32_e32 v9, v43, v44, vcc
	v_xor_b32_sdwa v9, v9, v8 dst_sel:DWORD dst_unused:UNUSED_PAD src0_sel:DWORD src1_sel:WORD_0
	v_cmp_o_f16_e32 vcc, v8, v8
	v_cndmask_b32_e32 v9, v43, v9, vcc
	v_and_b32_e32 v9, s92, v9
	v_cmp_eq_u32_e32 vcc, s93, v9
	s_and_b64 exec, exec, vcc
	s_cbranch_execz .LBB61_98
; %bb.103:                              ;   in Loop: Header=BB61_99 Depth=2
	v_perm_b32 v8, v8, s27, v47
	ds_write_b32 v13, v8 offset:3072
	s_branch .LBB61_98
.LBB61_104:                             ;   in Loop: Header=BB61_17 Depth=1
	s_mov_b64 s[0:1], -1
                                        ; implicit-def: $sgpr2_sgpr3
                                        ; implicit-def: $sgpr8_sgpr9
                                        ; implicit-def: $sgpr6_sgpr7
	s_branch .LBB61_121
.LBB61_105:                             ;   in Loop: Header=BB61_17 Depth=1
	s_mov_b64 s[2:3], -1
	s_mov_b64 s[0:1], 0
                                        ; implicit-def: $sgpr6_sgpr7
                                        ; implicit-def: $vgpr48
	s_mov_b64 s[8:9], s[2:3]
	s_cbranch_execnz .LBB61_108
	s_branch .LBB61_121
.LBB61_106:                             ;   in Loop: Header=BB61_17 Depth=1
	s_or_b64 exec, exec, s[0:1]
	v_lshrrev_b32_e32 v48, 16, v8
	s_and_b64 s[0:1], s[8:9], exec
.LBB61_107:                             ;   in Loop: Header=BB61_17 Depth=1
	s_or_b64 exec, exec, s[2:3]
	s_mov_b64 s[6:7], -1
	s_mov_b64 s[2:3], 0
	s_mov_b64 s[8:9], s[2:3]
	s_branch .LBB61_121
.LBB61_108:                             ;   in Loop: Header=BB61_17 Depth=1
	v_readlane_b32 s0, v54, 32
	s_add_u32 s6, s0, s12
	v_readlane_b32 s0, v54, 34
	s_addc_u32 s1, s0, s13
	s_mov_b32 s0, s83
	s_cmp_lg_u64 s[0:1], 0
	s_cbranch_scc0 .LBB61_151
; %bb.109:                              ;   in Loop: Header=BB61_17 Depth=1
	v_cvt_f32_u32_e32 v2, s33
	s_sub_u32 s0, 0, s33
	s_subb_u32 s2, 0, 0
	v_mac_f32_e32 v2, 0x4f800000, v45
	v_rcp_f32_e32 v2, v2
	v_mul_f32_e32 v2, 0x5f7ffffc, v2
	v_mul_f32_e32 v3, 0x2f800000, v2
	v_trunc_f32_e32 v3, v3
	v_mac_f32_e32 v2, 0xcf800000, v3
	v_cvt_u32_f32_e32 v3, v3
	v_cvt_u32_f32_e32 v2, v2
	v_readfirstlane_b32 s3, v3
	v_readfirstlane_b32 s7, v2
	s_mul_i32 s8, s0, s3
	s_mul_hi_u32 s22, s0, s7
	s_mul_i32 s9, s2, s7
	s_add_i32 s8, s22, s8
	s_mul_i32 s23, s0, s7
	s_add_i32 s8, s8, s9
	s_mul_hi_u32 s22, s7, s23
	s_mul_hi_u32 s9, s7, s8
	s_mul_i32 s7, s7, s8
	s_add_u32 s7, s22, s7
	s_addc_u32 s9, 0, s9
	s_mul_hi_u32 s24, s3, s23
	s_mul_i32 s23, s3, s23
	s_add_u32 s7, s7, s23
	s_mul_hi_u32 s22, s3, s8
	s_addc_u32 s7, s9, s24
	s_addc_u32 s9, s22, 0
	s_mul_i32 s8, s3, s8
	s_add_u32 s7, s7, s8
	s_addc_u32 s8, 0, s9
	v_add_co_u32_e32 v2, vcc, s7, v2
	s_cmp_lg_u64 vcc, 0
	s_addc_u32 s3, s3, s8
	v_readfirstlane_b32 s8, v2
	s_mul_i32 s7, s0, s3
	s_mul_hi_u32 s9, s0, s8
	s_add_i32 s7, s9, s7
	s_mul_i32 s2, s2, s8
	s_add_i32 s7, s7, s2
	s_mul_i32 s0, s0, s8
	s_mul_hi_u32 s9, s3, s0
	s_mul_i32 s22, s3, s0
	s_mul_i32 s24, s8, s7
	s_mul_hi_u32 s0, s8, s0
	s_mul_hi_u32 s23, s8, s7
	s_add_u32 s0, s0, s24
	s_addc_u32 s8, 0, s23
	s_add_u32 s0, s0, s22
	s_mul_hi_u32 s2, s3, s7
	s_addc_u32 s0, s8, s9
	s_addc_u32 s2, s2, 0
	s_mul_i32 s7, s3, s7
	s_add_u32 s0, s0, s7
	s_addc_u32 s2, 0, s2
	v_add_co_u32_e32 v2, vcc, s0, v2
	s_cmp_lg_u64 vcc, 0
	s_addc_u32 s0, s3, s2
	s_ashr_i32 s2, s1, 31
	s_add_u32 s8, s6, s2
	s_mov_b32 s3, s2
	s_addc_u32 s9, s1, s2
	s_xor_b64 s[8:9], s[8:9], s[2:3]
	v_readfirstlane_b32 s22, v2
	s_mul_i32 s7, s8, s0
	s_mul_hi_u32 s23, s8, s22
	s_mul_hi_u32 s3, s8, s0
	s_add_u32 s7, s23, s7
	s_addc_u32 s3, 0, s3
	s_mul_hi_u32 s24, s9, s22
	s_mul_i32 s22, s9, s22
	s_add_u32 s7, s7, s22
	s_mul_hi_u32 s23, s9, s0
	s_addc_u32 s3, s3, s24
	s_addc_u32 s7, s23, 0
	s_mul_i32 s0, s9, s0
	s_add_u32 s0, s3, s0
	s_addc_u32 s3, 0, s7
	s_mul_hi_u32 s7, s33, s0
	s_mul_i32 s0, s33, s0
	s_mul_i32 s3, s33, s3
	v_mov_b32_e32 v2, s0
	s_add_i32 s7, s7, s3
	v_sub_co_u32_e32 v2, vcc, s8, v2
	s_cmp_lg_u64 vcc, 0
	s_subb_u32 s0, s9, s7
	v_subrev_co_u32_e32 v3, vcc, s33, v2
	s_cmp_lg_u64 vcc, 0
	s_subb_u32 s3, s0, 0
	v_subrev_co_u32_e32 v4, vcc, s33, v3
	s_cmp_lg_u64 vcc, 0
	s_subb_u32 s7, s3, 0
	v_cmp_le_u32_e32 vcc, s33, v3
	s_cmp_eq_u32 s3, 0
	v_cndmask_b32_e64 v5, 0, -1, vcc
	s_cselect_b64 vcc, -1, 0
	v_cndmask_b32_e32 v5, -1, v5, vcc
	v_mov_b32_e32 v6, s3
	v_mov_b32_e32 v7, s7
	v_cmp_ne_u32_e32 vcc, 0, v5
	v_cndmask_b32_e32 v5, v6, v7, vcc
	v_cndmask_b32_e32 v3, v3, v4, vcc
	v_cmp_le_u32_e32 vcc, s33, v2
	s_cmp_eq_u32 s0, 0
	v_cndmask_b32_e64 v4, 0, -1, vcc
	s_cselect_b64 vcc, -1, 0
	v_cndmask_b32_e32 v4, -1, v4, vcc
	v_cmp_ne_u32_e32 vcc, 0, v4
	v_mov_b32_e32 v6, s0
	v_cndmask_b32_e32 v2, v2, v3, vcc
	v_cndmask_b32_e32 v4, v6, v5, vcc
	v_xor_b32_e32 v2, s2, v2
	v_xor_b32_e32 v3, s2, v4
	v_mov_b32_e32 v4, s2
	v_subrev_co_u32_e32 v2, vcc, s2, v2
	v_subb_co_u32_e32 v3, vcc, v3, v4, vcc
	s_cbranch_execnz .LBB61_111
.LBB61_110:                             ;   in Loop: Header=BB61_17 Depth=1
	v_cvt_f32_u32_e32 v2, s33
	s_sub_i32 s0, 0, s33
	v_rcp_iflag_f32_e32 v2, v2
	v_mul_f32_e32 v2, 0x4f7ffffe, v2
	v_cvt_u32_f32_e32 v2, v2
	v_mul_lo_u32 v3, s0, v2
	v_mul_hi_u32 v3, v2, v3
	v_add_u32_e32 v2, v2, v3
	v_mul_hi_u32 v2, s6, v2
	v_mul_lo_u32 v2, v2, s33
	v_sub_u32_e32 v2, s6, v2
	v_subrev_u32_e32 v3, s33, v2
	v_cmp_le_u32_e32 vcc, s33, v2
	v_cndmask_b32_e32 v2, v2, v3, vcc
	v_subrev_u32_e32 v3, s33, v2
	v_cmp_le_u32_e32 vcc, s33, v2
	v_cndmask_b32_e32 v12, v2, v3, vcc
	v_pk_mov_b32 v[2:3], v[12:13], v[12:13] op_sel:[0,1]
.LBB61_111:                             ;   in Loop: Header=BB61_17 Depth=1
	v_mov_b32_e32 v4, s1
	v_sub_co_u32_e32 v2, vcc, s6, v2
	v_subb_co_u32_e32 v3, vcc, v4, v3, vcc
	v_cmp_gt_i64_e32 vcc, v[2:3], v[0:1]
	s_mov_b64 s[0:1], 0
                                        ; implicit-def: $vgpr48
	s_and_saveexec_b64 s[2:3], vcc
	s_cbranch_execz .LBB61_120
; %bb.112:                              ;   in Loop: Header=BB61_17 Depth=1
	v_mov_b32_e32 v6, v35
	v_pk_mov_b32 v[4:5], v[0:1], v[0:1] op_sel:[0,1]
                                        ; implicit-def: $sgpr8_sgpr9
	s_branch .LBB61_114
.LBB61_113:                             ;   in Loop: Header=BB61_114 Depth=2
	s_or_b64 exec, exec, s[6:7]
	s_waitcnt lgkmcnt(0)
	s_barrier
	ds_read_b32 v7, v13 offset:3072
	v_mov_b32_e32 v8, s26
	v_add_co_u32_e64 v4, s[6:7], s33, v4
	v_addc_co_u32_e64 v5, s[6:7], v5, v8, s[6:7]
	s_waitcnt lgkmcnt(0)
	v_cmp_neq_f16_e32 vcc, 0, v7
	v_cmp_ge_i64_e64 s[6:7], v[4:5], v[2:3]
	s_or_b64 s[6:7], vcc, s[6:7]
	s_and_b64 s[6:7], exec, s[6:7]
	s_or_b64 s[0:1], s[6:7], s[0:1]
	s_andn2_b64 s[6:7], s[8:9], exec
	s_and_b64 s[8:9], vcc, exec
	v_add_u32_e32 v6, s61, v6
	s_or_b64 s[8:9], s[6:7], s[8:9]
	s_barrier
	s_andn2_b64 exec, exec, s[0:1]
	s_cbranch_execz .LBB61_119
.LBB61_114:                             ;   Parent Loop BB61_17 Depth=1
                                        ; =>  This Inner Loop Header: Depth=2
	v_cmp_gt_i64_e32 vcc, s[12:13], v[4:5]
	v_mov_b32_e32 v7, 0
	s_and_saveexec_b64 s[6:7], vcc
	s_cbranch_execz .LBB61_116
; %bb.115:                              ;   in Loop: Header=BB61_114 Depth=2
	ds_read_u16 v7, v6
.LBB61_116:                             ;   in Loop: Header=BB61_114 Depth=2
	s_or_b64 exec, exec, s[6:7]
	s_and_saveexec_b64 s[6:7], vcc
	s_cbranch_execz .LBB61_113
; %bb.117:                              ;   in Loop: Header=BB61_114 Depth=2
	s_waitcnt lgkmcnt(0)
	v_cmp_lt_i16_e32 vcc, -1, v7
	v_cndmask_b32_e32 v8, v43, v44, vcc
	v_xor_b32_sdwa v8, v8, v7 dst_sel:DWORD dst_unused:UNUSED_PAD src0_sel:DWORD src1_sel:WORD_0
	v_cmp_o_f16_e32 vcc, v7, v7
	v_cndmask_b32_e32 v8, v43, v8, vcc
	v_and_b32_e32 v8, s92, v8
	v_cmp_eq_u32_e32 vcc, s93, v8
	s_and_b64 exec, exec, vcc
	s_cbranch_execz .LBB61_113
; %bb.118:                              ;   in Loop: Header=BB61_114 Depth=2
	v_perm_b32 v7, v7, s27, v47
	ds_write_b32 v13, v7 offset:3072
	s_branch .LBB61_113
.LBB61_119:                             ;   in Loop: Header=BB61_17 Depth=1
	s_or_b64 exec, exec, s[0:1]
	v_lshrrev_b32_e32 v48, 16, v7
	s_and_b64 s[0:1], s[8:9], exec
.LBB61_120:                             ;   in Loop: Header=BB61_17 Depth=1
	s_or_b64 exec, exec, s[2:3]
	s_mov_b64 s[8:9], -1
	s_mov_b64 s[2:3], 0
	s_mov_b64 s[6:7], 0
.LBB61_121:                             ;   in Loop: Header=BB61_17 Depth=1
	s_andn2_b64 s[12:13], s[64:65], exec
	s_and_b64 s[2:3], s[2:3], exec
	s_or_b64 s[64:65], s[12:13], s[2:3]
	s_andn2_b64 s[2:3], s[74:75], exec
	s_and_b64 s[8:9], s[8:9], exec
	s_or_b64 s[74:75], s[2:3], s[8:9]
	;; [unrolled: 3-line block ×3, first 2 shown]
	s_and_saveexec_b64 s[12:13], s[0:1]
	s_cbranch_execz .LBB61_16
; %bb.122:                              ;   in Loop: Header=BB61_17 Depth=1
	s_xor_b64 s[0:1], s[20:21], -1
	s_andn2_b64 vcc, exec, s[0:1]
	s_mov_b32 s45, 1
	s_cbranch_vccnz .LBB61_133
; %bb.123:                              ;   in Loop: Header=BB61_17 Depth=1
	v_pk_mov_b32 v[2:3], s[14:15], s[14:15] op_sel:[0,1]
	v_cmp_gt_i64_e32 vcc, s[54:55], v[2:3]
	s_mov_b64 s[0:1], -1
                                        ; implicit-def: $sgpr45
                                        ; implicit-def: $sgpr2
                                        ; implicit-def: $sgpr3
	s_cbranch_vccnz .LBB61_129
; %bb.124:                              ;   in Loop: Header=BB61_17 Depth=1
	ds_read_b64 v[2:3], v13 offset:5120
	s_waitcnt lgkmcnt(0)
	v_cmp_ne_u64_e32 vcc, 0, v[2:3]
	s_cbranch_vccnz .LBB61_128
; %bb.125:                              ;   in Loop: Header=BB61_17 Depth=1
	s_mov_b64 s[0:1], exec
	v_readlane_b32 s2, v54, 12
	v_readlane_b32 s3, v54, 13
	s_and_b64 s[2:3], s[0:1], s[2:3]
	s_mov_b64 exec, s[2:3]
	s_cbranch_execz .LBB61_127
; %bb.126:                              ;   in Loop: Header=BB61_17 Depth=1
	v_pk_mov_b32 v[2:3], s[14:15], s[14:15] op_sel:[0,1]
	ds_write_b64 v13, v[2:3] offset:5128
.LBB61_127:                             ;   in Loop: Header=BB61_17 Depth=1
	s_or_b64 exec, exec, s[0:1]
	s_waitcnt lgkmcnt(0)
	s_barrier
.LBB61_128:                             ;   in Loop: Header=BB61_17 Depth=1
	s_and_b32 s2, s93, s41
	s_or_b32 s3, s92, s44
	s_mov_b64 s[0:1], 0
	s_mov_b32 s45, 8
.LBB61_129:                             ;   in Loop: Header=BB61_17 Depth=1
	s_andn2_b64 vcc, exec, s[0:1]
	s_cbranch_vccnz .LBB61_131
; %bb.130:                              ;   in Loop: Header=BB61_17 Depth=1
	s_sub_u32 s54, s54, s14
	s_subb_u32 s55, s55, s15
	s_mov_b64 s[0:1], -1
	s_mov_b32 s45, 0
	s_mov_b32 s2, s93
	;; [unrolled: 1-line block ×3, first 2 shown]
.LBB61_131:                             ;   in Loop: Header=BB61_17 Depth=1
	s_mov_b32 s92, s3
	s_mov_b32 s93, s2
	s_mov_b64 s[14:15], -1
	s_and_b64 vcc, exec, s[0:1]
	s_cbranch_vccnz .LBB61_134
.LBB61_132:                             ;   in Loop: Header=BB61_17 Depth=1
	s_mov_b64 s[2:3], -1
                                        ; implicit-def: $sgpr18_sgpr19
                                        ; implicit-def: $sgpr22_sgpr23
                                        ; implicit-def: $sgpr20_sgpr21
	s_and_saveexec_b64 s[0:1], s[2:3]
	s_xor_b64 s[0:1], exec, s[0:1]
	s_cbranch_execz .LBB61_15
	s_branch .LBB61_280
.LBB61_133:                             ;   in Loop: Header=BB61_17 Depth=1
	s_mov_b64 s[54:55], 1
	s_mov_b64 s[14:15], -1
	s_branch .LBB61_132
.LBB61_134:                             ;   in Loop: Header=BB61_17 Depth=1
	s_cmp_eq_u64 s[28:29], 1
	s_cselect_b64 s[0:1], -1, 0
	s_cmp_eq_u64 s[54:55], 1
	s_cselect_b64 s[2:3], -1, 0
	s_and_b64 s[30:31], s[0:1], s[2:3]
	s_mov_b64 s[0:1], -1
	s_and_b64 vcc, exec, s[30:31]
	s_cbranch_vccz .LBB61_149
; %bb.135:                              ;   in Loop: Header=BB61_17 Depth=1
	ds_read_b64 v[2:3], v13 offset:5120
	s_waitcnt lgkmcnt(0)
	s_barrier
	v_readfirstlane_b32 s24, v2
	v_readfirstlane_b32 s25, v3
	s_mov_b64 s[0:1], exec
	v_readlane_b32 s2, v54, 24
	v_readlane_b32 s3, v54, 25
	s_and_b64 s[2:3], s[0:1], s[2:3]
	s_mov_b64 exec, s[2:3]
	s_cbranch_execz .LBB61_137
; %bb.136:                              ;   in Loop: Header=BB61_17 Depth=1
	ds_write_b16 v36, v13
.LBB61_137:                             ;   in Loop: Header=BB61_17 Depth=1
	s_or_b64 exec, exec, s[0:1]
	s_lshl_b32 s0, 1, s40
	s_and_b32 s1, s93, s41
	s_or_b32 s93, s1, s0
	v_cmp_gt_i64_e64 s[0:1], s[24:25], 0
	s_or_b32 s92, s92, s44
	s_and_b64 vcc, exec, s[0:1]
	s_waitcnt lgkmcnt(0)
	s_barrier
	s_cbranch_vccnz .LBB61_152
; %bb.138:                              ;   in Loop: Header=BB61_17 Depth=1
	s_mov_b32 s90, s83
	s_cmp_lg_u64 s[90:91], 0
	s_cbranch_scc0 .LBB61_197
; %bb.139:                              ;   in Loop: Header=BB61_17 Depth=1
	v_cvt_f32_u32_e32 v2, s33
	s_sub_u32 s0, 0, s33
	s_subb_u32 s1, 0, 0
	v_mac_f32_e32 v2, 0x4f800000, v45
	v_rcp_f32_e32 v2, v2
	v_mul_f32_e32 v2, 0x5f7ffffc, v2
	v_mul_f32_e32 v3, 0x2f800000, v2
	v_trunc_f32_e32 v3, v3
	v_mac_f32_e32 v2, 0xcf800000, v3
	v_cvt_u32_f32_e32 v3, v3
	v_cvt_u32_f32_e32 v2, v2
	v_readfirstlane_b32 s2, v3
	v_readfirstlane_b32 s3, v2
	s_mul_i32 s6, s0, s2
	s_mul_hi_u32 s8, s0, s3
	s_mul_i32 s7, s1, s3
	s_add_i32 s6, s8, s6
	s_mul_i32 s9, s0, s3
	s_add_i32 s6, s6, s7
	s_mul_hi_u32 s8, s3, s9
	s_mul_hi_u32 s7, s3, s6
	s_mul_i32 s3, s3, s6
	s_add_u32 s3, s8, s3
	s_addc_u32 s7, 0, s7
	s_mul_hi_u32 s18, s2, s9
	s_mul_i32 s9, s2, s9
	s_add_u32 s3, s3, s9
	s_mul_hi_u32 s8, s2, s6
	s_addc_u32 s3, s7, s18
	s_addc_u32 s7, s8, 0
	s_mul_i32 s6, s2, s6
	s_add_u32 s3, s3, s6
	s_addc_u32 s6, 0, s7
	v_add_co_u32_e32 v2, vcc, s3, v2
	s_cmp_lg_u64 vcc, 0
	s_addc_u32 s2, s2, s6
	v_readfirstlane_b32 s6, v2
	s_mul_i32 s3, s0, s2
	s_mul_hi_u32 s7, s0, s6
	s_add_i32 s3, s7, s3
	s_mul_i32 s1, s1, s6
	s_add_i32 s3, s3, s1
	s_mul_i32 s0, s0, s6
	s_mul_hi_u32 s7, s2, s0
	s_mul_i32 s8, s2, s0
	s_mul_i32 s18, s6, s3
	s_mul_hi_u32 s0, s6, s0
	s_mul_hi_u32 s9, s6, s3
	s_add_u32 s0, s0, s18
	s_addc_u32 s6, 0, s9
	s_add_u32 s0, s0, s8
	s_mul_hi_u32 s1, s2, s3
	s_addc_u32 s0, s6, s7
	s_addc_u32 s1, s1, 0
	s_mul_i32 s3, s2, s3
	s_add_u32 s0, s0, s3
	s_addc_u32 s1, 0, s1
	v_add_co_u32_e32 v2, vcc, s0, v2
	s_cmp_lg_u64 vcc, 0
	s_addc_u32 s6, s2, s1
	s_ashr_i32 s0, s91, 31
	v_readlane_b32 s2, v54, 33
	s_add_u32 s2, s2, s0
	s_mov_b32 s1, s0
	s_addc_u32 s3, s91, s0
	s_xor_b64 s[2:3], s[2:3], s[0:1]
	v_readfirstlane_b32 s8, v2
	s_mul_i32 s7, s2, s6
	s_mul_hi_u32 s9, s2, s8
	s_mul_hi_u32 s1, s2, s6
	s_add_u32 s7, s9, s7
	s_addc_u32 s1, 0, s1
	s_mul_hi_u32 s18, s3, s8
	s_mul_i32 s8, s3, s8
	s_add_u32 s7, s7, s8
	s_mul_hi_u32 s9, s3, s6
	s_addc_u32 s1, s1, s18
	s_addc_u32 s7, s9, 0
	s_mul_i32 s6, s3, s6
	s_add_u32 s1, s1, s6
	s_addc_u32 s6, 0, s7
	s_mul_hi_u32 s7, s33, s1
	s_mul_i32 s1, s33, s1
	s_mul_i32 s6, s33, s6
	v_mov_b32_e32 v2, s1
	s_add_i32 s7, s7, s6
	v_sub_co_u32_e32 v2, vcc, s2, v2
	s_cmp_lg_u64 vcc, 0
	s_subb_u32 s1, s3, s7
	v_subrev_co_u32_e32 v3, vcc, s33, v2
	s_cmp_lg_u64 vcc, 0
	s_subb_u32 s2, s1, 0
	v_subrev_co_u32_e32 v4, vcc, s33, v3
	s_cmp_lg_u64 vcc, 0
	s_subb_u32 s3, s2, 0
	v_cmp_le_u32_e32 vcc, s33, v3
	s_cmp_eq_u32 s2, 0
	v_cndmask_b32_e64 v5, 0, -1, vcc
	s_cselect_b64 vcc, -1, 0
	v_cndmask_b32_e32 v5, -1, v5, vcc
	v_mov_b32_e32 v6, s2
	v_mov_b32_e32 v7, s3
	v_cmp_ne_u32_e32 vcc, 0, v5
	v_cndmask_b32_e32 v5, v6, v7, vcc
	v_cndmask_b32_e32 v3, v3, v4, vcc
	v_cmp_le_u32_e32 vcc, s33, v2
	s_cmp_eq_u32 s1, 0
	v_cndmask_b32_e64 v4, 0, -1, vcc
	s_cselect_b64 vcc, -1, 0
	v_cndmask_b32_e32 v4, -1, v4, vcc
	v_cmp_ne_u32_e32 vcc, 0, v4
	v_mov_b32_e32 v6, s1
	v_cndmask_b32_e32 v2, v2, v3, vcc
	v_cndmask_b32_e32 v4, v6, v5, vcc
	v_xor_b32_e32 v2, s0, v2
	v_xor_b32_e32 v3, s0, v4
	v_mov_b32_e32 v4, s0
	v_subrev_co_u32_e32 v2, vcc, s0, v2
	v_subb_co_u32_e32 v3, vcc, v3, v4, vcc
	s_cbranch_execnz .LBB61_141
.LBB61_140:                             ;   in Loop: Header=BB61_17 Depth=1
	v_cvt_f32_u32_e32 v2, s33
	s_sub_i32 s0, 0, s33
	v_rcp_iflag_f32_e32 v2, v2
	v_mul_f32_e32 v2, 0x4f7ffffe, v2
	v_cvt_u32_f32_e32 v2, v2
	v_mul_lo_u32 v3, s0, v2
	v_mul_hi_u32 v3, v2, v3
	v_add_u32_e32 v2, v2, v3
	v_readlane_b32 s0, v54, 33
	v_mul_hi_u32 v2, s0, v2
	v_mul_lo_u32 v2, v2, s33
	v_sub_u32_e32 v2, s0, v2
	v_subrev_u32_e32 v3, s33, v2
	v_cmp_le_u32_e32 vcc, s33, v2
	v_cndmask_b32_e32 v2, v2, v3, vcc
	v_subrev_u32_e32 v3, s33, v2
	v_cmp_le_u32_e32 vcc, s33, v2
	v_cndmask_b32_e32 v12, v2, v3, vcc
	v_pk_mov_b32 v[2:3], v[12:13], v[12:13] op_sel:[0,1]
.LBB61_141:                             ;   in Loop: Header=BB61_17 Depth=1
	v_readlane_b32 s0, v54, 33
	v_mov_b32_e32 v4, s91
	v_sub_co_u32_e32 v2, vcc, s0, v2
	v_subb_co_u32_e32 v3, vcc, v4, v3, vcc
	v_cmp_gt_i64_e32 vcc, v[2:3], v[0:1]
	s_mov_b64 s[0:1], 0
                                        ; implicit-def: $vgpr48
	s_and_saveexec_b64 s[2:3], vcc
	s_cbranch_execz .LBB61_154
; %bb.142:                              ;   in Loop: Header=BB61_17 Depth=1
	v_pk_mov_b32 v[4:5], v[10:11], v[10:11] op_sel:[0,1]
	v_pk_mov_b32 v[6:7], v[0:1], v[0:1] op_sel:[0,1]
                                        ; implicit-def: $sgpr8_sgpr9
	s_branch .LBB61_144
.LBB61_143:                             ;   in Loop: Header=BB61_144 Depth=2
	s_or_b64 exec, exec, s[6:7]
	s_waitcnt lgkmcnt(0)
	s_barrier
	s_waitcnt vmcnt(0)
	ds_read_b32 v8, v13 offset:3072
	v_mov_b32_e32 v9, s26
	v_add_co_u32_e64 v6, s[6:7], s33, v6
	v_addc_co_u32_e64 v7, s[6:7], v7, v9, s[6:7]
	s_waitcnt lgkmcnt(0)
	v_cmp_neq_f16_e32 vcc, 0, v8
	v_cmp_ge_i64_e64 s[6:7], v[6:7], v[2:3]
	s_or_b64 s[18:19], vcc, s[6:7]
	v_mov_b32_e32 v9, s81
	v_add_co_u32_e64 v4, s[6:7], s80, v4
	v_addc_co_u32_e64 v5, s[6:7], v5, v9, s[6:7]
	s_and_b64 s[6:7], exec, s[18:19]
	s_or_b64 s[0:1], s[6:7], s[0:1]
	s_andn2_b64 s[6:7], s[8:9], exec
	s_and_b64 s[8:9], vcc, exec
	s_or_b64 s[8:9], s[6:7], s[8:9]
	s_barrier
	s_andn2_b64 exec, exec, s[0:1]
	s_cbranch_execz .LBB61_153
.LBB61_144:                             ;   Parent Loop BB61_17 Depth=1
                                        ; =>  This Inner Loop Header: Depth=2
	v_cmp_gt_i64_e32 vcc, s[52:53], v[6:7]
	v_mov_b32_e32 v8, 0
	s_and_saveexec_b64 s[6:7], vcc
	s_cbranch_execz .LBB61_146
; %bb.145:                              ;   in Loop: Header=BB61_144 Depth=2
	global_load_ushort v8, v[4:5], off
.LBB61_146:                             ;   in Loop: Header=BB61_144 Depth=2
	s_or_b64 exec, exec, s[6:7]
	s_and_saveexec_b64 s[6:7], vcc
	s_cbranch_execz .LBB61_143
; %bb.147:                              ;   in Loop: Header=BB61_144 Depth=2
	s_waitcnt vmcnt(0)
	v_cmp_lt_i16_e32 vcc, -1, v8
	v_cndmask_b32_e32 v9, v43, v44, vcc
	v_xor_b32_sdwa v9, v9, v8 dst_sel:DWORD dst_unused:UNUSED_PAD src0_sel:DWORD src1_sel:WORD_0
	v_cmp_o_f16_e32 vcc, v8, v8
	v_cndmask_b32_e32 v9, v43, v9, vcc
	v_and_b32_e32 v9, s92, v9
	v_cmp_eq_u32_e32 vcc, s93, v9
	s_and_b64 exec, exec, vcc
	s_cbranch_execz .LBB61_143
; %bb.148:                              ;   in Loop: Header=BB61_144 Depth=2
	v_perm_b32 v8, v8, s27, v47
	ds_write_b32 v13, v8 offset:3072
	s_branch .LBB61_143
.LBB61_149:                             ;   in Loop: Header=BB61_17 Depth=1
                                        ; implicit-def: $sgpr20_sgpr21
                                        ; implicit-def: $sgpr22_sgpr23
                                        ; implicit-def: $sgpr18_sgpr19
	s_branch .LBB61_168
.LBB61_150:                             ;   in Loop: Header=BB61_17 Depth=1
                                        ; implicit-def: $vgpr2_vgpr3
	s_branch .LBB61_95
.LBB61_151:                             ;   in Loop: Header=BB61_17 Depth=1
                                        ; implicit-def: $vgpr2_vgpr3
	s_branch .LBB61_110
.LBB61_152:                             ;   in Loop: Header=BB61_17 Depth=1
	s_mov_b64 s[20:21], -1
	s_mov_b64 s[0:1], 0
                                        ; implicit-def: $sgpr18_sgpr19
                                        ; implicit-def: $vgpr48
	s_mov_b64 s[22:23], s[20:21]
	s_cbranch_execnz .LBB61_155
	s_branch .LBB61_168
.LBB61_153:                             ;   in Loop: Header=BB61_17 Depth=1
	s_or_b64 exec, exec, s[0:1]
	v_lshrrev_b32_e32 v48, 16, v8
	s_and_b64 s[0:1], s[8:9], exec
.LBB61_154:                             ;   in Loop: Header=BB61_17 Depth=1
	s_or_b64 exec, exec, s[2:3]
	s_mov_b64 s[18:19], -1
	s_mov_b64 s[20:21], 0
	s_mov_b64 s[22:23], s[20:21]
	s_branch .LBB61_168
.LBB61_155:                             ;   in Loop: Header=BB61_17 Depth=1
	v_readlane_b32 s0, v54, 32
	s_add_u32 s6, s0, s24
	v_readlane_b32 s0, v54, 34
	s_addc_u32 s1, s0, s25
	s_mov_b32 s0, s83
	s_cmp_lg_u64 s[0:1], 0
	s_cbranch_scc0 .LBB61_198
; %bb.156:                              ;   in Loop: Header=BB61_17 Depth=1
	v_cvt_f32_u32_e32 v2, s33
	s_sub_u32 s0, 0, s33
	s_subb_u32 s2, 0, 0
	v_mac_f32_e32 v2, 0x4f800000, v45
	v_rcp_f32_e32 v2, v2
	v_mul_f32_e32 v2, 0x5f7ffffc, v2
	v_mul_f32_e32 v3, 0x2f800000, v2
	v_trunc_f32_e32 v3, v3
	v_mac_f32_e32 v2, 0xcf800000, v3
	v_cvt_u32_f32_e32 v3, v3
	v_cvt_u32_f32_e32 v2, v2
	v_readfirstlane_b32 s3, v3
	v_readfirstlane_b32 s7, v2
	s_mul_i32 s8, s0, s3
	s_mul_hi_u32 s18, s0, s7
	s_mul_i32 s9, s2, s7
	s_add_i32 s8, s18, s8
	s_mul_i32 s19, s0, s7
	s_add_i32 s8, s8, s9
	s_mul_hi_u32 s18, s7, s19
	s_mul_hi_u32 s9, s7, s8
	s_mul_i32 s7, s7, s8
	s_add_u32 s7, s18, s7
	s_addc_u32 s9, 0, s9
	s_mul_hi_u32 s20, s3, s19
	s_mul_i32 s19, s3, s19
	s_add_u32 s7, s7, s19
	s_mul_hi_u32 s18, s3, s8
	s_addc_u32 s7, s9, s20
	s_addc_u32 s9, s18, 0
	s_mul_i32 s8, s3, s8
	s_add_u32 s7, s7, s8
	s_addc_u32 s8, 0, s9
	v_add_co_u32_e32 v2, vcc, s7, v2
	s_cmp_lg_u64 vcc, 0
	s_addc_u32 s3, s3, s8
	v_readfirstlane_b32 s8, v2
	s_mul_i32 s7, s0, s3
	s_mul_hi_u32 s9, s0, s8
	s_add_i32 s7, s9, s7
	s_mul_i32 s2, s2, s8
	s_add_i32 s7, s7, s2
	s_mul_i32 s0, s0, s8
	s_mul_hi_u32 s9, s3, s0
	s_mul_i32 s18, s3, s0
	s_mul_i32 s20, s8, s7
	s_mul_hi_u32 s0, s8, s0
	s_mul_hi_u32 s19, s8, s7
	s_add_u32 s0, s0, s20
	s_addc_u32 s8, 0, s19
	s_add_u32 s0, s0, s18
	s_mul_hi_u32 s2, s3, s7
	s_addc_u32 s0, s8, s9
	s_addc_u32 s2, s2, 0
	s_mul_i32 s7, s3, s7
	s_add_u32 s0, s0, s7
	s_addc_u32 s2, 0, s2
	v_add_co_u32_e32 v2, vcc, s0, v2
	s_cmp_lg_u64 vcc, 0
	s_addc_u32 s0, s3, s2
	s_ashr_i32 s2, s1, 31
	s_add_u32 s8, s6, s2
	s_mov_b32 s3, s2
	s_addc_u32 s9, s1, s2
	s_xor_b64 s[8:9], s[8:9], s[2:3]
	v_readfirstlane_b32 s18, v2
	s_mul_i32 s7, s8, s0
	s_mul_hi_u32 s19, s8, s18
	s_mul_hi_u32 s3, s8, s0
	s_add_u32 s7, s19, s7
	s_addc_u32 s3, 0, s3
	s_mul_hi_u32 s20, s9, s18
	s_mul_i32 s18, s9, s18
	s_add_u32 s7, s7, s18
	s_mul_hi_u32 s19, s9, s0
	s_addc_u32 s3, s3, s20
	s_addc_u32 s7, s19, 0
	s_mul_i32 s0, s9, s0
	s_add_u32 s0, s3, s0
	s_addc_u32 s3, 0, s7
	s_mul_hi_u32 s7, s33, s0
	s_mul_i32 s0, s33, s0
	s_mul_i32 s3, s33, s3
	v_mov_b32_e32 v2, s0
	s_add_i32 s7, s7, s3
	v_sub_co_u32_e32 v2, vcc, s8, v2
	s_cmp_lg_u64 vcc, 0
	s_subb_u32 s0, s9, s7
	v_subrev_co_u32_e32 v3, vcc, s33, v2
	s_cmp_lg_u64 vcc, 0
	s_subb_u32 s3, s0, 0
	v_subrev_co_u32_e32 v4, vcc, s33, v3
	s_cmp_lg_u64 vcc, 0
	s_subb_u32 s7, s3, 0
	v_cmp_le_u32_e32 vcc, s33, v3
	s_cmp_eq_u32 s3, 0
	v_cndmask_b32_e64 v5, 0, -1, vcc
	s_cselect_b64 vcc, -1, 0
	v_cndmask_b32_e32 v5, -1, v5, vcc
	v_mov_b32_e32 v6, s3
	v_mov_b32_e32 v7, s7
	v_cmp_ne_u32_e32 vcc, 0, v5
	v_cndmask_b32_e32 v5, v6, v7, vcc
	v_cndmask_b32_e32 v3, v3, v4, vcc
	v_cmp_le_u32_e32 vcc, s33, v2
	s_cmp_eq_u32 s0, 0
	v_cndmask_b32_e64 v4, 0, -1, vcc
	s_cselect_b64 vcc, -1, 0
	v_cndmask_b32_e32 v4, -1, v4, vcc
	v_cmp_ne_u32_e32 vcc, 0, v4
	v_mov_b32_e32 v6, s0
	v_cndmask_b32_e32 v2, v2, v3, vcc
	v_cndmask_b32_e32 v4, v6, v5, vcc
	v_xor_b32_e32 v2, s2, v2
	v_xor_b32_e32 v3, s2, v4
	v_mov_b32_e32 v4, s2
	v_subrev_co_u32_e32 v2, vcc, s2, v2
	v_subb_co_u32_e32 v3, vcc, v3, v4, vcc
	s_cbranch_execnz .LBB61_158
.LBB61_157:                             ;   in Loop: Header=BB61_17 Depth=1
	v_cvt_f32_u32_e32 v2, s33
	s_sub_i32 s0, 0, s33
	v_rcp_iflag_f32_e32 v2, v2
	v_mul_f32_e32 v2, 0x4f7ffffe, v2
	v_cvt_u32_f32_e32 v2, v2
	v_mul_lo_u32 v3, s0, v2
	v_mul_hi_u32 v3, v2, v3
	v_add_u32_e32 v2, v2, v3
	v_mul_hi_u32 v2, s6, v2
	v_mul_lo_u32 v2, v2, s33
	v_sub_u32_e32 v2, s6, v2
	v_subrev_u32_e32 v3, s33, v2
	v_cmp_le_u32_e32 vcc, s33, v2
	v_cndmask_b32_e32 v2, v2, v3, vcc
	v_subrev_u32_e32 v3, s33, v2
	v_cmp_le_u32_e32 vcc, s33, v2
	v_cndmask_b32_e32 v12, v2, v3, vcc
	v_pk_mov_b32 v[2:3], v[12:13], v[12:13] op_sel:[0,1]
.LBB61_158:                             ;   in Loop: Header=BB61_17 Depth=1
	v_mov_b32_e32 v4, s1
	v_sub_co_u32_e32 v2, vcc, s6, v2
	v_subb_co_u32_e32 v3, vcc, v4, v3, vcc
	v_cmp_gt_i64_e32 vcc, v[2:3], v[0:1]
	s_mov_b64 s[0:1], 0
                                        ; implicit-def: $vgpr48
	s_and_saveexec_b64 s[2:3], vcc
	s_cbranch_execz .LBB61_167
; %bb.159:                              ;   in Loop: Header=BB61_17 Depth=1
	v_mov_b32_e32 v6, v35
	v_pk_mov_b32 v[4:5], v[0:1], v[0:1] op_sel:[0,1]
                                        ; implicit-def: $sgpr8_sgpr9
	s_branch .LBB61_161
.LBB61_160:                             ;   in Loop: Header=BB61_161 Depth=2
	s_or_b64 exec, exec, s[6:7]
	s_waitcnt lgkmcnt(0)
	s_barrier
	ds_read_b32 v7, v13 offset:3072
	v_mov_b32_e32 v8, s26
	v_add_co_u32_e64 v4, s[6:7], s33, v4
	v_addc_co_u32_e64 v5, s[6:7], v5, v8, s[6:7]
	s_waitcnt lgkmcnt(0)
	v_cmp_neq_f16_e32 vcc, 0, v7
	v_cmp_ge_i64_e64 s[6:7], v[4:5], v[2:3]
	s_or_b64 s[6:7], vcc, s[6:7]
	s_and_b64 s[6:7], exec, s[6:7]
	s_or_b64 s[0:1], s[6:7], s[0:1]
	s_andn2_b64 s[6:7], s[8:9], exec
	s_and_b64 s[8:9], vcc, exec
	v_add_u32_e32 v6, s61, v6
	s_or_b64 s[8:9], s[6:7], s[8:9]
	s_barrier
	s_andn2_b64 exec, exec, s[0:1]
	s_cbranch_execz .LBB61_166
.LBB61_161:                             ;   Parent Loop BB61_17 Depth=1
                                        ; =>  This Inner Loop Header: Depth=2
	v_cmp_gt_i64_e32 vcc, s[24:25], v[4:5]
	v_mov_b32_e32 v7, 0
	s_and_saveexec_b64 s[6:7], vcc
	s_cbranch_execz .LBB61_163
; %bb.162:                              ;   in Loop: Header=BB61_161 Depth=2
	ds_read_u16 v7, v6
.LBB61_163:                             ;   in Loop: Header=BB61_161 Depth=2
	s_or_b64 exec, exec, s[6:7]
	s_and_saveexec_b64 s[6:7], vcc
	s_cbranch_execz .LBB61_160
; %bb.164:                              ;   in Loop: Header=BB61_161 Depth=2
	s_waitcnt lgkmcnt(0)
	v_cmp_lt_i16_e32 vcc, -1, v7
	v_cndmask_b32_e32 v8, v43, v44, vcc
	v_xor_b32_sdwa v8, v8, v7 dst_sel:DWORD dst_unused:UNUSED_PAD src0_sel:DWORD src1_sel:WORD_0
	v_cmp_o_f16_e32 vcc, v7, v7
	v_cndmask_b32_e32 v8, v43, v8, vcc
	v_and_b32_e32 v8, s92, v8
	v_cmp_eq_u32_e32 vcc, s93, v8
	s_and_b64 exec, exec, vcc
	s_cbranch_execz .LBB61_160
; %bb.165:                              ;   in Loop: Header=BB61_161 Depth=2
	v_perm_b32 v7, v7, s27, v47
	ds_write_b32 v13, v7 offset:3072
	s_branch .LBB61_160
.LBB61_166:                             ;   in Loop: Header=BB61_17 Depth=1
	s_or_b64 exec, exec, s[0:1]
	v_lshrrev_b32_e32 v48, 16, v7
	s_and_b64 s[0:1], s[8:9], exec
.LBB61_167:                             ;   in Loop: Header=BB61_17 Depth=1
	s_or_b64 exec, exec, s[2:3]
	s_mov_b64 s[22:23], -1
	s_mov_b64 s[20:21], 0
	s_mov_b64 s[18:19], 0
.LBB61_168:                             ;   in Loop: Header=BB61_17 Depth=1
	s_mov_b64 s[2:3], 0
                                        ; implicit-def: $sgpr45
	s_and_saveexec_b64 s[24:25], s[0:1]
	s_cbranch_execz .LBB61_279
; %bb.169:                              ;   in Loop: Header=BB61_17 Depth=1
	s_xor_b64 s[0:1], s[30:31], -1
	s_andn2_b64 vcc, exec, s[0:1]
	s_mov_b32 s45, 1
	s_cbranch_vccnz .LBB61_180
; %bb.170:                              ;   in Loop: Header=BB61_17 Depth=1
	v_pk_mov_b32 v[2:3], s[28:29], s[28:29] op_sel:[0,1]
	v_cmp_gt_i64_e32 vcc, s[54:55], v[2:3]
	s_mov_b64 s[0:1], -1
                                        ; implicit-def: $sgpr45
                                        ; implicit-def: $sgpr2
                                        ; implicit-def: $sgpr3
	s_cbranch_vccnz .LBB61_176
; %bb.171:                              ;   in Loop: Header=BB61_17 Depth=1
	ds_read_b64 v[2:3], v13 offset:5120
	s_waitcnt lgkmcnt(0)
	v_cmp_ne_u64_e32 vcc, 0, v[2:3]
	s_cbranch_vccnz .LBB61_175
; %bb.172:                              ;   in Loop: Header=BB61_17 Depth=1
	s_mov_b64 s[0:1], exec
	v_readlane_b32 s2, v54, 12
	v_readlane_b32 s3, v54, 13
	s_and_b64 s[2:3], s[0:1], s[2:3]
	s_mov_b64 exec, s[2:3]
	s_cbranch_execz .LBB61_174
; %bb.173:                              ;   in Loop: Header=BB61_17 Depth=1
	v_pk_mov_b32 v[2:3], s[28:29], s[28:29] op_sel:[0,1]
	ds_write_b64 v13, v[2:3] offset:5128
.LBB61_174:                             ;   in Loop: Header=BB61_17 Depth=1
	s_or_b64 exec, exec, s[0:1]
	s_waitcnt lgkmcnt(0)
	s_barrier
.LBB61_175:                             ;   in Loop: Header=BB61_17 Depth=1
	s_lshl_b32 s0, 1, s40
	s_and_b32 s1, s93, s41
	s_or_b32 s2, s1, s0
	s_or_b32 s3, s92, s44
	s_mov_b64 s[0:1], 0
	s_mov_b32 s45, 8
.LBB61_176:                             ;   in Loop: Header=BB61_17 Depth=1
	s_andn2_b64 vcc, exec, s[0:1]
	s_cbranch_vccnz .LBB61_178
; %bb.177:                              ;   in Loop: Header=BB61_17 Depth=1
	s_sub_u32 s54, s54, s28
	s_subb_u32 s55, s55, s29
	s_mov_b64 s[0:1], -1
	s_mov_b32 s45, 0
	s_mov_b32 s2, s93
	;; [unrolled: 1-line block ×3, first 2 shown]
.LBB61_178:                             ;   in Loop: Header=BB61_17 Depth=1
	s_mov_b32 s92, s3
	s_mov_b32 s93, s2
	s_andn2_b64 vcc, exec, s[0:1]
	s_mov_b64 s[2:3], -1
	s_cbranch_vccz .LBB61_181
.LBB61_179:                             ;   in Loop: Header=BB61_17 Depth=1
                                        ; implicit-def: $sgpr30_sgpr31
                                        ; implicit-def: $sgpr34_sgpr35
                                        ; implicit-def: $sgpr28_sgpr29
	s_branch .LBB61_278
.LBB61_180:                             ;   in Loop: Header=BB61_17 Depth=1
	s_mov_b64 s[54:55], 1
	s_mov_b64 s[2:3], -1
	s_cbranch_execnz .LBB61_179
.LBB61_181:                             ;   in Loop: Header=BB61_17 Depth=1
	s_cmp_eq_u64 s[16:17], 1
	s_cselect_b64 s[0:1], -1, 0
	s_cmp_eq_u64 s[54:55], 1
	s_cselect_b64 s[2:3], -1, 0
	s_and_b64 s[38:39], s[0:1], s[2:3]
	s_mov_b64 s[0:1], -1
	s_and_b64 vcc, exec, s[38:39]
	s_cbranch_vccz .LBB61_196
; %bb.182:                              ;   in Loop: Header=BB61_17 Depth=1
	ds_read_b64 v[2:3], v13 offset:5120
	s_waitcnt lgkmcnt(0)
	s_barrier
	v_readfirstlane_b32 s36, v2
	v_readfirstlane_b32 s37, v3
	s_mov_b64 s[0:1], exec
	v_readlane_b32 s2, v54, 24
	v_readlane_b32 s3, v54, 25
	s_and_b64 s[2:3], s[0:1], s[2:3]
	s_mov_b64 exec, s[2:3]
	s_cbranch_execz .LBB61_184
; %bb.183:                              ;   in Loop: Header=BB61_17 Depth=1
	ds_write_b16 v36, v13
.LBB61_184:                             ;   in Loop: Header=BB61_17 Depth=1
	s_or_b64 exec, exec, s[0:1]
	s_lshl_b32 s0, 2, s40
	s_and_b32 s1, s93, s41
	s_or_b32 s93, s1, s0
	v_cmp_gt_i64_e64 s[0:1], s[36:37], 0
	s_or_b32 s92, s92, s44
	s_and_b64 vcc, exec, s[0:1]
	s_waitcnt lgkmcnt(0)
	s_barrier
	s_cbranch_vccnz .LBB61_199
; %bb.185:                              ;   in Loop: Header=BB61_17 Depth=1
	s_mov_b32 s90, s83
	s_cmp_lg_u64 s[90:91], 0
	s_cbranch_scc0 .LBB61_244
; %bb.186:                              ;   in Loop: Header=BB61_17 Depth=1
	v_cvt_f32_u32_e32 v2, s33
	s_sub_u32 s0, 0, s33
	s_subb_u32 s1, 0, 0
	v_mac_f32_e32 v2, 0x4f800000, v45
	v_rcp_f32_e32 v2, v2
	v_mul_f32_e32 v2, 0x5f7ffffc, v2
	v_mul_f32_e32 v3, 0x2f800000, v2
	v_trunc_f32_e32 v3, v3
	v_mac_f32_e32 v2, 0xcf800000, v3
	v_cvt_u32_f32_e32 v3, v3
	v_cvt_u32_f32_e32 v2, v2
	v_readfirstlane_b32 s2, v3
	v_readfirstlane_b32 s3, v2
	s_mul_i32 s6, s0, s2
	s_mul_hi_u32 s8, s0, s3
	s_mul_i32 s7, s1, s3
	s_add_i32 s6, s8, s6
	s_mul_i32 s9, s0, s3
	s_add_i32 s6, s6, s7
	s_mul_hi_u32 s8, s3, s9
	s_mul_hi_u32 s7, s3, s6
	s_mul_i32 s3, s3, s6
	s_add_u32 s3, s8, s3
	s_addc_u32 s7, 0, s7
	s_mul_hi_u32 s28, s2, s9
	s_mul_i32 s9, s2, s9
	s_add_u32 s3, s3, s9
	s_mul_hi_u32 s8, s2, s6
	s_addc_u32 s3, s7, s28
	s_addc_u32 s7, s8, 0
	s_mul_i32 s6, s2, s6
	s_add_u32 s3, s3, s6
	s_addc_u32 s6, 0, s7
	v_add_co_u32_e32 v2, vcc, s3, v2
	s_cmp_lg_u64 vcc, 0
	s_addc_u32 s2, s2, s6
	v_readfirstlane_b32 s6, v2
	s_mul_i32 s3, s0, s2
	s_mul_hi_u32 s7, s0, s6
	s_add_i32 s3, s7, s3
	s_mul_i32 s1, s1, s6
	s_add_i32 s3, s3, s1
	s_mul_i32 s0, s0, s6
	s_mul_hi_u32 s7, s2, s0
	s_mul_i32 s8, s2, s0
	s_mul_i32 s28, s6, s3
	s_mul_hi_u32 s0, s6, s0
	s_mul_hi_u32 s9, s6, s3
	s_add_u32 s0, s0, s28
	s_addc_u32 s6, 0, s9
	s_add_u32 s0, s0, s8
	s_mul_hi_u32 s1, s2, s3
	s_addc_u32 s0, s6, s7
	s_addc_u32 s1, s1, 0
	s_mul_i32 s3, s2, s3
	s_add_u32 s0, s0, s3
	s_addc_u32 s1, 0, s1
	v_add_co_u32_e32 v2, vcc, s0, v2
	s_cmp_lg_u64 vcc, 0
	s_addc_u32 s6, s2, s1
	s_ashr_i32 s0, s91, 31
	v_readlane_b32 s2, v54, 33
	s_add_u32 s2, s2, s0
	s_mov_b32 s1, s0
	s_addc_u32 s3, s91, s0
	s_xor_b64 s[2:3], s[2:3], s[0:1]
	v_readfirstlane_b32 s8, v2
	s_mul_i32 s7, s2, s6
	s_mul_hi_u32 s9, s2, s8
	s_mul_hi_u32 s1, s2, s6
	s_add_u32 s7, s9, s7
	s_addc_u32 s1, 0, s1
	s_mul_hi_u32 s28, s3, s8
	s_mul_i32 s8, s3, s8
	s_add_u32 s7, s7, s8
	s_mul_hi_u32 s9, s3, s6
	s_addc_u32 s1, s1, s28
	s_addc_u32 s7, s9, 0
	s_mul_i32 s6, s3, s6
	s_add_u32 s1, s1, s6
	s_addc_u32 s6, 0, s7
	s_mul_hi_u32 s7, s33, s1
	s_mul_i32 s1, s33, s1
	s_mul_i32 s6, s33, s6
	v_mov_b32_e32 v2, s1
	s_add_i32 s7, s7, s6
	v_sub_co_u32_e32 v2, vcc, s2, v2
	s_cmp_lg_u64 vcc, 0
	s_subb_u32 s1, s3, s7
	v_subrev_co_u32_e32 v3, vcc, s33, v2
	s_cmp_lg_u64 vcc, 0
	s_subb_u32 s2, s1, 0
	v_subrev_co_u32_e32 v4, vcc, s33, v3
	s_cmp_lg_u64 vcc, 0
	s_subb_u32 s3, s2, 0
	v_cmp_le_u32_e32 vcc, s33, v3
	s_cmp_eq_u32 s2, 0
	v_cndmask_b32_e64 v5, 0, -1, vcc
	s_cselect_b64 vcc, -1, 0
	v_cndmask_b32_e32 v5, -1, v5, vcc
	v_mov_b32_e32 v6, s2
	v_mov_b32_e32 v7, s3
	v_cmp_ne_u32_e32 vcc, 0, v5
	v_cndmask_b32_e32 v5, v6, v7, vcc
	v_cndmask_b32_e32 v3, v3, v4, vcc
	v_cmp_le_u32_e32 vcc, s33, v2
	s_cmp_eq_u32 s1, 0
	v_cndmask_b32_e64 v4, 0, -1, vcc
	s_cselect_b64 vcc, -1, 0
	v_cndmask_b32_e32 v4, -1, v4, vcc
	v_cmp_ne_u32_e32 vcc, 0, v4
	v_mov_b32_e32 v6, s1
	v_cndmask_b32_e32 v2, v2, v3, vcc
	v_cndmask_b32_e32 v4, v6, v5, vcc
	v_xor_b32_e32 v2, s0, v2
	v_xor_b32_e32 v3, s0, v4
	v_mov_b32_e32 v4, s0
	v_subrev_co_u32_e32 v2, vcc, s0, v2
	v_subb_co_u32_e32 v3, vcc, v3, v4, vcc
	s_cbranch_execnz .LBB61_188
.LBB61_187:                             ;   in Loop: Header=BB61_17 Depth=1
	v_cvt_f32_u32_e32 v2, s33
	s_sub_i32 s0, 0, s33
	v_rcp_iflag_f32_e32 v2, v2
	v_mul_f32_e32 v2, 0x4f7ffffe, v2
	v_cvt_u32_f32_e32 v2, v2
	v_mul_lo_u32 v3, s0, v2
	v_mul_hi_u32 v3, v2, v3
	v_add_u32_e32 v2, v2, v3
	v_readlane_b32 s0, v54, 33
	v_mul_hi_u32 v2, s0, v2
	v_mul_lo_u32 v2, v2, s33
	v_sub_u32_e32 v2, s0, v2
	v_subrev_u32_e32 v3, s33, v2
	v_cmp_le_u32_e32 vcc, s33, v2
	v_cndmask_b32_e32 v2, v2, v3, vcc
	v_subrev_u32_e32 v3, s33, v2
	v_cmp_le_u32_e32 vcc, s33, v2
	v_cndmask_b32_e32 v12, v2, v3, vcc
	v_pk_mov_b32 v[2:3], v[12:13], v[12:13] op_sel:[0,1]
.LBB61_188:                             ;   in Loop: Header=BB61_17 Depth=1
	v_readlane_b32 s0, v54, 33
	v_mov_b32_e32 v4, s91
	v_sub_co_u32_e32 v2, vcc, s0, v2
	v_subb_co_u32_e32 v3, vcc, v4, v3, vcc
	v_cmp_gt_i64_e32 vcc, v[2:3], v[0:1]
	s_mov_b64 s[0:1], 0
                                        ; implicit-def: $vgpr48
	s_and_saveexec_b64 s[2:3], vcc
	s_cbranch_execz .LBB61_201
; %bb.189:                              ;   in Loop: Header=BB61_17 Depth=1
	v_pk_mov_b32 v[4:5], v[10:11], v[10:11] op_sel:[0,1]
	v_pk_mov_b32 v[6:7], v[0:1], v[0:1] op_sel:[0,1]
                                        ; implicit-def: $sgpr8_sgpr9
	s_branch .LBB61_191
.LBB61_190:                             ;   in Loop: Header=BB61_191 Depth=2
	s_or_b64 exec, exec, s[6:7]
	s_waitcnt lgkmcnt(0)
	s_barrier
	s_waitcnt vmcnt(0)
	ds_read_b32 v8, v13 offset:3072
	v_mov_b32_e32 v9, s26
	v_add_co_u32_e64 v6, s[6:7], s33, v6
	v_addc_co_u32_e64 v7, s[6:7], v7, v9, s[6:7]
	s_waitcnt lgkmcnt(0)
	v_cmp_neq_f16_e32 vcc, 0, v8
	v_cmp_ge_i64_e64 s[6:7], v[6:7], v[2:3]
	s_or_b64 s[28:29], vcc, s[6:7]
	v_mov_b32_e32 v9, s81
	v_add_co_u32_e64 v4, s[6:7], s80, v4
	v_addc_co_u32_e64 v5, s[6:7], v5, v9, s[6:7]
	s_and_b64 s[6:7], exec, s[28:29]
	s_or_b64 s[0:1], s[6:7], s[0:1]
	s_andn2_b64 s[6:7], s[8:9], exec
	s_and_b64 s[8:9], vcc, exec
	s_or_b64 s[8:9], s[6:7], s[8:9]
	s_barrier
	s_andn2_b64 exec, exec, s[0:1]
	s_cbranch_execz .LBB61_200
.LBB61_191:                             ;   Parent Loop BB61_17 Depth=1
                                        ; =>  This Inner Loop Header: Depth=2
	v_cmp_gt_i64_e32 vcc, s[52:53], v[6:7]
	v_mov_b32_e32 v8, 0
	s_and_saveexec_b64 s[6:7], vcc
	s_cbranch_execz .LBB61_193
; %bb.192:                              ;   in Loop: Header=BB61_191 Depth=2
	global_load_ushort v8, v[4:5], off
.LBB61_193:                             ;   in Loop: Header=BB61_191 Depth=2
	s_or_b64 exec, exec, s[6:7]
	s_and_saveexec_b64 s[6:7], vcc
	s_cbranch_execz .LBB61_190
; %bb.194:                              ;   in Loop: Header=BB61_191 Depth=2
	s_waitcnt vmcnt(0)
	v_cmp_lt_i16_e32 vcc, -1, v8
	v_cndmask_b32_e32 v9, v43, v44, vcc
	v_xor_b32_sdwa v9, v9, v8 dst_sel:DWORD dst_unused:UNUSED_PAD src0_sel:DWORD src1_sel:WORD_0
	v_cmp_o_f16_e32 vcc, v8, v8
	v_cndmask_b32_e32 v9, v43, v9, vcc
	v_and_b32_e32 v9, s92, v9
	v_cmp_eq_u32_e32 vcc, s93, v9
	s_and_b64 exec, exec, vcc
	s_cbranch_execz .LBB61_190
; %bb.195:                              ;   in Loop: Header=BB61_191 Depth=2
	v_perm_b32 v8, v8, s27, v47
	ds_write_b32 v13, v8 offset:3072
	s_branch .LBB61_190
.LBB61_196:                             ;   in Loop: Header=BB61_17 Depth=1
                                        ; implicit-def: $sgpr28_sgpr29
                                        ; implicit-def: $sgpr34_sgpr35
                                        ; implicit-def: $sgpr30_sgpr31
	s_branch .LBB61_215
.LBB61_197:                             ;   in Loop: Header=BB61_17 Depth=1
                                        ; implicit-def: $vgpr2_vgpr3
	s_branch .LBB61_140
.LBB61_198:                             ;   in Loop: Header=BB61_17 Depth=1
                                        ; implicit-def: $vgpr2_vgpr3
	s_branch .LBB61_157
.LBB61_199:                             ;   in Loop: Header=BB61_17 Depth=1
	s_mov_b64 s[28:29], -1
	s_mov_b64 s[0:1], 0
                                        ; implicit-def: $sgpr30_sgpr31
                                        ; implicit-def: $vgpr48
	s_mov_b64 s[34:35], s[28:29]
	s_cbranch_execnz .LBB61_202
	s_branch .LBB61_215
.LBB61_200:                             ;   in Loop: Header=BB61_17 Depth=1
	s_or_b64 exec, exec, s[0:1]
	v_lshrrev_b32_e32 v48, 16, v8
	s_and_b64 s[0:1], s[8:9], exec
.LBB61_201:                             ;   in Loop: Header=BB61_17 Depth=1
	s_or_b64 exec, exec, s[2:3]
	s_mov_b64 s[30:31], -1
	s_mov_b64 s[28:29], 0
	s_mov_b64 s[34:35], s[28:29]
	s_branch .LBB61_215
.LBB61_202:                             ;   in Loop: Header=BB61_17 Depth=1
	v_readlane_b32 s0, v54, 32
	s_add_u32 s6, s0, s36
	v_readlane_b32 s0, v54, 34
	s_addc_u32 s1, s0, s37
	s_mov_b32 s0, s83
	s_cmp_lg_u64 s[0:1], 0
	s_cbranch_scc0 .LBB61_245
; %bb.203:                              ;   in Loop: Header=BB61_17 Depth=1
	v_cvt_f32_u32_e32 v2, s33
	s_sub_u32 s0, 0, s33
	s_subb_u32 s2, 0, 0
	v_mac_f32_e32 v2, 0x4f800000, v45
	v_rcp_f32_e32 v2, v2
	v_mul_f32_e32 v2, 0x5f7ffffc, v2
	v_mul_f32_e32 v3, 0x2f800000, v2
	v_trunc_f32_e32 v3, v3
	v_mac_f32_e32 v2, 0xcf800000, v3
	v_cvt_u32_f32_e32 v3, v3
	v_cvt_u32_f32_e32 v2, v2
	v_readfirstlane_b32 s3, v3
	v_readfirstlane_b32 s7, v2
	s_mul_i32 s8, s0, s3
	s_mul_hi_u32 s28, s0, s7
	s_mul_i32 s9, s2, s7
	s_add_i32 s8, s28, s8
	s_mul_i32 s29, s0, s7
	s_add_i32 s8, s8, s9
	s_mul_hi_u32 s28, s7, s29
	s_mul_hi_u32 s9, s7, s8
	s_mul_i32 s7, s7, s8
	s_add_u32 s7, s28, s7
	s_addc_u32 s9, 0, s9
	s_mul_hi_u32 s30, s3, s29
	s_mul_i32 s29, s3, s29
	s_add_u32 s7, s7, s29
	s_mul_hi_u32 s28, s3, s8
	s_addc_u32 s7, s9, s30
	s_addc_u32 s9, s28, 0
	s_mul_i32 s8, s3, s8
	s_add_u32 s7, s7, s8
	s_addc_u32 s8, 0, s9
	v_add_co_u32_e32 v2, vcc, s7, v2
	s_cmp_lg_u64 vcc, 0
	s_addc_u32 s3, s3, s8
	v_readfirstlane_b32 s8, v2
	s_mul_i32 s7, s0, s3
	s_mul_hi_u32 s9, s0, s8
	s_add_i32 s7, s9, s7
	s_mul_i32 s2, s2, s8
	s_add_i32 s7, s7, s2
	s_mul_i32 s0, s0, s8
	s_mul_hi_u32 s9, s3, s0
	s_mul_i32 s28, s3, s0
	s_mul_i32 s30, s8, s7
	s_mul_hi_u32 s0, s8, s0
	s_mul_hi_u32 s29, s8, s7
	s_add_u32 s0, s0, s30
	s_addc_u32 s8, 0, s29
	s_add_u32 s0, s0, s28
	s_mul_hi_u32 s2, s3, s7
	s_addc_u32 s0, s8, s9
	s_addc_u32 s2, s2, 0
	s_mul_i32 s7, s3, s7
	s_add_u32 s0, s0, s7
	s_addc_u32 s2, 0, s2
	v_add_co_u32_e32 v2, vcc, s0, v2
	s_cmp_lg_u64 vcc, 0
	s_addc_u32 s0, s3, s2
	s_ashr_i32 s2, s1, 31
	s_add_u32 s8, s6, s2
	s_mov_b32 s3, s2
	s_addc_u32 s9, s1, s2
	s_xor_b64 s[8:9], s[8:9], s[2:3]
	v_readfirstlane_b32 s28, v2
	s_mul_i32 s7, s8, s0
	s_mul_hi_u32 s29, s8, s28
	s_mul_hi_u32 s3, s8, s0
	s_add_u32 s7, s29, s7
	s_addc_u32 s3, 0, s3
	s_mul_hi_u32 s30, s9, s28
	s_mul_i32 s28, s9, s28
	s_add_u32 s7, s7, s28
	s_mul_hi_u32 s29, s9, s0
	s_addc_u32 s3, s3, s30
	s_addc_u32 s7, s29, 0
	s_mul_i32 s0, s9, s0
	s_add_u32 s0, s3, s0
	s_addc_u32 s3, 0, s7
	s_mul_hi_u32 s7, s33, s0
	s_mul_i32 s0, s33, s0
	s_mul_i32 s3, s33, s3
	v_mov_b32_e32 v2, s0
	s_add_i32 s7, s7, s3
	v_sub_co_u32_e32 v2, vcc, s8, v2
	s_cmp_lg_u64 vcc, 0
	s_subb_u32 s0, s9, s7
	v_subrev_co_u32_e32 v3, vcc, s33, v2
	s_cmp_lg_u64 vcc, 0
	s_subb_u32 s3, s0, 0
	v_subrev_co_u32_e32 v4, vcc, s33, v3
	s_cmp_lg_u64 vcc, 0
	s_subb_u32 s7, s3, 0
	v_cmp_le_u32_e32 vcc, s33, v3
	s_cmp_eq_u32 s3, 0
	v_cndmask_b32_e64 v5, 0, -1, vcc
	s_cselect_b64 vcc, -1, 0
	v_cndmask_b32_e32 v5, -1, v5, vcc
	v_mov_b32_e32 v6, s3
	v_mov_b32_e32 v7, s7
	v_cmp_ne_u32_e32 vcc, 0, v5
	v_cndmask_b32_e32 v5, v6, v7, vcc
	v_cndmask_b32_e32 v3, v3, v4, vcc
	v_cmp_le_u32_e32 vcc, s33, v2
	s_cmp_eq_u32 s0, 0
	v_cndmask_b32_e64 v4, 0, -1, vcc
	s_cselect_b64 vcc, -1, 0
	v_cndmask_b32_e32 v4, -1, v4, vcc
	v_cmp_ne_u32_e32 vcc, 0, v4
	v_mov_b32_e32 v6, s0
	v_cndmask_b32_e32 v2, v2, v3, vcc
	v_cndmask_b32_e32 v4, v6, v5, vcc
	v_xor_b32_e32 v2, s2, v2
	v_xor_b32_e32 v3, s2, v4
	v_mov_b32_e32 v4, s2
	v_subrev_co_u32_e32 v2, vcc, s2, v2
	v_subb_co_u32_e32 v3, vcc, v3, v4, vcc
	s_cbranch_execnz .LBB61_205
.LBB61_204:                             ;   in Loop: Header=BB61_17 Depth=1
	v_cvt_f32_u32_e32 v2, s33
	s_sub_i32 s0, 0, s33
	v_rcp_iflag_f32_e32 v2, v2
	v_mul_f32_e32 v2, 0x4f7ffffe, v2
	v_cvt_u32_f32_e32 v2, v2
	v_mul_lo_u32 v3, s0, v2
	v_mul_hi_u32 v3, v2, v3
	v_add_u32_e32 v2, v2, v3
	v_mul_hi_u32 v2, s6, v2
	v_mul_lo_u32 v2, v2, s33
	v_sub_u32_e32 v2, s6, v2
	v_subrev_u32_e32 v3, s33, v2
	v_cmp_le_u32_e32 vcc, s33, v2
	v_cndmask_b32_e32 v2, v2, v3, vcc
	v_subrev_u32_e32 v3, s33, v2
	v_cmp_le_u32_e32 vcc, s33, v2
	v_cndmask_b32_e32 v12, v2, v3, vcc
	v_pk_mov_b32 v[2:3], v[12:13], v[12:13] op_sel:[0,1]
.LBB61_205:                             ;   in Loop: Header=BB61_17 Depth=1
	v_mov_b32_e32 v4, s1
	v_sub_co_u32_e32 v2, vcc, s6, v2
	v_subb_co_u32_e32 v3, vcc, v4, v3, vcc
	v_cmp_gt_i64_e32 vcc, v[2:3], v[0:1]
	s_mov_b64 s[0:1], 0
                                        ; implicit-def: $vgpr48
	s_and_saveexec_b64 s[2:3], vcc
	s_cbranch_execz .LBB61_214
; %bb.206:                              ;   in Loop: Header=BB61_17 Depth=1
	v_mov_b32_e32 v6, v35
	v_pk_mov_b32 v[4:5], v[0:1], v[0:1] op_sel:[0,1]
                                        ; implicit-def: $sgpr8_sgpr9
	s_branch .LBB61_208
.LBB61_207:                             ;   in Loop: Header=BB61_208 Depth=2
	s_or_b64 exec, exec, s[6:7]
	s_waitcnt lgkmcnt(0)
	s_barrier
	ds_read_b32 v7, v13 offset:3072
	v_mov_b32_e32 v8, s26
	v_add_co_u32_e64 v4, s[6:7], s33, v4
	v_addc_co_u32_e64 v5, s[6:7], v5, v8, s[6:7]
	s_waitcnt lgkmcnt(0)
	v_cmp_neq_f16_e32 vcc, 0, v7
	v_cmp_ge_i64_e64 s[6:7], v[4:5], v[2:3]
	s_or_b64 s[6:7], vcc, s[6:7]
	s_and_b64 s[6:7], exec, s[6:7]
	s_or_b64 s[0:1], s[6:7], s[0:1]
	s_andn2_b64 s[6:7], s[8:9], exec
	s_and_b64 s[8:9], vcc, exec
	v_add_u32_e32 v6, s61, v6
	s_or_b64 s[8:9], s[6:7], s[8:9]
	s_barrier
	s_andn2_b64 exec, exec, s[0:1]
	s_cbranch_execz .LBB61_213
.LBB61_208:                             ;   Parent Loop BB61_17 Depth=1
                                        ; =>  This Inner Loop Header: Depth=2
	v_cmp_gt_i64_e32 vcc, s[36:37], v[4:5]
	v_mov_b32_e32 v7, 0
	s_and_saveexec_b64 s[6:7], vcc
	s_cbranch_execz .LBB61_210
; %bb.209:                              ;   in Loop: Header=BB61_208 Depth=2
	ds_read_u16 v7, v6
.LBB61_210:                             ;   in Loop: Header=BB61_208 Depth=2
	s_or_b64 exec, exec, s[6:7]
	s_and_saveexec_b64 s[6:7], vcc
	s_cbranch_execz .LBB61_207
; %bb.211:                              ;   in Loop: Header=BB61_208 Depth=2
	s_waitcnt lgkmcnt(0)
	v_cmp_lt_i16_e32 vcc, -1, v7
	v_cndmask_b32_e32 v8, v43, v44, vcc
	v_xor_b32_sdwa v8, v8, v7 dst_sel:DWORD dst_unused:UNUSED_PAD src0_sel:DWORD src1_sel:WORD_0
	v_cmp_o_f16_e32 vcc, v7, v7
	v_cndmask_b32_e32 v8, v43, v8, vcc
	v_and_b32_e32 v8, s92, v8
	v_cmp_eq_u32_e32 vcc, s93, v8
	s_and_b64 exec, exec, vcc
	s_cbranch_execz .LBB61_207
; %bb.212:                              ;   in Loop: Header=BB61_208 Depth=2
	v_perm_b32 v7, v7, s27, v47
	ds_write_b32 v13, v7 offset:3072
	s_branch .LBB61_207
.LBB61_213:                             ;   in Loop: Header=BB61_17 Depth=1
	s_or_b64 exec, exec, s[0:1]
	v_lshrrev_b32_e32 v48, 16, v7
	s_and_b64 s[0:1], s[8:9], exec
.LBB61_214:                             ;   in Loop: Header=BB61_17 Depth=1
	s_or_b64 exec, exec, s[2:3]
	s_mov_b64 s[34:35], -1
	s_mov_b64 s[28:29], 0
	s_mov_b64 s[30:31], 0
.LBB61_215:                             ;   in Loop: Header=BB61_17 Depth=1
	s_mov_b64 s[2:3], 0
                                        ; implicit-def: $sgpr45
	s_and_saveexec_b64 s[36:37], s[0:1]
	s_cbranch_execz .LBB61_277
; %bb.216:                              ;   in Loop: Header=BB61_17 Depth=1
	s_xor_b64 s[0:1], s[38:39], -1
	s_andn2_b64 vcc, exec, s[0:1]
	s_mov_b32 s45, 1
	s_cbranch_vccnz .LBB61_227
; %bb.217:                              ;   in Loop: Header=BB61_17 Depth=1
	v_pk_mov_b32 v[2:3], s[16:17], s[16:17] op_sel:[0,1]
	v_cmp_gt_i64_e32 vcc, s[54:55], v[2:3]
	s_mov_b64 s[0:1], -1
                                        ; implicit-def: $sgpr45
                                        ; implicit-def: $sgpr2
                                        ; implicit-def: $sgpr3
	s_cbranch_vccnz .LBB61_223
; %bb.218:                              ;   in Loop: Header=BB61_17 Depth=1
	ds_read_b64 v[2:3], v13 offset:5120
	s_waitcnt lgkmcnt(0)
	v_cmp_ne_u64_e32 vcc, 0, v[2:3]
	s_cbranch_vccnz .LBB61_222
; %bb.219:                              ;   in Loop: Header=BB61_17 Depth=1
	s_mov_b64 s[0:1], exec
	v_readlane_b32 s2, v54, 12
	v_readlane_b32 s3, v54, 13
	s_and_b64 s[2:3], s[0:1], s[2:3]
	s_mov_b64 exec, s[2:3]
	s_cbranch_execz .LBB61_221
; %bb.220:                              ;   in Loop: Header=BB61_17 Depth=1
	v_pk_mov_b32 v[2:3], s[16:17], s[16:17] op_sel:[0,1]
	ds_write_b64 v13, v[2:3] offset:5128
.LBB61_221:                             ;   in Loop: Header=BB61_17 Depth=1
	s_or_b64 exec, exec, s[0:1]
	s_waitcnt lgkmcnt(0)
	s_barrier
.LBB61_222:                             ;   in Loop: Header=BB61_17 Depth=1
	s_lshl_b32 s0, 2, s40
	s_and_b32 s1, s93, s41
	s_or_b32 s2, s1, s0
	s_or_b32 s3, s92, s44
	s_mov_b64 s[0:1], 0
	s_mov_b32 s45, 8
.LBB61_223:                             ;   in Loop: Header=BB61_17 Depth=1
	s_andn2_b64 vcc, exec, s[0:1]
	s_cbranch_vccnz .LBB61_225
; %bb.224:                              ;   in Loop: Header=BB61_17 Depth=1
	s_sub_u32 s54, s54, s16
	s_subb_u32 s55, s55, s17
	s_mov_b64 s[0:1], -1
	s_mov_b32 s45, 0
	s_mov_b32 s2, s93
	;; [unrolled: 1-line block ×3, first 2 shown]
.LBB61_225:                             ;   in Loop: Header=BB61_17 Depth=1
	s_mov_b32 s92, s3
	s_mov_b32 s93, s2
	s_andn2_b64 vcc, exec, s[0:1]
	s_mov_b64 s[40:41], -1
	s_cbranch_vccz .LBB61_228
.LBB61_226:                             ;   in Loop: Header=BB61_17 Depth=1
                                        ; implicit-def: $sgpr0_sgpr1
                                        ; implicit-def: $sgpr6_sgpr7
                                        ; implicit-def: $sgpr2_sgpr3
	s_branch .LBB61_276
.LBB61_227:                             ;   in Loop: Header=BB61_17 Depth=1
	s_mov_b64 s[54:55], 1
	s_mov_b64 s[40:41], -1
	s_cbranch_execnz .LBB61_226
.LBB61_228:                             ;   in Loop: Header=BB61_17 Depth=1
	s_cmp_eq_u64 s[10:11], 1
	s_cselect_b64 s[0:1], -1, 0
	s_cmp_eq_u64 s[54:55], 1
	s_cselect_b64 s[2:3], -1, 0
	s_and_b64 s[16:17], s[0:1], s[2:3]
	s_mov_b64 s[8:9], -1
	s_and_b64 vcc, exec, s[16:17]
	s_cbranch_vccz .LBB61_243
; %bb.229:                              ;   in Loop: Header=BB61_17 Depth=1
	ds_read_b64 v[2:3], v13 offset:5120
	s_waitcnt lgkmcnt(0)
	s_barrier
	v_readfirstlane_b32 s38, v2
	v_readfirstlane_b32 s39, v3
	s_mov_b64 s[0:1], exec
	v_readlane_b32 s2, v54, 24
	v_readlane_b32 s3, v54, 25
	s_and_b64 s[2:3], s[0:1], s[2:3]
	s_mov_b64 exec, s[2:3]
	s_cbranch_execz .LBB61_231
; %bb.230:                              ;   in Loop: Header=BB61_17 Depth=1
	ds_write_b16 v36, v13
.LBB61_231:                             ;   in Loop: Header=BB61_17 Depth=1
	s_or_b64 exec, exec, s[0:1]
	v_cmp_gt_i64_e64 s[0:1], s[38:39], 0
	s_or_b32 s93, s93, s44
	s_or_b32 s92, s92, s44
	s_and_b64 vcc, exec, s[0:1]
	s_waitcnt lgkmcnt(0)
	s_barrier
	s_cbranch_vccnz .LBB61_246
; %bb.232:                              ;   in Loop: Header=BB61_17 Depth=1
	s_mov_b32 s90, s83
	s_cmp_lg_u64 s[90:91], 0
	s_cbranch_scc0 .LBB61_282
; %bb.233:                              ;   in Loop: Header=BB61_17 Depth=1
	v_cvt_f32_u32_e32 v2, s33
	s_sub_u32 s0, 0, s33
	s_subb_u32 s1, 0, 0
	v_mac_f32_e32 v2, 0x4f800000, v45
	v_rcp_f32_e32 v2, v2
	v_mul_f32_e32 v2, 0x5f7ffffc, v2
	v_mul_f32_e32 v3, 0x2f800000, v2
	v_trunc_f32_e32 v3, v3
	v_mac_f32_e32 v2, 0xcf800000, v3
	v_cvt_u32_f32_e32 v3, v3
	v_cvt_u32_f32_e32 v2, v2
	v_readfirstlane_b32 s2, v3
	v_readfirstlane_b32 s3, v2
	s_mul_i32 s6, s0, s2
	s_mul_hi_u32 s8, s0, s3
	s_mul_i32 s7, s1, s3
	s_add_i32 s6, s8, s6
	s_mul_i32 s9, s0, s3
	s_add_i32 s6, s6, s7
	s_mul_hi_u32 s8, s3, s9
	s_mul_hi_u32 s7, s3, s6
	s_mul_i32 s3, s3, s6
	s_add_u32 s3, s8, s3
	s_addc_u32 s7, 0, s7
	s_mul_hi_u32 s40, s2, s9
	s_mul_i32 s9, s2, s9
	s_add_u32 s3, s3, s9
	s_mul_hi_u32 s8, s2, s6
	s_addc_u32 s3, s7, s40
	s_addc_u32 s7, s8, 0
	s_mul_i32 s6, s2, s6
	s_add_u32 s3, s3, s6
	s_addc_u32 s6, 0, s7
	v_add_co_u32_e32 v2, vcc, s3, v2
	s_cmp_lg_u64 vcc, 0
	s_addc_u32 s2, s2, s6
	v_readfirstlane_b32 s6, v2
	s_mul_i32 s3, s0, s2
	s_mul_hi_u32 s7, s0, s6
	s_add_i32 s3, s7, s3
	s_mul_i32 s1, s1, s6
	s_add_i32 s3, s3, s1
	s_mul_i32 s0, s0, s6
	s_mul_hi_u32 s7, s2, s0
	s_mul_i32 s8, s2, s0
	s_mul_i32 s40, s6, s3
	s_mul_hi_u32 s0, s6, s0
	s_mul_hi_u32 s9, s6, s3
	s_add_u32 s0, s0, s40
	s_addc_u32 s6, 0, s9
	s_add_u32 s0, s0, s8
	s_mul_hi_u32 s1, s2, s3
	s_addc_u32 s0, s6, s7
	s_addc_u32 s1, s1, 0
	s_mul_i32 s3, s2, s3
	s_add_u32 s0, s0, s3
	s_addc_u32 s1, 0, s1
	v_add_co_u32_e32 v2, vcc, s0, v2
	s_cmp_lg_u64 vcc, 0
	s_addc_u32 s6, s2, s1
	s_ashr_i32 s0, s91, 31
	v_readlane_b32 s2, v54, 33
	s_add_u32 s2, s2, s0
	s_mov_b32 s1, s0
	s_addc_u32 s3, s91, s0
	s_xor_b64 s[2:3], s[2:3], s[0:1]
	v_readfirstlane_b32 s8, v2
	s_mul_i32 s7, s2, s6
	s_mul_hi_u32 s9, s2, s8
	s_mul_hi_u32 s1, s2, s6
	s_add_u32 s7, s9, s7
	s_addc_u32 s1, 0, s1
	s_mul_hi_u32 s40, s3, s8
	s_mul_i32 s8, s3, s8
	s_add_u32 s7, s7, s8
	s_mul_hi_u32 s9, s3, s6
	s_addc_u32 s1, s1, s40
	s_addc_u32 s7, s9, 0
	s_mul_i32 s6, s3, s6
	s_add_u32 s1, s1, s6
	s_addc_u32 s6, 0, s7
	s_mul_hi_u32 s7, s33, s1
	s_mul_i32 s1, s33, s1
	s_mul_i32 s6, s33, s6
	v_mov_b32_e32 v2, s1
	s_add_i32 s7, s7, s6
	v_sub_co_u32_e32 v2, vcc, s2, v2
	s_cmp_lg_u64 vcc, 0
	s_subb_u32 s1, s3, s7
	v_subrev_co_u32_e32 v3, vcc, s33, v2
	s_cmp_lg_u64 vcc, 0
	s_subb_u32 s2, s1, 0
	v_subrev_co_u32_e32 v4, vcc, s33, v3
	s_cmp_lg_u64 vcc, 0
	s_subb_u32 s3, s2, 0
	v_cmp_le_u32_e32 vcc, s33, v3
	s_cmp_eq_u32 s2, 0
	v_cndmask_b32_e64 v5, 0, -1, vcc
	s_cselect_b64 vcc, -1, 0
	v_cndmask_b32_e32 v5, -1, v5, vcc
	v_mov_b32_e32 v6, s2
	v_mov_b32_e32 v7, s3
	v_cmp_ne_u32_e32 vcc, 0, v5
	v_cndmask_b32_e32 v5, v6, v7, vcc
	v_cndmask_b32_e32 v3, v3, v4, vcc
	v_cmp_le_u32_e32 vcc, s33, v2
	s_cmp_eq_u32 s1, 0
	v_cndmask_b32_e64 v4, 0, -1, vcc
	s_cselect_b64 vcc, -1, 0
	v_cndmask_b32_e32 v4, -1, v4, vcc
	v_cmp_ne_u32_e32 vcc, 0, v4
	v_mov_b32_e32 v6, s1
	v_cndmask_b32_e32 v2, v2, v3, vcc
	v_cndmask_b32_e32 v4, v6, v5, vcc
	v_xor_b32_e32 v2, s0, v2
	v_xor_b32_e32 v3, s0, v4
	v_mov_b32_e32 v4, s0
	v_subrev_co_u32_e32 v2, vcc, s0, v2
	v_subb_co_u32_e32 v3, vcc, v3, v4, vcc
	s_cbranch_execnz .LBB61_235
.LBB61_234:                             ;   in Loop: Header=BB61_17 Depth=1
	v_cvt_f32_u32_e32 v2, s33
	s_sub_i32 s0, 0, s33
	v_rcp_iflag_f32_e32 v2, v2
	v_mul_f32_e32 v2, 0x4f7ffffe, v2
	v_cvt_u32_f32_e32 v2, v2
	v_mul_lo_u32 v3, s0, v2
	v_mul_hi_u32 v3, v2, v3
	v_add_u32_e32 v2, v2, v3
	v_readlane_b32 s0, v54, 33
	v_mul_hi_u32 v2, s0, v2
	v_mul_lo_u32 v2, v2, s33
	v_sub_u32_e32 v2, s0, v2
	v_subrev_u32_e32 v3, s33, v2
	v_cmp_le_u32_e32 vcc, s33, v2
	v_cndmask_b32_e32 v2, v2, v3, vcc
	v_subrev_u32_e32 v3, s33, v2
	v_cmp_le_u32_e32 vcc, s33, v2
	v_cndmask_b32_e32 v12, v2, v3, vcc
	v_pk_mov_b32 v[2:3], v[12:13], v[12:13] op_sel:[0,1]
.LBB61_235:                             ;   in Loop: Header=BB61_17 Depth=1
	v_readlane_b32 s0, v54, 33
	v_mov_b32_e32 v4, s91
	v_sub_co_u32_e32 v2, vcc, s0, v2
	v_subb_co_u32_e32 v3, vcc, v4, v3, vcc
	v_cmp_gt_i64_e32 vcc, v[2:3], v[0:1]
	s_mov_b64 s[8:9], 0
                                        ; implicit-def: $vgpr48
	s_and_saveexec_b64 s[0:1], vcc
	s_cbranch_execz .LBB61_248
; %bb.236:                              ;   in Loop: Header=BB61_17 Depth=1
	s_mov_b64 s[2:3], 0
	v_pk_mov_b32 v[4:5], v[10:11], v[10:11] op_sel:[0,1]
	v_pk_mov_b32 v[6:7], v[0:1], v[0:1] op_sel:[0,1]
                                        ; implicit-def: $sgpr8_sgpr9
	s_branch .LBB61_238
.LBB61_237:                             ;   in Loop: Header=BB61_238 Depth=2
	s_or_b64 exec, exec, s[6:7]
	s_waitcnt lgkmcnt(0)
	s_barrier
	s_waitcnt vmcnt(0)
	ds_read_b32 v8, v13 offset:3072
	v_mov_b32_e32 v9, s26
	v_add_co_u32_e64 v6, s[6:7], s33, v6
	v_addc_co_u32_e64 v7, s[6:7], v7, v9, s[6:7]
	s_waitcnt lgkmcnt(0)
	v_cmp_neq_f16_e32 vcc, 0, v8
	v_cmp_ge_i64_e64 s[6:7], v[6:7], v[2:3]
	s_or_b64 s[40:41], vcc, s[6:7]
	v_mov_b32_e32 v9, s81
	v_add_co_u32_e64 v4, s[6:7], s80, v4
	v_addc_co_u32_e64 v5, s[6:7], v5, v9, s[6:7]
	s_and_b64 s[6:7], exec, s[40:41]
	s_or_b64 s[2:3], s[6:7], s[2:3]
	s_andn2_b64 s[6:7], s[8:9], exec
	s_and_b64 s[8:9], vcc, exec
	s_or_b64 s[8:9], s[6:7], s[8:9]
	s_barrier
	s_andn2_b64 exec, exec, s[2:3]
	s_cbranch_execz .LBB61_247
.LBB61_238:                             ;   Parent Loop BB61_17 Depth=1
                                        ; =>  This Inner Loop Header: Depth=2
	v_cmp_gt_i64_e32 vcc, s[52:53], v[6:7]
	v_mov_b32_e32 v8, 0
	s_and_saveexec_b64 s[6:7], vcc
	s_cbranch_execz .LBB61_240
; %bb.239:                              ;   in Loop: Header=BB61_238 Depth=2
	global_load_ushort v8, v[4:5], off
.LBB61_240:                             ;   in Loop: Header=BB61_238 Depth=2
	s_or_b64 exec, exec, s[6:7]
	s_and_saveexec_b64 s[6:7], vcc
	s_cbranch_execz .LBB61_237
; %bb.241:                              ;   in Loop: Header=BB61_238 Depth=2
	s_waitcnt vmcnt(0)
	v_cmp_lt_i16_e32 vcc, -1, v8
	v_cndmask_b32_e32 v9, v43, v44, vcc
	v_xor_b32_sdwa v9, v9, v8 dst_sel:DWORD dst_unused:UNUSED_PAD src0_sel:DWORD src1_sel:WORD_0
	v_cmp_o_f16_e32 vcc, v8, v8
	v_cndmask_b32_e32 v9, v43, v9, vcc
	v_and_b32_e32 v9, s92, v9
	v_cmp_eq_u32_e32 vcc, s93, v9
	s_and_b64 exec, exec, vcc
	s_cbranch_execz .LBB61_237
; %bb.242:                              ;   in Loop: Header=BB61_238 Depth=2
	v_perm_b32 v8, v8, s27, v47
	ds_write_b32 v13, v8 offset:3072
	s_branch .LBB61_237
.LBB61_243:                             ;   in Loop: Header=BB61_17 Depth=1
                                        ; implicit-def: $sgpr0_sgpr1
                                        ; implicit-def: $sgpr6_sgpr7
                                        ; implicit-def: $sgpr2_sgpr3
	s_branch .LBB61_262
.LBB61_244:                             ;   in Loop: Header=BB61_17 Depth=1
                                        ; implicit-def: $vgpr2_vgpr3
	s_branch .LBB61_187
.LBB61_245:                             ;   in Loop: Header=BB61_17 Depth=1
                                        ; implicit-def: $vgpr2_vgpr3
	s_branch .LBB61_204
.LBB61_246:                             ;   in Loop: Header=BB61_17 Depth=1
	s_mov_b64 s[0:1], -1
	s_mov_b64 s[8:9], 0
                                        ; implicit-def: $sgpr2_sgpr3
                                        ; implicit-def: $vgpr48
	s_mov_b64 s[6:7], s[0:1]
	s_cbranch_execnz .LBB61_249
	s_branch .LBB61_262
.LBB61_247:                             ;   in Loop: Header=BB61_17 Depth=1
	s_or_b64 exec, exec, s[2:3]
	v_lshrrev_b32_e32 v48, 16, v8
	s_and_b64 s[8:9], s[8:9], exec
.LBB61_248:                             ;   in Loop: Header=BB61_17 Depth=1
	s_or_b64 exec, exec, s[0:1]
	s_mov_b64 s[2:3], -1
	s_mov_b64 s[0:1], 0
	s_mov_b64 s[6:7], s[0:1]
	s_branch .LBB61_262
.LBB61_249:                             ;   in Loop: Header=BB61_17 Depth=1
	v_readlane_b32 s0, v54, 32
	s_add_u32 s6, s0, s38
	v_readlane_b32 s0, v54, 34
	s_addc_u32 s1, s0, s39
	s_mov_b32 s0, s83
	s_cmp_lg_u64 s[0:1], 0
	s_cbranch_scc0 .LBB61_283
; %bb.250:                              ;   in Loop: Header=BB61_17 Depth=1
	v_cvt_f32_u32_e32 v2, s33
	s_sub_u32 s0, 0, s33
	s_subb_u32 s2, 0, 0
	v_mac_f32_e32 v2, 0x4f800000, v45
	v_rcp_f32_e32 v2, v2
	v_mul_f32_e32 v2, 0x5f7ffffc, v2
	v_mul_f32_e32 v3, 0x2f800000, v2
	v_trunc_f32_e32 v3, v3
	v_mac_f32_e32 v2, 0xcf800000, v3
	v_cvt_u32_f32_e32 v3, v3
	v_cvt_u32_f32_e32 v2, v2
	v_readfirstlane_b32 s3, v3
	v_readfirstlane_b32 s7, v2
	s_mul_i32 s8, s0, s3
	s_mul_hi_u32 s40, s0, s7
	s_mul_i32 s9, s2, s7
	s_add_i32 s8, s40, s8
	s_mul_i32 s41, s0, s7
	s_add_i32 s8, s8, s9
	s_mul_hi_u32 s40, s7, s41
	s_mul_hi_u32 s9, s7, s8
	s_mul_i32 s7, s7, s8
	s_add_u32 s7, s40, s7
	s_addc_u32 s9, 0, s9
	s_mul_hi_u32 s42, s3, s41
	s_mul_i32 s41, s3, s41
	s_add_u32 s7, s7, s41
	s_mul_hi_u32 s40, s3, s8
	s_addc_u32 s7, s9, s42
	s_addc_u32 s9, s40, 0
	s_mul_i32 s8, s3, s8
	s_add_u32 s7, s7, s8
	s_addc_u32 s8, 0, s9
	v_add_co_u32_e32 v2, vcc, s7, v2
	s_cmp_lg_u64 vcc, 0
	s_addc_u32 s3, s3, s8
	v_readfirstlane_b32 s8, v2
	s_mul_i32 s7, s0, s3
	s_mul_hi_u32 s9, s0, s8
	s_add_i32 s7, s9, s7
	s_mul_i32 s2, s2, s8
	s_add_i32 s7, s7, s2
	s_mul_i32 s0, s0, s8
	s_mul_hi_u32 s9, s3, s0
	s_mul_i32 s40, s3, s0
	s_mul_i32 s42, s8, s7
	s_mul_hi_u32 s0, s8, s0
	s_mul_hi_u32 s41, s8, s7
	s_add_u32 s0, s0, s42
	s_addc_u32 s8, 0, s41
	s_add_u32 s0, s0, s40
	s_mul_hi_u32 s2, s3, s7
	s_addc_u32 s0, s8, s9
	s_addc_u32 s2, s2, 0
	s_mul_i32 s7, s3, s7
	s_add_u32 s0, s0, s7
	s_addc_u32 s2, 0, s2
	v_add_co_u32_e32 v2, vcc, s0, v2
	s_cmp_lg_u64 vcc, 0
	s_addc_u32 s0, s3, s2
	s_ashr_i32 s2, s1, 31
	s_add_u32 s8, s6, s2
	s_mov_b32 s3, s2
	s_addc_u32 s9, s1, s2
	s_xor_b64 s[8:9], s[8:9], s[2:3]
	v_readfirstlane_b32 s40, v2
	s_mul_i32 s7, s8, s0
	s_mul_hi_u32 s41, s8, s40
	s_mul_hi_u32 s3, s8, s0
	s_add_u32 s7, s41, s7
	s_addc_u32 s3, 0, s3
	s_mul_hi_u32 s42, s9, s40
	s_mul_i32 s40, s9, s40
	s_add_u32 s7, s7, s40
	s_mul_hi_u32 s41, s9, s0
	s_addc_u32 s3, s3, s42
	s_addc_u32 s7, s41, 0
	s_mul_i32 s0, s9, s0
	s_add_u32 s0, s3, s0
	s_addc_u32 s3, 0, s7
	s_mul_hi_u32 s7, s33, s0
	s_mul_i32 s0, s33, s0
	s_mul_i32 s3, s33, s3
	v_mov_b32_e32 v2, s0
	s_add_i32 s7, s7, s3
	v_sub_co_u32_e32 v2, vcc, s8, v2
	s_cmp_lg_u64 vcc, 0
	s_subb_u32 s0, s9, s7
	v_subrev_co_u32_e32 v3, vcc, s33, v2
	s_cmp_lg_u64 vcc, 0
	s_subb_u32 s3, s0, 0
	v_subrev_co_u32_e32 v4, vcc, s33, v3
	s_cmp_lg_u64 vcc, 0
	s_subb_u32 s7, s3, 0
	v_cmp_le_u32_e32 vcc, s33, v3
	s_cmp_eq_u32 s3, 0
	v_cndmask_b32_e64 v5, 0, -1, vcc
	s_cselect_b64 vcc, -1, 0
	v_cndmask_b32_e32 v5, -1, v5, vcc
	v_mov_b32_e32 v6, s3
	v_mov_b32_e32 v7, s7
	v_cmp_ne_u32_e32 vcc, 0, v5
	v_cndmask_b32_e32 v5, v6, v7, vcc
	v_cndmask_b32_e32 v3, v3, v4, vcc
	v_cmp_le_u32_e32 vcc, s33, v2
	s_cmp_eq_u32 s0, 0
	v_cndmask_b32_e64 v4, 0, -1, vcc
	s_cselect_b64 vcc, -1, 0
	v_cndmask_b32_e32 v4, -1, v4, vcc
	v_cmp_ne_u32_e32 vcc, 0, v4
	v_mov_b32_e32 v6, s0
	v_cndmask_b32_e32 v2, v2, v3, vcc
	v_cndmask_b32_e32 v4, v6, v5, vcc
	v_xor_b32_e32 v2, s2, v2
	v_xor_b32_e32 v3, s2, v4
	v_mov_b32_e32 v4, s2
	v_subrev_co_u32_e32 v2, vcc, s2, v2
	v_subb_co_u32_e32 v3, vcc, v3, v4, vcc
	s_cbranch_execnz .LBB61_252
.LBB61_251:                             ;   in Loop: Header=BB61_17 Depth=1
	v_cvt_f32_u32_e32 v2, s33
	s_sub_i32 s0, 0, s33
	v_rcp_iflag_f32_e32 v2, v2
	v_mul_f32_e32 v2, 0x4f7ffffe, v2
	v_cvt_u32_f32_e32 v2, v2
	v_mul_lo_u32 v3, s0, v2
	v_mul_hi_u32 v3, v2, v3
	v_add_u32_e32 v2, v2, v3
	v_mul_hi_u32 v2, s6, v2
	v_mul_lo_u32 v2, v2, s33
	v_sub_u32_e32 v2, s6, v2
	v_subrev_u32_e32 v3, s33, v2
	v_cmp_le_u32_e32 vcc, s33, v2
	v_cndmask_b32_e32 v2, v2, v3, vcc
	v_subrev_u32_e32 v3, s33, v2
	v_cmp_le_u32_e32 vcc, s33, v2
	v_cndmask_b32_e32 v12, v2, v3, vcc
	v_pk_mov_b32 v[2:3], v[12:13], v[12:13] op_sel:[0,1]
.LBB61_252:                             ;   in Loop: Header=BB61_17 Depth=1
	v_mov_b32_e32 v4, s1
	v_sub_co_u32_e32 v2, vcc, s6, v2
	v_subb_co_u32_e32 v3, vcc, v4, v3, vcc
	v_cmp_gt_i64_e32 vcc, v[2:3], v[0:1]
	s_mov_b64 s[8:9], 0
                                        ; implicit-def: $vgpr48
	s_and_saveexec_b64 s[0:1], vcc
	s_cbranch_execz .LBB61_261
; %bb.253:                              ;   in Loop: Header=BB61_17 Depth=1
	s_mov_b64 s[2:3], 0
	v_mov_b32_e32 v6, v35
	v_pk_mov_b32 v[4:5], v[0:1], v[0:1] op_sel:[0,1]
                                        ; implicit-def: $sgpr8_sgpr9
	s_branch .LBB61_255
.LBB61_254:                             ;   in Loop: Header=BB61_255 Depth=2
	s_or_b64 exec, exec, s[6:7]
	s_waitcnt lgkmcnt(0)
	s_barrier
	ds_read_b32 v7, v13 offset:3072
	v_mov_b32_e32 v8, s26
	v_add_co_u32_e64 v4, s[6:7], s33, v4
	v_addc_co_u32_e64 v5, s[6:7], v5, v8, s[6:7]
	s_waitcnt lgkmcnt(0)
	v_cmp_neq_f16_e32 vcc, 0, v7
	v_cmp_ge_i64_e64 s[6:7], v[4:5], v[2:3]
	s_or_b64 s[6:7], vcc, s[6:7]
	s_and_b64 s[6:7], exec, s[6:7]
	s_or_b64 s[2:3], s[6:7], s[2:3]
	s_andn2_b64 s[6:7], s[8:9], exec
	s_and_b64 s[8:9], vcc, exec
	v_add_u32_e32 v6, s61, v6
	s_or_b64 s[8:9], s[6:7], s[8:9]
	s_barrier
	s_andn2_b64 exec, exec, s[2:3]
	s_cbranch_execz .LBB61_260
.LBB61_255:                             ;   Parent Loop BB61_17 Depth=1
                                        ; =>  This Inner Loop Header: Depth=2
	v_cmp_gt_i64_e32 vcc, s[38:39], v[4:5]
	v_mov_b32_e32 v7, 0
	s_and_saveexec_b64 s[6:7], vcc
	s_cbranch_execz .LBB61_257
; %bb.256:                              ;   in Loop: Header=BB61_255 Depth=2
	ds_read_u16 v7, v6
.LBB61_257:                             ;   in Loop: Header=BB61_255 Depth=2
	s_or_b64 exec, exec, s[6:7]
	s_and_saveexec_b64 s[6:7], vcc
	s_cbranch_execz .LBB61_254
; %bb.258:                              ;   in Loop: Header=BB61_255 Depth=2
	s_waitcnt lgkmcnt(0)
	v_cmp_lt_i16_e32 vcc, -1, v7
	v_cndmask_b32_e32 v8, v43, v44, vcc
	v_xor_b32_sdwa v8, v8, v7 dst_sel:DWORD dst_unused:UNUSED_PAD src0_sel:DWORD src1_sel:WORD_0
	v_cmp_o_f16_e32 vcc, v7, v7
	v_cndmask_b32_e32 v8, v43, v8, vcc
	v_and_b32_e32 v8, s92, v8
	v_cmp_eq_u32_e32 vcc, s93, v8
	s_and_b64 exec, exec, vcc
	s_cbranch_execz .LBB61_254
; %bb.259:                              ;   in Loop: Header=BB61_255 Depth=2
	v_perm_b32 v7, v7, s27, v47
	ds_write_b32 v13, v7 offset:3072
	s_branch .LBB61_254
.LBB61_260:                             ;   in Loop: Header=BB61_17 Depth=1
	s_or_b64 exec, exec, s[2:3]
	v_lshrrev_b32_e32 v48, 16, v7
	s_and_b64 s[8:9], s[8:9], exec
.LBB61_261:                             ;   in Loop: Header=BB61_17 Depth=1
	s_or_b64 exec, exec, s[0:1]
	s_mov_b64 s[6:7], -1
	s_mov_b64 s[0:1], 0
	s_mov_b64 s[2:3], 0
.LBB61_262:                             ;   in Loop: Header=BB61_17 Depth=1
	s_mov_b64 s[40:41], 0
                                        ; implicit-def: $sgpr45
                                        ; implicit-def: $sgpr42_sgpr43
	s_and_saveexec_b64 s[38:39], s[8:9]
	s_cbranch_execz .LBB61_275
; %bb.263:                              ;   in Loop: Header=BB61_17 Depth=1
	s_xor_b64 s[8:9], s[16:17], -1
	s_mov_b64 s[42:43], 1
	s_andn2_b64 vcc, exec, s[8:9]
	s_mov_b32 s45, 1
	s_cbranch_vccnz .LBB61_274
; %bb.264:                              ;   in Loop: Header=BB61_17 Depth=1
	v_pk_mov_b32 v[2:3], s[10:11], s[10:11] op_sel:[0,1]
	v_cmp_gt_i64_e32 vcc, s[54:55], v[2:3]
	s_cbranch_vccnz .LBB61_270
; %bb.265:                              ;   in Loop: Header=BB61_17 Depth=1
	ds_read_b64 v[2:3], v13 offset:5120
	s_waitcnt lgkmcnt(0)
	v_cmp_ne_u64_e32 vcc, 0, v[2:3]
	s_cbranch_vccnz .LBB61_269
; %bb.266:                              ;   in Loop: Header=BB61_17 Depth=1
	s_mov_b64 s[8:9], exec
	v_readlane_b32 s16, v54, 12
	v_readlane_b32 s17, v54, 13
	s_and_b64 s[16:17], s[8:9], s[16:17]
	s_mov_b64 exec, s[16:17]
	s_cbranch_execz .LBB61_268
; %bb.267:                              ;   in Loop: Header=BB61_17 Depth=1
	v_pk_mov_b32 v[2:3], s[10:11], s[10:11] op_sel:[0,1]
	ds_write_b64 v13, v[2:3] offset:5128
.LBB61_268:                             ;   in Loop: Header=BB61_17 Depth=1
	s_or_b64 exec, exec, s[8:9]
	s_waitcnt lgkmcnt(0)
	s_barrier
.LBB61_269:                             ;   in Loop: Header=BB61_17 Depth=1
	s_or_b32 s16, s93, s44
	s_or_b32 s17, s92, s44
	s_mov_b64 s[8:9], 0
	s_mov_b32 s45, 8
	s_branch .LBB61_271
.LBB61_270:                             ;   in Loop: Header=BB61_17 Depth=1
	s_mov_b64 s[8:9], -1
                                        ; implicit-def: $sgpr45
                                        ; implicit-def: $sgpr16
                                        ; implicit-def: $sgpr17
.LBB61_271:                             ;   in Loop: Header=BB61_17 Depth=1
	s_andn2_b64 vcc, exec, s[8:9]
	s_cbranch_vccnz .LBB61_273
; %bb.272:                              ;   in Loop: Header=BB61_17 Depth=1
	s_sub_u32 s54, s54, s10
	s_subb_u32 s55, s55, s11
	s_mov_b32 s45, 8
	s_mov_b32 s16, s93
	;; [unrolled: 1-line block ×3, first 2 shown]
.LBB61_273:                             ;   in Loop: Header=BB61_17 Depth=1
	s_mov_b64 s[42:43], s[54:55]
	s_mov_b32 s93, s16
	s_mov_b32 s92, s17
.LBB61_274:                             ;   in Loop: Header=BB61_17 Depth=1
	s_mov_b64 s[40:41], exec
.LBB61_275:                             ;   in Loop: Header=BB61_17 Depth=1
	s_or_b64 exec, exec, s[38:39]
	s_mov_b64 s[54:55], s[42:43]
.LBB61_276:                             ;   in Loop: Header=BB61_17 Depth=1
	s_andn2_b64 s[8:9], s[28:29], exec
	s_and_b64 s[0:1], s[0:1], exec
	s_or_b64 s[28:29], s[8:9], s[0:1]
	s_andn2_b64 s[0:1], s[34:35], exec
	s_and_b64 s[6:7], s[6:7], exec
	s_or_b64 s[34:35], s[0:1], s[6:7]
	;; [unrolled: 3-line block ×3, first 2 shown]
	s_and_b64 s[2:3], s[40:41], exec
.LBB61_277:                             ;   in Loop: Header=BB61_17 Depth=1
	s_or_b64 exec, exec, s[36:37]
.LBB61_278:                             ;   in Loop: Header=BB61_17 Depth=1
	s_andn2_b64 s[0:1], s[20:21], exec
	s_and_b64 s[6:7], s[28:29], exec
	s_or_b64 s[20:21], s[0:1], s[6:7]
	s_andn2_b64 s[0:1], s[22:23], exec
	s_and_b64 s[6:7], s[34:35], exec
	s_or_b64 s[22:23], s[0:1], s[6:7]
	;; [unrolled: 3-line block ×3, first 2 shown]
	s_and_b64 s[2:3], s[2:3], exec
.LBB61_279:                             ;   in Loop: Header=BB61_17 Depth=1
	s_or_b64 exec, exec, s[24:25]
	s_and_saveexec_b64 s[0:1], s[2:3]
	s_xor_b64 s[0:1], exec, s[0:1]
	s_cbranch_execz .LBB61_15
.LBB61_280:                             ;   in Loop: Header=BB61_17 Depth=1
	s_and_b32 s2, s45, -9
	s_cmp_eq_u32 s2, 0
	s_cbranch_scc1 .LBB61_13
; %bb.281:                              ;   in Loop: Header=BB61_17 Depth=1
	s_mov_b64 s[2:3], -1
                                        ; implicit-def: $sgpr92
                                        ; implicit-def: $sgpr86
                                        ; implicit-def: $sgpr87
	s_mov_b64 s[6:7], -1
	s_branch .LBB61_14
.LBB61_282:                             ;   in Loop: Header=BB61_17 Depth=1
                                        ; implicit-def: $vgpr2_vgpr3
	s_branch .LBB61_234
.LBB61_283:                             ;   in Loop: Header=BB61_17 Depth=1
                                        ; implicit-def: $vgpr2_vgpr3
	s_branch .LBB61_251
.LBB61_284:
	s_or_b64 exec, exec, s[62:63]
	s_xor_b64 s[4:5], s[70:71], -1
	s_xor_b64 s[0:1], s[66:67], -1
	;; [unrolled: 1-line block ×3, first 2 shown]
	s_mov_b64 s[2:3], 0
	s_and_saveexec_b64 s[8:9], s[0:1]
	s_xor_b64 s[0:1], exec, s[8:9]
	s_cbranch_execnz .LBB61_289
; %bb.285:
	s_andn2_saveexec_b64 s[0:1], s[0:1]
	s_cbranch_execnz .LBB61_314
.LBB61_286:
	s_or_b64 exec, exec, s[0:1]
	s_and_saveexec_b64 s[0:1], s[2:3]
.LBB61_287:
	; divergent unreachable
.LBB61_288:
	s_endpgm
.LBB61_289:
	s_and_saveexec_b64 s[2:3], s[4:5]
	s_xor_b64 s[4:5], exec, s[2:3]
	s_cbranch_execz .LBB61_312
; %bb.290:
	s_and_saveexec_b64 s[2:3], s[6:7]
	s_xor_b64 s[2:3], exec, s[2:3]
; %bb.291:
	v_and_b32_e32 v3, 0x8000, v2
	v_mov_b32_e32 v4, 0x8000
	v_mov_b32_e32 v5, 0xffff
	v_cmp_eq_u32_e32 vcc, 0, v3
	v_cndmask_b32_e32 v3, v4, v5, vcc
	v_xor_b32_e32 v48, v3, v2
; %bb.292:
	s_or_b64 exec, exec, s[2:3]
	s_mov_b64 s[2:3], exec
	v_readlane_b32 s6, v54, 12
	v_readlane_b32 s7, v54, 13
	v_readlane_b32 s30, v54, 6
	s_and_b64 s[6:7], s[2:3], s[6:7]
	v_readlane_b32 s28, v54, 22
	v_readlane_b32 s31, v54, 7
	;; [unrolled: 1-line block ×3, first 2 shown]
	s_mov_b64 exec, s[6:7]
	s_cbranch_execz .LBB61_294
; %bb.293:
	v_mov_b32_e32 v2, 0
	v_mov_b32_e32 v3, s52
	ds_write_b32 v2, v3 offset:5140
.LBB61_294:
	s_or_b64 exec, exec, s[2:3]
	s_waitcnt lgkmcnt(0)
	s_barrier
	s_mov_b64 s[6:7], exec
	v_readlane_b32 s2, v54, 28
	v_readlane_b32 s3, v54, 29
	s_and_b64 s[2:3], s[6:7], s[2:3]
	s_mov_b64 exec, s[2:3]
	s_cbranch_execz .LBB61_309
; %bb.295:
	v_mov_b32_e32 v2, 0
	ds_read_b32 v4, v2 offset:5140
	v_cmp_u_f16_e32 vcc, v48, v48
	s_mov_b64 s[8:9], 0
	s_xor_b64 s[10:11], vcc, -1
                                        ; implicit-def: $sgpr12_sgpr13
                                        ; implicit-def: $sgpr14_sgpr15
                                        ; implicit-def: $sgpr16_sgpr17
	s_waitcnt lgkmcnt(0)
	v_ashrrev_i32_e32 v5, 31, v4
	s_branch .LBB61_298
.LBB61_296:                             ;   in Loop: Header=BB61_298 Depth=1
	s_or_b64 exec, exec, s[22:23]
	s_andn2_b64 s[16:17], s[16:17], exec
	s_and_b64 s[2:3], s[2:3], exec
	s_or_b64 s[16:17], s[16:17], s[2:3]
	s_andn2_b64 s[2:3], s[14:15], exec
	s_and_b64 s[14:15], s[20:21], exec
	s_or_b64 s[14:15], s[2:3], s[14:15]
.LBB61_297:                             ;   in Loop: Header=BB61_298 Depth=1
	s_or_b64 exec, exec, s[18:19]
	s_and_b64 s[2:3], exec, s[14:15]
	s_or_b64 s[8:9], s[2:3], s[8:9]
	s_andn2_b64 s[2:3], s[12:13], exec
	s_and_b64 s[12:13], s[16:17], exec
	s_or_b64 s[12:13], s[2:3], s[12:13]
	s_andn2_b64 exec, exec, s[8:9]
	s_cbranch_execz .LBB61_304
.LBB61_298:                             ; =>This Inner Loop Header: Depth=1
	v_pk_mov_b32 v[2:3], v[0:1], v[0:1] op_sel:[0,1]
	v_cmp_lt_i64_e32 vcc, v[2:3], v[4:5]
	s_or_b64 s[16:17], s[16:17], exec
	s_or_b64 s[14:15], s[14:15], exec
                                        ; implicit-def: $vgpr0_vgpr1
	s_and_saveexec_b64 s[18:19], vcc
	s_cbranch_execz .LBB61_297
; %bb.299:                              ;   in Loop: Header=BB61_298 Depth=1
	global_load_ushort v0, v[10:11], off
	s_mov_b64 s[20:21], -1
	s_waitcnt vmcnt(0)
	v_cmp_o_f16_e64 s[2:3], v0, v0
	v_cmp_neq_f16_e32 vcc, v0, v48
	s_or_b64 s[2:3], s[10:11], s[2:3]
	s_and_b64 s[24:25], vcc, s[2:3]
	s_mov_b64 s[2:3], 0
                                        ; implicit-def: $vgpr0_vgpr1
	s_and_saveexec_b64 s[22:23], s[24:25]
	s_cbranch_execz .LBB61_296
; %bb.300:                              ;   in Loop: Header=BB61_298 Depth=1
	v_mov_b32_e32 v1, s26
	v_add_co_u32_e32 v0, vcc, s33, v2
	v_addc_co_u32_e32 v1, vcc, v3, v1, vcc
	v_mov_b32_e32 v3, s81
	v_add_co_u32_e32 v10, vcc, s80, v10
	v_addc_co_u32_e32 v11, vcc, v11, v3, vcc
	v_cmp_le_i64_e32 vcc, s[52:53], v[0:1]
	s_mov_b64 s[2:3], exec
	s_orn2_b64 s[20:21], vcc, exec
	s_branch .LBB61_296
.LBB61_301:
                                        ; implicit-def: $sgpr16_sgpr17
	s_branch .LBB61_3
.LBB61_302:
                                        ; implicit-def: $sgpr0_sgpr1
                                        ; kill: killed $sgpr0_sgpr1
	s_branch .LBB61_6
.LBB61_303:
                                        ; implicit-def: $sgpr0_sgpr1
                                        ; kill: killed $sgpr0_sgpr1
	s_load_dwordx2 s[0:1], s[4:5], 0x0
	s_branch .LBB61_9
.LBB61_304:
	s_or_b64 exec, exec, s[8:9]
	s_xor_b64 s[2:3], s[12:13], -1
	s_and_saveexec_b64 s[8:9], s[2:3]
	s_xor_b64 s[8:9], exec, s[8:9]
	s_cbranch_execz .LBB61_309
; %bb.305:
	s_mov_b64 s[2:3], exec
	s_brev_b32 s8, -2
.LBB61_306:                             ; =>This Inner Loop Header: Depth=1
	s_ff1_i32_b64 s9, s[2:3]
	v_readlane_b32 s12, v2, s9
	s_lshl_b64 s[10:11], 1, s9
	s_min_i32 s8, s8, s12
	s_andn2_b64 s[2:3], s[2:3], s[10:11]
	s_cmp_lg_u64 s[2:3], 0
	s_cbranch_scc1 .LBB61_306
; %bb.307:
	v_mbcnt_lo_u32_b32 v0, exec_lo, 0
	v_mbcnt_hi_u32_b32 v0, exec_hi, v0
	v_cmp_eq_u32_e32 vcc, 0, v0
	s_and_saveexec_b64 s[2:3], vcc
	s_xor_b64 s[2:3], exec, s[2:3]
	s_cbranch_execz .LBB61_309
; %bb.308:
	v_mov_b32_e32 v0, 0
	v_mov_b32_e32 v1, s8
	ds_min_i32 v0, v1 offset:5140
.LBB61_309:
	s_or_b64 exec, exec, s[6:7]
	s_waitcnt lgkmcnt(0)
	s_barrier
	s_mov_b64 s[2:3], exec
	v_readlane_b32 s6, v54, 12
	v_readlane_b32 s7, v54, 13
	;; [unrolled: 1-line block ×3, first 2 shown]
	s_and_b64 s[6:7], s[2:3], s[6:7]
	v_readlane_b32 s9, v54, 1
	s_mov_b64 exec, s[6:7]
	s_cbranch_execz .LBB61_311
; %bb.310:
	v_readlane_b32 s10, v54, 2
	v_readlane_b32 s11, v54, 3
	s_mul_i32 s6, s10, s9
	s_mul_hi_u32 s7, s10, s8
	s_add_i32 s6, s7, s6
	s_mul_i32 s7, s11, s8
	s_add_i32 s6, s6, s7
	s_mul_i32 s7, s10, s8
	v_readlane_b32 s12, v54, 18
	s_sub_u32 s8, s28, s7
	v_readlane_b32 s14, v54, 20
	v_readlane_b32 s15, v54, 21
	s_subb_u32 s6, 0, s6
	s_mul_i32 s7, s8, s15
	s_mul_hi_u32 s9, s8, s14
	v_readlane_b32 s13, v54, 19
	s_add_i32 s7, s9, s7
	s_mul_i32 s6, s6, s14
	s_add_i32 s7, s7, s6
	s_mul_i32 s6, s8, s14
	s_mul_i32 s8, s10, s13
	s_mul_hi_u32 s9, s10, s12
	s_add_i32 s8, s9, s8
	s_mul_i32 s9, s11, s12
	v_readlane_b32 s14, v54, 4
	s_add_i32 s9, s8, s9
	s_mul_i32 s8, s10, s12
	v_readlane_b32 s15, v54, 5
	s_mul_i32 s10, s14, s31
	s_mul_hi_u32 s11, s14, s30
	s_add_i32 s10, s11, s10
	s_mul_i32 s11, s15, s30
	s_add_i32 s10, s10, s11
	s_mul_i32 s11, s14, s30
	v_readlane_b32 s16, v54, 14
	s_sub_u32 s12, s28, s11
	v_readlane_b32 s18, v54, 16
	v_readlane_b32 s19, v54, 17
	s_subb_u32 s10, 0, s10
	s_mul_i32 s11, s12, s19
	s_mul_hi_u32 s13, s12, s18
	v_readlane_b32 s17, v54, 15
	s_add_i32 s11, s13, s11
	s_mul_i32 s10, s10, s18
	s_add_i32 s11, s11, s10
	s_mul_i32 s10, s12, s18
	s_mul_i32 s12, s14, s17
	s_mul_hi_u32 s13, s14, s16
	s_add_i32 s12, s13, s12
	s_mul_i32 s13, s15, s16
	s_add_i32 s13, s12, s13
	s_mul_i32 s12, s14, s16
	s_lshl_b64 s[8:9], s[8:9], 1
	v_readlane_b32 s14, v54, 10
	v_readlane_b32 s15, v54, 11
	s_add_u32 s8, s14, s8
	s_addc_u32 s9, s15, s9
	s_lshl_b64 s[6:7], s[6:7], 1
	v_mov_b32_e32 v2, 0
	s_add_u32 s6, s8, s6
	ds_read_b32 v0, v2 offset:5140
	s_addc_u32 s7, s9, s7
	s_lshl_b64 s[8:9], s[12:13], 3
	v_readlane_b32 s12, v54, 8
	v_readlane_b32 s13, v54, 9
	s_add_u32 s12, s12, s8
	s_addc_u32 s13, s13, s9
	s_lshl_b64 s[8:9], s[10:11], 3
	s_add_u32 s8, s12, s8
	s_addc_u32 s9, s13, s9
	s_waitcnt lgkmcnt(0)
	v_ashrrev_i32_e32 v1, 31, v0
	global_store_dwordx2 v2, v[0:1], s[8:9]
	global_store_short v2, v48, s[6:7]
.LBB61_311:
	s_or_b64 exec, exec, s[2:3]
.LBB61_312:
	s_or_saveexec_b64 s[2:3], s[4:5]
	s_mov_b64 s[4:5], 0
	s_xor_b64 exec, exec, s[2:3]
	s_cbranch_execnz .LBB61_315
.LBB61_313:
	s_or_b64 exec, exec, s[2:3]
	s_and_b64 s[2:3], s[4:5], exec
	s_andn2_saveexec_b64 s[0:1], s[0:1]
	s_cbranch_execz .LBB61_286
.LBB61_314:
	s_or_b64 s[2:3], s[2:3], exec
	s_trap 2
	s_or_b64 exec, exec, s[0:1]
	s_and_saveexec_b64 s[0:1], s[2:3]
	s_cbranch_execnz .LBB61_287
	s_branch .LBB61_288
.LBB61_315:
	s_mov_b64 s[4:5], exec
	s_trap 2
	s_branch .LBB61_313
	.section	.rodata,"a",@progbits
	.p2align	6, 0x0
	.amdhsa_kernel _ZN2at6native12_GLOBAL__N_114gatherKthValueIN3c104HalfElLi2EEEvNS_4cuda6detail10TensorInfoIKT_T0_EESA_SA_SA_SA_NS7_IS8_SA_EENS7_IlSA_EE
		.amdhsa_group_segment_fixed_size 5144
		.amdhsa_private_segment_fixed_size 0
		.amdhsa_kernarg_size 1536
		.amdhsa_user_sgpr_count 6
		.amdhsa_user_sgpr_private_segment_buffer 1
		.amdhsa_user_sgpr_dispatch_ptr 0
		.amdhsa_user_sgpr_queue_ptr 0
		.amdhsa_user_sgpr_kernarg_segment_ptr 1
		.amdhsa_user_sgpr_dispatch_id 0
		.amdhsa_user_sgpr_flat_scratch_init 0
		.amdhsa_user_sgpr_kernarg_preload_length 0
		.amdhsa_user_sgpr_kernarg_preload_offset 0
		.amdhsa_user_sgpr_private_segment_size 0
		.amdhsa_uses_dynamic_stack 0
		.amdhsa_system_sgpr_private_segment_wavefront_offset 0
		.amdhsa_system_sgpr_workgroup_id_x 1
		.amdhsa_system_sgpr_workgroup_id_y 1
		.amdhsa_system_sgpr_workgroup_id_z 1
		.amdhsa_system_sgpr_workgroup_info 0
		.amdhsa_system_vgpr_workitem_id 0
		.amdhsa_next_free_vgpr 55
		.amdhsa_next_free_sgpr 96
		.amdhsa_accum_offset 56
		.amdhsa_reserve_vcc 1
		.amdhsa_reserve_flat_scratch 0
		.amdhsa_float_round_mode_32 0
		.amdhsa_float_round_mode_16_64 0
		.amdhsa_float_denorm_mode_32 3
		.amdhsa_float_denorm_mode_16_64 3
		.amdhsa_dx10_clamp 1
		.amdhsa_ieee_mode 1
		.amdhsa_fp16_overflow 0
		.amdhsa_tg_split 0
		.amdhsa_exception_fp_ieee_invalid_op 0
		.amdhsa_exception_fp_denorm_src 0
		.amdhsa_exception_fp_ieee_div_zero 0
		.amdhsa_exception_fp_ieee_overflow 0
		.amdhsa_exception_fp_ieee_underflow 0
		.amdhsa_exception_fp_ieee_inexact 0
		.amdhsa_exception_int_div_zero 0
	.end_amdhsa_kernel
	.section	.text._ZN2at6native12_GLOBAL__N_114gatherKthValueIN3c104HalfElLi2EEEvNS_4cuda6detail10TensorInfoIKT_T0_EESA_SA_SA_SA_NS7_IS8_SA_EENS7_IlSA_EE,"axG",@progbits,_ZN2at6native12_GLOBAL__N_114gatherKthValueIN3c104HalfElLi2EEEvNS_4cuda6detail10TensorInfoIKT_T0_EESA_SA_SA_SA_NS7_IS8_SA_EENS7_IlSA_EE,comdat
.Lfunc_end61:
	.size	_ZN2at6native12_GLOBAL__N_114gatherKthValueIN3c104HalfElLi2EEEvNS_4cuda6detail10TensorInfoIKT_T0_EESA_SA_SA_SA_NS7_IS8_SA_EENS7_IlSA_EE, .Lfunc_end61-_ZN2at6native12_GLOBAL__N_114gatherKthValueIN3c104HalfElLi2EEEvNS_4cuda6detail10TensorInfoIKT_T0_EESA_SA_SA_SA_NS7_IS8_SA_EENS7_IlSA_EE
                                        ; -- End function
	.section	.AMDGPU.csdata,"",@progbits
; Kernel info:
; codeLenInByte = 18892
; NumSgprs: 100
; NumVgprs: 55
; NumAgprs: 0
; TotalNumVgprs: 55
; ScratchSize: 0
; MemoryBound: 0
; FloatMode: 240
; IeeeMode: 1
; LDSByteSize: 5144 bytes/workgroup (compile time only)
; SGPRBlocks: 12
; VGPRBlocks: 6
; NumSGPRsForWavesPerEU: 100
; NumVGPRsForWavesPerEU: 55
; AccumOffset: 56
; Occupancy: 8
; WaveLimiterHint : 1
; COMPUTE_PGM_RSRC2:SCRATCH_EN: 0
; COMPUTE_PGM_RSRC2:USER_SGPR: 6
; COMPUTE_PGM_RSRC2:TRAP_HANDLER: 0
; COMPUTE_PGM_RSRC2:TGID_X_EN: 1
; COMPUTE_PGM_RSRC2:TGID_Y_EN: 1
; COMPUTE_PGM_RSRC2:TGID_Z_EN: 1
; COMPUTE_PGM_RSRC2:TIDIG_COMP_CNT: 0
; COMPUTE_PGM_RSRC3_GFX90A:ACCUM_OFFSET: 13
; COMPUTE_PGM_RSRC3_GFX90A:TG_SPLIT: 0
	.section	.text._ZN2at6native12_GLOBAL__N_114gatherKthValueIN3c104HalfElLi3EEEvNS_4cuda6detail10TensorInfoIKT_T0_EESA_SA_SA_SA_NS7_IS8_SA_EENS7_IlSA_EE,"axG",@progbits,_ZN2at6native12_GLOBAL__N_114gatherKthValueIN3c104HalfElLi3EEEvNS_4cuda6detail10TensorInfoIKT_T0_EESA_SA_SA_SA_NS7_IS8_SA_EENS7_IlSA_EE,comdat
	.globl	_ZN2at6native12_GLOBAL__N_114gatherKthValueIN3c104HalfElLi3EEEvNS_4cuda6detail10TensorInfoIKT_T0_EESA_SA_SA_SA_NS7_IS8_SA_EENS7_IlSA_EE ; -- Begin function _ZN2at6native12_GLOBAL__N_114gatherKthValueIN3c104HalfElLi3EEEvNS_4cuda6detail10TensorInfoIKT_T0_EESA_SA_SA_SA_NS7_IS8_SA_EENS7_IlSA_EE
	.p2align	8
	.type	_ZN2at6native12_GLOBAL__N_114gatherKthValueIN3c104HalfElLi3EEEvNS_4cuda6detail10TensorInfoIKT_T0_EESA_SA_SA_SA_NS7_IS8_SA_EENS7_IlSA_EE,@function
_ZN2at6native12_GLOBAL__N_114gatherKthValueIN3c104HalfElLi3EEEvNS_4cuda6detail10TensorInfoIKT_T0_EESA_SA_SA_SA_NS7_IS8_SA_EENS7_IlSA_EE: ; @_ZN2at6native12_GLOBAL__N_114gatherKthValueIN3c104HalfElLi3EEEvNS_4cuda6detail10TensorInfoIKT_T0_EESA_SA_SA_SA_NS7_IS8_SA_EENS7_IlSA_EE
; %bb.0:
	s_load_dwordx8 s[52:59], s[4:5], 0x1a0
	s_load_dwordx2 s[18:19], s[4:5], 0x500
	s_add_u32 s16, s4, 0x500
	s_addc_u32 s17, s5, 0
	s_mov_b32 s39, 0
	s_waitcnt lgkmcnt(0)
	v_mov_b32_e32 v2, s56
	s_mul_i32 s0, s19, s8
	s_add_i32 s0, s0, s7
	s_mul_i32 s0, s0, s18
	v_mov_b32_e32 v3, s57
	s_add_i32 s38, s0, s6
	v_cmp_ge_i64_e32 vcc, s[38:39], v[2:3]
	s_cbranch_vccnz .LBB62_304
; %bb.1:
	s_load_dwordx4 s[8:11], s[4:5], 0x10
	s_mov_b32 s0, s39
	s_waitcnt lgkmcnt(0)
	s_mov_b32 s1, s11
	s_cmp_lg_u64 s[0:1], 0
	s_cbranch_scc0 .LBB62_18
; %bb.2:
	s_ashr_i32 s2, s11, 31
	s_add_u32 s0, s10, s2
	s_mov_b32 s3, s2
	s_addc_u32 s1, s11, s2
	s_xor_b64 s[14:15], s[0:1], s[2:3]
	v_cvt_f32_u32_e32 v1, s14
	v_cvt_f32_u32_e32 v2, s15
	s_sub_u32 s0, 0, s14
	s_subb_u32 s1, 0, s15
	v_madmk_f32 v1, v2, 0x4f800000, v1
	v_rcp_f32_e32 v1, v1
	v_mul_f32_e32 v1, 0x5f7ffffc, v1
	v_mul_f32_e32 v2, 0x2f800000, v1
	v_trunc_f32_e32 v2, v2
	v_madmk_f32 v1, v2, 0xcf800000, v1
	v_cvt_u32_f32_e32 v2, v2
	v_cvt_u32_f32_e32 v1, v1
	v_readfirstlane_b32 s7, v2
	v_readfirstlane_b32 s19, v1
	s_mul_i32 s20, s0, s7
	s_mul_hi_u32 s22, s0, s19
	s_mul_i32 s21, s1, s19
	s_add_i32 s20, s22, s20
	s_add_i32 s20, s20, s21
	s_mul_i32 s23, s0, s19
	s_mul_hi_u32 s21, s19, s20
	s_mul_i32 s22, s19, s20
	s_mul_hi_u32 s19, s19, s23
	s_add_u32 s19, s19, s22
	s_addc_u32 s21, 0, s21
	s_mul_hi_u32 s24, s7, s23
	s_mul_i32 s23, s7, s23
	s_add_u32 s19, s19, s23
	s_mul_hi_u32 s22, s7, s20
	s_addc_u32 s19, s21, s24
	s_addc_u32 s21, s22, 0
	s_mul_i32 s20, s7, s20
	s_add_u32 s19, s19, s20
	s_addc_u32 s20, 0, s21
	v_add_co_u32_e32 v1, vcc, s19, v1
	s_cmp_lg_u64 vcc, 0
	s_addc_u32 s7, s7, s20
	v_readfirstlane_b32 s20, v1
	s_mul_i32 s19, s0, s7
	s_mul_hi_u32 s21, s0, s20
	s_add_i32 s19, s21, s19
	s_mul_i32 s1, s1, s20
	s_add_i32 s19, s19, s1
	s_mul_i32 s0, s0, s20
	s_mul_hi_u32 s21, s7, s0
	s_mul_i32 s22, s7, s0
	s_mul_i32 s24, s20, s19
	s_mul_hi_u32 s0, s20, s0
	s_mul_hi_u32 s23, s20, s19
	s_add_u32 s0, s0, s24
	s_addc_u32 s20, 0, s23
	s_add_u32 s0, s0, s22
	s_mul_hi_u32 s1, s7, s19
	s_addc_u32 s0, s20, s21
	s_addc_u32 s1, s1, 0
	s_mul_i32 s19, s7, s19
	s_add_u32 s0, s0, s19
	s_addc_u32 s1, 0, s1
	v_add_co_u32_e32 v1, vcc, s0, v1
	s_cmp_lg_u64 vcc, 0
	s_addc_u32 s7, s7, s1
	s_ashr_i32 s20, 0, 31
	s_add_u32 s0, s38, s20
	s_mov_b32 s21, s20
	s_addc_u32 s1, 0, s20
	s_xor_b64 s[22:23], s[0:1], s[20:21]
	v_readfirstlane_b32 s19, v1
	s_mul_i32 s1, s22, s7
	s_mul_hi_u32 s24, s22, s19
	s_mul_hi_u32 s0, s22, s7
	s_add_u32 s1, s24, s1
	s_addc_u32 s0, 0, s0
	s_mul_hi_u32 s25, s23, s19
	s_mul_i32 s19, s23, s19
	s_add_u32 s1, s1, s19
	s_mul_hi_u32 s24, s23, s7
	s_addc_u32 s0, s0, s25
	s_addc_u32 s1, s24, 0
	s_mul_i32 s7, s23, s7
	s_add_u32 s7, s0, s7
	s_addc_u32 s19, 0, s1
	s_mul_i32 s0, s14, s19
	s_mul_hi_u32 s1, s14, s7
	s_add_i32 s0, s1, s0
	s_mul_i32 s1, s15, s7
	s_add_i32 s24, s0, s1
	s_mul_i32 s1, s14, s7
	v_mov_b32_e32 v1, s1
	s_sub_i32 s0, s23, s24
	v_sub_co_u32_e32 v1, vcc, s22, v1
	s_cmp_lg_u64 vcc, 0
	s_subb_u32 s22, s0, s15
	v_subrev_co_u32_e64 v2, s[0:1], s14, v1
	s_cmp_lg_u64 s[0:1], 0
	s_subb_u32 s0, s22, 0
	s_cmp_ge_u32 s0, s15
	v_readfirstlane_b32 s22, v2
	s_cselect_b32 s1, -1, 0
	s_cmp_ge_u32 s22, s14
	s_cselect_b32 s22, -1, 0
	s_cmp_eq_u32 s0, s15
	s_cselect_b32 s0, s22, s1
	s_add_u32 s1, s7, 1
	s_addc_u32 s22, s19, 0
	s_add_u32 s25, s7, 2
	s_addc_u32 s26, s19, 0
	s_cmp_lg_u32 s0, 0
	s_cselect_b32 s0, s25, s1
	s_cselect_b32 s1, s26, s22
	s_cmp_lg_u64 vcc, 0
	s_subb_u32 s22, s23, s24
	s_cmp_ge_u32 s22, s15
	v_readfirstlane_b32 s24, v1
	s_cselect_b32 s23, -1, 0
	s_cmp_ge_u32 s24, s14
	s_cselect_b32 s14, -1, 0
	s_cmp_eq_u32 s22, s15
	s_cselect_b32 s14, s14, s23
	s_cmp_lg_u32 s14, 0
	s_cselect_b32 s1, s1, s19
	s_cselect_b32 s0, s0, s7
	s_xor_b64 s[2:3], s[20:21], s[2:3]
	s_xor_b64 s[0:1], s[0:1], s[2:3]
	s_sub_u32 s2, s0, s2
	s_subb_u32 s3, s1, s3
	s_cbranch_execnz .LBB62_4
.LBB62_3:
	v_cvt_f32_u32_e32 v1, s10
	s_sub_i32 s0, 0, s10
	s_mov_b32 s3, 0
	v_rcp_iflag_f32_e32 v1, v1
	v_mul_f32_e32 v1, 0x4f7ffffe, v1
	v_cvt_u32_f32_e32 v1, v1
	v_readfirstlane_b32 s1, v1
	s_mul_i32 s0, s0, s1
	s_mul_hi_u32 s0, s1, s0
	s_add_i32 s1, s1, s0
	s_mul_hi_u32 s0, s38, s1
	s_mul_i32 s2, s0, s10
	s_sub_i32 s2, s38, s2
	s_add_i32 s1, s0, 1
	s_sub_i32 s7, s2, s10
	s_cmp_ge_u32 s2, s10
	s_cselect_b32 s0, s1, s0
	s_cselect_b32 s2, s7, s2
	s_add_i32 s1, s0, 1
	s_cmp_ge_u32 s2, s10
	s_cselect_b32 s2, s1, s0
.LBB62_4:
	s_or_b64 s[0:1], s[2:3], s[8:9]
	s_mov_b32 s0, 0
	s_cmp_lg_u64 s[0:1], 0
	s_cbranch_scc0 .LBB62_19
; %bb.5:
	s_ashr_i32 s14, s9, 31
	s_add_u32 s0, s8, s14
	s_mov_b32 s15, s14
	s_addc_u32 s1, s9, s14
	s_xor_b64 s[20:21], s[0:1], s[14:15]
	v_cvt_f32_u32_e32 v1, s20
	v_cvt_f32_u32_e32 v2, s21
	s_sub_u32 s0, 0, s20
	s_subb_u32 s1, 0, s21
	v_madmk_f32 v1, v2, 0x4f800000, v1
	v_rcp_f32_e32 v1, v1
	v_mul_f32_e32 v1, 0x5f7ffffc, v1
	v_mul_f32_e32 v2, 0x2f800000, v1
	v_trunc_f32_e32 v2, v2
	v_madmk_f32 v1, v2, 0xcf800000, v1
	v_cvt_u32_f32_e32 v2, v2
	v_cvt_u32_f32_e32 v1, v1
	v_readfirstlane_b32 s7, v2
	v_readfirstlane_b32 s19, v1
	s_mul_i32 s22, s0, s7
	s_mul_hi_u32 s24, s0, s19
	s_mul_i32 s23, s1, s19
	s_add_i32 s22, s24, s22
	s_add_i32 s22, s22, s23
	s_mul_i32 s25, s0, s19
	s_mul_hi_u32 s23, s19, s22
	s_mul_i32 s24, s19, s22
	s_mul_hi_u32 s19, s19, s25
	s_add_u32 s19, s19, s24
	s_addc_u32 s23, 0, s23
	s_mul_hi_u32 s26, s7, s25
	s_mul_i32 s25, s7, s25
	s_add_u32 s19, s19, s25
	s_mul_hi_u32 s24, s7, s22
	s_addc_u32 s19, s23, s26
	s_addc_u32 s23, s24, 0
	s_mul_i32 s22, s7, s22
	s_add_u32 s19, s19, s22
	s_addc_u32 s22, 0, s23
	v_add_co_u32_e32 v1, vcc, s19, v1
	s_cmp_lg_u64 vcc, 0
	s_addc_u32 s7, s7, s22
	v_readfirstlane_b32 s22, v1
	s_mul_i32 s19, s0, s7
	s_mul_hi_u32 s23, s0, s22
	s_add_i32 s19, s23, s19
	s_mul_i32 s1, s1, s22
	s_add_i32 s19, s19, s1
	s_mul_i32 s0, s0, s22
	s_mul_hi_u32 s23, s7, s0
	s_mul_i32 s24, s7, s0
	s_mul_i32 s26, s22, s19
	s_mul_hi_u32 s0, s22, s0
	s_mul_hi_u32 s25, s22, s19
	s_add_u32 s0, s0, s26
	s_addc_u32 s22, 0, s25
	s_add_u32 s0, s0, s24
	s_mul_hi_u32 s1, s7, s19
	s_addc_u32 s0, s22, s23
	s_addc_u32 s1, s1, 0
	s_mul_i32 s19, s7, s19
	s_add_u32 s0, s0, s19
	s_addc_u32 s1, 0, s1
	v_add_co_u32_e32 v1, vcc, s0, v1
	s_cmp_lg_u64 vcc, 0
	s_addc_u32 s7, s7, s1
	s_ashr_i32 s22, s3, 31
	s_add_u32 s0, s2, s22
	s_mov_b32 s23, s22
	s_addc_u32 s1, s3, s22
	s_xor_b64 s[24:25], s[0:1], s[22:23]
	v_readfirstlane_b32 s19, v1
	s_mul_i32 s1, s24, s7
	s_mul_hi_u32 s26, s24, s19
	s_mul_hi_u32 s0, s24, s7
	s_add_u32 s1, s26, s1
	s_addc_u32 s0, 0, s0
	s_mul_hi_u32 s27, s25, s19
	s_mul_i32 s19, s25, s19
	s_add_u32 s1, s1, s19
	s_mul_hi_u32 s26, s25, s7
	s_addc_u32 s0, s0, s27
	s_addc_u32 s1, s26, 0
	s_mul_i32 s7, s25, s7
	s_add_u32 s7, s0, s7
	s_addc_u32 s19, 0, s1
	s_mul_i32 s0, s20, s19
	s_mul_hi_u32 s1, s20, s7
	s_add_i32 s0, s1, s0
	s_mul_i32 s1, s21, s7
	s_add_i32 s26, s0, s1
	s_mul_i32 s1, s20, s7
	v_mov_b32_e32 v1, s1
	s_sub_i32 s0, s25, s26
	v_sub_co_u32_e32 v1, vcc, s24, v1
	s_cmp_lg_u64 vcc, 0
	s_subb_u32 s24, s0, s21
	v_subrev_co_u32_e64 v2, s[0:1], s20, v1
	s_cmp_lg_u64 s[0:1], 0
	s_subb_u32 s0, s24, 0
	s_cmp_ge_u32 s0, s21
	v_readfirstlane_b32 s24, v2
	s_cselect_b32 s1, -1, 0
	s_cmp_ge_u32 s24, s20
	s_cselect_b32 s24, -1, 0
	s_cmp_eq_u32 s0, s21
	s_cselect_b32 s0, s24, s1
	s_add_u32 s1, s7, 1
	s_addc_u32 s24, s19, 0
	s_add_u32 s27, s7, 2
	s_addc_u32 s28, s19, 0
	s_cmp_lg_u32 s0, 0
	s_cselect_b32 s0, s27, s1
	s_cselect_b32 s1, s28, s24
	s_cmp_lg_u64 vcc, 0
	s_subb_u32 s24, s25, s26
	s_cmp_ge_u32 s24, s21
	v_readfirstlane_b32 s26, v1
	s_cselect_b32 s25, -1, 0
	s_cmp_ge_u32 s26, s20
	s_cselect_b32 s20, -1, 0
	s_cmp_eq_u32 s24, s21
	s_cselect_b32 s20, s20, s25
	s_cmp_lg_u32 s20, 0
	s_cselect_b32 s1, s1, s19
	s_cselect_b32 s0, s0, s7
	s_xor_b64 s[14:15], s[22:23], s[14:15]
	s_xor_b64 s[0:1], s[0:1], s[14:15]
	s_sub_u32 s20, s0, s14
	s_subb_u32 s21, s1, s15
	s_load_dwordx4 s[28:31], s[4:5], 0x1d0
	s_cbranch_execnz .LBB62_7
.LBB62_6:
	v_cvt_f32_u32_e32 v1, s8
	s_sub_i32 s0, 0, s8
	s_mov_b32 s21, 0
	v_rcp_iflag_f32_e32 v1, v1
	v_mul_f32_e32 v1, 0x4f7ffffe, v1
	v_cvt_u32_f32_e32 v1, v1
	v_readfirstlane_b32 s1, v1
	s_mul_i32 s0, s0, s1
	s_mul_hi_u32 s0, s1, s0
	s_add_i32 s1, s1, s0
	s_mul_hi_u32 s0, s2, s1
	s_mul_i32 s7, s0, s8
	s_sub_i32 s7, s2, s7
	s_add_i32 s1, s0, 1
	s_sub_i32 s12, s7, s8
	s_cmp_ge_u32 s7, s8
	s_cselect_b32 s0, s1, s0
	s_cselect_b32 s7, s12, s7
	s_add_i32 s1, s0, 1
	s_cmp_ge_u32 s7, s8
	s_cselect_b32 s20, s1, s0
.LBB62_7:
                                        ; implicit-def: $vgpr56 : SGPR spill to VGPR lane
	s_waitcnt lgkmcnt(0)
	s_mov_b32 s1, s31
	v_writelane_b32 v56, s28, 0
	s_mov_b32 s0, 0
	v_writelane_b32 v56, s29, 1
	s_cmp_lg_u64 s[0:1], 0
	v_writelane_b32 v56, s30, 2
	v_writelane_b32 v56, s31, 3
	s_cbranch_scc0 .LBB62_20
; %bb.8:
	s_ashr_i32 s12, s31, 31
	s_add_u32 s0, s30, s12
	s_mov_b32 s13, s12
	s_addc_u32 s1, s31, s12
	s_xor_b64 s[22:23], s[0:1], s[12:13]
	v_cvt_f32_u32_e32 v1, s22
	v_cvt_f32_u32_e32 v2, s23
	s_sub_u32 s0, 0, s22
	s_subb_u32 s1, 0, s23
	v_madmk_f32 v1, v2, 0x4f800000, v1
	v_rcp_f32_e32 v1, v1
	v_mul_f32_e32 v1, 0x5f7ffffc, v1
	v_mul_f32_e32 v2, 0x2f800000, v1
	v_trunc_f32_e32 v2, v2
	v_madmk_f32 v1, v2, 0xcf800000, v1
	v_cvt_u32_f32_e32 v2, v2
	v_cvt_u32_f32_e32 v1, v1
	v_readfirstlane_b32 s7, v2
	v_readfirstlane_b32 s19, v1
	s_mul_i32 s24, s0, s7
	s_mul_hi_u32 s26, s0, s19
	s_mul_i32 s25, s1, s19
	s_add_i32 s24, s26, s24
	s_add_i32 s24, s24, s25
	s_mul_i32 s27, s0, s19
	s_mul_hi_u32 s25, s19, s24
	s_mul_i32 s26, s19, s24
	s_mul_hi_u32 s19, s19, s27
	s_add_u32 s19, s19, s26
	s_addc_u32 s25, 0, s25
	s_mul_hi_u32 s28, s7, s27
	s_mul_i32 s27, s7, s27
	s_add_u32 s19, s19, s27
	s_mul_hi_u32 s26, s7, s24
	s_addc_u32 s19, s25, s28
	s_addc_u32 s25, s26, 0
	s_mul_i32 s24, s7, s24
	s_add_u32 s19, s19, s24
	s_addc_u32 s24, 0, s25
	v_add_co_u32_e32 v1, vcc, s19, v1
	s_cmp_lg_u64 vcc, 0
	s_addc_u32 s7, s7, s24
	v_readfirstlane_b32 s24, v1
	s_mul_i32 s19, s0, s7
	s_mul_hi_u32 s25, s0, s24
	s_add_i32 s19, s25, s19
	s_mul_i32 s1, s1, s24
	s_add_i32 s19, s19, s1
	s_mul_i32 s0, s0, s24
	s_mul_hi_u32 s25, s7, s0
	s_mul_i32 s26, s7, s0
	s_mul_i32 s28, s24, s19
	s_mul_hi_u32 s0, s24, s0
	s_mul_hi_u32 s27, s24, s19
	s_add_u32 s0, s0, s28
	s_addc_u32 s24, 0, s27
	s_add_u32 s0, s0, s26
	s_mul_hi_u32 s1, s7, s19
	s_addc_u32 s0, s24, s25
	s_addc_u32 s1, s1, 0
	s_mul_i32 s19, s7, s19
	s_add_u32 s0, s0, s19
	s_addc_u32 s1, 0, s1
	v_add_co_u32_e32 v1, vcc, s0, v1
	s_cmp_lg_u64 vcc, 0
	s_addc_u32 s7, s7, s1
	s_ashr_i32 s24, 0, 31
	s_add_u32 s0, s38, s24
	s_mov_b32 s25, s24
	s_addc_u32 s1, 0, s24
	s_xor_b64 s[26:27], s[0:1], s[24:25]
	v_readfirstlane_b32 s19, v1
	s_mul_i32 s1, s26, s7
	s_mul_hi_u32 s28, s26, s19
	s_mul_hi_u32 s0, s26, s7
	s_add_u32 s1, s28, s1
	s_addc_u32 s0, 0, s0
	s_mul_hi_u32 s29, s27, s19
	s_mul_i32 s19, s27, s19
	s_add_u32 s1, s1, s19
	s_mul_hi_u32 s28, s27, s7
	s_addc_u32 s0, s0, s29
	s_addc_u32 s1, s28, 0
	s_mul_i32 s7, s27, s7
	s_add_u32 s7, s0, s7
	s_addc_u32 s19, 0, s1
	s_mul_i32 s0, s22, s19
	s_mul_hi_u32 s1, s22, s7
	s_add_i32 s0, s1, s0
	s_mul_i32 s1, s23, s7
	s_add_i32 s28, s0, s1
	s_mul_i32 s1, s22, s7
	v_mov_b32_e32 v1, s1
	s_sub_i32 s0, s27, s28
	v_sub_co_u32_e32 v1, vcc, s26, v1
	s_cmp_lg_u64 vcc, 0
	s_subb_u32 s26, s0, s23
	v_subrev_co_u32_e64 v2, s[0:1], s22, v1
	s_cmp_lg_u64 s[0:1], 0
	s_subb_u32 s0, s26, 0
	s_cmp_ge_u32 s0, s23
	v_readfirstlane_b32 s26, v2
	s_cselect_b32 s1, -1, 0
	s_cmp_ge_u32 s26, s22
	s_cselect_b32 s26, -1, 0
	s_cmp_eq_u32 s0, s23
	s_cselect_b32 s0, s26, s1
	s_add_u32 s1, s7, 1
	s_addc_u32 s26, s19, 0
	s_add_u32 s29, s7, 2
	s_addc_u32 s30, s19, 0
	s_cmp_lg_u32 s0, 0
	s_cselect_b32 s0, s29, s1
	s_cselect_b32 s1, s30, s26
	s_cmp_lg_u64 vcc, 0
	s_subb_u32 s26, s27, s28
	s_cmp_ge_u32 s26, s23
	v_readfirstlane_b32 s28, v1
	s_cselect_b32 s27, -1, 0
	s_cmp_ge_u32 s28, s22
	s_cselect_b32 s22, -1, 0
	s_cmp_eq_u32 s26, s23
	s_cselect_b32 s22, s22, s27
	s_load_dwordx4 s[28:31], s[4:5], 0x1d0
	s_cmp_lg_u32 s22, 0
	s_cselect_b32 s1, s1, s19
	s_cselect_b32 s0, s0, s7
	s_xor_b64 s[12:13], s[24:25], s[12:13]
	s_xor_b64 s[0:1], s[0:1], s[12:13]
	s_sub_u32 s0, s0, s12
	s_subb_u32 s1, s1, s13
	s_cbranch_execnz .LBB62_10
.LBB62_9:
	s_waitcnt lgkmcnt(0)
	v_cvt_f32_u32_e32 v1, s30
	s_sub_i32 s0, 0, s30
	s_mov_b32 s13, 0
	v_rcp_iflag_f32_e32 v1, v1
	v_mul_f32_e32 v1, 0x4f7ffffe, v1
	v_cvt_u32_f32_e32 v1, v1
	v_readfirstlane_b32 s1, v1
	s_mul_i32 s0, s0, s1
	s_mul_hi_u32 s0, s1, s0
	s_add_i32 s1, s1, s0
	s_mul_hi_u32 s0, s38, s1
	s_mul_i32 s7, s0, s30
	s_sub_i32 s7, s38, s7
	s_add_i32 s1, s0, 1
	s_sub_i32 s12, s7, s30
	s_cmp_ge_u32 s7, s30
	s_cselect_b32 s0, s1, s0
	s_cselect_b32 s7, s12, s7
	s_add_i32 s1, s0, 1
	s_cmp_ge_u32 s7, s30
	s_cselect_b32 s12, s1, s0
	s_mov_b64 s[0:1], s[12:13]
.LBB62_10:
	s_waitcnt lgkmcnt(0)
	s_mov_b64 s[30:31], s[0:1]
	s_or_b64 s[0:1], s[0:1], s[28:29]
	s_mov_b32 s0, 0
	s_cmp_lg_u64 s[0:1], 0
	v_writelane_b32 v56, s30, 4
	v_writelane_b32 v56, s31, 5
	s_cbranch_scc0 .LBB62_21
; %bb.11:
	s_ashr_i32 s14, s29, 31
	s_add_u32 s0, s28, s14
	s_mov_b32 s15, s14
	s_addc_u32 s1, s29, s14
	s_xor_b64 s[22:23], s[0:1], s[14:15]
	v_cvt_f32_u32_e32 v1, s22
	v_cvt_f32_u32_e32 v2, s23
	s_sub_u32 s0, 0, s22
	s_subb_u32 s1, 0, s23
	v_madmk_f32 v1, v2, 0x4f800000, v1
	v_rcp_f32_e32 v1, v1
	v_mul_f32_e32 v1, 0x5f7ffffc, v1
	v_mul_f32_e32 v2, 0x2f800000, v1
	v_trunc_f32_e32 v2, v2
	v_madmk_f32 v1, v2, 0xcf800000, v1
	v_cvt_u32_f32_e32 v2, v2
	v_cvt_u32_f32_e32 v1, v1
	v_readfirstlane_b32 s7, v2
	v_readfirstlane_b32 s19, v1
	s_mul_i32 s24, s0, s7
	s_mul_hi_u32 s26, s0, s19
	s_mul_i32 s25, s1, s19
	s_add_i32 s24, s26, s24
	s_add_i32 s24, s24, s25
	s_mul_i32 s27, s0, s19
	s_mul_hi_u32 s25, s19, s24
	s_mul_i32 s26, s19, s24
	s_mul_hi_u32 s19, s19, s27
	s_add_u32 s19, s19, s26
	s_addc_u32 s25, 0, s25
	s_mul_hi_u32 s28, s7, s27
	s_mul_i32 s27, s7, s27
	s_add_u32 s19, s19, s27
	s_mul_hi_u32 s26, s7, s24
	s_addc_u32 s19, s25, s28
	s_addc_u32 s25, s26, 0
	s_mul_i32 s24, s7, s24
	s_add_u32 s19, s19, s24
	s_addc_u32 s24, 0, s25
	v_add_co_u32_e32 v1, vcc, s19, v1
	s_cmp_lg_u64 vcc, 0
	s_addc_u32 s7, s7, s24
	v_readfirstlane_b32 s24, v1
	s_mul_i32 s19, s0, s7
	s_mul_hi_u32 s25, s0, s24
	s_add_i32 s19, s25, s19
	s_mul_i32 s1, s1, s24
	s_add_i32 s19, s19, s1
	s_mul_i32 s0, s0, s24
	s_mul_hi_u32 s25, s7, s0
	s_mul_i32 s26, s7, s0
	s_mul_i32 s28, s24, s19
	s_mul_hi_u32 s0, s24, s0
	s_mul_hi_u32 s27, s24, s19
	s_add_u32 s0, s0, s28
	s_addc_u32 s24, 0, s27
	s_add_u32 s0, s0, s26
	s_mul_hi_u32 s1, s7, s19
	s_addc_u32 s0, s24, s25
	s_addc_u32 s1, s1, 0
	s_mul_i32 s19, s7, s19
	s_add_u32 s0, s0, s19
	s_addc_u32 s1, 0, s1
	v_add_co_u32_e32 v1, vcc, s0, v1
	s_cmp_lg_u64 vcc, 0
	s_addc_u32 s7, s7, s1
	s_ashr_i32 s24, s31, 31
	s_add_u32 s0, s30, s24
	s_mov_b32 s25, s24
	s_addc_u32 s1, s31, s24
	s_xor_b64 s[26:27], s[0:1], s[24:25]
	v_readfirstlane_b32 s19, v1
	s_mul_i32 s1, s26, s7
	s_mul_hi_u32 s28, s26, s19
	s_mul_hi_u32 s0, s26, s7
	s_add_u32 s1, s28, s1
	s_addc_u32 s0, 0, s0
	s_mul_hi_u32 s29, s27, s19
	s_mul_i32 s19, s27, s19
	s_add_u32 s1, s1, s19
	s_mul_hi_u32 s28, s27, s7
	s_addc_u32 s0, s0, s29
	s_addc_u32 s1, s28, 0
	s_mul_i32 s7, s27, s7
	s_add_u32 s7, s0, s7
	s_addc_u32 s19, 0, s1
	s_mul_i32 s0, s22, s19
	s_mul_hi_u32 s1, s22, s7
	s_add_i32 s0, s1, s0
	s_mul_i32 s1, s23, s7
	s_add_i32 s28, s0, s1
	s_mul_i32 s1, s22, s7
	v_mov_b32_e32 v1, s1
	s_sub_i32 s0, s27, s28
	v_sub_co_u32_e32 v1, vcc, s26, v1
	s_cmp_lg_u64 vcc, 0
	s_subb_u32 s26, s0, s23
	v_subrev_co_u32_e64 v2, s[0:1], s22, v1
	s_cmp_lg_u64 s[0:1], 0
	s_subb_u32 s0, s26, 0
	s_cmp_ge_u32 s0, s23
	v_readfirstlane_b32 s26, v2
	s_cselect_b32 s1, -1, 0
	s_cmp_ge_u32 s26, s22
	s_cselect_b32 s26, -1, 0
	s_cmp_eq_u32 s0, s23
	s_cselect_b32 s0, s26, s1
	s_add_u32 s1, s7, 1
	s_addc_u32 s26, s19, 0
	s_add_u32 s29, s7, 2
	s_addc_u32 s30, s19, 0
	s_cmp_lg_u32 s0, 0
	s_cselect_b32 s0, s29, s1
	s_cselect_b32 s1, s30, s26
	s_cmp_lg_u64 vcc, 0
	s_subb_u32 s26, s27, s28
	s_cmp_ge_u32 s26, s23
	v_readfirstlane_b32 s28, v1
	s_cselect_b32 s27, -1, 0
	s_cmp_ge_u32 s28, s22
	s_cselect_b32 s22, -1, 0
	s_cmp_eq_u32 s26, s23
	s_cselect_b32 s22, s22, s27
	s_load_dwordx4 s[28:31], s[4:5], 0x1d0
	s_cmp_lg_u32 s22, 0
	s_cselect_b32 s1, s1, s19
	s_cselect_b32 s0, s0, s7
	s_xor_b64 s[14:15], s[24:25], s[14:15]
	s_xor_b64 s[0:1], s[0:1], s[14:15]
	s_sub_u32 s34, s0, s14
	s_subb_u32 s35, s1, s15
	s_load_dwordx4 s[40:43], s[4:5], 0x370
	s_cbranch_execnz .LBB62_13
.LBB62_12:
	s_waitcnt lgkmcnt(0)
	v_cvt_f32_u32_e32 v1, s28
	s_sub_i32 s0, 0, s28
	v_readlane_b32 s12, v56, 4
	s_mov_b32 s35, 0
	v_rcp_iflag_f32_e32 v1, v1
	v_readlane_b32 s13, v56, 5
	v_mul_f32_e32 v1, 0x4f7ffffe, v1
	v_cvt_u32_f32_e32 v1, v1
	v_readfirstlane_b32 s1, v1
	s_mul_i32 s0, s0, s1
	s_mul_hi_u32 s0, s1, s0
	s_add_i32 s1, s1, s0
	s_mul_hi_u32 s0, s12, s1
	s_mul_i32 s7, s0, s28
	s_sub_i32 s7, s12, s7
	s_add_i32 s1, s0, 1
	s_sub_i32 s12, s7, s28
	s_cmp_ge_u32 s7, s28
	s_cselect_b32 s0, s1, s0
	s_cselect_b32 s7, s12, s7
	s_add_i32 s1, s0, 1
	s_cmp_ge_u32 s7, s28
	s_cselect_b32 s34, s1, s0
.LBB62_13:
	s_mov_b32 s0, 0
	s_waitcnt lgkmcnt(0)
	s_mov_b32 s1, s43
	s_cmp_lg_u64 s[0:1], 0
	s_cbranch_scc0 .LBB62_22
; %bb.14:
	s_ashr_i32 s12, s43, 31
	s_add_u32 s0, s42, s12
	s_mov_b32 s13, s12
	s_addc_u32 s1, s43, s12
	s_xor_b64 s[22:23], s[0:1], s[12:13]
	v_cvt_f32_u32_e32 v1, s22
	v_cvt_f32_u32_e32 v2, s23
	s_sub_u32 s0, 0, s22
	s_subb_u32 s1, 0, s23
	v_madmk_f32 v1, v2, 0x4f800000, v1
	v_rcp_f32_e32 v1, v1
	v_mul_f32_e32 v1, 0x5f7ffffc, v1
	v_mul_f32_e32 v2, 0x2f800000, v1
	v_trunc_f32_e32 v2, v2
	v_madmk_f32 v1, v2, 0xcf800000, v1
	v_cvt_u32_f32_e32 v2, v2
	v_cvt_u32_f32_e32 v1, v1
	v_readfirstlane_b32 s7, v2
	v_readfirstlane_b32 s19, v1
	s_mul_i32 s24, s0, s7
	s_mul_hi_u32 s26, s0, s19
	s_mul_i32 s25, s1, s19
	s_add_i32 s24, s26, s24
	s_add_i32 s24, s24, s25
	s_mul_i32 s27, s0, s19
	s_mul_hi_u32 s25, s19, s24
	s_mul_i32 s26, s19, s24
	s_mul_hi_u32 s19, s19, s27
	s_add_u32 s19, s19, s26
	s_addc_u32 s25, 0, s25
	s_mul_hi_u32 s28, s7, s27
	s_mul_i32 s27, s7, s27
	s_add_u32 s19, s19, s27
	s_mul_hi_u32 s26, s7, s24
	s_addc_u32 s19, s25, s28
	s_addc_u32 s25, s26, 0
	s_mul_i32 s24, s7, s24
	s_add_u32 s19, s19, s24
	s_addc_u32 s24, 0, s25
	v_add_co_u32_e32 v1, vcc, s19, v1
	s_cmp_lg_u64 vcc, 0
	s_addc_u32 s7, s7, s24
	v_readfirstlane_b32 s24, v1
	s_mul_i32 s19, s0, s7
	s_mul_hi_u32 s25, s0, s24
	s_add_i32 s19, s25, s19
	s_mul_i32 s1, s1, s24
	s_add_i32 s19, s19, s1
	s_mul_i32 s0, s0, s24
	s_mul_hi_u32 s25, s7, s0
	s_mul_i32 s26, s7, s0
	s_mul_i32 s28, s24, s19
	s_mul_hi_u32 s0, s24, s0
	s_mul_hi_u32 s27, s24, s19
	s_add_u32 s0, s0, s28
	s_addc_u32 s24, 0, s27
	s_add_u32 s0, s0, s26
	s_mul_hi_u32 s1, s7, s19
	s_addc_u32 s0, s24, s25
	s_addc_u32 s1, s1, 0
	s_mul_i32 s19, s7, s19
	s_add_u32 s0, s0, s19
	s_addc_u32 s1, 0, s1
	v_add_co_u32_e32 v1, vcc, s0, v1
	s_cmp_lg_u64 vcc, 0
	s_addc_u32 s7, s7, s1
	s_ashr_i32 s24, 0, 31
	s_add_u32 s0, s38, s24
	s_mov_b32 s25, s24
	s_addc_u32 s1, 0, s24
	s_xor_b64 s[26:27], s[0:1], s[24:25]
	v_readfirstlane_b32 s19, v1
	s_mul_i32 s1, s26, s7
	s_mul_hi_u32 s28, s26, s19
	s_mul_hi_u32 s0, s26, s7
	s_add_u32 s1, s28, s1
	s_addc_u32 s0, 0, s0
	s_mul_hi_u32 s29, s27, s19
	s_mul_i32 s19, s27, s19
	s_add_u32 s1, s1, s19
	s_mul_hi_u32 s28, s27, s7
	s_addc_u32 s0, s0, s29
	s_addc_u32 s1, s28, 0
	s_mul_i32 s7, s27, s7
	s_add_u32 s7, s0, s7
	s_addc_u32 s19, 0, s1
	s_mul_i32 s0, s22, s19
	s_mul_hi_u32 s1, s22, s7
	s_add_i32 s0, s1, s0
	s_mul_i32 s1, s23, s7
	s_add_i32 s28, s0, s1
	s_mul_i32 s1, s22, s7
	v_mov_b32_e32 v1, s1
	s_sub_i32 s0, s27, s28
	v_sub_co_u32_e32 v1, vcc, s26, v1
	s_cmp_lg_u64 vcc, 0
	s_subb_u32 s26, s0, s23
	v_subrev_co_u32_e64 v2, s[0:1], s22, v1
	s_cmp_lg_u64 s[0:1], 0
	s_subb_u32 s0, s26, 0
	s_cmp_ge_u32 s0, s23
	v_readfirstlane_b32 s26, v2
	s_cselect_b32 s1, -1, 0
	s_cmp_ge_u32 s26, s22
	s_cselect_b32 s26, -1, 0
	s_cmp_eq_u32 s0, s23
	s_cselect_b32 s0, s26, s1
	s_add_u32 s1, s7, 1
	s_addc_u32 s26, s19, 0
	s_add_u32 s29, s7, 2
	s_addc_u32 s30, s19, 0
	s_cmp_lg_u32 s0, 0
	s_cselect_b32 s0, s29, s1
	s_cselect_b32 s1, s30, s26
	s_cmp_lg_u64 vcc, 0
	s_subb_u32 s26, s27, s28
	s_cmp_ge_u32 s26, s23
	v_readfirstlane_b32 s28, v1
	s_cselect_b32 s27, -1, 0
	s_cmp_ge_u32 s28, s22
	s_cselect_b32 s22, -1, 0
	s_cmp_eq_u32 s26, s23
	s_cselect_b32 s22, s22, s27
	s_cmp_lg_u32 s22, 0
	s_cselect_b32 s1, s1, s19
	s_cselect_b32 s0, s0, s7
	s_xor_b64 s[12:13], s[24:25], s[12:13]
	s_xor_b64 s[0:1], s[0:1], s[12:13]
	s_sub_u32 s44, s0, s12
	s_subb_u32 s45, s1, s13
	s_cbranch_execnz .LBB62_16
.LBB62_15:
	v_cvt_f32_u32_e32 v1, s42
	s_sub_i32 s0, 0, s42
	s_mov_b32 s45, 0
	v_rcp_iflag_f32_e32 v1, v1
	v_mul_f32_e32 v1, 0x4f7ffffe, v1
	v_cvt_u32_f32_e32 v1, v1
	v_readfirstlane_b32 s1, v1
	s_mul_i32 s0, s0, s1
	s_mul_hi_u32 s0, s1, s0
	s_add_i32 s1, s1, s0
	s_mul_hi_u32 s0, s38, s1
	s_mul_i32 s7, s0, s42
	s_sub_i32 s7, s38, s7
	s_add_i32 s1, s0, 1
	s_sub_i32 s12, s7, s42
	s_cmp_ge_u32 s7, s42
	s_cselect_b32 s0, s1, s0
	s_cselect_b32 s7, s12, s7
	s_add_i32 s1, s0, 1
	s_cmp_ge_u32 s7, s42
	s_cselect_b32 s44, s1, s0
.LBB62_16:
	s_load_dwordx2 s[22:23], s[4:5], 0xe0
	s_load_dwordx4 s[12:15], s[4:5], 0xd0
	s_or_b64 s[0:1], s[44:45], s[40:41]
	s_mov_b32 s0, 0
	v_writelane_b32 v56, s34, 6
	s_cmp_lg_u64 s[0:1], 0
	v_writelane_b32 v56, s35, 7
	s_cbranch_scc0 .LBB62_23
; %bb.17:
	s_ashr_i32 s26, s41, 31
	s_add_u32 s0, s40, s26
	s_mov_b32 s27, s26
	s_addc_u32 s1, s41, s26
	s_xor_b64 s[28:29], s[0:1], s[26:27]
	v_cvt_f32_u32_e32 v1, s28
	v_cvt_f32_u32_e32 v2, s29
	s_sub_u32 s0, 0, s28
	s_subb_u32 s1, 0, s29
	s_mov_b64 s[24:25], 0
	v_madmk_f32 v1, v2, 0x4f800000, v1
	v_rcp_f32_e32 v1, v1
	v_mul_f32_e32 v1, 0x5f7ffffc, v1
	v_mul_f32_e32 v2, 0x2f800000, v1
	v_trunc_f32_e32 v2, v2
	v_madmk_f32 v1, v2, 0xcf800000, v1
	v_cvt_u32_f32_e32 v2, v2
	v_cvt_u32_f32_e32 v1, v1
	v_readfirstlane_b32 s7, v2
	v_readfirstlane_b32 s19, v1
	s_mul_i32 s30, s0, s7
	s_mul_hi_u32 s33, s0, s19
	s_mul_i32 s31, s1, s19
	s_add_i32 s30, s33, s30
	s_add_i32 s30, s30, s31
	s_mul_i32 s34, s0, s19
	s_mul_hi_u32 s31, s19, s30
	s_mul_i32 s33, s19, s30
	s_mul_hi_u32 s19, s19, s34
	s_add_u32 s19, s19, s33
	s_addc_u32 s31, 0, s31
	s_mul_hi_u32 s35, s7, s34
	s_mul_i32 s34, s7, s34
	s_add_u32 s19, s19, s34
	s_mul_hi_u32 s33, s7, s30
	s_addc_u32 s19, s31, s35
	s_addc_u32 s31, s33, 0
	s_mul_i32 s30, s7, s30
	s_add_u32 s19, s19, s30
	s_addc_u32 s30, 0, s31
	v_add_co_u32_e32 v1, vcc, s19, v1
	s_cmp_lg_u64 vcc, 0
	s_addc_u32 s7, s7, s30
	v_readfirstlane_b32 s30, v1
	s_mul_i32 s19, s0, s7
	s_mul_hi_u32 s31, s0, s30
	s_add_i32 s19, s31, s19
	s_mul_i32 s1, s1, s30
	s_add_i32 s19, s19, s1
	s_mul_i32 s0, s0, s30
	s_mul_hi_u32 s31, s7, s0
	s_mul_i32 s33, s7, s0
	s_mul_i32 s35, s30, s19
	s_mul_hi_u32 s0, s30, s0
	s_mul_hi_u32 s34, s30, s19
	s_add_u32 s0, s0, s35
	s_addc_u32 s30, 0, s34
	s_add_u32 s0, s0, s33
	s_mul_hi_u32 s1, s7, s19
	s_addc_u32 s0, s30, s31
	s_addc_u32 s1, s1, 0
	s_mul_i32 s19, s7, s19
	s_add_u32 s0, s0, s19
	s_addc_u32 s1, 0, s1
	v_add_co_u32_e32 v1, vcc, s0, v1
	s_cmp_lg_u64 vcc, 0
	s_addc_u32 s7, s7, s1
	s_ashr_i32 s30, s45, 31
	s_add_u32 s0, s44, s30
	s_mov_b32 s31, s30
	s_addc_u32 s1, s45, s30
	s_xor_b64 s[34:35], s[0:1], s[30:31]
	v_readfirstlane_b32 s19, v1
	s_mul_i32 s1, s34, s7
	s_mul_hi_u32 s33, s34, s19
	s_mul_hi_u32 s0, s34, s7
	s_add_u32 s1, s33, s1
	s_addc_u32 s0, 0, s0
	s_mul_hi_u32 s36, s35, s19
	s_mul_i32 s19, s35, s19
	s_add_u32 s1, s1, s19
	s_mul_hi_u32 s33, s35, s7
	s_addc_u32 s0, s0, s36
	s_addc_u32 s1, s33, 0
	s_mul_i32 s7, s35, s7
	s_add_u32 s7, s0, s7
	s_addc_u32 s19, 0, s1
	s_mul_i32 s0, s28, s19
	s_mul_hi_u32 s1, s28, s7
	s_add_i32 s0, s1, s0
	s_mul_i32 s1, s29, s7
	s_add_i32 s33, s0, s1
	s_mul_i32 s1, s28, s7
	v_mov_b32_e32 v1, s1
	s_sub_i32 s0, s35, s33
	v_sub_co_u32_e32 v1, vcc, s34, v1
	s_cmp_lg_u64 vcc, 0
	s_subb_u32 s34, s0, s29
	v_subrev_co_u32_e64 v2, s[0:1], s28, v1
	s_cmp_lg_u64 s[0:1], 0
	s_subb_u32 s0, s34, 0
	s_cmp_ge_u32 s0, s29
	v_readfirstlane_b32 s34, v2
	s_cselect_b32 s1, -1, 0
	s_cmp_ge_u32 s34, s28
	s_cselect_b32 s34, -1, 0
	s_cmp_eq_u32 s0, s29
	s_cselect_b32 s0, s34, s1
	s_add_u32 s1, s7, 1
	s_addc_u32 s34, s19, 0
	s_add_u32 s36, s7, 2
	s_addc_u32 s37, s19, 0
	s_cmp_lg_u32 s0, 0
	s_cselect_b32 s0, s36, s1
	s_cselect_b32 s1, s37, s34
	s_cmp_lg_u64 vcc, 0
	s_subb_u32 s33, s35, s33
	s_cmp_ge_u32 s33, s29
	v_readfirstlane_b32 s35, v1
	s_cselect_b32 s34, -1, 0
	s_cmp_ge_u32 s35, s28
	s_cselect_b32 s28, -1, 0
	s_cmp_eq_u32 s33, s29
	s_cselect_b32 s28, s28, s34
	s_cmp_lg_u32 s28, 0
	s_cselect_b32 s1, s1, s19
	s_cselect_b32 s0, s0, s7
	s_xor_b64 s[26:27], s[30:31], s[26:27]
	s_xor_b64 s[0:1], s[0:1], s[26:27]
	s_sub_u32 s0, s0, s26
	s_subb_u32 s1, s1, s27
	v_writelane_b32 v56, s0, 20
	v_writelane_b32 v56, s1, 21
	s_branch .LBB62_24
.LBB62_18:
                                        ; implicit-def: $sgpr2_sgpr3
	s_branch .LBB62_3
.LBB62_19:
                                        ; implicit-def: $sgpr20_sgpr21
	s_load_dwordx4 s[28:31], s[4:5], 0x1d0
	s_branch .LBB62_6
.LBB62_20:
                                        ; implicit-def: $sgpr0_sgpr1
	s_branch .LBB62_9
.LBB62_21:
                                        ; implicit-def: $sgpr34_sgpr35
	s_load_dwordx4 s[40:43], s[4:5], 0x370
	s_branch .LBB62_12
.LBB62_22:
                                        ; implicit-def: $sgpr44_sgpr45
	s_branch .LBB62_15
.LBB62_23:
	s_mov_b64 s[24:25], -1
                                        ; implicit-def: $sgpr0_sgpr1
                                        ; kill: killed $sgpr0_sgpr1
.LBB62_24:
	s_load_dwordx2 s[0:1], s[4:5], 0x440
	s_load_dwordx4 s[28:31], s[4:5], 0x430
	s_andn2_b64 vcc, exec, s[24:25]
	s_waitcnt lgkmcnt(0)
	v_writelane_b32 v56, s0, 8
	v_writelane_b32 v56, s1, 9
	s_load_dwordx2 s[0:1], s[4:5], 0x2a0
	v_writelane_b32 v56, s28, 10
	v_writelane_b32 v56, s29, 11
	;; [unrolled: 1-line block ×4, first 2 shown]
	s_load_dwordx4 s[28:31], s[4:5], 0x290
	s_waitcnt lgkmcnt(0)
	v_writelane_b32 v56, s0, 14
	v_writelane_b32 v56, s1, 15
	s_load_dwordx2 s[0:1], s[4:5], 0x0
	v_writelane_b32 v56, s28, 16
	v_writelane_b32 v56, s29, 17
	;; [unrolled: 1-line block ×4, first 2 shown]
	s_cbranch_vccnz .LBB62_26
; %bb.25:
	v_cvt_f32_u32_e32 v1, s40
	s_sub_i32 s7, 0, s40
	s_mov_b32 s27, 0
	v_rcp_iflag_f32_e32 v1, v1
	v_mul_f32_e32 v1, 0x4f7ffffe, v1
	v_cvt_u32_f32_e32 v1, v1
	v_readfirstlane_b32 s19, v1
	s_mul_i32 s7, s7, s19
	s_mul_hi_u32 s7, s19, s7
	s_add_i32 s19, s19, s7
	s_mul_hi_u32 s7, s44, s19
	s_mul_i32 s24, s7, s40
	s_sub_i32 s24, s44, s24
	s_add_i32 s19, s7, 1
	s_sub_i32 s25, s24, s40
	s_cmp_ge_u32 s24, s40
	s_cselect_b32 s7, s19, s7
	s_cselect_b32 s24, s25, s24
	s_add_i32 s19, s7, 1
	s_cmp_ge_u32 s24, s40
	s_cselect_b32 s26, s19, s7
	v_writelane_b32 v56, s26, 20
	v_writelane_b32 v56, s27, 21
.LBB62_26:
	v_writelane_b32 v56, s44, 22
	v_writelane_b32 v56, s45, 23
	s_load_dwordx2 s[24:25], s[4:5], 0x360
	v_writelane_b32 v56, s40, 24
	v_writelane_b32 v56, s41, 25
	s_load_dwordx2 s[4:5], s[4:5], 0x1c0
	v_writelane_b32 v56, s42, 26
	v_writelane_b32 v56, s43, 27
	s_waitcnt lgkmcnt(0)
	v_writelane_b32 v56, s24, 28
	v_writelane_b32 v56, s25, 29
	;; [unrolled: 1-line block ×3, first 2 shown]
	s_mov_b32 s93, 0
	v_writelane_b32 v56, s5, 31
	v_cmp_eq_u32_e64 s[24:25], 0, v0
	s_mov_b64 s[4:5], exec
	v_writelane_b32 v56, s24, 32
	v_writelane_b32 v56, s25, 33
	s_and_b64 s[24:25], s[4:5], s[24:25]
	s_mov_b64 exec, s[24:25]
	s_cbranch_execz .LBB62_28
; %bb.27:
	v_mov_b32_e32 v2, 0
	v_mov_b32_e32 v4, s52
	;; [unrolled: 1-line block ×4, first 2 shown]
	ds_write_b32 v2, v2 offset:5136
	ds_write_b128 v2, v[2:5] offset:5120
.LBB62_28:
	s_or_b64 exec, exec, s[4:5]
	s_mul_i32 s4, s20, s9
	s_mul_hi_u32 s5, s20, s8
	s_add_i32 s4, s5, s4
	s_mul_i32 s5, s21, s8
	s_add_i32 s4, s4, s5
	s_mul_i32 s5, s20, s8
	s_sub_u32 s7, s2, s5
	s_subb_u32 s4, s3, s4
	s_mul_i32 s5, s7, s15
	s_mul_hi_u32 s8, s7, s14
	s_add_i32 s5, s8, s5
	s_mul_i32 s4, s4, s14
	s_add_i32 s5, s5, s4
	s_mul_i32 s4, s7, s14
	s_mul_i32 s7, s20, s13
	s_mul_hi_u32 s8, s20, s12
	s_add_i32 s7, s8, s7
	s_mul_i32 s8, s21, s12
	s_add_i32 s9, s7, s8
	s_mul_i32 s7, s2, s11
	s_mul_hi_u32 s11, s2, s10
	s_add_i32 s7, s11, s7
	s_mul_i32 s3, s3, s10
	s_add_i32 s7, s7, s3
	s_mul_i32 s2, s2, s10
	s_mov_b32 s10, s38
	v_writelane_b32 v56, s10, 34
	s_sub_u32 s2, s38, s2
	v_writelane_b32 v56, s11, 35
	s_subb_u32 s3, 0, s7
	s_mul_i32 s7, s2, s23
	s_mul_hi_u32 s10, s2, s22
	s_mul_i32 s8, s20, s12
	s_add_i32 s7, s10, s7
	s_mul_i32 s3, s3, s22
	s_add_i32 s3, s7, s3
	s_lshl_b64 s[8:9], s[8:9], 1
	s_add_u32 s7, s0, s8
	s_addc_u32 s12, s1, s9
	s_lshl_b64 s[10:11], s[4:5], 1
	s_mul_i32 s2, s2, s22
	s_add_u32 s4, s7, s10
	v_mbcnt_lo_u32_b32 v1, -1, 0
	s_addc_u32 s5, s12, s11
	s_lshl_b64 s[12:13], s[2:3], 1
	v_mbcnt_hi_u32_b32 v36, -1, v1
	s_add_u32 s14, s4, s12
	v_cmp_gt_u32_e32 vcc, 64, v0
	v_cmp_gt_i32_e64 s[2:3], 4, v36
	s_addc_u32 s15, s5, s13
	s_and_b64 s[46:47], vcc, s[2:3]
	v_cmp_gt_u32_e64 s[2:3], 2, v0
	v_mov_b32_e32 v2, 0x600
	v_writelane_b32 v56, s2, 36
	v_mov_b32_e32 v3, 0
	v_writelane_b32 v56, s3, 37
	v_cmp_gt_i64_e64 s[2:3], s[52:53], v[2:3]
	v_writelane_b32 v56, s2, 38
	v_writelane_b32 v56, s3, 39
	v_mad_u64_u32 v[2:3], s[2:3], v0, s58, 0
	v_mov_b32_e32 v13, 0
	v_mov_b32_e32 v4, v3
	;; [unrolled: 1-line block ×3, first 2 shown]
	v_mad_u64_u32 v[4:5], s[2:3], v0, s59, v[4:5]
	v_mov_b32_e32 v6, s15
	v_writelane_b32 v56, s14, 40
	v_writelane_b32 v56, s15, 41
	v_cmp_gt_i64_e64 s[2:3], s[52:53], v[0:1]
	v_writelane_b32 v56, s2, 42
	s_waitcnt lgkmcnt(0)
	s_barrier
	v_writelane_b32 v56, s3, 43
	s_load_dword s2, s[16:17], 0xc
	v_mov_b32_e32 v3, v4
	v_lshlrev_b64 v[4:5], 1, v[2:3]
	v_add_co_u32_e32 v14, vcc, s14, v4
	s_waitcnt lgkmcnt(0)
	s_and_b32 s33, s2, 0xffff
	s_bfe_u32 s3, s2, 0xa0006
	v_cmp_gt_u16_e64 s[14:15], s2, 63
	v_writelane_b32 v56, s14, 44
	s_add_u32 s2, s33, -1
	v_writelane_b32 v56, s15, 45
	s_addc_u32 s7, 0, -1
	v_writelane_b32 v56, s2, 46
	s_add_u32 s2, s2, s52
	s_addc_u32 s91, s7, s53
	s_cmp_lt_u32 s6, s18
	v_writelane_b32 v56, s2, 47
	s_cselect_b32 s2, 12, 18
	s_add_u32 s68, s16, s2
	s_addc_u32 s69, s17, 0
	s_add_i32 s2, s3, -1
	s_bfe_u32 s6, s33, 0x30006
	s_cmp_gt_u32 s2, 6
	v_writelane_b32 v56, s7, 48
	s_cselect_b64 s[14:15], -1, 0
	v_writelane_b32 v56, s14, 49
	s_and_b32 s82, s3, 0x3f8
	v_writelane_b32 v56, s15, 50
	s_cmp_lg_u32 s6, 0
	v_writelane_b32 v56, s6, 51
	s_cselect_b64 s[2:3], -1, 0
	v_writelane_b32 v56, s2, 52
	v_writelane_b32 v56, s3, 53
	s_add_u32 s2, s8, s12
	v_addc_co_u32_e32 v15, vcc, v6, v5, vcc
	v_lshrrev_b32_e32 v6, 4, v0
	s_addc_u32 s3, s9, s13
	v_and_b32_e32 v39, 60, v6
	v_lshlrev_b32_e32 v6, 2, v36
	s_add_u32 s2, s2, s10
	v_and_b32_e32 v40, 0x100, v6
	v_lshlrev_b64 v[6:7], v36, -1
	s_addc_u32 s3, s3, s11
	v_lshlrev_b32_e32 v41, 3, v0
	v_not_b32_e32 v19, v7
	s_add_u32 s2, s0, s2
	v_or_b32_e32 v7, 6, v41
	s_addc_u32 s3, s1, s3
	v_mad_u64_u32 v[20:21], s[0:1], s58, v7, 0
	v_not_b32_e32 v18, v6
	v_mov_b32_e32 v6, v21
	v_mad_u64_u32 v[6:7], s[0:1], s59, v7, v[6:7]
	s_lshl_b64 s[0:1], s[58:59], 3
	v_writelane_b32 v56, s0, 54
	v_or_b32_e32 v7, 4, v41
	v_writelane_b32 v56, s1, 55
	v_mad_u64_u32 v[22:23], s[0:1], s58, v7, 0
	v_mov_b32_e32 v21, v6
	v_mov_b32_e32 v6, v23
	v_mad_u64_u32 v[6:7], s[0:1], s59, v7, v[6:7]
	v_or_b32_e32 v7, 2, v41
	v_mad_u64_u32 v[24:25], s[0:1], s58, v7, 0
	v_mov_b32_e32 v23, v6
	v_mov_b32_e32 v6, v25
	v_lshlrev_b64 v[26:27], 3, v[2:3]
	v_mov_b32_e32 v2, s53
	v_add_co_u32_e32 v42, vcc, s52, v0
	v_mad_u64_u32 v[6:7], s[0:1], s59, v7, v[6:7]
	v_addc_co_u32_e32 v43, vcc, 0, v2, vcc
	v_mov_b32_e32 v2, 0xc00
	v_lshl_or_b32 v44, v36, 3, v2
	v_mov_b32_e32 v2, s3
	v_writelane_b32 v56, s2, 56
	s_mul_i32 s0, s59, s33
	s_mul_hi_u32 s1, s58, s33
	v_lshlrev_b32_e32 v37, 1, v0
	v_writelane_b32 v56, s3, 57
	v_add_co_u32_e32 v10, vcc, s2, v4
	s_add_i32 s1, s1, s0
	s_mul_i32 s0, s58, s33
	v_cmp_eq_u32_e64 s[4:5], 0, v36
	v_add_u32_e32 v38, 0xc00, v37
	v_lshlrev_b32_e32 v16, 2, v0
	v_mov_b32_e32 v17, v13
	s_mov_b32 s26, s93
	s_lshl_b64 s[78:79], s[58:59], 1
	v_mov_b32_e32 v25, v6
	v_addc_co_u32_e32 v11, vcc, v2, v5, vcc
	s_lshl_b64 s[94:95], s[0:1], 1
	s_lshl_b32 s83, s33, 1
	s_mov_b32 s86, 14
	s_mov_b64 s[60:61], 0
	s_movk_i32 s27, 0x3c00
	v_mov_b32_e32 v45, 0xffff
	v_mov_b32_e32 v46, 0x8000
	v_cvt_f32_ubyte0_e32 v47, 0
	v_mov_b32_e32 v48, -1
	v_mov_b32_e32 v49, 0x5040100
	v_mov_b32_e32 v50, 0
	s_mov_b32 s87, 0
	s_mov_b32 s89, 0
	;; [unrolled: 1-line block ×3, first 2 shown]
	v_writelane_b32 v56, s46, 58
                                        ; implicit-def: $sgpr62_sgpr63
                                        ; implicit-def: $sgpr66_sgpr67
                                        ; implicit-def: $sgpr64_sgpr65
                                        ; implicit-def: $sgpr76_sgpr77
                                        ; implicit-def: $sgpr80_sgpr81
                                        ; implicit-def: $sgpr70_sgpr71
	v_writelane_b32 v56, s47, 59
	s_branch .LBB62_33
.LBB62_29:                              ;   in Loop: Header=BB62_33 Depth=1
	s_xor_b32 s87, s87, 1
	s_add_i32 s8, s86, -2
	s_cmp_eq_u32 s86, 0
	s_mov_b64 s[2:3], 0
	s_cselect_b64 s[6:7], -1, 0
	s_mov_b32 s86, s8
.LBB62_30:                              ;   in Loop: Header=BB62_33 Depth=1
	s_andn2_b64 s[8:9], s[20:21], exec
	s_and_b64 s[2:3], s[2:3], exec
	s_or_b64 s[20:21], s[8:9], s[2:3]
	s_andn2_b64 s[22:23], s[22:23], exec
	s_andn2_b64 s[18:19], s[18:19], exec
	s_orn2_b64 s[14:15], s[6:7], exec
.LBB62_31:                              ;   in Loop: Header=BB62_33 Depth=1
	s_or_b64 exec, exec, s[0:1]
	s_andn2_b64 s[0:1], s[70:71], exec
	s_and_b64 s[2:3], s[20:21], exec
	s_or_b64 s[70:71], s[0:1], s[2:3]
	s_andn2_b64 s[0:1], s[80:81], exec
	s_and_b64 s[2:3], s[22:23], exec
	s_or_b64 s[80:81], s[0:1], s[2:3]
	;; [unrolled: 3-line block ×3, first 2 shown]
	s_orn2_b64 s[18:19], s[14:15], exec
.LBB62_32:                              ;   in Loop: Header=BB62_33 Depth=1
	s_or_b64 exec, exec, s[12:13]
	s_and_b64 s[0:1], exec, s[18:19]
	s_or_b64 s[60:61], s[0:1], s[60:61]
	s_andn2_b64 s[0:1], s[64:65], exec
	s_and_b64 s[2:3], s[70:71], exec
	s_or_b64 s[64:65], s[0:1], s[2:3]
	s_andn2_b64 s[0:1], s[66:67], exec
	s_and_b64 s[2:3], s[80:81], exec
	;; [unrolled: 3-line block ×3, first 2 shown]
	v_mov_b32_e32 v2, s89
	s_or_b64 s[62:63], s[0:1], s[2:3]
	s_andn2_b64 exec, exec, s[60:61]
	s_cbranch_execz .LBB62_300
.LBB62_33:                              ; =>This Loop Header: Depth=1
                                        ;     Child Loop BB62_38 Depth 2
                                        ;     Child Loop BB62_57 Depth 2
	;; [unrolled: 1-line block ×16, first 2 shown]
	ds_read_b128 v[2:5], v13 offset:5120
	s_waitcnt lgkmcnt(0)
	v_readfirstlane_b32 s73, v3
	v_readfirstlane_b32 s72, v2
	v_cmp_gt_i64_e64 s[0:1], s[72:73], 0
	s_and_b64 vcc, exec, s[0:1]
	s_cbranch_vccnz .LBB62_64
; %bb.34:                               ;   in Loop: Header=BB62_33 Depth=1
	v_readlane_b32 s0, v56, 38
	v_readlane_b32 s1, v56, 39
	s_and_b64 vcc, exec, s[0:1]
	s_cbranch_vccz .LBB62_46
; %bb.35:                               ;   in Loop: Header=BB62_33 Depth=1
	s_mov_b64 s[0:1], 0x601
	v_cmp_gt_i64_e32 vcc, s[0:1], v[4:5]
	s_mov_b64 s[0:1], 0
	s_mov_b64 s[2:3], 0
	s_cbranch_vccz .LBB62_51
; %bb.36:                               ;   in Loop: Header=BB62_33 Depth=1
	global_load_ushort v6, v13, s[68:69]
	global_load_ushort v7, v[14:15], off
	v_readlane_b32 s2, v56, 56
	v_readlane_b32 s3, v56, 57
	v_pk_mov_b32 v[2:3], s[2:3], s[2:3] op_sel:[0,1]
	s_mov_b64 s[2:3], 0
	s_waitcnt vmcnt(1)
	v_readfirstlane_b32 s6, v6
	s_and_b32 s6, 0xffff, s6
	v_add_u32_e32 v5, s6, v0
	s_mul_i32 s8, s79, s6
	s_mul_hi_u32 s9, s78, s6
	s_mul_i32 s16, s78, s6
	v_mad_u64_u32 v[2:3], s[6:7], s78, v5, v[2:3]
	v_mov_b32_e32 v4, v3
	v_mad_u64_u32 v[4:5], s[6:7], s79, v5, v[4:5]
	s_add_i32 s17, s9, s8
	v_mov_b32_e32 v3, v4
	v_pk_mov_b32 v[4:5], v[0:1], v[0:1] op_sel:[0,1]
	s_branch .LBB62_38
.LBB62_37:                              ;   in Loop: Header=BB62_38 Depth=2
	s_or_b64 exec, exec, s[6:7]
	v_mov_b32_e32 v7, s17
	v_add_co_u32_e32 v2, vcc, s16, v2
	v_addc_co_u32_e32 v3, vcc, v3, v7, vcc
	v_mov_b32_e32 v7, v8
	s_andn2_b64 exec, exec, s[2:3]
	s_cbranch_execz .LBB62_47
.LBB62_38:                              ;   Parent Loop BB62_33 Depth=1
                                        ; =>  This Inner Loop Header: Depth=2
	v_add_co_u32_sdwa v4, vcc, v4, v6 dst_sel:DWORD dst_unused:UNUSED_PAD src0_sel:DWORD src1_sel:WORD_0
	v_addc_co_u32_e32 v5, vcc, 0, v5, vcc
	v_cmp_gt_i64_e64 s[6:7], s[52:53], v[4:5]
	v_cmp_le_i64_e32 vcc, s[52:53], v[4:5]
	s_waitcnt lgkmcnt(0)
	v_mov_b32_e32 v9, 0
	v_mov_b32_e32 v8, 0
	s_and_saveexec_b64 s[8:9], s[6:7]
	s_cbranch_execz .LBB62_40
; %bb.39:                               ;   in Loop: Header=BB62_38 Depth=2
	global_load_ushort v8, v[2:3], off
.LBB62_40:                              ;   in Loop: Header=BB62_38 Depth=2
	s_or_b64 exec, exec, s[8:9]
	s_waitcnt vmcnt(0)
	v_cmp_lt_i16_e64 s[6:7], -1, v7
	v_cndmask_b32_e64 v12, v45, v46, s[6:7]
	v_xor_b32_sdwa v12, v12, v7 dst_sel:DWORD dst_unused:UNUSED_PAD src0_sel:DWORD src1_sel:WORD_0
	v_cmp_o_f16_e64 s[6:7], v7, v7
	v_cndmask_b32_e64 v12, v45, v12, s[6:7]
	v_and_b32_e32 v12, s88, v12
	v_cmp_eq_u32_e64 s[10:11], s89, v12
	s_cmp_lg_u64 s[10:11], 0
	s_cselect_b64 s[6:7], -1, 0
	s_and_b64 s[6:7], s[4:5], s[6:7]
	s_and_saveexec_b64 s[8:9], s[6:7]
	s_cbranch_execz .LBB62_44
; %bb.41:                               ;   in Loop: Header=BB62_38 Depth=2
	s_mov_b64 s[14:15], exec
	v_mbcnt_lo_u32_b32 v9, s14, 0
	v_mbcnt_hi_u32_b32 v9, s15, v9
	s_bcnt1_i32_b64 s18, s[10:11]
	v_cmp_eq_u32_e64 s[6:7], 0, v9
                                        ; implicit-def: $vgpr12
	s_and_saveexec_b64 s[12:13], s[6:7]
	s_cbranch_execz .LBB62_43
; %bb.42:                               ;   in Loop: Header=BB62_38 Depth=2
	s_bcnt1_i32_b64 s6, s[14:15]
	s_mul_i32 s6, s18, s6
	v_mov_b32_e32 v12, s6
	ds_add_rtn_u32 v12, v13, v12 offset:5136
.LBB62_43:                              ;   in Loop: Header=BB62_38 Depth=2
	s_or_b64 exec, exec, s[12:13]
	s_waitcnt lgkmcnt(0)
	v_readfirstlane_b32 s6, v12
	v_mov_b32_e32 v12, s6
	v_mad_u32_u24 v9, s18, v9, v12
.LBB62_44:                              ;   in Loop: Header=BB62_38 Depth=2
	s_or_b64 exec, exec, s[8:9]
	ds_bpermute_b32 v9, v40, v9
	s_and_b64 s[6:7], exec, vcc
	s_or_b64 s[2:3], s[6:7], s[2:3]
	s_and_saveexec_b64 s[6:7], s[10:11]
	s_cbranch_execz .LBB62_37
; %bb.45:                               ;   in Loop: Header=BB62_38 Depth=2
	v_and_b32_e32 v28, s10, v18
	v_and_b32_e32 v12, s11, v19
	v_bcnt_u32_b32 v28, v28, 0
	v_bcnt_u32_b32 v12, v12, v28
	v_lshlrev_b32_e32 v12, 1, v12
	s_waitcnt lgkmcnt(0)
	v_lshl_add_u32 v9, v9, 1, v12
	ds_write_b16 v9, v7
	s_branch .LBB62_37
.LBB62_46:                              ;   in Loop: Header=BB62_33 Depth=1
	s_mov_b64 s[0:1], -1
	s_mov_b64 s[2:3], 0
	s_branch .LBB62_50
.LBB62_47:                              ;   in Loop: Header=BB62_33 Depth=1
	s_or_b64 exec, exec, s[2:3]
	s_waitcnt lgkmcnt(0)
	s_barrier
	s_mov_b64 s[2:3], exec
	v_readlane_b32 s6, v56, 32
	v_readlane_b32 s7, v56, 33
	s_and_b64 s[6:7], s[2:3], s[6:7]
	s_mov_b64 exec, s[6:7]
	s_cbranch_execz .LBB62_49
; %bb.48:                               ;   in Loop: Header=BB62_33 Depth=1
	ds_read_b32 v2, v13 offset:5136
	s_waitcnt lgkmcnt(0)
	v_ashrrev_i32_e32 v3, 31, v2
	ds_write_b64 v13, v[2:3] offset:5120
.LBB62_49:                              ;   in Loop: Header=BB62_33 Depth=1
	s_or_b64 exec, exec, s[2:3]
	s_waitcnt lgkmcnt(0)
	s_barrier
	s_mov_b64 s[2:3], -1
.LBB62_50:                              ;   in Loop: Header=BB62_33 Depth=1
                                        ; implicit-def: $sgpr72_sgpr73
.LBB62_51:                              ;   in Loop: Header=BB62_33 Depth=1
	s_and_b64 vcc, exec, s[0:1]
	s_cbranch_vccz .LBB62_62
; %bb.52:                               ;   in Loop: Header=BB62_33 Depth=1
	v_mov_b32_e32 v6, 0
	s_mov_b64 s[0:1], exec
	v_readlane_b32 s2, v56, 42
	v_readlane_b32 s3, v56, 43
	s_and_b64 s[2:3], s[0:1], s[2:3]
	s_mov_b64 exec, s[2:3]
	s_cbranch_execz .LBB62_54
; %bb.53:                               ;   in Loop: Header=BB62_33 Depth=1
	global_load_ushort v6, v[14:15], off
.LBB62_54:                              ;   in Loop: Header=BB62_33 Depth=1
	s_or_b64 exec, exec, s[0:1]
	s_mov_b64 s[0:1], exec
	v_readlane_b32 s2, v56, 42
	v_readlane_b32 s3, v56, 43
	s_and_b64 s[2:3], s[0:1], s[2:3]
	s_mov_b64 exec, s[2:3]
	s_cbranch_execz .LBB62_59
; %bb.55:                               ;   in Loop: Header=BB62_33 Depth=1
	global_load_ushort v7, v13, s[68:69]
	v_readlane_b32 s2, v56, 56
	v_readlane_b32 s3, v56, 57
	v_pk_mov_b32 v[2:3], s[2:3], s[2:3] op_sel:[0,1]
	s_mov_b64 s[2:3], 0
	v_mov_b32_e32 v8, v37
	s_waitcnt vmcnt(0)
	v_readfirstlane_b32 s6, v7
	s_and_b32 s6, 0xffff, s6
	v_add_u32_e32 v5, s6, v0
	s_lshl_b32 s10, s6, 1
	s_mul_i32 s8, s79, s6
	s_mul_hi_u32 s9, s78, s6
	s_mul_i32 s11, s78, s6
	v_mad_u64_u32 v[2:3], s[6:7], s78, v5, v[2:3]
	v_mov_b32_e32 v4, v3
	v_mad_u64_u32 v[4:5], s[6:7], s79, v5, v[4:5]
	s_add_i32 s12, s9, s8
	v_mov_b32_e32 v3, v4
	v_pk_mov_b32 v[4:5], v[0:1], v[0:1] op_sel:[0,1]
	s_branch .LBB62_57
.LBB62_56:                              ;   in Loop: Header=BB62_57 Depth=2
	s_or_b64 exec, exec, s[8:9]
	s_and_b64 s[6:7], exec, vcc
	ds_write_b16 v8, v6
	v_mov_b32_e32 v6, s12
	v_add_co_u32_e32 v2, vcc, s11, v2
	s_or_b64 s[2:3], s[6:7], s[2:3]
	v_add_u32_e32 v8, s10, v8
	v_addc_co_u32_e32 v3, vcc, v3, v6, vcc
	s_waitcnt vmcnt(0)
	v_mov_b32_e32 v6, v9
	s_andn2_b64 exec, exec, s[2:3]
	s_cbranch_execz .LBB62_59
.LBB62_57:                              ;   Parent Loop BB62_33 Depth=1
                                        ; =>  This Inner Loop Header: Depth=2
	v_add_co_u32_sdwa v4, vcc, v4, v7 dst_sel:DWORD dst_unused:UNUSED_PAD src0_sel:DWORD src1_sel:WORD_0
	v_addc_co_u32_e32 v5, vcc, 0, v5, vcc
	v_cmp_gt_i64_e64 s[6:7], s[52:53], v[4:5]
	v_cmp_le_i64_e32 vcc, s[52:53], v[4:5]
	v_mov_b32_e32 v9, 0
	s_and_saveexec_b64 s[8:9], s[6:7]
	s_cbranch_execz .LBB62_56
; %bb.58:                               ;   in Loop: Header=BB62_57 Depth=2
	global_load_ushort v9, v[2:3], off
	s_branch .LBB62_56
.LBB62_59:                              ;   in Loop: Header=BB62_33 Depth=1
	s_or_b64 exec, exec, s[0:1]
	s_waitcnt lgkmcnt(0)
	s_barrier
	s_mov_b64 s[0:1], exec
	v_readlane_b32 s2, v56, 32
	v_readlane_b32 s3, v56, 33
	s_and_b64 s[2:3], s[0:1], s[2:3]
	s_mov_b64 exec, s[2:3]
	s_cbranch_execz .LBB62_61
; %bb.60:                               ;   in Loop: Header=BB62_33 Depth=1
	v_pk_mov_b32 v[2:3], s[52:53], s[52:53] op_sel:[0,1]
	ds_write_b64 v13, v[2:3] offset:5120
.LBB62_61:                              ;   in Loop: Header=BB62_33 Depth=1
	s_or_b64 exec, exec, s[0:1]
	s_mov_b64 s[2:3], -1
	s_waitcnt lgkmcnt(0)
	s_barrier
                                        ; implicit-def: $sgpr72_sgpr73
.LBB62_62:                              ;   in Loop: Header=BB62_33 Depth=1
	s_and_b64 vcc, exec, s[2:3]
	s_cbranch_vccz .LBB62_64
; %bb.63:                               ;   in Loop: Header=BB62_33 Depth=1
	ds_read_b64 v[2:3], v13 offset:5120
	s_waitcnt lgkmcnt(0)
	v_readfirstlane_b32 s72, v2
.LBB62_64:                              ;   in Loop: Header=BB62_33 Depth=1
	s_cmp_lt_i32 s72, 1
	s_cbranch_scc0 .LBB62_79
; %bb.65:                               ;   in Loop: Header=BB62_33 Depth=1
	global_load_ushort v2, v13, s[68:69]
	s_mov_b32 s0, s93
	s_waitcnt vmcnt(0)
	v_readfirstlane_b32 s1, v2
	s_and_b32 s1, 0xffff, s1
	s_lshl_b32 s73, s1, 2
	s_mov_b32 s1, s53
	s_cmp_lg_u64 s[0:1], 0
	s_cbranch_scc0 .LBB62_99
; %bb.66:                               ;   in Loop: Header=BB62_33 Depth=1
	v_cvt_f32_u32_e32 v3, s73
	s_sub_u32 s0, 0, s73
	s_subb_u32 s1, 0, 0
	v_mac_f32_e32 v3, 0x4f800000, v47
	v_rcp_f32_e32 v3, v3
	v_mul_f32_e32 v3, 0x5f7ffffc, v3
	v_mul_f32_e32 v4, 0x2f800000, v3
	v_trunc_f32_e32 v4, v4
	v_mac_f32_e32 v3, 0xcf800000, v4
	v_cvt_u32_f32_e32 v4, v4
	v_cvt_u32_f32_e32 v3, v3
	v_readfirstlane_b32 s2, v4
	v_readfirstlane_b32 s3, v3
	s_mul_i32 s6, s0, s2
	s_mul_hi_u32 s8, s0, s3
	s_mul_i32 s7, s1, s3
	s_add_i32 s6, s8, s6
	s_mul_i32 s9, s0, s3
	s_add_i32 s6, s6, s7
	s_mul_hi_u32 s8, s3, s9
	s_mul_hi_u32 s7, s3, s6
	s_mul_i32 s3, s3, s6
	s_add_u32 s3, s8, s3
	s_addc_u32 s7, 0, s7
	s_mul_hi_u32 s10, s2, s9
	s_mul_i32 s9, s2, s9
	s_add_u32 s3, s3, s9
	s_mul_hi_u32 s8, s2, s6
	s_addc_u32 s3, s7, s10
	s_addc_u32 s7, s8, 0
	s_mul_i32 s6, s2, s6
	s_add_u32 s3, s3, s6
	s_addc_u32 s6, 0, s7
	v_add_co_u32_e32 v3, vcc, s3, v3
	s_cmp_lg_u64 vcc, 0
	s_addc_u32 s2, s2, s6
	v_readfirstlane_b32 s6, v3
	s_mul_i32 s3, s0, s2
	s_mul_hi_u32 s7, s0, s6
	s_add_i32 s3, s7, s3
	s_mul_i32 s1, s1, s6
	s_add_i32 s3, s3, s1
	s_mul_i32 s0, s0, s6
	s_mul_hi_u32 s7, s2, s0
	s_mul_i32 s8, s2, s0
	s_mul_i32 s10, s6, s3
	s_mul_hi_u32 s0, s6, s0
	s_mul_hi_u32 s9, s6, s3
	s_add_u32 s0, s0, s10
	s_addc_u32 s6, 0, s9
	s_add_u32 s0, s0, s8
	s_mul_hi_u32 s1, s2, s3
	s_addc_u32 s0, s6, s7
	s_addc_u32 s1, s1, 0
	s_mul_i32 s3, s2, s3
	s_add_u32 s0, s0, s3
	s_addc_u32 s1, 0, s1
	v_add_co_u32_e32 v3, vcc, s0, v3
	s_cmp_lg_u64 vcc, 0
	s_addc_u32 s6, s2, s1
	s_ashr_i32 s0, s53, 31
	s_add_u32 s2, s52, s0
	s_mov_b32 s1, s0
	s_addc_u32 s3, s53, s0
	s_xor_b64 s[2:3], s[2:3], s[0:1]
	v_readfirstlane_b32 s8, v3
	s_mul_i32 s7, s2, s6
	s_mul_hi_u32 s9, s2, s8
	s_mul_hi_u32 s1, s2, s6
	s_add_u32 s7, s9, s7
	s_addc_u32 s1, 0, s1
	s_mul_hi_u32 s10, s3, s8
	s_mul_i32 s8, s3, s8
	s_add_u32 s7, s7, s8
	s_mul_hi_u32 s9, s3, s6
	s_addc_u32 s1, s1, s10
	s_addc_u32 s7, s9, 0
	s_mul_i32 s6, s3, s6
	s_add_u32 s1, s1, s6
	s_addc_u32 s6, 0, s7
	s_mul_hi_u32 s7, s73, s1
	s_mul_i32 s1, s73, s1
	s_mul_i32 s6, s73, s6
	v_mov_b32_e32 v3, s1
	s_add_i32 s7, s7, s6
	v_sub_co_u32_e32 v3, vcc, s2, v3
	s_cmp_lg_u64 vcc, 0
	s_subb_u32 s1, s3, s7
	v_subrev_co_u32_e32 v4, vcc, s73, v3
	s_cmp_lg_u64 vcc, 0
	s_subb_u32 s2, s1, 0
	v_subrev_co_u32_e32 v5, vcc, s73, v4
	s_cmp_lg_u64 vcc, 0
	s_subb_u32 s3, s2, 0
	v_cmp_le_u32_e32 vcc, s73, v4
	s_cmp_eq_u32 s2, 0
	v_cndmask_b32_e64 v6, 0, -1, vcc
	s_cselect_b64 vcc, -1, 0
	v_cndmask_b32_e32 v6, -1, v6, vcc
	v_mov_b32_e32 v7, s2
	v_mov_b32_e32 v8, s3
	v_cmp_ne_u32_e32 vcc, 0, v6
	v_cndmask_b32_e32 v6, v7, v8, vcc
	v_cndmask_b32_e32 v4, v4, v5, vcc
	v_cmp_le_u32_e32 vcc, s73, v3
	s_cmp_eq_u32 s1, 0
	v_cndmask_b32_e64 v5, 0, -1, vcc
	s_cselect_b64 vcc, -1, 0
	v_cndmask_b32_e32 v5, -1, v5, vcc
	v_cmp_ne_u32_e32 vcc, 0, v5
	v_mov_b32_e32 v7, s1
	v_cndmask_b32_e32 v3, v3, v4, vcc
	v_cndmask_b32_e32 v5, v7, v6, vcc
	v_xor_b32_e32 v3, s0, v3
	v_xor_b32_e32 v4, s0, v5
	v_mov_b32_e32 v5, s0
	v_subrev_co_u32_e32 v28, vcc, s0, v3
	v_subb_co_u32_e32 v29, vcc, v4, v5, vcc
	s_cbranch_execnz .LBB62_68
.LBB62_67:                              ;   in Loop: Header=BB62_33 Depth=1
	v_cvt_f32_u32_e32 v3, s73
	s_sub_i32 s0, 0, s73
	v_rcp_iflag_f32_e32 v3, v3
	v_mul_f32_e32 v3, 0x4f7ffffe, v3
	v_cvt_u32_f32_e32 v3, v3
	v_mul_lo_u32 v4, s0, v3
	v_mul_hi_u32 v4, v3, v4
	v_add_u32_e32 v3, v3, v4
	v_mul_hi_u32 v3, s52, v3
	v_mul_lo_u32 v3, v3, s73
	v_sub_u32_e32 v3, s52, v3
	v_subrev_u32_e32 v4, s73, v3
	v_cmp_le_u32_e32 vcc, s73, v3
	v_cndmask_b32_e32 v3, v3, v4, vcc
	v_subrev_u32_e32 v4, s73, v3
	v_cmp_le_u32_e32 vcc, s73, v3
	v_cndmask_b32_e32 v12, v3, v4, vcc
	v_pk_mov_b32 v[28:29], v[12:13], v[12:13] op_sel:[0,1]
.LBB62_68:                              ;   in Loop: Header=BB62_33 Depth=1
	v_and_b32_e32 v12, 0xffff, v2
	v_mov_b32_e32 v2, s53
	v_sub_co_u32_e32 v30, vcc, s52, v28
	v_subb_co_u32_e32 v31, vcc, v2, v29, vcc
	v_pk_mov_b32 v[2:3], 0, 0
	v_cmp_gt_i64_e32 vcc, v[30:31], v[16:17]
	s_mov_b64 s[0:1], 0
	v_pk_mov_b32 v[4:5], v[2:3], v[2:3] op_sel:[0,1]
	v_pk_mov_b32 v[6:7], v[2:3], v[2:3] op_sel:[0,1]
	;; [unrolled: 1-line block ×3, first 2 shown]
	s_and_saveexec_b64 s[56:57], vcc
	s_cbranch_execz .LBB62_72
; %bb.69:                               ;   in Loop: Header=BB62_33 Depth=1
	v_readlane_b32 s2, v56, 54
	v_readlane_b32 s3, v56, 55
	v_mul_lo_u32 v2, s3, v12
	v_mul_hi_u32 v3, s2, v12
	v_mul_lo_u32 v52, s2, v12
	v_readlane_b32 s2, v56, 40
	v_readlane_b32 s3, v56, 41
	s_and_b32 s90, s86, 0xfe
	v_add_u32_e32 v51, v3, v2
	v_pk_mov_b32 v[32:33], s[2:3], s[2:3] op_sel:[0,1]
	s_mov_b64 s[8:9], 0
	s_mov_b64 s[84:85], 0
	;; [unrolled: 1-line block ×4, first 2 shown]
	v_pk_mov_b32 v[34:35], v[16:17], v[16:17] op_sel:[0,1]
.LBB62_70:                              ;   Parent Loop BB62_33 Depth=1
                                        ; =>  This Inner Loop Header: Depth=2
	v_add_co_u32_e32 v2, vcc, v32, v26
	v_addc_co_u32_e32 v3, vcc, v33, v27, vcc
	v_add_co_u32_e32 v4, vcc, v32, v24
	v_addc_co_u32_e32 v5, vcc, v33, v25, vcc
	;; [unrolled: 2-line block ×4, first 2 shown]
	global_load_ushort v2, v[2:3], off
	s_nop 0
	global_load_ushort v3, v[4:5], off
	s_nop 0
	global_load_ushort v4, v[6:7], off
	global_load_ushort v5, v[8:9], off
	v_add_co_u32_e32 v34, vcc, s73, v34
	v_addc_co_u32_e32 v35, vcc, 0, v35, vcc
	v_add_co_u32_e32 v32, vcc, v32, v52
	v_addc_co_u32_e32 v33, vcc, v33, v51, vcc
	v_cmp_ge_i64_e32 vcc, v[34:35], v[30:31]
	s_waitcnt vmcnt(3)
	v_cmp_lt_i16_e64 s[6:7], -1, v2
	v_cndmask_b32_e64 v6, v45, v46, s[6:7]
	s_waitcnt vmcnt(2)
	v_cmp_lt_i16_e64 s[6:7], -1, v3
	v_cndmask_b32_e64 v7, v45, v46, s[6:7]
	s_waitcnt vmcnt(1)
	v_cmp_lt_i16_e64 s[6:7], -1, v4
	v_cndmask_b32_e64 v8, v45, v46, s[6:7]
	s_waitcnt vmcnt(0)
	v_cmp_lt_i16_e64 s[6:7], -1, v5
	v_cndmask_b32_e64 v9, v45, v46, s[6:7]
	v_xor_b32_sdwa v7, v7, v3 dst_sel:DWORD dst_unused:UNUSED_PAD src0_sel:DWORD src1_sel:WORD_0
	v_cmp_o_f16_e64 s[6:7], v3, v3
	v_xor_b32_sdwa v3, v8, v4 dst_sel:DWORD dst_unused:UNUSED_PAD src0_sel:DWORD src1_sel:WORD_0
	v_cmp_o_f16_e64 s[10:11], v4, v4
	;; [unrolled: 2-line block ×4, first 2 shown]
	v_cndmask_b32_e64 v2, v45, v5, s[14:15]
	v_cndmask_b32_e64 v5, v45, v7, s[6:7]
	v_and_b32_e32 v6, s88, v2
	v_bfe_u32 v2, v2, s90, 2
	v_cndmask_b32_e64 v3, v45, v3, s[10:11]
	v_and_b32_e32 v7, s88, v5
	v_bfe_u32 v5, v5, s90, 2
	v_cmp_eq_u32_e64 s[16:17], s89, v6
	v_cmp_eq_u32_e64 s[6:7], 0, v2
	v_cndmask_b32_e64 v4, v45, v4, s[12:13]
	v_and_b32_e32 v8, s88, v3
	v_bfe_u32 v3, v3, s90, 2
	v_cmp_eq_u32_e64 s[14:15], s89, v7
	v_cmp_eq_u32_e64 s[28:29], 0, v5
	s_and_b64 s[6:7], s[16:17], s[6:7]
	v_and_b32_e32 v9, s88, v4
	v_bfe_u32 v4, v4, s90, 2
	v_cmp_eq_u32_e64 s[12:13], s89, v8
	v_cmp_eq_u32_e64 s[30:31], 0, v3
	;; [unrolled: 1-line block ×5, first 2 shown]
	v_cndmask_b32_e64 v2, 0, 1, s[6:7]
	s_and_b64 s[6:7], s[14:15], s[28:29]
	v_cmp_eq_u32_e64 s[10:11], s89, v9
	v_cmp_eq_u32_e64 s[34:35], 0, v4
	;; [unrolled: 1-line block ×5, first 2 shown]
	v_cndmask_b32_e64 v3, 0, 1, s[6:7]
	s_and_b64 s[6:7], s[12:13], s[30:31]
	v_cmp_eq_u32_e64 s[42:43], 1, v4
	v_cmp_eq_u32_e64 s[50:51], 2, v4
	;; [unrolled: 1-line block ×3, first 2 shown]
	v_cndmask_b32_e64 v4, 0, 1, s[6:7]
	s_and_b64 s[6:7], s[10:11], s[34:35]
	v_cmp_eq_u32_e64 s[38:39], 1, v5
	v_cmp_eq_u32_e64 s[46:47], 2, v5
	v_cmp_eq_u32_e64 s[22:23], 3, v5
	v_cndmask_b32_e64 v5, 0, 1, s[6:7]
	v_cmp_ne_u32_e64 s[6:7], 0, v2
	v_cmp_ne_u32_e64 s[28:29], 0, v3
	v_cmp_ne_u32_e64 s[30:31], 0, v4
	v_cmp_ne_u32_e64 s[34:35], 0, v5
	s_bcnt1_i32_b64 s6, s[6:7]
	s_bcnt1_i32_b64 s7, s[28:29]
	s_bcnt1_i32_b64 s28, s[30:31]
	s_bcnt1_i32_b64 s29, s[34:35]
	s_add_u32 s6, s6, s74
	s_addc_u32 s30, 0, s75
	s_add_u32 s6, s6, s7
	s_addc_u32 s7, s30, 0
	s_add_u32 s6, s6, s28
	s_addc_u32 s7, s7, 0
	s_add_u32 s74, s6, s29
	s_addc_u32 s75, s7, 0
	s_and_b64 s[6:7], s[16:17], s[36:37]
	v_cndmask_b32_e64 v4, 0, 1, s[6:7]
	s_and_b64 s[6:7], s[14:15], s[38:39]
	v_cndmask_b32_e64 v5, 0, 1, s[6:7]
	s_and_b64 s[6:7], s[12:13], s[40:41]
	v_cndmask_b32_e64 v6, 0, 1, s[6:7]
	s_and_b64 s[6:7], s[10:11], s[42:43]
	v_cndmask_b32_e64 v7, 0, 1, s[6:7]
	v_cmp_ne_u32_e64 s[6:7], 0, v4
	v_cmp_ne_u32_e64 s[28:29], 0, v5
	v_cmp_ne_u32_e64 s[30:31], 0, v6
	v_cmp_ne_u32_e64 s[34:35], 0, v7
	s_bcnt1_i32_b64 s6, s[6:7]
	s_bcnt1_i32_b64 s7, s[28:29]
	s_bcnt1_i32_b64 s28, s[30:31]
	s_bcnt1_i32_b64 s29, s[34:35]
	s_add_u32 s2, s6, s2
	s_addc_u32 s3, 0, s3
	s_add_u32 s2, s2, s7
	s_addc_u32 s3, s3, 0
	s_add_u32 s2, s2, s28
	s_addc_u32 s3, s3, 0
	s_add_u32 s2, s2, s29
	s_addc_u32 s3, s3, 0
	s_and_b64 s[6:7], s[16:17], s[44:45]
	v_cndmask_b32_e64 v6, 0, 1, s[6:7]
	s_and_b64 s[6:7], s[14:15], s[46:47]
	v_cndmask_b32_e64 v7, 0, 1, s[6:7]
	s_and_b64 s[6:7], s[12:13], s[48:49]
	v_cndmask_b32_e64 v8, 0, 1, s[6:7]
	s_and_b64 s[6:7], s[10:11], s[50:51]
	;; [unrolled: 24-line block ×3, first 2 shown]
	v_cndmask_b32_e64 v54, 0, 1, s[6:7]
	v_cmp_ne_u32_e64 s[6:7], 0, v8
	v_cmp_ne_u32_e64 s[10:11], 0, v9
	;; [unrolled: 1-line block ×4, first 2 shown]
	s_bcnt1_i32_b64 s6, s[6:7]
	s_bcnt1_i32_b64 s7, s[10:11]
	;; [unrolled: 1-line block ×4, first 2 shown]
	s_add_u32 s6, s6, s8
	s_addc_u32 s8, 0, s9
	s_add_u32 s6, s6, s7
	s_addc_u32 s7, s8, 0
	;; [unrolled: 2-line block ×4, first 2 shown]
	v_pk_mov_b32 v[2:3], s[74:75], s[74:75] op_sel:[0,1]
	v_pk_mov_b32 v[4:5], s[2:3], s[2:3] op_sel:[0,1]
	;; [unrolled: 1-line block ×3, first 2 shown]
	s_or_b64 s[0:1], vcc, s[0:1]
	v_pk_mov_b32 v[8:9], s[8:9], s[8:9] op_sel:[0,1]
	s_andn2_b64 exec, exec, s[0:1]
	s_cbranch_execnz .LBB62_70
; %bb.71:                               ;   in Loop: Header=BB62_33 Depth=1
	s_or_b64 exec, exec, s[0:1]
	v_readlane_b32 s46, v56, 58
	v_readlane_b32 s47, v56, 59
.LBB62_72:                              ;   in Loop: Header=BB62_33 Depth=1
	s_or_b64 exec, exec, s[56:57]
	v_add_co_u32_e32 v30, vcc, v30, v0
	v_addc_co_u32_e32 v31, vcc, 0, v31, vcc
	v_cmp_gt_i64_e32 vcc, s[52:53], v[30:31]
	v_mov_b32_e32 v34, 0
	s_and_saveexec_b64 s[0:1], vcc
	s_cbranch_execz .LBB62_74
; %bb.73:                               ;   in Loop: Header=BB62_33 Depth=1
	v_mul_lo_u32 v34, v31, s58
	v_mul_lo_u32 v35, v30, s59
	v_mad_u64_u32 v[32:33], s[2:3], v30, s58, 0
	v_add3_u32 v33, v33, v35, v34
	v_readlane_b32 s2, v56, 40
	v_lshlrev_b64 v[32:33], 1, v[32:33]
	v_readlane_b32 s3, v56, 41
	v_mov_b32_e32 v34, s3
	v_add_co_u32_e64 v32, s[6:7], s2, v32
	v_addc_co_u32_e64 v33, s[6:7], v34, v33, s[6:7]
	global_load_ushort v34, v[32:33], off
.LBB62_74:                              ;   in Loop: Header=BB62_33 Depth=1
	s_or_b64 exec, exec, s[0:1]
	s_and_saveexec_b64 s[0:1], vcc
	s_cbranch_execz .LBB62_81
; %bb.75:                               ;   in Loop: Header=BB62_33 Depth=1
	v_add_co_u32_e32 v32, vcc, v42, v12
	v_addc_co_u32_e32 v33, vcc, 0, v43, vcc
	v_sub_co_u32_e32 v32, vcc, v32, v28
	v_readlane_b32 s2, v56, 56
	v_subb_co_u32_e32 v28, vcc, v33, v29, vcc
	v_readlane_b32 s3, v56, 57
	v_mul_lo_u32 v33, s78, v28
	v_pk_mov_b32 v[28:29], s[2:3], s[2:3] op_sel:[0,1]
	v_mul_lo_u32 v35, s79, v32
	v_mad_u64_u32 v[28:29], s[2:3], s78, v32, v[28:29]
	v_add3_u32 v29, v35, v29, v33
	v_mul_lo_u32 v32, s79, v12
	v_mul_hi_u32 v33, s78, v12
	s_and_b32 s10, s86, 0xfe
	v_add_u32_e32 v32, v33, v32
	v_mul_lo_u32 v33, s78, v12
	s_mov_b64 s[2:3], 0
	s_branch .LBB62_77
.LBB62_76:                              ;   in Loop: Header=BB62_77 Depth=2
	s_or_b64 exec, exec, s[8:9]
	s_and_b64 s[6:7], exec, vcc
	s_waitcnt vmcnt(0)
	v_cmp_lt_i16_e32 vcc, -1, v34
	v_cndmask_b32_e32 v51, v45, v46, vcc
	v_xor_b32_sdwa v51, v51, v34 dst_sel:DWORD dst_unused:UNUSED_PAD src0_sel:DWORD src1_sel:WORD_0
	v_cmp_o_f16_e32 vcc, v34, v34
	v_cndmask_b32_e32 v34, v45, v51, vcc
	v_and_b32_e32 v51, s88, v34
	v_bfe_u32 v34, v34, s10, 2
	s_or_b64 s[2:3], s[6:7], s[2:3]
	v_cmp_eq_u32_e32 vcc, s89, v51
	v_cmp_eq_u32_e64 s[6:7], 0, v34
	s_and_b64 s[6:7], vcc, s[6:7]
	v_cndmask_b32_e64 v51, 0, 1, s[6:7]
	v_cmp_ne_u32_e64 s[6:7], 0, v51
	s_bcnt1_i32_b64 s6, s[6:7]
	v_add_co_u32_e64 v2, s[6:7], s6, v2
	v_addc_co_u32_e64 v3, s[6:7], 0, v3, s[6:7]
	v_cmp_eq_u32_e64 s[6:7], 1, v34
	s_and_b64 s[6:7], vcc, s[6:7]
	v_cndmask_b32_e64 v51, 0, 1, s[6:7]
	v_cmp_ne_u32_e64 s[6:7], 0, v51
	s_bcnt1_i32_b64 s6, s[6:7]
	v_add_co_u32_e64 v4, s[6:7], s6, v4
	v_addc_co_u32_e64 v5, s[6:7], 0, v5, s[6:7]
	;; [unrolled: 7-line block ×3, first 2 shown]
	v_cmp_eq_u32_e64 s[6:7], 3, v34
	s_and_b64 s[6:7], vcc, s[6:7]
	v_cndmask_b32_e64 v34, 0, 1, s[6:7]
	v_cmp_ne_u32_e32 vcc, 0, v34
	s_bcnt1_i32_b64 s6, vcc
	v_add_co_u32_e32 v8, vcc, s6, v8
	v_addc_co_u32_e32 v9, vcc, 0, v9, vcc
	v_add_co_u32_e32 v28, vcc, v28, v33
	v_addc_co_u32_e32 v29, vcc, v29, v32, vcc
	v_mov_b32_e32 v34, v35
	s_andn2_b64 exec, exec, s[2:3]
	s_cbranch_execz .LBB62_80
.LBB62_77:                              ;   Parent Loop BB62_33 Depth=1
                                        ; =>  This Inner Loop Header: Depth=2
	v_add_co_u32_e32 v30, vcc, v30, v12
	v_addc_co_u32_e32 v31, vcc, 0, v31, vcc
	v_cmp_gt_i64_e64 s[6:7], s[52:53], v[30:31]
	v_cmp_le_i64_e32 vcc, s[52:53], v[30:31]
	v_mov_b32_e32 v35, 0
	s_and_saveexec_b64 s[8:9], s[6:7]
	s_cbranch_execz .LBB62_76
; %bb.78:                               ;   in Loop: Header=BB62_77 Depth=2
	global_load_ushort v35, v[28:29], off
	s_branch .LBB62_76
.LBB62_79:                              ;   in Loop: Header=BB62_33 Depth=1
                                        ; implicit-def: $vgpr8_vgpr9
                                        ; implicit-def: $vgpr4_vgpr5
	s_cbranch_execnz .LBB62_82
	s_branch .LBB62_91
.LBB62_80:                              ;   in Loop: Header=BB62_33 Depth=1
	s_or_b64 exec, exec, s[2:3]
.LBB62_81:                              ;   in Loop: Header=BB62_33 Depth=1
	s_or_b64 exec, exec, s[0:1]
	s_branch .LBB62_91
.LBB62_82:                              ;   in Loop: Header=BB62_33 Depth=1
	global_load_ushort v8, v13, s[68:69]
	s_waitcnt vmcnt(0)
	v_readfirstlane_b32 s0, v8
	s_and_b32 s0, 0xffff, s0
	s_lshl_b32 s73, s0, 2
	v_cvt_f32_u32_e32 v2, s73
	s_sub_i32 s2, 0, s73
	s_mov_b64 s[0:1], 0
	v_and_b32_e32 v30, 0xffff, v8
	v_rcp_iflag_f32_e32 v6, v2
	v_pk_mov_b32 v[2:3], 0, 0
	v_pk_mov_b32 v[4:5], v[2:3], v[2:3] op_sel:[0,1]
	v_mul_f32_e32 v6, 0x4f7ffffe, v6
	v_cvt_u32_f32_e32 v9, v6
	v_pk_mov_b32 v[6:7], v[2:3], v[2:3] op_sel:[0,1]
	v_readfirstlane_b32 s3, v9
	s_mul_i32 s2, s2, s3
	s_mul_hi_u32 s2, s3, s2
	s_add_i32 s3, s3, s2
	s_mul_hi_u32 s2, s72, s3
	s_mul_i32 s2, s2, s73
	s_sub_i32 s2, s72, s2
	s_sub_i32 s3, s2, s73
	s_cmp_ge_u32 s2, s73
	s_cselect_b32 s2, s3, s2
	s_sub_i32 s3, s2, s73
	s_cmp_ge_u32 s2, s73
	s_cselect_b32 s2, s3, s2
	s_sub_i32 s92, s72, s2
	v_cmp_gt_u32_e32 vcc, s92, v16
	v_pk_mov_b32 v[8:9], v[2:3], v[2:3] op_sel:[0,1]
	s_and_saveexec_b64 s[2:3], vcc
	s_cbranch_execz .LBB62_86
; %bb.83:                               ;   in Loop: Header=BB62_33 Depth=1
	s_and_b32 s90, s86, 0xfe
	v_lshlrev_b32_e32 v12, 3, v30
	v_mov_b32_e32 v31, v41
	s_mov_b64 s[8:9], 0
	s_mov_b64 s[56:57], 0
	;; [unrolled: 1-line block ×4, first 2 shown]
	v_pk_mov_b32 v[28:29], v[16:17], v[16:17] op_sel:[0,1]
.LBB62_84:                              ;   Parent Loop BB62_33 Depth=1
                                        ; =>  This Inner Loop Header: Depth=2
	ds_read_b64 v[2:3], v31
	v_add_co_u32_e32 v28, vcc, s73, v28
	v_addc_co_u32_e32 v29, vcc, 0, v29, vcc
	s_waitcnt lgkmcnt(0)
	v_cmp_lt_i16_e64 s[6:7], -1, v2
	v_cndmask_b32_e64 v4, v45, v46, s[6:7]
	v_cmp_gt_i16_sdwa s[6:7], v2, v48 src0_sel:WORD_1 src1_sel:DWORD
	v_cndmask_b32_e64 v5, v45, v46, s[6:7]
	v_cmp_lt_i16_e64 s[6:7], -1, v3
	v_cndmask_b32_e64 v6, v45, v46, s[6:7]
	v_cmp_gt_i16_sdwa s[6:7], v3, v48 src0_sel:WORD_1 src1_sel:DWORD
	v_cndmask_b32_e64 v7, v45, v46, s[6:7]
	v_xor_b32_sdwa v6, v6, v3 dst_sel:DWORD dst_unused:UNUSED_PAD src0_sel:DWORD src1_sel:WORD_0
	v_cmp_o_f16_e64 s[10:11], v3, v3
	v_xor_b32_sdwa v7, v7, v3 dst_sel:DWORD dst_unused:UNUSED_PAD src0_sel:DWORD src1_sel:WORD_1
	v_cmp_o_f16_sdwa s[12:13], v3, v3 src0_sel:WORD_1 src1_sel:WORD_1
	v_xor_b32_sdwa v3, v4, v2 dst_sel:DWORD dst_unused:UNUSED_PAD src0_sel:DWORD src1_sel:WORD_0
	v_cmp_o_f16_e64 s[14:15], v2, v2
	v_xor_b32_sdwa v5, v5, v2 dst_sel:DWORD dst_unused:UNUSED_PAD src0_sel:DWORD src1_sel:WORD_1
	v_cmp_o_f16_sdwa s[6:7], v2, v2 src0_sel:WORD_1 src1_sel:WORD_1
	v_cndmask_b32_e64 v2, v45, v3, s[14:15]
	v_cndmask_b32_e64 v3, v45, v5, s[6:7]
	;; [unrolled: 1-line block ×3, first 2 shown]
	v_and_b32_e32 v6, s88, v2
	v_bfe_u32 v2, v2, s90, 2
	v_cndmask_b32_e64 v5, v45, v7, s[12:13]
	v_and_b32_e32 v7, s88, v3
	v_bfe_u32 v3, v3, s90, 2
	v_cmp_eq_u32_e64 s[16:17], s89, v6
	v_cmp_eq_u32_e64 s[6:7], 0, v2
	v_and_b32_e32 v8, s88, v4
	v_bfe_u32 v4, v4, s90, 2
	v_cmp_eq_u32_e64 s[14:15], s89, v7
	v_cmp_eq_u32_e64 s[28:29], 0, v3
	s_and_b64 s[6:7], s[16:17], s[6:7]
	v_and_b32_e32 v9, s88, v5
	v_bfe_u32 v5, v5, s90, 2
	v_cmp_eq_u32_e64 s[12:13], s89, v8
	v_cmp_eq_u32_e64 s[30:31], 0, v4
	;; [unrolled: 1-line block ×5, first 2 shown]
	v_cndmask_b32_e64 v2, 0, 1, s[6:7]
	s_and_b64 s[6:7], s[14:15], s[28:29]
	v_cmp_eq_u32_e64 s[10:11], s89, v9
	v_cmp_eq_u32_e64 s[34:35], 0, v5
	;; [unrolled: 1-line block ×5, first 2 shown]
	v_cndmask_b32_e64 v3, 0, 1, s[6:7]
	s_and_b64 s[6:7], s[12:13], s[30:31]
	v_cmp_eq_u32_e64 s[40:41], 1, v4
	v_cmp_eq_u32_e64 s[48:49], 2, v4
	;; [unrolled: 1-line block ×3, first 2 shown]
	v_cndmask_b32_e64 v4, 0, 1, s[6:7]
	s_and_b64 s[6:7], s[10:11], s[34:35]
	v_cmp_eq_u32_e64 s[42:43], 1, v5
	v_cmp_eq_u32_e64 s[50:51], 2, v5
	;; [unrolled: 1-line block ×3, first 2 shown]
	v_cndmask_b32_e64 v5, 0, 1, s[6:7]
	v_cmp_ne_u32_e64 s[6:7], 0, v2
	v_cmp_ne_u32_e64 s[28:29], 0, v3
	v_cmp_ne_u32_e64 s[30:31], 0, v4
	v_cmp_ne_u32_e64 s[34:35], 0, v5
	s_bcnt1_i32_b64 s6, s[6:7]
	s_bcnt1_i32_b64 s7, s[28:29]
	s_bcnt1_i32_b64 s28, s[30:31]
	s_bcnt1_i32_b64 s29, s[34:35]
	s_add_u32 s6, s6, s84
	s_addc_u32 s30, 0, s85
	s_add_u32 s6, s6, s7
	s_addc_u32 s7, s30, 0
	s_add_u32 s6, s6, s28
	s_addc_u32 s7, s7, 0
	s_add_u32 s84, s6, s29
	s_addc_u32 s85, s7, 0
	s_and_b64 s[6:7], s[16:17], s[36:37]
	v_cndmask_b32_e64 v4, 0, 1, s[6:7]
	s_and_b64 s[6:7], s[14:15], s[38:39]
	v_cndmask_b32_e64 v5, 0, 1, s[6:7]
	s_and_b64 s[6:7], s[12:13], s[40:41]
	v_cndmask_b32_e64 v6, 0, 1, s[6:7]
	s_and_b64 s[6:7], s[10:11], s[42:43]
	v_cndmask_b32_e64 v7, 0, 1, s[6:7]
	v_cmp_ne_u32_e64 s[6:7], 0, v4
	v_cmp_ne_u32_e64 s[28:29], 0, v5
	v_cmp_ne_u32_e64 s[30:31], 0, v6
	v_cmp_ne_u32_e64 s[34:35], 0, v7
	s_bcnt1_i32_b64 s6, s[6:7]
	s_bcnt1_i32_b64 s7, s[28:29]
	s_bcnt1_i32_b64 s28, s[30:31]
	s_bcnt1_i32_b64 s29, s[34:35]
	s_add_u32 s6, s6, s74
	s_addc_u32 s30, 0, s75
	s_add_u32 s6, s6, s7
	s_addc_u32 s7, s30, 0
	s_add_u32 s6, s6, s28
	s_addc_u32 s7, s7, 0
	s_add_u32 s74, s6, s29
	s_addc_u32 s75, s7, 0
	s_and_b64 s[6:7], s[16:17], s[44:45]
	v_cndmask_b32_e64 v6, 0, 1, s[6:7]
	s_and_b64 s[6:7], s[14:15], s[46:47]
	v_cndmask_b32_e64 v7, 0, 1, s[6:7]
	s_and_b64 s[6:7], s[12:13], s[48:49]
	v_cndmask_b32_e64 v8, 0, 1, s[6:7]
	s_and_b64 s[6:7], s[10:11], s[50:51]
	v_cndmask_b32_e64 v9, 0, 1, s[6:7]
	v_cmp_ne_u32_e64 s[6:7], 0, v6
	v_cmp_ne_u32_e64 s[28:29], 0, v7
	v_cmp_ne_u32_e64 s[30:31], 0, v8
	v_cmp_ne_u32_e64 s[34:35], 0, v9
	s_bcnt1_i32_b64 s6, s[6:7]
	s_bcnt1_i32_b64 s7, s[28:29]
	s_bcnt1_i32_b64 s28, s[30:31]
	s_bcnt1_i32_b64 s29, s[34:35]
	s_add_u32 s6, s6, s56
	s_addc_u32 s30, 0, s57
	s_add_u32 s6, s6, s7
	s_addc_u32 s7, s30, 0
	s_add_u32 s6, s6, s28
	s_addc_u32 s7, s7, 0
	s_add_u32 s56, s6, s29
	s_addc_u32 s57, s7, 0
	s_and_b64 s[6:7], s[16:17], s[24:25]
	v_cndmask_b32_e64 v8, 0, 1, s[6:7]
	s_and_b64 s[6:7], s[14:15], s[22:23]
	v_cndmask_b32_e64 v9, 0, 1, s[6:7]
	s_and_b64 s[6:7], s[12:13], s[20:21]
	v_cndmask_b32_e64 v32, 0, 1, s[6:7]
	s_and_b64 s[6:7], s[10:11], s[18:19]
	v_cndmask_b32_e64 v33, 0, 1, s[6:7]
	v_cmp_ne_u32_e64 s[6:7], 0, v8
	v_cmp_ne_u32_e64 s[10:11], 0, v9
	;; [unrolled: 1-line block ×4, first 2 shown]
	s_bcnt1_i32_b64 s6, s[6:7]
	s_bcnt1_i32_b64 s7, s[10:11]
	;; [unrolled: 1-line block ×4, first 2 shown]
	s_add_u32 s6, s6, s8
	s_addc_u32 s8, 0, s9
	s_add_u32 s6, s6, s7
	s_addc_u32 s7, s8, 0
	;; [unrolled: 2-line block ×3, first 2 shown]
	s_add_u32 s8, s6, s11
	v_cmp_le_u64_e32 vcc, s[92:93], v[28:29]
	s_addc_u32 s9, s7, 0
	v_add_u32_e32 v31, v31, v12
	v_pk_mov_b32 v[2:3], s[84:85], s[84:85] op_sel:[0,1]
	v_pk_mov_b32 v[4:5], s[74:75], s[74:75] op_sel:[0,1]
	;; [unrolled: 1-line block ×3, first 2 shown]
	s_or_b64 s[0:1], vcc, s[0:1]
	v_pk_mov_b32 v[8:9], s[8:9], s[8:9] op_sel:[0,1]
	s_andn2_b64 exec, exec, s[0:1]
	s_cbranch_execnz .LBB62_84
; %bb.85:                               ;   in Loop: Header=BB62_33 Depth=1
	s_or_b64 exec, exec, s[0:1]
	v_readlane_b32 s46, v56, 58
	v_readlane_b32 s47, v56, 59
.LBB62_86:                              ;   in Loop: Header=BB62_33 Depth=1
	s_or_b64 exec, exec, s[2:3]
	v_add_u32_e32 v12, s92, v0
	v_cmp_gt_u32_e32 vcc, s72, v12
	s_and_saveexec_b64 s[0:1], vcc
	s_cbranch_execz .LBB62_90
; %bb.87:                               ;   in Loop: Header=BB62_33 Depth=1
	s_and_b32 s92, s72, 0x7fffffff
	s_and_b32 s8, s86, 0xfe
	v_lshlrev_b32_e32 v31, 1, v12
	v_lshlrev_b32_e32 v32, 1, v30
	s_mov_b64 s[2:3], 0
	v_pk_mov_b32 v[28:29], v[12:13], v[12:13] op_sel:[0,1]
.LBB62_88:                              ;   Parent Loop BB62_33 Depth=1
                                        ; =>  This Inner Loop Header: Depth=2
	ds_read_u16 v12, v31
	v_add_co_u32_e32 v28, vcc, v28, v30
	v_addc_co_u32_e32 v29, vcc, 0, v29, vcc
	s_waitcnt lgkmcnt(0)
	v_cmp_lt_i16_e64 s[6:7], -1, v12
	v_cndmask_b32_e64 v33, v45, v46, s[6:7]
	v_xor_b32_sdwa v33, v33, v12 dst_sel:DWORD dst_unused:UNUSED_PAD src0_sel:DWORD src1_sel:WORD_0
	v_cmp_o_f16_e64 s[6:7], v12, v12
	v_cndmask_b32_e64 v12, v45, v33, s[6:7]
	v_and_b32_e32 v33, s88, v12
	v_bfe_u32 v12, v12, s8, 2
	v_cmp_eq_u32_e64 s[6:7], s89, v33
	v_cmp_eq_u32_e64 s[10:11], 0, v12
	;; [unrolled: 1-line block ×3, first 2 shown]
	s_and_b64 s[10:11], s[6:7], s[10:11]
	v_cmp_eq_u32_e64 s[14:15], 2, v12
	v_cmp_eq_u32_e64 s[16:17], 3, v12
	v_cndmask_b32_e64 v12, 0, 1, s[10:11]
	s_and_b64 s[10:11], s[6:7], s[12:13]
	v_cndmask_b32_e64 v33, 0, 1, s[10:11]
	s_and_b64 s[10:11], s[6:7], s[14:15]
	s_and_b64 s[6:7], s[6:7], s[16:17]
	v_cndmask_b32_e64 v34, 0, 1, s[10:11]
	v_cndmask_b32_e64 v35, 0, 1, s[6:7]
	v_cmp_ne_u32_e64 s[6:7], 0, v12
	v_cmp_ne_u32_e64 s[10:11], 0, v33
	;; [unrolled: 1-line block ×4, first 2 shown]
	v_cmp_le_u64_e32 vcc, s[92:93], v[28:29]
	s_bcnt1_i32_b64 s6, s[6:7]
	s_bcnt1_i32_b64 s7, s[10:11]
	;; [unrolled: 1-line block ×4, first 2 shown]
	s_or_b64 s[2:3], vcc, s[2:3]
	v_add_co_u32_e32 v2, vcc, s6, v2
	v_addc_co_u32_e32 v3, vcc, 0, v3, vcc
	v_add_co_u32_e32 v4, vcc, s7, v4
	v_addc_co_u32_e32 v5, vcc, 0, v5, vcc
	;; [unrolled: 2-line block ×3, first 2 shown]
	v_add_co_u32_e32 v8, vcc, s10, v8
	v_add_u32_e32 v31, v31, v32
	v_addc_co_u32_e32 v9, vcc, 0, v9, vcc
	s_andn2_b64 exec, exec, s[2:3]
	s_cbranch_execnz .LBB62_88
; %bb.89:                               ;   in Loop: Header=BB62_33 Depth=1
	s_or_b64 exec, exec, s[2:3]
.LBB62_90:                              ;   in Loop: Header=BB62_33 Depth=1
	s_or_b64 exec, exec, s[0:1]
.LBB62_91:                              ;   in Loop: Header=BB62_33 Depth=1
	s_lshl_b32 s2, s87, 6
	s_and_saveexec_b64 s[0:1], s[4:5]
	s_cbranch_execz .LBB62_93
; %bb.92:                               ;   in Loop: Header=BB62_33 Depth=1
	v_or_b32_e32 v12, s2, v39
	v_lshlrev_b32_e32 v12, 3, v12
	ds_write_b128 v12, v[2:5] offset:3072
	s_waitcnt vmcnt(0)
	ds_write_b128 v12, v[6:9] offset:3088
.LBB62_93:                              ;   in Loop: Header=BB62_33 Depth=1
	s_or_b64 exec, exec, s[0:1]
	s_waitcnt lgkmcnt(0)
	s_barrier
	s_and_saveexec_b64 s[0:1], s[46:47]
	s_cbranch_execz .LBB62_105
; %bb.94:                               ;   in Loop: Header=BB62_33 Depth=1
	v_readlane_b32 s6, v56, 44
	v_readlane_b32 s7, v56, 45
	s_andn2_b64 vcc, exec, s[6:7]
	v_pk_mov_b32 v[2:3], 0, 0
	s_cbranch_vccnz .LBB62_104
; %bb.95:                               ;   in Loop: Header=BB62_33 Depth=1
	v_readlane_b32 s6, v56, 49
	v_readlane_b32 s7, v56, 50
	s_andn2_b64 vcc, exec, s[6:7]
	s_cbranch_vccnz .LBB62_100
; %bb.96:                               ;   in Loop: Header=BB62_33 Depth=1
	v_lshl_add_u32 v4, s87, 9, v44
	s_mov_b32 s3, 0
	v_pk_mov_b32 v[2:3], 0, 0
.LBB62_97:                              ;   Parent Loop BB62_33 Depth=1
                                        ; =>  This Inner Loop Header: Depth=2
	s_waitcnt vmcnt(0)
	ds_read2_b64 v[6:9], v4 offset1:4
	ds_read2_b64 v[28:31], v4 offset0:8 offset1:12
	ds_read2_b64 v[32:35], v4 offset0:16 offset1:20
	;; [unrolled: 1-line block ×3, first 2 shown]
	s_add_i32 s3, s3, 8
	s_waitcnt lgkmcnt(3)
	v_add_co_u32_e32 v2, vcc, v6, v2
	v_addc_co_u32_e32 v3, vcc, v7, v3, vcc
	v_add_co_u32_e32 v2, vcc, v8, v2
	v_addc_co_u32_e32 v3, vcc, v9, v3, vcc
	s_waitcnt lgkmcnt(2)
	v_add_co_u32_e32 v2, vcc, v28, v2
	v_addc_co_u32_e32 v3, vcc, v29, v3, vcc
	v_add_co_u32_e32 v2, vcc, v30, v2
	v_addc_co_u32_e32 v3, vcc, v31, v3, vcc
	;; [unrolled: 5-line block ×3, first 2 shown]
	s_waitcnt lgkmcnt(0)
	v_add_co_u32_e32 v2, vcc, v52, v2
	v_addc_co_u32_e32 v3, vcc, v53, v3, vcc
	v_add_co_u32_e32 v2, vcc, v54, v2
	v_add_u32_e32 v4, 0x100, v4
	s_cmp_eq_u32 s82, s3
	v_addc_co_u32_e32 v3, vcc, v55, v3, vcc
	s_cbranch_scc0 .LBB62_97
; %bb.98:                               ;   in Loop: Header=BB62_33 Depth=1
	s_mov_b32 s3, s82
	s_branch .LBB62_101
.LBB62_99:                              ;   in Loop: Header=BB62_33 Depth=1
                                        ; implicit-def: $vgpr28_vgpr29
	s_branch .LBB62_67
.LBB62_100:                             ;   in Loop: Header=BB62_33 Depth=1
	s_mov_b32 s3, 0
	v_pk_mov_b32 v[2:3], 0, 0
.LBB62_101:                             ;   in Loop: Header=BB62_33 Depth=1
	v_readlane_b32 s6, v56, 52
	v_readlane_b32 s7, v56, 53
	s_andn2_b64 vcc, exec, s[6:7]
	s_cbranch_vccnz .LBB62_104
; %bb.102:                              ;   in Loop: Header=BB62_33 Depth=1
	s_lshl_b32 s6, s87, 9
	s_lshl_b32 s3, s3, 5
	s_add_i32 s6, s6, s3
	v_add_u32_e32 v4, s6, v44
	v_readlane_b32 s3, v56, 51
.LBB62_103:                             ;   Parent Loop BB62_33 Depth=1
                                        ; =>  This Inner Loop Header: Depth=2
	s_waitcnt vmcnt(0)
	ds_read_b64 v[6:7], v4
	s_add_i32 s3, s3, -1
	v_add_u32_e32 v4, 32, v4
	s_cmp_lg_u32 s3, 0
	s_waitcnt lgkmcnt(0)
	v_add_co_u32_e32 v2, vcc, v6, v2
	v_addc_co_u32_e32 v3, vcc, v7, v3, vcc
	s_cbranch_scc1 .LBB62_103
.LBB62_104:                             ;   in Loop: Header=BB62_33 Depth=1
	v_add_lshl_u32 v4, s2, v36, 3
	ds_write_b64 v4, v[2:3] offset:3072
.LBB62_105:                             ;   in Loop: Header=BB62_33 Depth=1
	s_or_b64 exec, exec, s[0:1]
	s_lshl_b32 s0, s2, 3
	s_waitcnt vmcnt(0)
	v_mov_b32_e32 v6, s0
	s_waitcnt lgkmcnt(0)
	s_barrier
	ds_read_b128 v[2:5], v6 offset:3072
	ds_read_b128 v[6:9], v6 offset:3088
	s_and_b32 s40, s86, 0xfe
	s_lshl_b32 s44, 3, s40
	s_not_b32 s41, s44
	s_waitcnt lgkmcnt(1)
	v_readfirstlane_b32 s15, v3
	v_readfirstlane_b32 s14, v2
	s_cmp_eq_u64 s[14:15], 1
	s_cselect_b64 s[0:1], -1, 0
	s_cmp_eq_u64 s[54:55], 1
	s_cselect_b64 s[2:3], -1, 0
	s_and_b64 s[20:21], s[0:1], s[2:3]
	v_readfirstlane_b32 s28, v4
	v_readfirstlane_b32 s29, v5
	s_waitcnt lgkmcnt(0)
	v_readfirstlane_b32 s16, v6
	v_readfirstlane_b32 s17, v7
	;; [unrolled: 1-line block ×4, first 2 shown]
	s_mov_b64 s[18:19], -1
	s_and_b64 vcc, exec, s[20:21]
	s_cbranch_vccz .LBB62_120
; %bb.106:                              ;   in Loop: Header=BB62_33 Depth=1
	ds_read_b64 v[2:3], v13 offset:5120
	s_waitcnt lgkmcnt(0)
	s_barrier
	v_readfirstlane_b32 s12, v2
	v_readfirstlane_b32 s13, v3
	s_mov_b64 s[0:1], exec
	v_readlane_b32 s2, v56, 36
	v_readlane_b32 s3, v56, 37
	s_and_b64 s[2:3], s[0:1], s[2:3]
	s_mov_b64 exec, s[2:3]
	s_cbranch_execz .LBB62_108
; %bb.107:                              ;   in Loop: Header=BB62_33 Depth=1
	ds_write_b16 v38, v13
.LBB62_108:                             ;   in Loop: Header=BB62_33 Depth=1
	s_or_b64 exec, exec, s[0:1]
	v_cmp_lt_i64_e64 s[0:1], s[12:13], 1
	s_and_b32 s89, s89, s41
	s_or_b32 s88, s88, s44
	s_and_b64 vcc, exec, s[0:1]
	s_waitcnt lgkmcnt(0)
	s_barrier
	s_cbranch_vccz .LBB62_121
; %bb.109:                              ;   in Loop: Header=BB62_33 Depth=1
	s_mov_b32 s90, s93
	s_cmp_lg_u64 s[90:91], 0
	s_cbranch_scc0 .LBB62_166
; %bb.110:                              ;   in Loop: Header=BB62_33 Depth=1
	v_cvt_f32_u32_e32 v2, s33
	s_sub_u32 s0, 0, s33
	s_subb_u32 s1, 0, 0
	v_mac_f32_e32 v2, 0x4f800000, v47
	v_rcp_f32_e32 v2, v2
	v_mul_f32_e32 v2, 0x5f7ffffc, v2
	v_mul_f32_e32 v3, 0x2f800000, v2
	v_trunc_f32_e32 v3, v3
	v_mac_f32_e32 v2, 0xcf800000, v3
	v_cvt_u32_f32_e32 v3, v3
	v_cvt_u32_f32_e32 v2, v2
	v_readfirstlane_b32 s2, v3
	v_readfirstlane_b32 s3, v2
	s_mul_i32 s6, s0, s2
	s_mul_hi_u32 s8, s0, s3
	s_mul_i32 s7, s1, s3
	s_add_i32 s6, s8, s6
	s_mul_i32 s9, s0, s3
	s_add_i32 s6, s6, s7
	s_mul_hi_u32 s8, s3, s9
	s_mul_hi_u32 s7, s3, s6
	s_mul_i32 s3, s3, s6
	s_add_u32 s3, s8, s3
	s_addc_u32 s7, 0, s7
	s_mul_hi_u32 s22, s2, s9
	s_mul_i32 s9, s2, s9
	s_add_u32 s3, s3, s9
	s_mul_hi_u32 s8, s2, s6
	s_addc_u32 s3, s7, s22
	s_addc_u32 s7, s8, 0
	s_mul_i32 s6, s2, s6
	s_add_u32 s3, s3, s6
	s_addc_u32 s6, 0, s7
	v_add_co_u32_e32 v2, vcc, s3, v2
	s_cmp_lg_u64 vcc, 0
	s_addc_u32 s2, s2, s6
	v_readfirstlane_b32 s6, v2
	s_mul_i32 s3, s0, s2
	s_mul_hi_u32 s7, s0, s6
	s_add_i32 s3, s7, s3
	s_mul_i32 s1, s1, s6
	s_add_i32 s3, s3, s1
	s_mul_i32 s0, s0, s6
	s_mul_hi_u32 s7, s2, s0
	s_mul_i32 s8, s2, s0
	s_mul_i32 s22, s6, s3
	s_mul_hi_u32 s0, s6, s0
	s_mul_hi_u32 s9, s6, s3
	s_add_u32 s0, s0, s22
	s_addc_u32 s6, 0, s9
	s_add_u32 s0, s0, s8
	s_mul_hi_u32 s1, s2, s3
	s_addc_u32 s0, s6, s7
	s_addc_u32 s1, s1, 0
	s_mul_i32 s3, s2, s3
	s_add_u32 s0, s0, s3
	s_addc_u32 s1, 0, s1
	v_add_co_u32_e32 v2, vcc, s0, v2
	s_cmp_lg_u64 vcc, 0
	s_addc_u32 s6, s2, s1
	s_ashr_i32 s0, s91, 31
	v_readlane_b32 s2, v56, 47
	s_add_u32 s2, s2, s0
	s_mov_b32 s1, s0
	s_addc_u32 s3, s91, s0
	s_xor_b64 s[2:3], s[2:3], s[0:1]
	v_readfirstlane_b32 s8, v2
	s_mul_i32 s7, s2, s6
	s_mul_hi_u32 s9, s2, s8
	s_mul_hi_u32 s1, s2, s6
	s_add_u32 s7, s9, s7
	s_addc_u32 s1, 0, s1
	s_mul_hi_u32 s22, s3, s8
	s_mul_i32 s8, s3, s8
	s_add_u32 s7, s7, s8
	s_mul_hi_u32 s9, s3, s6
	s_addc_u32 s1, s1, s22
	s_addc_u32 s7, s9, 0
	s_mul_i32 s6, s3, s6
	s_add_u32 s1, s1, s6
	s_addc_u32 s6, 0, s7
	s_mul_hi_u32 s7, s33, s1
	s_mul_i32 s1, s33, s1
	s_mul_i32 s6, s33, s6
	v_mov_b32_e32 v2, s1
	s_add_i32 s7, s7, s6
	v_sub_co_u32_e32 v2, vcc, s2, v2
	s_cmp_lg_u64 vcc, 0
	s_subb_u32 s1, s3, s7
	v_subrev_co_u32_e32 v3, vcc, s33, v2
	s_cmp_lg_u64 vcc, 0
	s_subb_u32 s2, s1, 0
	v_subrev_co_u32_e32 v4, vcc, s33, v3
	s_cmp_lg_u64 vcc, 0
	s_subb_u32 s3, s2, 0
	v_cmp_le_u32_e32 vcc, s33, v3
	s_cmp_eq_u32 s2, 0
	v_cndmask_b32_e64 v5, 0, -1, vcc
	s_cselect_b64 vcc, -1, 0
	v_cndmask_b32_e32 v5, -1, v5, vcc
	v_mov_b32_e32 v6, s2
	v_mov_b32_e32 v7, s3
	v_cmp_ne_u32_e32 vcc, 0, v5
	v_cndmask_b32_e32 v5, v6, v7, vcc
	v_cndmask_b32_e32 v3, v3, v4, vcc
	v_cmp_le_u32_e32 vcc, s33, v2
	s_cmp_eq_u32 s1, 0
	v_cndmask_b32_e64 v4, 0, -1, vcc
	s_cselect_b64 vcc, -1, 0
	v_cndmask_b32_e32 v4, -1, v4, vcc
	v_cmp_ne_u32_e32 vcc, 0, v4
	v_mov_b32_e32 v6, s1
	v_cndmask_b32_e32 v2, v2, v3, vcc
	v_cndmask_b32_e32 v4, v6, v5, vcc
	v_xor_b32_e32 v2, s0, v2
	v_xor_b32_e32 v3, s0, v4
	v_mov_b32_e32 v4, s0
	v_subrev_co_u32_e32 v2, vcc, s0, v2
	v_subb_co_u32_e32 v3, vcc, v3, v4, vcc
	s_cbranch_execnz .LBB62_112
.LBB62_111:                             ;   in Loop: Header=BB62_33 Depth=1
	v_cvt_f32_u32_e32 v2, s33
	s_sub_i32 s0, 0, s33
	v_rcp_iflag_f32_e32 v2, v2
	v_mul_f32_e32 v2, 0x4f7ffffe, v2
	v_cvt_u32_f32_e32 v2, v2
	v_mul_lo_u32 v3, s0, v2
	v_mul_hi_u32 v3, v2, v3
	v_add_u32_e32 v2, v2, v3
	v_readlane_b32 s0, v56, 47
	v_mul_hi_u32 v2, s0, v2
	v_mul_lo_u32 v2, v2, s33
	v_sub_u32_e32 v2, s0, v2
	v_subrev_u32_e32 v3, s33, v2
	v_cmp_le_u32_e32 vcc, s33, v2
	v_cndmask_b32_e32 v2, v2, v3, vcc
	v_subrev_u32_e32 v3, s33, v2
	v_cmp_le_u32_e32 vcc, s33, v2
	v_cndmask_b32_e32 v12, v2, v3, vcc
	v_pk_mov_b32 v[2:3], v[12:13], v[12:13] op_sel:[0,1]
.LBB62_112:                             ;   in Loop: Header=BB62_33 Depth=1
	v_readlane_b32 s0, v56, 47
	v_mov_b32_e32 v4, s91
	v_sub_co_u32_e32 v2, vcc, s0, v2
	v_subb_co_u32_e32 v3, vcc, v4, v3, vcc
	v_cmp_gt_i64_e32 vcc, v[2:3], v[0:1]
	s_mov_b64 s[0:1], 0
                                        ; implicit-def: $vgpr50
	s_and_saveexec_b64 s[2:3], vcc
	s_cbranch_execz .LBB62_123
; %bb.113:                              ;   in Loop: Header=BB62_33 Depth=1
	v_pk_mov_b32 v[4:5], v[10:11], v[10:11] op_sel:[0,1]
	v_pk_mov_b32 v[6:7], v[0:1], v[0:1] op_sel:[0,1]
                                        ; implicit-def: $sgpr8_sgpr9
	s_branch .LBB62_115
.LBB62_114:                             ;   in Loop: Header=BB62_115 Depth=2
	s_or_b64 exec, exec, s[6:7]
	s_waitcnt lgkmcnt(0)
	s_barrier
	s_waitcnt vmcnt(0)
	ds_read_b32 v8, v13 offset:3072
	v_mov_b32_e32 v9, s26
	v_add_co_u32_e64 v6, s[6:7], s33, v6
	v_addc_co_u32_e64 v7, s[6:7], v7, v9, s[6:7]
	s_waitcnt lgkmcnt(0)
	v_cmp_neq_f16_e32 vcc, 0, v8
	v_cmp_ge_i64_e64 s[6:7], v[6:7], v[2:3]
	s_or_b64 s[22:23], vcc, s[6:7]
	v_mov_b32_e32 v9, s95
	v_add_co_u32_e64 v4, s[6:7], s94, v4
	v_addc_co_u32_e64 v5, s[6:7], v5, v9, s[6:7]
	s_and_b64 s[6:7], exec, s[22:23]
	s_or_b64 s[0:1], s[6:7], s[0:1]
	s_andn2_b64 s[6:7], s[8:9], exec
	s_and_b64 s[8:9], vcc, exec
	s_or_b64 s[8:9], s[6:7], s[8:9]
	s_barrier
	s_andn2_b64 exec, exec, s[0:1]
	s_cbranch_execz .LBB62_122
.LBB62_115:                             ;   Parent Loop BB62_33 Depth=1
                                        ; =>  This Inner Loop Header: Depth=2
	v_cmp_gt_i64_e32 vcc, s[52:53], v[6:7]
	v_mov_b32_e32 v8, 0
	s_and_saveexec_b64 s[6:7], vcc
	s_cbranch_execz .LBB62_117
; %bb.116:                              ;   in Loop: Header=BB62_115 Depth=2
	global_load_ushort v8, v[4:5], off
.LBB62_117:                             ;   in Loop: Header=BB62_115 Depth=2
	s_or_b64 exec, exec, s[6:7]
	s_and_saveexec_b64 s[6:7], vcc
	s_cbranch_execz .LBB62_114
; %bb.118:                              ;   in Loop: Header=BB62_115 Depth=2
	s_waitcnt vmcnt(0)
	v_cmp_lt_i16_e32 vcc, -1, v8
	v_cndmask_b32_e32 v9, v45, v46, vcc
	v_xor_b32_sdwa v9, v9, v8 dst_sel:DWORD dst_unused:UNUSED_PAD src0_sel:DWORD src1_sel:WORD_0
	v_cmp_o_f16_e32 vcc, v8, v8
	v_cndmask_b32_e32 v9, v45, v9, vcc
	v_and_b32_e32 v9, s88, v9
	v_cmp_eq_u32_e32 vcc, s89, v9
	s_and_b64 exec, exec, vcc
	s_cbranch_execz .LBB62_114
; %bb.119:                              ;   in Loop: Header=BB62_115 Depth=2
	v_perm_b32 v8, v8, s27, v49
	ds_write_b32 v13, v8 offset:3072
	s_branch .LBB62_114
.LBB62_120:                             ;   in Loop: Header=BB62_33 Depth=1
	s_mov_b64 s[0:1], -1
                                        ; implicit-def: $sgpr2_sgpr3
                                        ; implicit-def: $sgpr8_sgpr9
                                        ; implicit-def: $sgpr6_sgpr7
	s_branch .LBB62_137
.LBB62_121:                             ;   in Loop: Header=BB62_33 Depth=1
	s_mov_b64 s[2:3], -1
	s_mov_b64 s[0:1], 0
                                        ; implicit-def: $sgpr6_sgpr7
                                        ; implicit-def: $vgpr50
	s_mov_b64 s[8:9], s[2:3]
	s_cbranch_execnz .LBB62_124
	s_branch .LBB62_137
.LBB62_122:                             ;   in Loop: Header=BB62_33 Depth=1
	s_or_b64 exec, exec, s[0:1]
	v_lshrrev_b32_e32 v50, 16, v8
	s_and_b64 s[0:1], s[8:9], exec
.LBB62_123:                             ;   in Loop: Header=BB62_33 Depth=1
	s_or_b64 exec, exec, s[2:3]
	s_mov_b64 s[6:7], -1
	s_mov_b64 s[2:3], 0
	s_mov_b64 s[8:9], s[2:3]
	s_branch .LBB62_137
.LBB62_124:                             ;   in Loop: Header=BB62_33 Depth=1
	v_readlane_b32 s0, v56, 46
	s_add_u32 s6, s0, s12
	v_readlane_b32 s0, v56, 48
	s_addc_u32 s1, s0, s13
	s_mov_b32 s0, s93
	s_cmp_lg_u64 s[0:1], 0
	s_cbranch_scc0 .LBB62_167
; %bb.125:                              ;   in Loop: Header=BB62_33 Depth=1
	v_cvt_f32_u32_e32 v2, s33
	s_sub_u32 s0, 0, s33
	s_subb_u32 s2, 0, 0
	v_mac_f32_e32 v2, 0x4f800000, v47
	v_rcp_f32_e32 v2, v2
	v_mul_f32_e32 v2, 0x5f7ffffc, v2
	v_mul_f32_e32 v3, 0x2f800000, v2
	v_trunc_f32_e32 v3, v3
	v_mac_f32_e32 v2, 0xcf800000, v3
	v_cvt_u32_f32_e32 v3, v3
	v_cvt_u32_f32_e32 v2, v2
	v_readfirstlane_b32 s3, v3
	v_readfirstlane_b32 s7, v2
	s_mul_i32 s8, s0, s3
	s_mul_hi_u32 s22, s0, s7
	s_mul_i32 s9, s2, s7
	s_add_i32 s8, s22, s8
	s_mul_i32 s23, s0, s7
	s_add_i32 s8, s8, s9
	s_mul_hi_u32 s22, s7, s23
	s_mul_hi_u32 s9, s7, s8
	s_mul_i32 s7, s7, s8
	s_add_u32 s7, s22, s7
	s_addc_u32 s9, 0, s9
	s_mul_hi_u32 s24, s3, s23
	s_mul_i32 s23, s3, s23
	s_add_u32 s7, s7, s23
	s_mul_hi_u32 s22, s3, s8
	s_addc_u32 s7, s9, s24
	s_addc_u32 s9, s22, 0
	s_mul_i32 s8, s3, s8
	s_add_u32 s7, s7, s8
	s_addc_u32 s8, 0, s9
	v_add_co_u32_e32 v2, vcc, s7, v2
	s_cmp_lg_u64 vcc, 0
	s_addc_u32 s3, s3, s8
	v_readfirstlane_b32 s8, v2
	s_mul_i32 s7, s0, s3
	s_mul_hi_u32 s9, s0, s8
	s_add_i32 s7, s9, s7
	s_mul_i32 s2, s2, s8
	s_add_i32 s7, s7, s2
	s_mul_i32 s0, s0, s8
	s_mul_hi_u32 s9, s3, s0
	s_mul_i32 s22, s3, s0
	s_mul_i32 s24, s8, s7
	s_mul_hi_u32 s0, s8, s0
	s_mul_hi_u32 s23, s8, s7
	s_add_u32 s0, s0, s24
	s_addc_u32 s8, 0, s23
	s_add_u32 s0, s0, s22
	s_mul_hi_u32 s2, s3, s7
	s_addc_u32 s0, s8, s9
	s_addc_u32 s2, s2, 0
	s_mul_i32 s7, s3, s7
	s_add_u32 s0, s0, s7
	s_addc_u32 s2, 0, s2
	v_add_co_u32_e32 v2, vcc, s0, v2
	s_cmp_lg_u64 vcc, 0
	s_addc_u32 s0, s3, s2
	s_ashr_i32 s2, s1, 31
	s_add_u32 s8, s6, s2
	s_mov_b32 s3, s2
	s_addc_u32 s9, s1, s2
	s_xor_b64 s[8:9], s[8:9], s[2:3]
	v_readfirstlane_b32 s22, v2
	s_mul_i32 s7, s8, s0
	s_mul_hi_u32 s23, s8, s22
	s_mul_hi_u32 s3, s8, s0
	s_add_u32 s7, s23, s7
	s_addc_u32 s3, 0, s3
	s_mul_hi_u32 s24, s9, s22
	s_mul_i32 s22, s9, s22
	s_add_u32 s7, s7, s22
	s_mul_hi_u32 s23, s9, s0
	s_addc_u32 s3, s3, s24
	s_addc_u32 s7, s23, 0
	s_mul_i32 s0, s9, s0
	s_add_u32 s0, s3, s0
	s_addc_u32 s3, 0, s7
	s_mul_hi_u32 s7, s33, s0
	s_mul_i32 s0, s33, s0
	s_mul_i32 s3, s33, s3
	v_mov_b32_e32 v2, s0
	s_add_i32 s7, s7, s3
	v_sub_co_u32_e32 v2, vcc, s8, v2
	s_cmp_lg_u64 vcc, 0
	s_subb_u32 s0, s9, s7
	v_subrev_co_u32_e32 v3, vcc, s33, v2
	s_cmp_lg_u64 vcc, 0
	s_subb_u32 s3, s0, 0
	v_subrev_co_u32_e32 v4, vcc, s33, v3
	s_cmp_lg_u64 vcc, 0
	s_subb_u32 s7, s3, 0
	v_cmp_le_u32_e32 vcc, s33, v3
	s_cmp_eq_u32 s3, 0
	v_cndmask_b32_e64 v5, 0, -1, vcc
	s_cselect_b64 vcc, -1, 0
	v_cndmask_b32_e32 v5, -1, v5, vcc
	v_mov_b32_e32 v6, s3
	v_mov_b32_e32 v7, s7
	v_cmp_ne_u32_e32 vcc, 0, v5
	v_cndmask_b32_e32 v5, v6, v7, vcc
	v_cndmask_b32_e32 v3, v3, v4, vcc
	v_cmp_le_u32_e32 vcc, s33, v2
	s_cmp_eq_u32 s0, 0
	v_cndmask_b32_e64 v4, 0, -1, vcc
	s_cselect_b64 vcc, -1, 0
	v_cndmask_b32_e32 v4, -1, v4, vcc
	v_cmp_ne_u32_e32 vcc, 0, v4
	v_mov_b32_e32 v6, s0
	v_cndmask_b32_e32 v2, v2, v3, vcc
	v_cndmask_b32_e32 v4, v6, v5, vcc
	v_xor_b32_e32 v2, s2, v2
	v_xor_b32_e32 v3, s2, v4
	v_mov_b32_e32 v4, s2
	v_subrev_co_u32_e32 v2, vcc, s2, v2
	v_subb_co_u32_e32 v3, vcc, v3, v4, vcc
	s_cbranch_execnz .LBB62_127
.LBB62_126:                             ;   in Loop: Header=BB62_33 Depth=1
	v_cvt_f32_u32_e32 v2, s33
	s_sub_i32 s0, 0, s33
	v_rcp_iflag_f32_e32 v2, v2
	v_mul_f32_e32 v2, 0x4f7ffffe, v2
	v_cvt_u32_f32_e32 v2, v2
	v_mul_lo_u32 v3, s0, v2
	v_mul_hi_u32 v3, v2, v3
	v_add_u32_e32 v2, v2, v3
	v_mul_hi_u32 v2, s6, v2
	v_mul_lo_u32 v2, v2, s33
	v_sub_u32_e32 v2, s6, v2
	v_subrev_u32_e32 v3, s33, v2
	v_cmp_le_u32_e32 vcc, s33, v2
	v_cndmask_b32_e32 v2, v2, v3, vcc
	v_subrev_u32_e32 v3, s33, v2
	v_cmp_le_u32_e32 vcc, s33, v2
	v_cndmask_b32_e32 v12, v2, v3, vcc
	v_pk_mov_b32 v[2:3], v[12:13], v[12:13] op_sel:[0,1]
.LBB62_127:                             ;   in Loop: Header=BB62_33 Depth=1
	v_mov_b32_e32 v4, s1
	v_sub_co_u32_e32 v2, vcc, s6, v2
	v_subb_co_u32_e32 v3, vcc, v4, v3, vcc
	v_cmp_gt_i64_e32 vcc, v[2:3], v[0:1]
	s_mov_b64 s[0:1], 0
                                        ; implicit-def: $vgpr50
	s_and_saveexec_b64 s[2:3], vcc
	s_cbranch_execz .LBB62_136
; %bb.128:                              ;   in Loop: Header=BB62_33 Depth=1
	v_mov_b32_e32 v6, v37
	v_pk_mov_b32 v[4:5], v[0:1], v[0:1] op_sel:[0,1]
                                        ; implicit-def: $sgpr8_sgpr9
	s_branch .LBB62_130
.LBB62_129:                             ;   in Loop: Header=BB62_130 Depth=2
	s_or_b64 exec, exec, s[6:7]
	s_waitcnt lgkmcnt(0)
	s_barrier
	ds_read_b32 v7, v13 offset:3072
	v_mov_b32_e32 v8, s26
	v_add_co_u32_e64 v4, s[6:7], s33, v4
	v_addc_co_u32_e64 v5, s[6:7], v5, v8, s[6:7]
	s_waitcnt lgkmcnt(0)
	v_cmp_neq_f16_e32 vcc, 0, v7
	v_cmp_ge_i64_e64 s[6:7], v[4:5], v[2:3]
	s_or_b64 s[6:7], vcc, s[6:7]
	s_and_b64 s[6:7], exec, s[6:7]
	s_or_b64 s[0:1], s[6:7], s[0:1]
	s_andn2_b64 s[6:7], s[8:9], exec
	s_and_b64 s[8:9], vcc, exec
	v_add_u32_e32 v6, s83, v6
	s_or_b64 s[8:9], s[6:7], s[8:9]
	s_barrier
	s_andn2_b64 exec, exec, s[0:1]
	s_cbranch_execz .LBB62_135
.LBB62_130:                             ;   Parent Loop BB62_33 Depth=1
                                        ; =>  This Inner Loop Header: Depth=2
	v_cmp_gt_i64_e32 vcc, s[12:13], v[4:5]
	v_mov_b32_e32 v7, 0
	s_and_saveexec_b64 s[6:7], vcc
	s_cbranch_execz .LBB62_132
; %bb.131:                              ;   in Loop: Header=BB62_130 Depth=2
	ds_read_u16 v7, v6
.LBB62_132:                             ;   in Loop: Header=BB62_130 Depth=2
	s_or_b64 exec, exec, s[6:7]
	s_and_saveexec_b64 s[6:7], vcc
	s_cbranch_execz .LBB62_129
; %bb.133:                              ;   in Loop: Header=BB62_130 Depth=2
	s_waitcnt lgkmcnt(0)
	v_cmp_lt_i16_e32 vcc, -1, v7
	v_cndmask_b32_e32 v8, v45, v46, vcc
	v_xor_b32_sdwa v8, v8, v7 dst_sel:DWORD dst_unused:UNUSED_PAD src0_sel:DWORD src1_sel:WORD_0
	v_cmp_o_f16_e32 vcc, v7, v7
	v_cndmask_b32_e32 v8, v45, v8, vcc
	v_and_b32_e32 v8, s88, v8
	v_cmp_eq_u32_e32 vcc, s89, v8
	s_and_b64 exec, exec, vcc
	s_cbranch_execz .LBB62_129
; %bb.134:                              ;   in Loop: Header=BB62_130 Depth=2
	v_perm_b32 v7, v7, s27, v49
	ds_write_b32 v13, v7 offset:3072
	s_branch .LBB62_129
.LBB62_135:                             ;   in Loop: Header=BB62_33 Depth=1
	s_or_b64 exec, exec, s[0:1]
	v_lshrrev_b32_e32 v50, 16, v7
	s_and_b64 s[0:1], s[8:9], exec
.LBB62_136:                             ;   in Loop: Header=BB62_33 Depth=1
	s_or_b64 exec, exec, s[2:3]
	s_mov_b64 s[8:9], -1
	s_mov_b64 s[2:3], 0
	s_mov_b64 s[6:7], 0
.LBB62_137:                             ;   in Loop: Header=BB62_33 Depth=1
	s_andn2_b64 s[12:13], s[70:71], exec
	s_and_b64 s[2:3], s[2:3], exec
	s_or_b64 s[70:71], s[12:13], s[2:3]
	s_andn2_b64 s[2:3], s[80:81], exec
	s_and_b64 s[8:9], s[8:9], exec
	s_or_b64 s[80:81], s[2:3], s[8:9]
	;; [unrolled: 3-line block ×3, first 2 shown]
	s_and_saveexec_b64 s[12:13], s[0:1]
	s_cbranch_execz .LBB62_32
; %bb.138:                              ;   in Loop: Header=BB62_33 Depth=1
	s_xor_b64 s[0:1], s[20:21], -1
	s_andn2_b64 vcc, exec, s[0:1]
	s_mov_b32 s45, 1
	s_cbranch_vccnz .LBB62_149
; %bb.139:                              ;   in Loop: Header=BB62_33 Depth=1
	v_pk_mov_b32 v[2:3], s[14:15], s[14:15] op_sel:[0,1]
	v_cmp_gt_i64_e32 vcc, s[54:55], v[2:3]
	s_mov_b64 s[0:1], -1
                                        ; implicit-def: $sgpr45
                                        ; implicit-def: $sgpr2
                                        ; implicit-def: $sgpr3
	s_cbranch_vccnz .LBB62_145
; %bb.140:                              ;   in Loop: Header=BB62_33 Depth=1
	ds_read_b64 v[2:3], v13 offset:5120
	s_waitcnt lgkmcnt(0)
	v_cmp_ne_u64_e32 vcc, 0, v[2:3]
	s_cbranch_vccnz .LBB62_144
; %bb.141:                              ;   in Loop: Header=BB62_33 Depth=1
	s_mov_b64 s[0:1], exec
	v_readlane_b32 s2, v56, 32
	v_readlane_b32 s3, v56, 33
	s_and_b64 s[2:3], s[0:1], s[2:3]
	s_mov_b64 exec, s[2:3]
	s_cbranch_execz .LBB62_143
; %bb.142:                              ;   in Loop: Header=BB62_33 Depth=1
	v_pk_mov_b32 v[2:3], s[14:15], s[14:15] op_sel:[0,1]
	ds_write_b64 v13, v[2:3] offset:5128
.LBB62_143:                             ;   in Loop: Header=BB62_33 Depth=1
	s_or_b64 exec, exec, s[0:1]
	s_waitcnt lgkmcnt(0)
	s_barrier
.LBB62_144:                             ;   in Loop: Header=BB62_33 Depth=1
	s_and_b32 s2, s89, s41
	s_or_b32 s3, s88, s44
	s_mov_b64 s[0:1], 0
	s_mov_b32 s45, 8
.LBB62_145:                             ;   in Loop: Header=BB62_33 Depth=1
	s_andn2_b64 vcc, exec, s[0:1]
	s_cbranch_vccnz .LBB62_147
; %bb.146:                              ;   in Loop: Header=BB62_33 Depth=1
	s_sub_u32 s54, s54, s14
	s_subb_u32 s55, s55, s15
	s_mov_b64 s[0:1], -1
	s_mov_b32 s45, 0
	s_mov_b32 s2, s89
	;; [unrolled: 1-line block ×3, first 2 shown]
.LBB62_147:                             ;   in Loop: Header=BB62_33 Depth=1
	s_mov_b32 s88, s3
	s_mov_b32 s89, s2
	s_mov_b64 s[14:15], -1
	s_and_b64 vcc, exec, s[0:1]
	s_cbranch_vccnz .LBB62_150
.LBB62_148:                             ;   in Loop: Header=BB62_33 Depth=1
	s_mov_b64 s[2:3], -1
                                        ; implicit-def: $sgpr18_sgpr19
                                        ; implicit-def: $sgpr22_sgpr23
                                        ; implicit-def: $sgpr20_sgpr21
	s_and_saveexec_b64 s[0:1], s[2:3]
	s_xor_b64 s[0:1], exec, s[0:1]
	s_cbranch_execz .LBB62_31
	s_branch .LBB62_296
.LBB62_149:                             ;   in Loop: Header=BB62_33 Depth=1
	s_mov_b64 s[54:55], 1
	s_mov_b64 s[14:15], -1
	s_branch .LBB62_148
.LBB62_150:                             ;   in Loop: Header=BB62_33 Depth=1
	s_cmp_eq_u64 s[28:29], 1
	s_cselect_b64 s[0:1], -1, 0
	s_cmp_eq_u64 s[54:55], 1
	s_cselect_b64 s[2:3], -1, 0
	s_and_b64 s[30:31], s[0:1], s[2:3]
	s_mov_b64 s[0:1], -1
	s_and_b64 vcc, exec, s[30:31]
	s_cbranch_vccz .LBB62_165
; %bb.151:                              ;   in Loop: Header=BB62_33 Depth=1
	ds_read_b64 v[2:3], v13 offset:5120
	s_waitcnt lgkmcnt(0)
	s_barrier
	v_readfirstlane_b32 s24, v2
	v_readfirstlane_b32 s25, v3
	s_mov_b64 s[0:1], exec
	v_readlane_b32 s2, v56, 36
	v_readlane_b32 s3, v56, 37
	s_and_b64 s[2:3], s[0:1], s[2:3]
	s_mov_b64 exec, s[2:3]
	s_cbranch_execz .LBB62_153
; %bb.152:                              ;   in Loop: Header=BB62_33 Depth=1
	ds_write_b16 v38, v13
.LBB62_153:                             ;   in Loop: Header=BB62_33 Depth=1
	s_or_b64 exec, exec, s[0:1]
	s_lshl_b32 s0, 1, s40
	s_and_b32 s1, s89, s41
	s_or_b32 s89, s1, s0
	v_cmp_gt_i64_e64 s[0:1], s[24:25], 0
	s_or_b32 s88, s88, s44
	s_and_b64 vcc, exec, s[0:1]
	s_waitcnt lgkmcnt(0)
	s_barrier
	s_cbranch_vccnz .LBB62_168
; %bb.154:                              ;   in Loop: Header=BB62_33 Depth=1
	s_mov_b32 s90, s93
	s_cmp_lg_u64 s[90:91], 0
	s_cbranch_scc0 .LBB62_213
; %bb.155:                              ;   in Loop: Header=BB62_33 Depth=1
	v_cvt_f32_u32_e32 v2, s33
	s_sub_u32 s0, 0, s33
	s_subb_u32 s1, 0, 0
	v_mac_f32_e32 v2, 0x4f800000, v47
	v_rcp_f32_e32 v2, v2
	v_mul_f32_e32 v2, 0x5f7ffffc, v2
	v_mul_f32_e32 v3, 0x2f800000, v2
	v_trunc_f32_e32 v3, v3
	v_mac_f32_e32 v2, 0xcf800000, v3
	v_cvt_u32_f32_e32 v3, v3
	v_cvt_u32_f32_e32 v2, v2
	v_readfirstlane_b32 s2, v3
	v_readfirstlane_b32 s3, v2
	s_mul_i32 s6, s0, s2
	s_mul_hi_u32 s8, s0, s3
	s_mul_i32 s7, s1, s3
	s_add_i32 s6, s8, s6
	s_mul_i32 s9, s0, s3
	s_add_i32 s6, s6, s7
	s_mul_hi_u32 s8, s3, s9
	s_mul_hi_u32 s7, s3, s6
	s_mul_i32 s3, s3, s6
	s_add_u32 s3, s8, s3
	s_addc_u32 s7, 0, s7
	s_mul_hi_u32 s18, s2, s9
	s_mul_i32 s9, s2, s9
	s_add_u32 s3, s3, s9
	s_mul_hi_u32 s8, s2, s6
	s_addc_u32 s3, s7, s18
	s_addc_u32 s7, s8, 0
	s_mul_i32 s6, s2, s6
	s_add_u32 s3, s3, s6
	s_addc_u32 s6, 0, s7
	v_add_co_u32_e32 v2, vcc, s3, v2
	s_cmp_lg_u64 vcc, 0
	s_addc_u32 s2, s2, s6
	v_readfirstlane_b32 s6, v2
	s_mul_i32 s3, s0, s2
	s_mul_hi_u32 s7, s0, s6
	s_add_i32 s3, s7, s3
	s_mul_i32 s1, s1, s6
	s_add_i32 s3, s3, s1
	s_mul_i32 s0, s0, s6
	s_mul_hi_u32 s7, s2, s0
	s_mul_i32 s8, s2, s0
	s_mul_i32 s18, s6, s3
	s_mul_hi_u32 s0, s6, s0
	s_mul_hi_u32 s9, s6, s3
	s_add_u32 s0, s0, s18
	s_addc_u32 s6, 0, s9
	s_add_u32 s0, s0, s8
	s_mul_hi_u32 s1, s2, s3
	s_addc_u32 s0, s6, s7
	s_addc_u32 s1, s1, 0
	s_mul_i32 s3, s2, s3
	s_add_u32 s0, s0, s3
	s_addc_u32 s1, 0, s1
	v_add_co_u32_e32 v2, vcc, s0, v2
	s_cmp_lg_u64 vcc, 0
	s_addc_u32 s6, s2, s1
	s_ashr_i32 s0, s91, 31
	v_readlane_b32 s2, v56, 47
	s_add_u32 s2, s2, s0
	s_mov_b32 s1, s0
	s_addc_u32 s3, s91, s0
	s_xor_b64 s[2:3], s[2:3], s[0:1]
	v_readfirstlane_b32 s8, v2
	s_mul_i32 s7, s2, s6
	s_mul_hi_u32 s9, s2, s8
	s_mul_hi_u32 s1, s2, s6
	s_add_u32 s7, s9, s7
	s_addc_u32 s1, 0, s1
	s_mul_hi_u32 s18, s3, s8
	s_mul_i32 s8, s3, s8
	s_add_u32 s7, s7, s8
	s_mul_hi_u32 s9, s3, s6
	s_addc_u32 s1, s1, s18
	s_addc_u32 s7, s9, 0
	s_mul_i32 s6, s3, s6
	s_add_u32 s1, s1, s6
	s_addc_u32 s6, 0, s7
	s_mul_hi_u32 s7, s33, s1
	s_mul_i32 s1, s33, s1
	s_mul_i32 s6, s33, s6
	v_mov_b32_e32 v2, s1
	s_add_i32 s7, s7, s6
	v_sub_co_u32_e32 v2, vcc, s2, v2
	s_cmp_lg_u64 vcc, 0
	s_subb_u32 s1, s3, s7
	v_subrev_co_u32_e32 v3, vcc, s33, v2
	s_cmp_lg_u64 vcc, 0
	s_subb_u32 s2, s1, 0
	v_subrev_co_u32_e32 v4, vcc, s33, v3
	s_cmp_lg_u64 vcc, 0
	s_subb_u32 s3, s2, 0
	v_cmp_le_u32_e32 vcc, s33, v3
	s_cmp_eq_u32 s2, 0
	v_cndmask_b32_e64 v5, 0, -1, vcc
	s_cselect_b64 vcc, -1, 0
	v_cndmask_b32_e32 v5, -1, v5, vcc
	v_mov_b32_e32 v6, s2
	v_mov_b32_e32 v7, s3
	v_cmp_ne_u32_e32 vcc, 0, v5
	v_cndmask_b32_e32 v5, v6, v7, vcc
	v_cndmask_b32_e32 v3, v3, v4, vcc
	v_cmp_le_u32_e32 vcc, s33, v2
	s_cmp_eq_u32 s1, 0
	v_cndmask_b32_e64 v4, 0, -1, vcc
	s_cselect_b64 vcc, -1, 0
	v_cndmask_b32_e32 v4, -1, v4, vcc
	v_cmp_ne_u32_e32 vcc, 0, v4
	v_mov_b32_e32 v6, s1
	v_cndmask_b32_e32 v2, v2, v3, vcc
	v_cndmask_b32_e32 v4, v6, v5, vcc
	v_xor_b32_e32 v2, s0, v2
	v_xor_b32_e32 v3, s0, v4
	v_mov_b32_e32 v4, s0
	v_subrev_co_u32_e32 v2, vcc, s0, v2
	v_subb_co_u32_e32 v3, vcc, v3, v4, vcc
	s_cbranch_execnz .LBB62_157
.LBB62_156:                             ;   in Loop: Header=BB62_33 Depth=1
	v_cvt_f32_u32_e32 v2, s33
	s_sub_i32 s0, 0, s33
	v_rcp_iflag_f32_e32 v2, v2
	v_mul_f32_e32 v2, 0x4f7ffffe, v2
	v_cvt_u32_f32_e32 v2, v2
	v_mul_lo_u32 v3, s0, v2
	v_mul_hi_u32 v3, v2, v3
	v_add_u32_e32 v2, v2, v3
	v_readlane_b32 s0, v56, 47
	v_mul_hi_u32 v2, s0, v2
	v_mul_lo_u32 v2, v2, s33
	v_sub_u32_e32 v2, s0, v2
	v_subrev_u32_e32 v3, s33, v2
	v_cmp_le_u32_e32 vcc, s33, v2
	v_cndmask_b32_e32 v2, v2, v3, vcc
	v_subrev_u32_e32 v3, s33, v2
	v_cmp_le_u32_e32 vcc, s33, v2
	v_cndmask_b32_e32 v12, v2, v3, vcc
	v_pk_mov_b32 v[2:3], v[12:13], v[12:13] op_sel:[0,1]
.LBB62_157:                             ;   in Loop: Header=BB62_33 Depth=1
	v_readlane_b32 s0, v56, 47
	v_mov_b32_e32 v4, s91
	v_sub_co_u32_e32 v2, vcc, s0, v2
	v_subb_co_u32_e32 v3, vcc, v4, v3, vcc
	v_cmp_gt_i64_e32 vcc, v[2:3], v[0:1]
	s_mov_b64 s[0:1], 0
                                        ; implicit-def: $vgpr50
	s_and_saveexec_b64 s[2:3], vcc
	s_cbranch_execz .LBB62_170
; %bb.158:                              ;   in Loop: Header=BB62_33 Depth=1
	v_pk_mov_b32 v[4:5], v[10:11], v[10:11] op_sel:[0,1]
	v_pk_mov_b32 v[6:7], v[0:1], v[0:1] op_sel:[0,1]
                                        ; implicit-def: $sgpr8_sgpr9
	s_branch .LBB62_160
.LBB62_159:                             ;   in Loop: Header=BB62_160 Depth=2
	s_or_b64 exec, exec, s[6:7]
	s_waitcnt lgkmcnt(0)
	s_barrier
	s_waitcnt vmcnt(0)
	ds_read_b32 v8, v13 offset:3072
	v_mov_b32_e32 v9, s26
	v_add_co_u32_e64 v6, s[6:7], s33, v6
	v_addc_co_u32_e64 v7, s[6:7], v7, v9, s[6:7]
	s_waitcnt lgkmcnt(0)
	v_cmp_neq_f16_e32 vcc, 0, v8
	v_cmp_ge_i64_e64 s[6:7], v[6:7], v[2:3]
	s_or_b64 s[18:19], vcc, s[6:7]
	v_mov_b32_e32 v9, s95
	v_add_co_u32_e64 v4, s[6:7], s94, v4
	v_addc_co_u32_e64 v5, s[6:7], v5, v9, s[6:7]
	s_and_b64 s[6:7], exec, s[18:19]
	s_or_b64 s[0:1], s[6:7], s[0:1]
	s_andn2_b64 s[6:7], s[8:9], exec
	s_and_b64 s[8:9], vcc, exec
	s_or_b64 s[8:9], s[6:7], s[8:9]
	s_barrier
	s_andn2_b64 exec, exec, s[0:1]
	s_cbranch_execz .LBB62_169
.LBB62_160:                             ;   Parent Loop BB62_33 Depth=1
                                        ; =>  This Inner Loop Header: Depth=2
	v_cmp_gt_i64_e32 vcc, s[52:53], v[6:7]
	v_mov_b32_e32 v8, 0
	s_and_saveexec_b64 s[6:7], vcc
	s_cbranch_execz .LBB62_162
; %bb.161:                              ;   in Loop: Header=BB62_160 Depth=2
	global_load_ushort v8, v[4:5], off
.LBB62_162:                             ;   in Loop: Header=BB62_160 Depth=2
	s_or_b64 exec, exec, s[6:7]
	s_and_saveexec_b64 s[6:7], vcc
	s_cbranch_execz .LBB62_159
; %bb.163:                              ;   in Loop: Header=BB62_160 Depth=2
	s_waitcnt vmcnt(0)
	v_cmp_lt_i16_e32 vcc, -1, v8
	v_cndmask_b32_e32 v9, v45, v46, vcc
	v_xor_b32_sdwa v9, v9, v8 dst_sel:DWORD dst_unused:UNUSED_PAD src0_sel:DWORD src1_sel:WORD_0
	v_cmp_o_f16_e32 vcc, v8, v8
	v_cndmask_b32_e32 v9, v45, v9, vcc
	v_and_b32_e32 v9, s88, v9
	v_cmp_eq_u32_e32 vcc, s89, v9
	s_and_b64 exec, exec, vcc
	s_cbranch_execz .LBB62_159
; %bb.164:                              ;   in Loop: Header=BB62_160 Depth=2
	v_perm_b32 v8, v8, s27, v49
	ds_write_b32 v13, v8 offset:3072
	s_branch .LBB62_159
.LBB62_165:                             ;   in Loop: Header=BB62_33 Depth=1
                                        ; implicit-def: $sgpr20_sgpr21
                                        ; implicit-def: $sgpr22_sgpr23
                                        ; implicit-def: $sgpr18_sgpr19
	s_branch .LBB62_184
.LBB62_166:                             ;   in Loop: Header=BB62_33 Depth=1
                                        ; implicit-def: $vgpr2_vgpr3
	s_branch .LBB62_111
.LBB62_167:                             ;   in Loop: Header=BB62_33 Depth=1
                                        ; implicit-def: $vgpr2_vgpr3
	s_branch .LBB62_126
.LBB62_168:                             ;   in Loop: Header=BB62_33 Depth=1
	s_mov_b64 s[20:21], -1
	s_mov_b64 s[0:1], 0
                                        ; implicit-def: $sgpr18_sgpr19
                                        ; implicit-def: $vgpr50
	s_mov_b64 s[22:23], s[20:21]
	s_cbranch_execnz .LBB62_171
	s_branch .LBB62_184
.LBB62_169:                             ;   in Loop: Header=BB62_33 Depth=1
	s_or_b64 exec, exec, s[0:1]
	v_lshrrev_b32_e32 v50, 16, v8
	s_and_b64 s[0:1], s[8:9], exec
.LBB62_170:                             ;   in Loop: Header=BB62_33 Depth=1
	s_or_b64 exec, exec, s[2:3]
	s_mov_b64 s[18:19], -1
	s_mov_b64 s[20:21], 0
	s_mov_b64 s[22:23], s[20:21]
	s_branch .LBB62_184
.LBB62_171:                             ;   in Loop: Header=BB62_33 Depth=1
	v_readlane_b32 s0, v56, 46
	s_add_u32 s6, s0, s24
	v_readlane_b32 s0, v56, 48
	s_addc_u32 s1, s0, s25
	s_mov_b32 s0, s93
	s_cmp_lg_u64 s[0:1], 0
	s_cbranch_scc0 .LBB62_214
; %bb.172:                              ;   in Loop: Header=BB62_33 Depth=1
	v_cvt_f32_u32_e32 v2, s33
	s_sub_u32 s0, 0, s33
	s_subb_u32 s2, 0, 0
	v_mac_f32_e32 v2, 0x4f800000, v47
	v_rcp_f32_e32 v2, v2
	v_mul_f32_e32 v2, 0x5f7ffffc, v2
	v_mul_f32_e32 v3, 0x2f800000, v2
	v_trunc_f32_e32 v3, v3
	v_mac_f32_e32 v2, 0xcf800000, v3
	v_cvt_u32_f32_e32 v3, v3
	v_cvt_u32_f32_e32 v2, v2
	v_readfirstlane_b32 s3, v3
	v_readfirstlane_b32 s7, v2
	s_mul_i32 s8, s0, s3
	s_mul_hi_u32 s18, s0, s7
	s_mul_i32 s9, s2, s7
	s_add_i32 s8, s18, s8
	s_mul_i32 s19, s0, s7
	s_add_i32 s8, s8, s9
	s_mul_hi_u32 s18, s7, s19
	s_mul_hi_u32 s9, s7, s8
	s_mul_i32 s7, s7, s8
	s_add_u32 s7, s18, s7
	s_addc_u32 s9, 0, s9
	s_mul_hi_u32 s20, s3, s19
	s_mul_i32 s19, s3, s19
	s_add_u32 s7, s7, s19
	s_mul_hi_u32 s18, s3, s8
	s_addc_u32 s7, s9, s20
	s_addc_u32 s9, s18, 0
	s_mul_i32 s8, s3, s8
	s_add_u32 s7, s7, s8
	s_addc_u32 s8, 0, s9
	v_add_co_u32_e32 v2, vcc, s7, v2
	s_cmp_lg_u64 vcc, 0
	s_addc_u32 s3, s3, s8
	v_readfirstlane_b32 s8, v2
	s_mul_i32 s7, s0, s3
	s_mul_hi_u32 s9, s0, s8
	s_add_i32 s7, s9, s7
	s_mul_i32 s2, s2, s8
	s_add_i32 s7, s7, s2
	s_mul_i32 s0, s0, s8
	s_mul_hi_u32 s9, s3, s0
	s_mul_i32 s18, s3, s0
	s_mul_i32 s20, s8, s7
	s_mul_hi_u32 s0, s8, s0
	s_mul_hi_u32 s19, s8, s7
	s_add_u32 s0, s0, s20
	s_addc_u32 s8, 0, s19
	s_add_u32 s0, s0, s18
	s_mul_hi_u32 s2, s3, s7
	s_addc_u32 s0, s8, s9
	s_addc_u32 s2, s2, 0
	s_mul_i32 s7, s3, s7
	s_add_u32 s0, s0, s7
	s_addc_u32 s2, 0, s2
	v_add_co_u32_e32 v2, vcc, s0, v2
	s_cmp_lg_u64 vcc, 0
	s_addc_u32 s0, s3, s2
	s_ashr_i32 s2, s1, 31
	s_add_u32 s8, s6, s2
	s_mov_b32 s3, s2
	s_addc_u32 s9, s1, s2
	s_xor_b64 s[8:9], s[8:9], s[2:3]
	v_readfirstlane_b32 s18, v2
	s_mul_i32 s7, s8, s0
	s_mul_hi_u32 s19, s8, s18
	s_mul_hi_u32 s3, s8, s0
	s_add_u32 s7, s19, s7
	s_addc_u32 s3, 0, s3
	s_mul_hi_u32 s20, s9, s18
	s_mul_i32 s18, s9, s18
	s_add_u32 s7, s7, s18
	s_mul_hi_u32 s19, s9, s0
	s_addc_u32 s3, s3, s20
	s_addc_u32 s7, s19, 0
	s_mul_i32 s0, s9, s0
	s_add_u32 s0, s3, s0
	s_addc_u32 s3, 0, s7
	s_mul_hi_u32 s7, s33, s0
	s_mul_i32 s0, s33, s0
	s_mul_i32 s3, s33, s3
	v_mov_b32_e32 v2, s0
	s_add_i32 s7, s7, s3
	v_sub_co_u32_e32 v2, vcc, s8, v2
	s_cmp_lg_u64 vcc, 0
	s_subb_u32 s0, s9, s7
	v_subrev_co_u32_e32 v3, vcc, s33, v2
	s_cmp_lg_u64 vcc, 0
	s_subb_u32 s3, s0, 0
	v_subrev_co_u32_e32 v4, vcc, s33, v3
	s_cmp_lg_u64 vcc, 0
	s_subb_u32 s7, s3, 0
	v_cmp_le_u32_e32 vcc, s33, v3
	s_cmp_eq_u32 s3, 0
	v_cndmask_b32_e64 v5, 0, -1, vcc
	s_cselect_b64 vcc, -1, 0
	v_cndmask_b32_e32 v5, -1, v5, vcc
	v_mov_b32_e32 v6, s3
	v_mov_b32_e32 v7, s7
	v_cmp_ne_u32_e32 vcc, 0, v5
	v_cndmask_b32_e32 v5, v6, v7, vcc
	v_cndmask_b32_e32 v3, v3, v4, vcc
	v_cmp_le_u32_e32 vcc, s33, v2
	s_cmp_eq_u32 s0, 0
	v_cndmask_b32_e64 v4, 0, -1, vcc
	s_cselect_b64 vcc, -1, 0
	v_cndmask_b32_e32 v4, -1, v4, vcc
	v_cmp_ne_u32_e32 vcc, 0, v4
	v_mov_b32_e32 v6, s0
	v_cndmask_b32_e32 v2, v2, v3, vcc
	v_cndmask_b32_e32 v4, v6, v5, vcc
	v_xor_b32_e32 v2, s2, v2
	v_xor_b32_e32 v3, s2, v4
	v_mov_b32_e32 v4, s2
	v_subrev_co_u32_e32 v2, vcc, s2, v2
	v_subb_co_u32_e32 v3, vcc, v3, v4, vcc
	s_cbranch_execnz .LBB62_174
.LBB62_173:                             ;   in Loop: Header=BB62_33 Depth=1
	v_cvt_f32_u32_e32 v2, s33
	s_sub_i32 s0, 0, s33
	v_rcp_iflag_f32_e32 v2, v2
	v_mul_f32_e32 v2, 0x4f7ffffe, v2
	v_cvt_u32_f32_e32 v2, v2
	v_mul_lo_u32 v3, s0, v2
	v_mul_hi_u32 v3, v2, v3
	v_add_u32_e32 v2, v2, v3
	v_mul_hi_u32 v2, s6, v2
	v_mul_lo_u32 v2, v2, s33
	v_sub_u32_e32 v2, s6, v2
	v_subrev_u32_e32 v3, s33, v2
	v_cmp_le_u32_e32 vcc, s33, v2
	v_cndmask_b32_e32 v2, v2, v3, vcc
	v_subrev_u32_e32 v3, s33, v2
	v_cmp_le_u32_e32 vcc, s33, v2
	v_cndmask_b32_e32 v12, v2, v3, vcc
	v_pk_mov_b32 v[2:3], v[12:13], v[12:13] op_sel:[0,1]
.LBB62_174:                             ;   in Loop: Header=BB62_33 Depth=1
	v_mov_b32_e32 v4, s1
	v_sub_co_u32_e32 v2, vcc, s6, v2
	v_subb_co_u32_e32 v3, vcc, v4, v3, vcc
	v_cmp_gt_i64_e32 vcc, v[2:3], v[0:1]
	s_mov_b64 s[0:1], 0
                                        ; implicit-def: $vgpr50
	s_and_saveexec_b64 s[2:3], vcc
	s_cbranch_execz .LBB62_183
; %bb.175:                              ;   in Loop: Header=BB62_33 Depth=1
	v_mov_b32_e32 v6, v37
	v_pk_mov_b32 v[4:5], v[0:1], v[0:1] op_sel:[0,1]
                                        ; implicit-def: $sgpr8_sgpr9
	s_branch .LBB62_177
.LBB62_176:                             ;   in Loop: Header=BB62_177 Depth=2
	s_or_b64 exec, exec, s[6:7]
	s_waitcnt lgkmcnt(0)
	s_barrier
	ds_read_b32 v7, v13 offset:3072
	v_mov_b32_e32 v8, s26
	v_add_co_u32_e64 v4, s[6:7], s33, v4
	v_addc_co_u32_e64 v5, s[6:7], v5, v8, s[6:7]
	s_waitcnt lgkmcnt(0)
	v_cmp_neq_f16_e32 vcc, 0, v7
	v_cmp_ge_i64_e64 s[6:7], v[4:5], v[2:3]
	s_or_b64 s[6:7], vcc, s[6:7]
	s_and_b64 s[6:7], exec, s[6:7]
	s_or_b64 s[0:1], s[6:7], s[0:1]
	s_andn2_b64 s[6:7], s[8:9], exec
	s_and_b64 s[8:9], vcc, exec
	v_add_u32_e32 v6, s83, v6
	s_or_b64 s[8:9], s[6:7], s[8:9]
	s_barrier
	s_andn2_b64 exec, exec, s[0:1]
	s_cbranch_execz .LBB62_182
.LBB62_177:                             ;   Parent Loop BB62_33 Depth=1
                                        ; =>  This Inner Loop Header: Depth=2
	v_cmp_gt_i64_e32 vcc, s[24:25], v[4:5]
	v_mov_b32_e32 v7, 0
	s_and_saveexec_b64 s[6:7], vcc
	s_cbranch_execz .LBB62_179
; %bb.178:                              ;   in Loop: Header=BB62_177 Depth=2
	ds_read_u16 v7, v6
.LBB62_179:                             ;   in Loop: Header=BB62_177 Depth=2
	s_or_b64 exec, exec, s[6:7]
	s_and_saveexec_b64 s[6:7], vcc
	s_cbranch_execz .LBB62_176
; %bb.180:                              ;   in Loop: Header=BB62_177 Depth=2
	s_waitcnt lgkmcnt(0)
	v_cmp_lt_i16_e32 vcc, -1, v7
	v_cndmask_b32_e32 v8, v45, v46, vcc
	v_xor_b32_sdwa v8, v8, v7 dst_sel:DWORD dst_unused:UNUSED_PAD src0_sel:DWORD src1_sel:WORD_0
	v_cmp_o_f16_e32 vcc, v7, v7
	v_cndmask_b32_e32 v8, v45, v8, vcc
	v_and_b32_e32 v8, s88, v8
	v_cmp_eq_u32_e32 vcc, s89, v8
	s_and_b64 exec, exec, vcc
	s_cbranch_execz .LBB62_176
; %bb.181:                              ;   in Loop: Header=BB62_177 Depth=2
	v_perm_b32 v7, v7, s27, v49
	ds_write_b32 v13, v7 offset:3072
	s_branch .LBB62_176
.LBB62_182:                             ;   in Loop: Header=BB62_33 Depth=1
	s_or_b64 exec, exec, s[0:1]
	v_lshrrev_b32_e32 v50, 16, v7
	s_and_b64 s[0:1], s[8:9], exec
.LBB62_183:                             ;   in Loop: Header=BB62_33 Depth=1
	s_or_b64 exec, exec, s[2:3]
	s_mov_b64 s[22:23], -1
	s_mov_b64 s[20:21], 0
	s_mov_b64 s[18:19], 0
.LBB62_184:                             ;   in Loop: Header=BB62_33 Depth=1
	s_mov_b64 s[2:3], 0
                                        ; implicit-def: $sgpr45
	s_and_saveexec_b64 s[24:25], s[0:1]
	s_cbranch_execz .LBB62_295
; %bb.185:                              ;   in Loop: Header=BB62_33 Depth=1
	s_xor_b64 s[0:1], s[30:31], -1
	s_andn2_b64 vcc, exec, s[0:1]
	s_mov_b32 s45, 1
	s_cbranch_vccnz .LBB62_196
; %bb.186:                              ;   in Loop: Header=BB62_33 Depth=1
	v_pk_mov_b32 v[2:3], s[28:29], s[28:29] op_sel:[0,1]
	v_cmp_gt_i64_e32 vcc, s[54:55], v[2:3]
	s_mov_b64 s[0:1], -1
                                        ; implicit-def: $sgpr45
                                        ; implicit-def: $sgpr2
                                        ; implicit-def: $sgpr3
	s_cbranch_vccnz .LBB62_192
; %bb.187:                              ;   in Loop: Header=BB62_33 Depth=1
	ds_read_b64 v[2:3], v13 offset:5120
	s_waitcnt lgkmcnt(0)
	v_cmp_ne_u64_e32 vcc, 0, v[2:3]
	s_cbranch_vccnz .LBB62_191
; %bb.188:                              ;   in Loop: Header=BB62_33 Depth=1
	s_mov_b64 s[0:1], exec
	v_readlane_b32 s2, v56, 32
	v_readlane_b32 s3, v56, 33
	s_and_b64 s[2:3], s[0:1], s[2:3]
	s_mov_b64 exec, s[2:3]
	s_cbranch_execz .LBB62_190
; %bb.189:                              ;   in Loop: Header=BB62_33 Depth=1
	v_pk_mov_b32 v[2:3], s[28:29], s[28:29] op_sel:[0,1]
	ds_write_b64 v13, v[2:3] offset:5128
.LBB62_190:                             ;   in Loop: Header=BB62_33 Depth=1
	s_or_b64 exec, exec, s[0:1]
	s_waitcnt lgkmcnt(0)
	s_barrier
.LBB62_191:                             ;   in Loop: Header=BB62_33 Depth=1
	s_lshl_b32 s0, 1, s40
	s_and_b32 s1, s89, s41
	s_or_b32 s2, s1, s0
	s_or_b32 s3, s88, s44
	s_mov_b64 s[0:1], 0
	s_mov_b32 s45, 8
.LBB62_192:                             ;   in Loop: Header=BB62_33 Depth=1
	s_andn2_b64 vcc, exec, s[0:1]
	s_cbranch_vccnz .LBB62_194
; %bb.193:                              ;   in Loop: Header=BB62_33 Depth=1
	s_sub_u32 s54, s54, s28
	s_subb_u32 s55, s55, s29
	s_mov_b64 s[0:1], -1
	s_mov_b32 s45, 0
	s_mov_b32 s2, s89
	s_mov_b32 s3, s88
.LBB62_194:                             ;   in Loop: Header=BB62_33 Depth=1
	s_mov_b32 s88, s3
	s_mov_b32 s89, s2
	s_andn2_b64 vcc, exec, s[0:1]
	s_mov_b64 s[2:3], -1
	s_cbranch_vccz .LBB62_197
.LBB62_195:                             ;   in Loop: Header=BB62_33 Depth=1
                                        ; implicit-def: $sgpr30_sgpr31
                                        ; implicit-def: $sgpr34_sgpr35
                                        ; implicit-def: $sgpr28_sgpr29
	s_branch .LBB62_294
.LBB62_196:                             ;   in Loop: Header=BB62_33 Depth=1
	s_mov_b64 s[54:55], 1
	s_mov_b64 s[2:3], -1
	s_cbranch_execnz .LBB62_195
.LBB62_197:                             ;   in Loop: Header=BB62_33 Depth=1
	s_cmp_eq_u64 s[16:17], 1
	s_cselect_b64 s[0:1], -1, 0
	s_cmp_eq_u64 s[54:55], 1
	s_cselect_b64 s[2:3], -1, 0
	s_and_b64 s[38:39], s[0:1], s[2:3]
	s_mov_b64 s[0:1], -1
	s_and_b64 vcc, exec, s[38:39]
	s_cbranch_vccz .LBB62_212
; %bb.198:                              ;   in Loop: Header=BB62_33 Depth=1
	ds_read_b64 v[2:3], v13 offset:5120
	s_waitcnt lgkmcnt(0)
	s_barrier
	v_readfirstlane_b32 s36, v2
	v_readfirstlane_b32 s37, v3
	s_mov_b64 s[0:1], exec
	v_readlane_b32 s2, v56, 36
	v_readlane_b32 s3, v56, 37
	s_and_b64 s[2:3], s[0:1], s[2:3]
	s_mov_b64 exec, s[2:3]
	s_cbranch_execz .LBB62_200
; %bb.199:                              ;   in Loop: Header=BB62_33 Depth=1
	ds_write_b16 v38, v13
.LBB62_200:                             ;   in Loop: Header=BB62_33 Depth=1
	s_or_b64 exec, exec, s[0:1]
	s_lshl_b32 s0, 2, s40
	s_and_b32 s1, s89, s41
	s_or_b32 s89, s1, s0
	v_cmp_gt_i64_e64 s[0:1], s[36:37], 0
	s_or_b32 s88, s88, s44
	s_and_b64 vcc, exec, s[0:1]
	s_waitcnt lgkmcnt(0)
	s_barrier
	s_cbranch_vccnz .LBB62_215
; %bb.201:                              ;   in Loop: Header=BB62_33 Depth=1
	s_mov_b32 s90, s93
	s_cmp_lg_u64 s[90:91], 0
	s_cbranch_scc0 .LBB62_260
; %bb.202:                              ;   in Loop: Header=BB62_33 Depth=1
	v_cvt_f32_u32_e32 v2, s33
	s_sub_u32 s0, 0, s33
	s_subb_u32 s1, 0, 0
	v_mac_f32_e32 v2, 0x4f800000, v47
	v_rcp_f32_e32 v2, v2
	v_mul_f32_e32 v2, 0x5f7ffffc, v2
	v_mul_f32_e32 v3, 0x2f800000, v2
	v_trunc_f32_e32 v3, v3
	v_mac_f32_e32 v2, 0xcf800000, v3
	v_cvt_u32_f32_e32 v3, v3
	v_cvt_u32_f32_e32 v2, v2
	v_readfirstlane_b32 s2, v3
	v_readfirstlane_b32 s3, v2
	s_mul_i32 s6, s0, s2
	s_mul_hi_u32 s8, s0, s3
	s_mul_i32 s7, s1, s3
	s_add_i32 s6, s8, s6
	s_mul_i32 s9, s0, s3
	s_add_i32 s6, s6, s7
	s_mul_hi_u32 s8, s3, s9
	s_mul_hi_u32 s7, s3, s6
	s_mul_i32 s3, s3, s6
	s_add_u32 s3, s8, s3
	s_addc_u32 s7, 0, s7
	s_mul_hi_u32 s28, s2, s9
	s_mul_i32 s9, s2, s9
	s_add_u32 s3, s3, s9
	s_mul_hi_u32 s8, s2, s6
	s_addc_u32 s3, s7, s28
	s_addc_u32 s7, s8, 0
	s_mul_i32 s6, s2, s6
	s_add_u32 s3, s3, s6
	s_addc_u32 s6, 0, s7
	v_add_co_u32_e32 v2, vcc, s3, v2
	s_cmp_lg_u64 vcc, 0
	s_addc_u32 s2, s2, s6
	v_readfirstlane_b32 s6, v2
	s_mul_i32 s3, s0, s2
	s_mul_hi_u32 s7, s0, s6
	s_add_i32 s3, s7, s3
	s_mul_i32 s1, s1, s6
	s_add_i32 s3, s3, s1
	s_mul_i32 s0, s0, s6
	s_mul_hi_u32 s7, s2, s0
	s_mul_i32 s8, s2, s0
	s_mul_i32 s28, s6, s3
	s_mul_hi_u32 s0, s6, s0
	s_mul_hi_u32 s9, s6, s3
	s_add_u32 s0, s0, s28
	s_addc_u32 s6, 0, s9
	s_add_u32 s0, s0, s8
	s_mul_hi_u32 s1, s2, s3
	s_addc_u32 s0, s6, s7
	s_addc_u32 s1, s1, 0
	s_mul_i32 s3, s2, s3
	s_add_u32 s0, s0, s3
	s_addc_u32 s1, 0, s1
	v_add_co_u32_e32 v2, vcc, s0, v2
	s_cmp_lg_u64 vcc, 0
	s_addc_u32 s6, s2, s1
	s_ashr_i32 s0, s91, 31
	v_readlane_b32 s2, v56, 47
	s_add_u32 s2, s2, s0
	s_mov_b32 s1, s0
	s_addc_u32 s3, s91, s0
	s_xor_b64 s[2:3], s[2:3], s[0:1]
	v_readfirstlane_b32 s8, v2
	s_mul_i32 s7, s2, s6
	s_mul_hi_u32 s9, s2, s8
	s_mul_hi_u32 s1, s2, s6
	s_add_u32 s7, s9, s7
	s_addc_u32 s1, 0, s1
	s_mul_hi_u32 s28, s3, s8
	s_mul_i32 s8, s3, s8
	s_add_u32 s7, s7, s8
	s_mul_hi_u32 s9, s3, s6
	s_addc_u32 s1, s1, s28
	s_addc_u32 s7, s9, 0
	s_mul_i32 s6, s3, s6
	s_add_u32 s1, s1, s6
	s_addc_u32 s6, 0, s7
	s_mul_hi_u32 s7, s33, s1
	s_mul_i32 s1, s33, s1
	s_mul_i32 s6, s33, s6
	v_mov_b32_e32 v2, s1
	s_add_i32 s7, s7, s6
	v_sub_co_u32_e32 v2, vcc, s2, v2
	s_cmp_lg_u64 vcc, 0
	s_subb_u32 s1, s3, s7
	v_subrev_co_u32_e32 v3, vcc, s33, v2
	s_cmp_lg_u64 vcc, 0
	s_subb_u32 s2, s1, 0
	v_subrev_co_u32_e32 v4, vcc, s33, v3
	s_cmp_lg_u64 vcc, 0
	s_subb_u32 s3, s2, 0
	v_cmp_le_u32_e32 vcc, s33, v3
	s_cmp_eq_u32 s2, 0
	v_cndmask_b32_e64 v5, 0, -1, vcc
	s_cselect_b64 vcc, -1, 0
	v_cndmask_b32_e32 v5, -1, v5, vcc
	v_mov_b32_e32 v6, s2
	v_mov_b32_e32 v7, s3
	v_cmp_ne_u32_e32 vcc, 0, v5
	v_cndmask_b32_e32 v5, v6, v7, vcc
	v_cndmask_b32_e32 v3, v3, v4, vcc
	v_cmp_le_u32_e32 vcc, s33, v2
	s_cmp_eq_u32 s1, 0
	v_cndmask_b32_e64 v4, 0, -1, vcc
	s_cselect_b64 vcc, -1, 0
	v_cndmask_b32_e32 v4, -1, v4, vcc
	v_cmp_ne_u32_e32 vcc, 0, v4
	v_mov_b32_e32 v6, s1
	v_cndmask_b32_e32 v2, v2, v3, vcc
	v_cndmask_b32_e32 v4, v6, v5, vcc
	v_xor_b32_e32 v2, s0, v2
	v_xor_b32_e32 v3, s0, v4
	v_mov_b32_e32 v4, s0
	v_subrev_co_u32_e32 v2, vcc, s0, v2
	v_subb_co_u32_e32 v3, vcc, v3, v4, vcc
	s_cbranch_execnz .LBB62_204
.LBB62_203:                             ;   in Loop: Header=BB62_33 Depth=1
	v_cvt_f32_u32_e32 v2, s33
	s_sub_i32 s0, 0, s33
	v_rcp_iflag_f32_e32 v2, v2
	v_mul_f32_e32 v2, 0x4f7ffffe, v2
	v_cvt_u32_f32_e32 v2, v2
	v_mul_lo_u32 v3, s0, v2
	v_mul_hi_u32 v3, v2, v3
	v_add_u32_e32 v2, v2, v3
	v_readlane_b32 s0, v56, 47
	v_mul_hi_u32 v2, s0, v2
	v_mul_lo_u32 v2, v2, s33
	v_sub_u32_e32 v2, s0, v2
	v_subrev_u32_e32 v3, s33, v2
	v_cmp_le_u32_e32 vcc, s33, v2
	v_cndmask_b32_e32 v2, v2, v3, vcc
	v_subrev_u32_e32 v3, s33, v2
	v_cmp_le_u32_e32 vcc, s33, v2
	v_cndmask_b32_e32 v12, v2, v3, vcc
	v_pk_mov_b32 v[2:3], v[12:13], v[12:13] op_sel:[0,1]
.LBB62_204:                             ;   in Loop: Header=BB62_33 Depth=1
	v_readlane_b32 s0, v56, 47
	v_mov_b32_e32 v4, s91
	v_sub_co_u32_e32 v2, vcc, s0, v2
	v_subb_co_u32_e32 v3, vcc, v4, v3, vcc
	v_cmp_gt_i64_e32 vcc, v[2:3], v[0:1]
	s_mov_b64 s[0:1], 0
                                        ; implicit-def: $vgpr50
	s_and_saveexec_b64 s[2:3], vcc
	s_cbranch_execz .LBB62_217
; %bb.205:                              ;   in Loop: Header=BB62_33 Depth=1
	v_pk_mov_b32 v[4:5], v[10:11], v[10:11] op_sel:[0,1]
	v_pk_mov_b32 v[6:7], v[0:1], v[0:1] op_sel:[0,1]
                                        ; implicit-def: $sgpr8_sgpr9
	s_branch .LBB62_207
.LBB62_206:                             ;   in Loop: Header=BB62_207 Depth=2
	s_or_b64 exec, exec, s[6:7]
	s_waitcnt lgkmcnt(0)
	s_barrier
	s_waitcnt vmcnt(0)
	ds_read_b32 v8, v13 offset:3072
	v_mov_b32_e32 v9, s26
	v_add_co_u32_e64 v6, s[6:7], s33, v6
	v_addc_co_u32_e64 v7, s[6:7], v7, v9, s[6:7]
	s_waitcnt lgkmcnt(0)
	v_cmp_neq_f16_e32 vcc, 0, v8
	v_cmp_ge_i64_e64 s[6:7], v[6:7], v[2:3]
	s_or_b64 s[28:29], vcc, s[6:7]
	v_mov_b32_e32 v9, s95
	v_add_co_u32_e64 v4, s[6:7], s94, v4
	v_addc_co_u32_e64 v5, s[6:7], v5, v9, s[6:7]
	s_and_b64 s[6:7], exec, s[28:29]
	s_or_b64 s[0:1], s[6:7], s[0:1]
	s_andn2_b64 s[6:7], s[8:9], exec
	s_and_b64 s[8:9], vcc, exec
	s_or_b64 s[8:9], s[6:7], s[8:9]
	s_barrier
	s_andn2_b64 exec, exec, s[0:1]
	s_cbranch_execz .LBB62_216
.LBB62_207:                             ;   Parent Loop BB62_33 Depth=1
                                        ; =>  This Inner Loop Header: Depth=2
	v_cmp_gt_i64_e32 vcc, s[52:53], v[6:7]
	v_mov_b32_e32 v8, 0
	s_and_saveexec_b64 s[6:7], vcc
	s_cbranch_execz .LBB62_209
; %bb.208:                              ;   in Loop: Header=BB62_207 Depth=2
	global_load_ushort v8, v[4:5], off
.LBB62_209:                             ;   in Loop: Header=BB62_207 Depth=2
	s_or_b64 exec, exec, s[6:7]
	s_and_saveexec_b64 s[6:7], vcc
	s_cbranch_execz .LBB62_206
; %bb.210:                              ;   in Loop: Header=BB62_207 Depth=2
	s_waitcnt vmcnt(0)
	v_cmp_lt_i16_e32 vcc, -1, v8
	v_cndmask_b32_e32 v9, v45, v46, vcc
	v_xor_b32_sdwa v9, v9, v8 dst_sel:DWORD dst_unused:UNUSED_PAD src0_sel:DWORD src1_sel:WORD_0
	v_cmp_o_f16_e32 vcc, v8, v8
	v_cndmask_b32_e32 v9, v45, v9, vcc
	v_and_b32_e32 v9, s88, v9
	v_cmp_eq_u32_e32 vcc, s89, v9
	s_and_b64 exec, exec, vcc
	s_cbranch_execz .LBB62_206
; %bb.211:                              ;   in Loop: Header=BB62_207 Depth=2
	v_perm_b32 v8, v8, s27, v49
	ds_write_b32 v13, v8 offset:3072
	s_branch .LBB62_206
.LBB62_212:                             ;   in Loop: Header=BB62_33 Depth=1
                                        ; implicit-def: $sgpr28_sgpr29
                                        ; implicit-def: $sgpr34_sgpr35
                                        ; implicit-def: $sgpr30_sgpr31
	s_branch .LBB62_231
.LBB62_213:                             ;   in Loop: Header=BB62_33 Depth=1
                                        ; implicit-def: $vgpr2_vgpr3
	s_branch .LBB62_156
.LBB62_214:                             ;   in Loop: Header=BB62_33 Depth=1
                                        ; implicit-def: $vgpr2_vgpr3
	s_branch .LBB62_173
.LBB62_215:                             ;   in Loop: Header=BB62_33 Depth=1
	s_mov_b64 s[28:29], -1
	s_mov_b64 s[0:1], 0
                                        ; implicit-def: $sgpr30_sgpr31
                                        ; implicit-def: $vgpr50
	s_mov_b64 s[34:35], s[28:29]
	s_cbranch_execnz .LBB62_218
	s_branch .LBB62_231
.LBB62_216:                             ;   in Loop: Header=BB62_33 Depth=1
	s_or_b64 exec, exec, s[0:1]
	v_lshrrev_b32_e32 v50, 16, v8
	s_and_b64 s[0:1], s[8:9], exec
.LBB62_217:                             ;   in Loop: Header=BB62_33 Depth=1
	s_or_b64 exec, exec, s[2:3]
	s_mov_b64 s[30:31], -1
	s_mov_b64 s[28:29], 0
	s_mov_b64 s[34:35], s[28:29]
	s_branch .LBB62_231
.LBB62_218:                             ;   in Loop: Header=BB62_33 Depth=1
	v_readlane_b32 s0, v56, 46
	s_add_u32 s6, s0, s36
	v_readlane_b32 s0, v56, 48
	s_addc_u32 s1, s0, s37
	s_mov_b32 s0, s93
	s_cmp_lg_u64 s[0:1], 0
	s_cbranch_scc0 .LBB62_261
; %bb.219:                              ;   in Loop: Header=BB62_33 Depth=1
	v_cvt_f32_u32_e32 v2, s33
	s_sub_u32 s0, 0, s33
	s_subb_u32 s2, 0, 0
	v_mac_f32_e32 v2, 0x4f800000, v47
	v_rcp_f32_e32 v2, v2
	v_mul_f32_e32 v2, 0x5f7ffffc, v2
	v_mul_f32_e32 v3, 0x2f800000, v2
	v_trunc_f32_e32 v3, v3
	v_mac_f32_e32 v2, 0xcf800000, v3
	v_cvt_u32_f32_e32 v3, v3
	v_cvt_u32_f32_e32 v2, v2
	v_readfirstlane_b32 s3, v3
	v_readfirstlane_b32 s7, v2
	s_mul_i32 s8, s0, s3
	s_mul_hi_u32 s28, s0, s7
	s_mul_i32 s9, s2, s7
	s_add_i32 s8, s28, s8
	s_mul_i32 s29, s0, s7
	s_add_i32 s8, s8, s9
	s_mul_hi_u32 s28, s7, s29
	s_mul_hi_u32 s9, s7, s8
	s_mul_i32 s7, s7, s8
	s_add_u32 s7, s28, s7
	s_addc_u32 s9, 0, s9
	s_mul_hi_u32 s30, s3, s29
	s_mul_i32 s29, s3, s29
	s_add_u32 s7, s7, s29
	s_mul_hi_u32 s28, s3, s8
	s_addc_u32 s7, s9, s30
	s_addc_u32 s9, s28, 0
	s_mul_i32 s8, s3, s8
	s_add_u32 s7, s7, s8
	s_addc_u32 s8, 0, s9
	v_add_co_u32_e32 v2, vcc, s7, v2
	s_cmp_lg_u64 vcc, 0
	s_addc_u32 s3, s3, s8
	v_readfirstlane_b32 s8, v2
	s_mul_i32 s7, s0, s3
	s_mul_hi_u32 s9, s0, s8
	s_add_i32 s7, s9, s7
	s_mul_i32 s2, s2, s8
	s_add_i32 s7, s7, s2
	s_mul_i32 s0, s0, s8
	s_mul_hi_u32 s9, s3, s0
	s_mul_i32 s28, s3, s0
	s_mul_i32 s30, s8, s7
	s_mul_hi_u32 s0, s8, s0
	s_mul_hi_u32 s29, s8, s7
	s_add_u32 s0, s0, s30
	s_addc_u32 s8, 0, s29
	s_add_u32 s0, s0, s28
	s_mul_hi_u32 s2, s3, s7
	s_addc_u32 s0, s8, s9
	s_addc_u32 s2, s2, 0
	s_mul_i32 s7, s3, s7
	s_add_u32 s0, s0, s7
	s_addc_u32 s2, 0, s2
	v_add_co_u32_e32 v2, vcc, s0, v2
	s_cmp_lg_u64 vcc, 0
	s_addc_u32 s0, s3, s2
	s_ashr_i32 s2, s1, 31
	s_add_u32 s8, s6, s2
	s_mov_b32 s3, s2
	s_addc_u32 s9, s1, s2
	s_xor_b64 s[8:9], s[8:9], s[2:3]
	v_readfirstlane_b32 s28, v2
	s_mul_i32 s7, s8, s0
	s_mul_hi_u32 s29, s8, s28
	s_mul_hi_u32 s3, s8, s0
	s_add_u32 s7, s29, s7
	s_addc_u32 s3, 0, s3
	s_mul_hi_u32 s30, s9, s28
	s_mul_i32 s28, s9, s28
	s_add_u32 s7, s7, s28
	s_mul_hi_u32 s29, s9, s0
	s_addc_u32 s3, s3, s30
	s_addc_u32 s7, s29, 0
	s_mul_i32 s0, s9, s0
	s_add_u32 s0, s3, s0
	s_addc_u32 s3, 0, s7
	s_mul_hi_u32 s7, s33, s0
	s_mul_i32 s0, s33, s0
	s_mul_i32 s3, s33, s3
	v_mov_b32_e32 v2, s0
	s_add_i32 s7, s7, s3
	v_sub_co_u32_e32 v2, vcc, s8, v2
	s_cmp_lg_u64 vcc, 0
	s_subb_u32 s0, s9, s7
	v_subrev_co_u32_e32 v3, vcc, s33, v2
	s_cmp_lg_u64 vcc, 0
	s_subb_u32 s3, s0, 0
	v_subrev_co_u32_e32 v4, vcc, s33, v3
	s_cmp_lg_u64 vcc, 0
	s_subb_u32 s7, s3, 0
	v_cmp_le_u32_e32 vcc, s33, v3
	s_cmp_eq_u32 s3, 0
	v_cndmask_b32_e64 v5, 0, -1, vcc
	s_cselect_b64 vcc, -1, 0
	v_cndmask_b32_e32 v5, -1, v5, vcc
	v_mov_b32_e32 v6, s3
	v_mov_b32_e32 v7, s7
	v_cmp_ne_u32_e32 vcc, 0, v5
	v_cndmask_b32_e32 v5, v6, v7, vcc
	v_cndmask_b32_e32 v3, v3, v4, vcc
	v_cmp_le_u32_e32 vcc, s33, v2
	s_cmp_eq_u32 s0, 0
	v_cndmask_b32_e64 v4, 0, -1, vcc
	s_cselect_b64 vcc, -1, 0
	v_cndmask_b32_e32 v4, -1, v4, vcc
	v_cmp_ne_u32_e32 vcc, 0, v4
	v_mov_b32_e32 v6, s0
	v_cndmask_b32_e32 v2, v2, v3, vcc
	v_cndmask_b32_e32 v4, v6, v5, vcc
	v_xor_b32_e32 v2, s2, v2
	v_xor_b32_e32 v3, s2, v4
	v_mov_b32_e32 v4, s2
	v_subrev_co_u32_e32 v2, vcc, s2, v2
	v_subb_co_u32_e32 v3, vcc, v3, v4, vcc
	s_cbranch_execnz .LBB62_221
.LBB62_220:                             ;   in Loop: Header=BB62_33 Depth=1
	v_cvt_f32_u32_e32 v2, s33
	s_sub_i32 s0, 0, s33
	v_rcp_iflag_f32_e32 v2, v2
	v_mul_f32_e32 v2, 0x4f7ffffe, v2
	v_cvt_u32_f32_e32 v2, v2
	v_mul_lo_u32 v3, s0, v2
	v_mul_hi_u32 v3, v2, v3
	v_add_u32_e32 v2, v2, v3
	v_mul_hi_u32 v2, s6, v2
	v_mul_lo_u32 v2, v2, s33
	v_sub_u32_e32 v2, s6, v2
	v_subrev_u32_e32 v3, s33, v2
	v_cmp_le_u32_e32 vcc, s33, v2
	v_cndmask_b32_e32 v2, v2, v3, vcc
	v_subrev_u32_e32 v3, s33, v2
	v_cmp_le_u32_e32 vcc, s33, v2
	v_cndmask_b32_e32 v12, v2, v3, vcc
	v_pk_mov_b32 v[2:3], v[12:13], v[12:13] op_sel:[0,1]
.LBB62_221:                             ;   in Loop: Header=BB62_33 Depth=1
	v_mov_b32_e32 v4, s1
	v_sub_co_u32_e32 v2, vcc, s6, v2
	v_subb_co_u32_e32 v3, vcc, v4, v3, vcc
	v_cmp_gt_i64_e32 vcc, v[2:3], v[0:1]
	s_mov_b64 s[0:1], 0
                                        ; implicit-def: $vgpr50
	s_and_saveexec_b64 s[2:3], vcc
	s_cbranch_execz .LBB62_230
; %bb.222:                              ;   in Loop: Header=BB62_33 Depth=1
	v_mov_b32_e32 v6, v37
	v_pk_mov_b32 v[4:5], v[0:1], v[0:1] op_sel:[0,1]
                                        ; implicit-def: $sgpr8_sgpr9
	s_branch .LBB62_224
.LBB62_223:                             ;   in Loop: Header=BB62_224 Depth=2
	s_or_b64 exec, exec, s[6:7]
	s_waitcnt lgkmcnt(0)
	s_barrier
	ds_read_b32 v7, v13 offset:3072
	v_mov_b32_e32 v8, s26
	v_add_co_u32_e64 v4, s[6:7], s33, v4
	v_addc_co_u32_e64 v5, s[6:7], v5, v8, s[6:7]
	s_waitcnt lgkmcnt(0)
	v_cmp_neq_f16_e32 vcc, 0, v7
	v_cmp_ge_i64_e64 s[6:7], v[4:5], v[2:3]
	s_or_b64 s[6:7], vcc, s[6:7]
	s_and_b64 s[6:7], exec, s[6:7]
	s_or_b64 s[0:1], s[6:7], s[0:1]
	s_andn2_b64 s[6:7], s[8:9], exec
	s_and_b64 s[8:9], vcc, exec
	v_add_u32_e32 v6, s83, v6
	s_or_b64 s[8:9], s[6:7], s[8:9]
	s_barrier
	s_andn2_b64 exec, exec, s[0:1]
	s_cbranch_execz .LBB62_229
.LBB62_224:                             ;   Parent Loop BB62_33 Depth=1
                                        ; =>  This Inner Loop Header: Depth=2
	v_cmp_gt_i64_e32 vcc, s[36:37], v[4:5]
	v_mov_b32_e32 v7, 0
	s_and_saveexec_b64 s[6:7], vcc
	s_cbranch_execz .LBB62_226
; %bb.225:                              ;   in Loop: Header=BB62_224 Depth=2
	ds_read_u16 v7, v6
.LBB62_226:                             ;   in Loop: Header=BB62_224 Depth=2
	s_or_b64 exec, exec, s[6:7]
	s_and_saveexec_b64 s[6:7], vcc
	s_cbranch_execz .LBB62_223
; %bb.227:                              ;   in Loop: Header=BB62_224 Depth=2
	s_waitcnt lgkmcnt(0)
	v_cmp_lt_i16_e32 vcc, -1, v7
	v_cndmask_b32_e32 v8, v45, v46, vcc
	v_xor_b32_sdwa v8, v8, v7 dst_sel:DWORD dst_unused:UNUSED_PAD src0_sel:DWORD src1_sel:WORD_0
	v_cmp_o_f16_e32 vcc, v7, v7
	v_cndmask_b32_e32 v8, v45, v8, vcc
	v_and_b32_e32 v8, s88, v8
	v_cmp_eq_u32_e32 vcc, s89, v8
	s_and_b64 exec, exec, vcc
	s_cbranch_execz .LBB62_223
; %bb.228:                              ;   in Loop: Header=BB62_224 Depth=2
	v_perm_b32 v7, v7, s27, v49
	ds_write_b32 v13, v7 offset:3072
	s_branch .LBB62_223
.LBB62_229:                             ;   in Loop: Header=BB62_33 Depth=1
	s_or_b64 exec, exec, s[0:1]
	v_lshrrev_b32_e32 v50, 16, v7
	s_and_b64 s[0:1], s[8:9], exec
.LBB62_230:                             ;   in Loop: Header=BB62_33 Depth=1
	s_or_b64 exec, exec, s[2:3]
	s_mov_b64 s[34:35], -1
	s_mov_b64 s[28:29], 0
	s_mov_b64 s[30:31], 0
.LBB62_231:                             ;   in Loop: Header=BB62_33 Depth=1
	s_mov_b64 s[2:3], 0
                                        ; implicit-def: $sgpr45
	s_and_saveexec_b64 s[36:37], s[0:1]
	s_cbranch_execz .LBB62_293
; %bb.232:                              ;   in Loop: Header=BB62_33 Depth=1
	s_xor_b64 s[0:1], s[38:39], -1
	s_andn2_b64 vcc, exec, s[0:1]
	s_mov_b32 s45, 1
	s_cbranch_vccnz .LBB62_243
; %bb.233:                              ;   in Loop: Header=BB62_33 Depth=1
	v_pk_mov_b32 v[2:3], s[16:17], s[16:17] op_sel:[0,1]
	v_cmp_gt_i64_e32 vcc, s[54:55], v[2:3]
	s_mov_b64 s[0:1], -1
                                        ; implicit-def: $sgpr45
                                        ; implicit-def: $sgpr2
                                        ; implicit-def: $sgpr3
	s_cbranch_vccnz .LBB62_239
; %bb.234:                              ;   in Loop: Header=BB62_33 Depth=1
	ds_read_b64 v[2:3], v13 offset:5120
	s_waitcnt lgkmcnt(0)
	v_cmp_ne_u64_e32 vcc, 0, v[2:3]
	s_cbranch_vccnz .LBB62_238
; %bb.235:                              ;   in Loop: Header=BB62_33 Depth=1
	s_mov_b64 s[0:1], exec
	v_readlane_b32 s2, v56, 32
	v_readlane_b32 s3, v56, 33
	s_and_b64 s[2:3], s[0:1], s[2:3]
	s_mov_b64 exec, s[2:3]
	s_cbranch_execz .LBB62_237
; %bb.236:                              ;   in Loop: Header=BB62_33 Depth=1
	v_pk_mov_b32 v[2:3], s[16:17], s[16:17] op_sel:[0,1]
	ds_write_b64 v13, v[2:3] offset:5128
.LBB62_237:                             ;   in Loop: Header=BB62_33 Depth=1
	s_or_b64 exec, exec, s[0:1]
	s_waitcnt lgkmcnt(0)
	s_barrier
.LBB62_238:                             ;   in Loop: Header=BB62_33 Depth=1
	s_lshl_b32 s0, 2, s40
	s_and_b32 s1, s89, s41
	s_or_b32 s2, s1, s0
	s_or_b32 s3, s88, s44
	s_mov_b64 s[0:1], 0
	s_mov_b32 s45, 8
.LBB62_239:                             ;   in Loop: Header=BB62_33 Depth=1
	s_andn2_b64 vcc, exec, s[0:1]
	s_cbranch_vccnz .LBB62_241
; %bb.240:                              ;   in Loop: Header=BB62_33 Depth=1
	s_sub_u32 s54, s54, s16
	s_subb_u32 s55, s55, s17
	s_mov_b64 s[0:1], -1
	s_mov_b32 s45, 0
	s_mov_b32 s2, s89
	;; [unrolled: 1-line block ×3, first 2 shown]
.LBB62_241:                             ;   in Loop: Header=BB62_33 Depth=1
	s_mov_b32 s88, s3
	s_mov_b32 s89, s2
	s_andn2_b64 vcc, exec, s[0:1]
	s_mov_b64 s[40:41], -1
	s_cbranch_vccz .LBB62_244
.LBB62_242:                             ;   in Loop: Header=BB62_33 Depth=1
                                        ; implicit-def: $sgpr0_sgpr1
                                        ; implicit-def: $sgpr6_sgpr7
                                        ; implicit-def: $sgpr2_sgpr3
	s_branch .LBB62_292
.LBB62_243:                             ;   in Loop: Header=BB62_33 Depth=1
	s_mov_b64 s[54:55], 1
	s_mov_b64 s[40:41], -1
	s_cbranch_execnz .LBB62_242
.LBB62_244:                             ;   in Loop: Header=BB62_33 Depth=1
	s_cmp_eq_u64 s[10:11], 1
	s_cselect_b64 s[0:1], -1, 0
	s_cmp_eq_u64 s[54:55], 1
	s_cselect_b64 s[2:3], -1, 0
	s_and_b64 s[16:17], s[0:1], s[2:3]
	s_mov_b64 s[8:9], -1
	s_and_b64 vcc, exec, s[16:17]
	s_cbranch_vccz .LBB62_259
; %bb.245:                              ;   in Loop: Header=BB62_33 Depth=1
	ds_read_b64 v[2:3], v13 offset:5120
	s_waitcnt lgkmcnt(0)
	s_barrier
	v_readfirstlane_b32 s38, v2
	v_readfirstlane_b32 s39, v3
	s_mov_b64 s[0:1], exec
	v_readlane_b32 s2, v56, 36
	v_readlane_b32 s3, v56, 37
	s_and_b64 s[2:3], s[0:1], s[2:3]
	s_mov_b64 exec, s[2:3]
	s_cbranch_execz .LBB62_247
; %bb.246:                              ;   in Loop: Header=BB62_33 Depth=1
	ds_write_b16 v38, v13
.LBB62_247:                             ;   in Loop: Header=BB62_33 Depth=1
	s_or_b64 exec, exec, s[0:1]
	v_cmp_gt_i64_e64 s[0:1], s[38:39], 0
	s_or_b32 s89, s89, s44
	s_or_b32 s88, s88, s44
	s_and_b64 vcc, exec, s[0:1]
	s_waitcnt lgkmcnt(0)
	s_barrier
	s_cbranch_vccnz .LBB62_262
; %bb.248:                              ;   in Loop: Header=BB62_33 Depth=1
	s_mov_b32 s90, s93
	s_cmp_lg_u64 s[90:91], 0
	s_cbranch_scc0 .LBB62_298
; %bb.249:                              ;   in Loop: Header=BB62_33 Depth=1
	v_cvt_f32_u32_e32 v2, s33
	s_sub_u32 s0, 0, s33
	s_subb_u32 s1, 0, 0
	v_mac_f32_e32 v2, 0x4f800000, v47
	v_rcp_f32_e32 v2, v2
	v_mul_f32_e32 v2, 0x5f7ffffc, v2
	v_mul_f32_e32 v3, 0x2f800000, v2
	v_trunc_f32_e32 v3, v3
	v_mac_f32_e32 v2, 0xcf800000, v3
	v_cvt_u32_f32_e32 v3, v3
	v_cvt_u32_f32_e32 v2, v2
	v_readfirstlane_b32 s2, v3
	v_readfirstlane_b32 s3, v2
	s_mul_i32 s6, s0, s2
	s_mul_hi_u32 s8, s0, s3
	s_mul_i32 s7, s1, s3
	s_add_i32 s6, s8, s6
	s_mul_i32 s9, s0, s3
	s_add_i32 s6, s6, s7
	s_mul_hi_u32 s8, s3, s9
	s_mul_hi_u32 s7, s3, s6
	s_mul_i32 s3, s3, s6
	s_add_u32 s3, s8, s3
	s_addc_u32 s7, 0, s7
	s_mul_hi_u32 s40, s2, s9
	s_mul_i32 s9, s2, s9
	s_add_u32 s3, s3, s9
	s_mul_hi_u32 s8, s2, s6
	s_addc_u32 s3, s7, s40
	s_addc_u32 s7, s8, 0
	s_mul_i32 s6, s2, s6
	s_add_u32 s3, s3, s6
	s_addc_u32 s6, 0, s7
	v_add_co_u32_e32 v2, vcc, s3, v2
	s_cmp_lg_u64 vcc, 0
	s_addc_u32 s2, s2, s6
	v_readfirstlane_b32 s6, v2
	s_mul_i32 s3, s0, s2
	s_mul_hi_u32 s7, s0, s6
	s_add_i32 s3, s7, s3
	s_mul_i32 s1, s1, s6
	s_add_i32 s3, s3, s1
	s_mul_i32 s0, s0, s6
	s_mul_hi_u32 s7, s2, s0
	s_mul_i32 s8, s2, s0
	s_mul_i32 s40, s6, s3
	s_mul_hi_u32 s0, s6, s0
	s_mul_hi_u32 s9, s6, s3
	s_add_u32 s0, s0, s40
	s_addc_u32 s6, 0, s9
	s_add_u32 s0, s0, s8
	s_mul_hi_u32 s1, s2, s3
	s_addc_u32 s0, s6, s7
	s_addc_u32 s1, s1, 0
	s_mul_i32 s3, s2, s3
	s_add_u32 s0, s0, s3
	s_addc_u32 s1, 0, s1
	v_add_co_u32_e32 v2, vcc, s0, v2
	s_cmp_lg_u64 vcc, 0
	s_addc_u32 s6, s2, s1
	s_ashr_i32 s0, s91, 31
	v_readlane_b32 s2, v56, 47
	s_add_u32 s2, s2, s0
	s_mov_b32 s1, s0
	s_addc_u32 s3, s91, s0
	s_xor_b64 s[2:3], s[2:3], s[0:1]
	v_readfirstlane_b32 s8, v2
	s_mul_i32 s7, s2, s6
	s_mul_hi_u32 s9, s2, s8
	s_mul_hi_u32 s1, s2, s6
	s_add_u32 s7, s9, s7
	s_addc_u32 s1, 0, s1
	s_mul_hi_u32 s40, s3, s8
	s_mul_i32 s8, s3, s8
	s_add_u32 s7, s7, s8
	s_mul_hi_u32 s9, s3, s6
	s_addc_u32 s1, s1, s40
	s_addc_u32 s7, s9, 0
	s_mul_i32 s6, s3, s6
	s_add_u32 s1, s1, s6
	s_addc_u32 s6, 0, s7
	s_mul_hi_u32 s7, s33, s1
	s_mul_i32 s1, s33, s1
	s_mul_i32 s6, s33, s6
	v_mov_b32_e32 v2, s1
	s_add_i32 s7, s7, s6
	v_sub_co_u32_e32 v2, vcc, s2, v2
	s_cmp_lg_u64 vcc, 0
	s_subb_u32 s1, s3, s7
	v_subrev_co_u32_e32 v3, vcc, s33, v2
	s_cmp_lg_u64 vcc, 0
	s_subb_u32 s2, s1, 0
	v_subrev_co_u32_e32 v4, vcc, s33, v3
	s_cmp_lg_u64 vcc, 0
	s_subb_u32 s3, s2, 0
	v_cmp_le_u32_e32 vcc, s33, v3
	s_cmp_eq_u32 s2, 0
	v_cndmask_b32_e64 v5, 0, -1, vcc
	s_cselect_b64 vcc, -1, 0
	v_cndmask_b32_e32 v5, -1, v5, vcc
	v_mov_b32_e32 v6, s2
	v_mov_b32_e32 v7, s3
	v_cmp_ne_u32_e32 vcc, 0, v5
	v_cndmask_b32_e32 v5, v6, v7, vcc
	v_cndmask_b32_e32 v3, v3, v4, vcc
	v_cmp_le_u32_e32 vcc, s33, v2
	s_cmp_eq_u32 s1, 0
	v_cndmask_b32_e64 v4, 0, -1, vcc
	s_cselect_b64 vcc, -1, 0
	v_cndmask_b32_e32 v4, -1, v4, vcc
	v_cmp_ne_u32_e32 vcc, 0, v4
	v_mov_b32_e32 v6, s1
	v_cndmask_b32_e32 v2, v2, v3, vcc
	v_cndmask_b32_e32 v4, v6, v5, vcc
	v_xor_b32_e32 v2, s0, v2
	v_xor_b32_e32 v3, s0, v4
	v_mov_b32_e32 v4, s0
	v_subrev_co_u32_e32 v2, vcc, s0, v2
	v_subb_co_u32_e32 v3, vcc, v3, v4, vcc
	s_cbranch_execnz .LBB62_251
.LBB62_250:                             ;   in Loop: Header=BB62_33 Depth=1
	v_cvt_f32_u32_e32 v2, s33
	s_sub_i32 s0, 0, s33
	v_rcp_iflag_f32_e32 v2, v2
	v_mul_f32_e32 v2, 0x4f7ffffe, v2
	v_cvt_u32_f32_e32 v2, v2
	v_mul_lo_u32 v3, s0, v2
	v_mul_hi_u32 v3, v2, v3
	v_add_u32_e32 v2, v2, v3
	v_readlane_b32 s0, v56, 47
	v_mul_hi_u32 v2, s0, v2
	v_mul_lo_u32 v2, v2, s33
	v_sub_u32_e32 v2, s0, v2
	v_subrev_u32_e32 v3, s33, v2
	v_cmp_le_u32_e32 vcc, s33, v2
	v_cndmask_b32_e32 v2, v2, v3, vcc
	v_subrev_u32_e32 v3, s33, v2
	v_cmp_le_u32_e32 vcc, s33, v2
	v_cndmask_b32_e32 v12, v2, v3, vcc
	v_pk_mov_b32 v[2:3], v[12:13], v[12:13] op_sel:[0,1]
.LBB62_251:                             ;   in Loop: Header=BB62_33 Depth=1
	v_readlane_b32 s0, v56, 47
	v_mov_b32_e32 v4, s91
	v_sub_co_u32_e32 v2, vcc, s0, v2
	v_subb_co_u32_e32 v3, vcc, v4, v3, vcc
	v_cmp_gt_i64_e32 vcc, v[2:3], v[0:1]
	s_mov_b64 s[8:9], 0
                                        ; implicit-def: $vgpr50
	s_and_saveexec_b64 s[0:1], vcc
	s_cbranch_execz .LBB62_264
; %bb.252:                              ;   in Loop: Header=BB62_33 Depth=1
	s_mov_b64 s[2:3], 0
	v_pk_mov_b32 v[4:5], v[10:11], v[10:11] op_sel:[0,1]
	v_pk_mov_b32 v[6:7], v[0:1], v[0:1] op_sel:[0,1]
                                        ; implicit-def: $sgpr8_sgpr9
	s_branch .LBB62_254
.LBB62_253:                             ;   in Loop: Header=BB62_254 Depth=2
	s_or_b64 exec, exec, s[6:7]
	s_waitcnt lgkmcnt(0)
	s_barrier
	s_waitcnt vmcnt(0)
	ds_read_b32 v8, v13 offset:3072
	v_mov_b32_e32 v9, s26
	v_add_co_u32_e64 v6, s[6:7], s33, v6
	v_addc_co_u32_e64 v7, s[6:7], v7, v9, s[6:7]
	s_waitcnt lgkmcnt(0)
	v_cmp_neq_f16_e32 vcc, 0, v8
	v_cmp_ge_i64_e64 s[6:7], v[6:7], v[2:3]
	s_or_b64 s[40:41], vcc, s[6:7]
	v_mov_b32_e32 v9, s95
	v_add_co_u32_e64 v4, s[6:7], s94, v4
	v_addc_co_u32_e64 v5, s[6:7], v5, v9, s[6:7]
	s_and_b64 s[6:7], exec, s[40:41]
	s_or_b64 s[2:3], s[6:7], s[2:3]
	s_andn2_b64 s[6:7], s[8:9], exec
	s_and_b64 s[8:9], vcc, exec
	s_or_b64 s[8:9], s[6:7], s[8:9]
	s_barrier
	s_andn2_b64 exec, exec, s[2:3]
	s_cbranch_execz .LBB62_263
.LBB62_254:                             ;   Parent Loop BB62_33 Depth=1
                                        ; =>  This Inner Loop Header: Depth=2
	v_cmp_gt_i64_e32 vcc, s[52:53], v[6:7]
	v_mov_b32_e32 v8, 0
	s_and_saveexec_b64 s[6:7], vcc
	s_cbranch_execz .LBB62_256
; %bb.255:                              ;   in Loop: Header=BB62_254 Depth=2
	global_load_ushort v8, v[4:5], off
.LBB62_256:                             ;   in Loop: Header=BB62_254 Depth=2
	s_or_b64 exec, exec, s[6:7]
	s_and_saveexec_b64 s[6:7], vcc
	s_cbranch_execz .LBB62_253
; %bb.257:                              ;   in Loop: Header=BB62_254 Depth=2
	s_waitcnt vmcnt(0)
	v_cmp_lt_i16_e32 vcc, -1, v8
	v_cndmask_b32_e32 v9, v45, v46, vcc
	v_xor_b32_sdwa v9, v9, v8 dst_sel:DWORD dst_unused:UNUSED_PAD src0_sel:DWORD src1_sel:WORD_0
	v_cmp_o_f16_e32 vcc, v8, v8
	v_cndmask_b32_e32 v9, v45, v9, vcc
	v_and_b32_e32 v9, s88, v9
	v_cmp_eq_u32_e32 vcc, s89, v9
	s_and_b64 exec, exec, vcc
	s_cbranch_execz .LBB62_253
; %bb.258:                              ;   in Loop: Header=BB62_254 Depth=2
	v_perm_b32 v8, v8, s27, v49
	ds_write_b32 v13, v8 offset:3072
	s_branch .LBB62_253
.LBB62_259:                             ;   in Loop: Header=BB62_33 Depth=1
                                        ; implicit-def: $sgpr0_sgpr1
                                        ; implicit-def: $sgpr6_sgpr7
                                        ; implicit-def: $sgpr2_sgpr3
	s_branch .LBB62_278
.LBB62_260:                             ;   in Loop: Header=BB62_33 Depth=1
                                        ; implicit-def: $vgpr2_vgpr3
	s_branch .LBB62_203
.LBB62_261:                             ;   in Loop: Header=BB62_33 Depth=1
                                        ; implicit-def: $vgpr2_vgpr3
	s_branch .LBB62_220
.LBB62_262:                             ;   in Loop: Header=BB62_33 Depth=1
	s_mov_b64 s[0:1], -1
	s_mov_b64 s[8:9], 0
                                        ; implicit-def: $sgpr2_sgpr3
                                        ; implicit-def: $vgpr50
	s_mov_b64 s[6:7], s[0:1]
	s_cbranch_execnz .LBB62_265
	s_branch .LBB62_278
.LBB62_263:                             ;   in Loop: Header=BB62_33 Depth=1
	s_or_b64 exec, exec, s[2:3]
	v_lshrrev_b32_e32 v50, 16, v8
	s_and_b64 s[8:9], s[8:9], exec
.LBB62_264:                             ;   in Loop: Header=BB62_33 Depth=1
	s_or_b64 exec, exec, s[0:1]
	s_mov_b64 s[2:3], -1
	s_mov_b64 s[0:1], 0
	s_mov_b64 s[6:7], s[0:1]
	s_branch .LBB62_278
.LBB62_265:                             ;   in Loop: Header=BB62_33 Depth=1
	v_readlane_b32 s0, v56, 46
	s_add_u32 s6, s0, s38
	v_readlane_b32 s0, v56, 48
	s_addc_u32 s1, s0, s39
	s_mov_b32 s0, s93
	s_cmp_lg_u64 s[0:1], 0
	s_cbranch_scc0 .LBB62_299
; %bb.266:                              ;   in Loop: Header=BB62_33 Depth=1
	v_cvt_f32_u32_e32 v2, s33
	s_sub_u32 s0, 0, s33
	s_subb_u32 s2, 0, 0
	v_mac_f32_e32 v2, 0x4f800000, v47
	v_rcp_f32_e32 v2, v2
	v_mul_f32_e32 v2, 0x5f7ffffc, v2
	v_mul_f32_e32 v3, 0x2f800000, v2
	v_trunc_f32_e32 v3, v3
	v_mac_f32_e32 v2, 0xcf800000, v3
	v_cvt_u32_f32_e32 v3, v3
	v_cvt_u32_f32_e32 v2, v2
	v_readfirstlane_b32 s3, v3
	v_readfirstlane_b32 s7, v2
	s_mul_i32 s8, s0, s3
	s_mul_hi_u32 s40, s0, s7
	s_mul_i32 s9, s2, s7
	s_add_i32 s8, s40, s8
	s_mul_i32 s41, s0, s7
	s_add_i32 s8, s8, s9
	s_mul_hi_u32 s40, s7, s41
	s_mul_hi_u32 s9, s7, s8
	s_mul_i32 s7, s7, s8
	s_add_u32 s7, s40, s7
	s_addc_u32 s9, 0, s9
	s_mul_hi_u32 s42, s3, s41
	s_mul_i32 s41, s3, s41
	s_add_u32 s7, s7, s41
	s_mul_hi_u32 s40, s3, s8
	s_addc_u32 s7, s9, s42
	s_addc_u32 s9, s40, 0
	s_mul_i32 s8, s3, s8
	s_add_u32 s7, s7, s8
	s_addc_u32 s8, 0, s9
	v_add_co_u32_e32 v2, vcc, s7, v2
	s_cmp_lg_u64 vcc, 0
	s_addc_u32 s3, s3, s8
	v_readfirstlane_b32 s8, v2
	s_mul_i32 s7, s0, s3
	s_mul_hi_u32 s9, s0, s8
	s_add_i32 s7, s9, s7
	s_mul_i32 s2, s2, s8
	s_add_i32 s7, s7, s2
	s_mul_i32 s0, s0, s8
	s_mul_hi_u32 s9, s3, s0
	s_mul_i32 s40, s3, s0
	s_mul_i32 s42, s8, s7
	s_mul_hi_u32 s0, s8, s0
	s_mul_hi_u32 s41, s8, s7
	s_add_u32 s0, s0, s42
	s_addc_u32 s8, 0, s41
	s_add_u32 s0, s0, s40
	s_mul_hi_u32 s2, s3, s7
	s_addc_u32 s0, s8, s9
	s_addc_u32 s2, s2, 0
	s_mul_i32 s7, s3, s7
	s_add_u32 s0, s0, s7
	s_addc_u32 s2, 0, s2
	v_add_co_u32_e32 v2, vcc, s0, v2
	s_cmp_lg_u64 vcc, 0
	s_addc_u32 s0, s3, s2
	s_ashr_i32 s2, s1, 31
	s_add_u32 s8, s6, s2
	s_mov_b32 s3, s2
	s_addc_u32 s9, s1, s2
	s_xor_b64 s[8:9], s[8:9], s[2:3]
	v_readfirstlane_b32 s40, v2
	s_mul_i32 s7, s8, s0
	s_mul_hi_u32 s41, s8, s40
	s_mul_hi_u32 s3, s8, s0
	s_add_u32 s7, s41, s7
	s_addc_u32 s3, 0, s3
	s_mul_hi_u32 s42, s9, s40
	s_mul_i32 s40, s9, s40
	s_add_u32 s7, s7, s40
	s_mul_hi_u32 s41, s9, s0
	s_addc_u32 s3, s3, s42
	s_addc_u32 s7, s41, 0
	s_mul_i32 s0, s9, s0
	s_add_u32 s0, s3, s0
	s_addc_u32 s3, 0, s7
	s_mul_hi_u32 s7, s33, s0
	s_mul_i32 s0, s33, s0
	s_mul_i32 s3, s33, s3
	v_mov_b32_e32 v2, s0
	s_add_i32 s7, s7, s3
	v_sub_co_u32_e32 v2, vcc, s8, v2
	s_cmp_lg_u64 vcc, 0
	s_subb_u32 s0, s9, s7
	v_subrev_co_u32_e32 v3, vcc, s33, v2
	s_cmp_lg_u64 vcc, 0
	s_subb_u32 s3, s0, 0
	v_subrev_co_u32_e32 v4, vcc, s33, v3
	s_cmp_lg_u64 vcc, 0
	s_subb_u32 s7, s3, 0
	v_cmp_le_u32_e32 vcc, s33, v3
	s_cmp_eq_u32 s3, 0
	v_cndmask_b32_e64 v5, 0, -1, vcc
	s_cselect_b64 vcc, -1, 0
	v_cndmask_b32_e32 v5, -1, v5, vcc
	v_mov_b32_e32 v6, s3
	v_mov_b32_e32 v7, s7
	v_cmp_ne_u32_e32 vcc, 0, v5
	v_cndmask_b32_e32 v5, v6, v7, vcc
	v_cndmask_b32_e32 v3, v3, v4, vcc
	v_cmp_le_u32_e32 vcc, s33, v2
	s_cmp_eq_u32 s0, 0
	v_cndmask_b32_e64 v4, 0, -1, vcc
	s_cselect_b64 vcc, -1, 0
	v_cndmask_b32_e32 v4, -1, v4, vcc
	v_cmp_ne_u32_e32 vcc, 0, v4
	v_mov_b32_e32 v6, s0
	v_cndmask_b32_e32 v2, v2, v3, vcc
	v_cndmask_b32_e32 v4, v6, v5, vcc
	v_xor_b32_e32 v2, s2, v2
	v_xor_b32_e32 v3, s2, v4
	v_mov_b32_e32 v4, s2
	v_subrev_co_u32_e32 v2, vcc, s2, v2
	v_subb_co_u32_e32 v3, vcc, v3, v4, vcc
	s_cbranch_execnz .LBB62_268
.LBB62_267:                             ;   in Loop: Header=BB62_33 Depth=1
	v_cvt_f32_u32_e32 v2, s33
	s_sub_i32 s0, 0, s33
	v_rcp_iflag_f32_e32 v2, v2
	v_mul_f32_e32 v2, 0x4f7ffffe, v2
	v_cvt_u32_f32_e32 v2, v2
	v_mul_lo_u32 v3, s0, v2
	v_mul_hi_u32 v3, v2, v3
	v_add_u32_e32 v2, v2, v3
	v_mul_hi_u32 v2, s6, v2
	v_mul_lo_u32 v2, v2, s33
	v_sub_u32_e32 v2, s6, v2
	v_subrev_u32_e32 v3, s33, v2
	v_cmp_le_u32_e32 vcc, s33, v2
	v_cndmask_b32_e32 v2, v2, v3, vcc
	v_subrev_u32_e32 v3, s33, v2
	v_cmp_le_u32_e32 vcc, s33, v2
	v_cndmask_b32_e32 v12, v2, v3, vcc
	v_pk_mov_b32 v[2:3], v[12:13], v[12:13] op_sel:[0,1]
.LBB62_268:                             ;   in Loop: Header=BB62_33 Depth=1
	v_mov_b32_e32 v4, s1
	v_sub_co_u32_e32 v2, vcc, s6, v2
	v_subb_co_u32_e32 v3, vcc, v4, v3, vcc
	v_cmp_gt_i64_e32 vcc, v[2:3], v[0:1]
	s_mov_b64 s[8:9], 0
                                        ; implicit-def: $vgpr50
	s_and_saveexec_b64 s[0:1], vcc
	s_cbranch_execz .LBB62_277
; %bb.269:                              ;   in Loop: Header=BB62_33 Depth=1
	s_mov_b64 s[2:3], 0
	v_mov_b32_e32 v6, v37
	v_pk_mov_b32 v[4:5], v[0:1], v[0:1] op_sel:[0,1]
                                        ; implicit-def: $sgpr8_sgpr9
	s_branch .LBB62_271
.LBB62_270:                             ;   in Loop: Header=BB62_271 Depth=2
	s_or_b64 exec, exec, s[6:7]
	s_waitcnt lgkmcnt(0)
	s_barrier
	ds_read_b32 v7, v13 offset:3072
	v_mov_b32_e32 v8, s26
	v_add_co_u32_e64 v4, s[6:7], s33, v4
	v_addc_co_u32_e64 v5, s[6:7], v5, v8, s[6:7]
	s_waitcnt lgkmcnt(0)
	v_cmp_neq_f16_e32 vcc, 0, v7
	v_cmp_ge_i64_e64 s[6:7], v[4:5], v[2:3]
	s_or_b64 s[6:7], vcc, s[6:7]
	s_and_b64 s[6:7], exec, s[6:7]
	s_or_b64 s[2:3], s[6:7], s[2:3]
	s_andn2_b64 s[6:7], s[8:9], exec
	s_and_b64 s[8:9], vcc, exec
	v_add_u32_e32 v6, s83, v6
	s_or_b64 s[8:9], s[6:7], s[8:9]
	s_barrier
	s_andn2_b64 exec, exec, s[2:3]
	s_cbranch_execz .LBB62_276
.LBB62_271:                             ;   Parent Loop BB62_33 Depth=1
                                        ; =>  This Inner Loop Header: Depth=2
	v_cmp_gt_i64_e32 vcc, s[38:39], v[4:5]
	v_mov_b32_e32 v7, 0
	s_and_saveexec_b64 s[6:7], vcc
	s_cbranch_execz .LBB62_273
; %bb.272:                              ;   in Loop: Header=BB62_271 Depth=2
	ds_read_u16 v7, v6
.LBB62_273:                             ;   in Loop: Header=BB62_271 Depth=2
	s_or_b64 exec, exec, s[6:7]
	s_and_saveexec_b64 s[6:7], vcc
	s_cbranch_execz .LBB62_270
; %bb.274:                              ;   in Loop: Header=BB62_271 Depth=2
	s_waitcnt lgkmcnt(0)
	v_cmp_lt_i16_e32 vcc, -1, v7
	v_cndmask_b32_e32 v8, v45, v46, vcc
	v_xor_b32_sdwa v8, v8, v7 dst_sel:DWORD dst_unused:UNUSED_PAD src0_sel:DWORD src1_sel:WORD_0
	v_cmp_o_f16_e32 vcc, v7, v7
	v_cndmask_b32_e32 v8, v45, v8, vcc
	v_and_b32_e32 v8, s88, v8
	v_cmp_eq_u32_e32 vcc, s89, v8
	s_and_b64 exec, exec, vcc
	s_cbranch_execz .LBB62_270
; %bb.275:                              ;   in Loop: Header=BB62_271 Depth=2
	v_perm_b32 v7, v7, s27, v49
	ds_write_b32 v13, v7 offset:3072
	s_branch .LBB62_270
.LBB62_276:                             ;   in Loop: Header=BB62_33 Depth=1
	s_or_b64 exec, exec, s[2:3]
	v_lshrrev_b32_e32 v50, 16, v7
	s_and_b64 s[8:9], s[8:9], exec
.LBB62_277:                             ;   in Loop: Header=BB62_33 Depth=1
	s_or_b64 exec, exec, s[0:1]
	s_mov_b64 s[6:7], -1
	s_mov_b64 s[0:1], 0
	s_mov_b64 s[2:3], 0
.LBB62_278:                             ;   in Loop: Header=BB62_33 Depth=1
	s_mov_b64 s[40:41], 0
                                        ; implicit-def: $sgpr45
                                        ; implicit-def: $sgpr42_sgpr43
	s_and_saveexec_b64 s[38:39], s[8:9]
	s_cbranch_execz .LBB62_291
; %bb.279:                              ;   in Loop: Header=BB62_33 Depth=1
	s_xor_b64 s[8:9], s[16:17], -1
	s_mov_b64 s[42:43], 1
	s_andn2_b64 vcc, exec, s[8:9]
	s_mov_b32 s45, 1
	s_cbranch_vccnz .LBB62_290
; %bb.280:                              ;   in Loop: Header=BB62_33 Depth=1
	v_pk_mov_b32 v[2:3], s[10:11], s[10:11] op_sel:[0,1]
	v_cmp_gt_i64_e32 vcc, s[54:55], v[2:3]
	s_cbranch_vccnz .LBB62_286
; %bb.281:                              ;   in Loop: Header=BB62_33 Depth=1
	ds_read_b64 v[2:3], v13 offset:5120
	s_waitcnt lgkmcnt(0)
	v_cmp_ne_u64_e32 vcc, 0, v[2:3]
	s_cbranch_vccnz .LBB62_285
; %bb.282:                              ;   in Loop: Header=BB62_33 Depth=1
	s_mov_b64 s[8:9], exec
	v_readlane_b32 s16, v56, 32
	v_readlane_b32 s17, v56, 33
	s_and_b64 s[16:17], s[8:9], s[16:17]
	s_mov_b64 exec, s[16:17]
	s_cbranch_execz .LBB62_284
; %bb.283:                              ;   in Loop: Header=BB62_33 Depth=1
	v_pk_mov_b32 v[2:3], s[10:11], s[10:11] op_sel:[0,1]
	ds_write_b64 v13, v[2:3] offset:5128
.LBB62_284:                             ;   in Loop: Header=BB62_33 Depth=1
	s_or_b64 exec, exec, s[8:9]
	s_waitcnt lgkmcnt(0)
	s_barrier
.LBB62_285:                             ;   in Loop: Header=BB62_33 Depth=1
	s_or_b32 s16, s89, s44
	s_or_b32 s17, s88, s44
	s_mov_b64 s[8:9], 0
	s_mov_b32 s45, 8
	s_branch .LBB62_287
.LBB62_286:                             ;   in Loop: Header=BB62_33 Depth=1
	s_mov_b64 s[8:9], -1
                                        ; implicit-def: $sgpr45
                                        ; implicit-def: $sgpr16
                                        ; implicit-def: $sgpr17
.LBB62_287:                             ;   in Loop: Header=BB62_33 Depth=1
	s_andn2_b64 vcc, exec, s[8:9]
	s_cbranch_vccnz .LBB62_289
; %bb.288:                              ;   in Loop: Header=BB62_33 Depth=1
	s_sub_u32 s54, s54, s10
	s_subb_u32 s55, s55, s11
	s_mov_b32 s45, 8
	s_mov_b32 s16, s89
	s_mov_b32 s17, s88
.LBB62_289:                             ;   in Loop: Header=BB62_33 Depth=1
	s_mov_b64 s[42:43], s[54:55]
	s_mov_b32 s89, s16
	s_mov_b32 s88, s17
.LBB62_290:                             ;   in Loop: Header=BB62_33 Depth=1
	s_mov_b64 s[40:41], exec
.LBB62_291:                             ;   in Loop: Header=BB62_33 Depth=1
	s_or_b64 exec, exec, s[38:39]
	s_mov_b64 s[54:55], s[42:43]
.LBB62_292:                             ;   in Loop: Header=BB62_33 Depth=1
	s_andn2_b64 s[8:9], s[28:29], exec
	s_and_b64 s[0:1], s[0:1], exec
	s_or_b64 s[28:29], s[8:9], s[0:1]
	s_andn2_b64 s[0:1], s[34:35], exec
	s_and_b64 s[6:7], s[6:7], exec
	s_or_b64 s[34:35], s[0:1], s[6:7]
	;; [unrolled: 3-line block ×3, first 2 shown]
	s_and_b64 s[2:3], s[40:41], exec
.LBB62_293:                             ;   in Loop: Header=BB62_33 Depth=1
	s_or_b64 exec, exec, s[36:37]
.LBB62_294:                             ;   in Loop: Header=BB62_33 Depth=1
	s_andn2_b64 s[0:1], s[20:21], exec
	s_and_b64 s[6:7], s[28:29], exec
	s_or_b64 s[20:21], s[0:1], s[6:7]
	s_andn2_b64 s[0:1], s[22:23], exec
	s_and_b64 s[6:7], s[34:35], exec
	s_or_b64 s[22:23], s[0:1], s[6:7]
	;; [unrolled: 3-line block ×3, first 2 shown]
	s_and_b64 s[2:3], s[2:3], exec
.LBB62_295:                             ;   in Loop: Header=BB62_33 Depth=1
	s_or_b64 exec, exec, s[24:25]
	s_and_saveexec_b64 s[0:1], s[2:3]
	s_xor_b64 s[0:1], exec, s[0:1]
	s_cbranch_execz .LBB62_31
.LBB62_296:                             ;   in Loop: Header=BB62_33 Depth=1
	s_and_b32 s2, s45, -9
	s_cmp_eq_u32 s2, 0
	s_cbranch_scc1 .LBB62_29
; %bb.297:                              ;   in Loop: Header=BB62_33 Depth=1
	s_mov_b64 s[2:3], -1
                                        ; implicit-def: $sgpr88
                                        ; implicit-def: $sgpr86
                                        ; implicit-def: $sgpr87
	s_mov_b64 s[6:7], -1
	s_branch .LBB62_30
.LBB62_298:                             ;   in Loop: Header=BB62_33 Depth=1
                                        ; implicit-def: $vgpr2_vgpr3
	s_branch .LBB62_250
.LBB62_299:                             ;   in Loop: Header=BB62_33 Depth=1
                                        ; implicit-def: $vgpr2_vgpr3
	s_branch .LBB62_267
.LBB62_300:
	s_or_b64 exec, exec, s[60:61]
	s_xor_b64 s[4:5], s[66:67], -1
	s_xor_b64 s[0:1], s[62:63], -1
	;; [unrolled: 1-line block ×3, first 2 shown]
	s_mov_b64 s[2:3], 0
	s_and_saveexec_b64 s[8:9], s[0:1]
	s_xor_b64 s[0:1], exec, s[8:9]
	s_cbranch_execnz .LBB62_305
; %bb.301:
	s_andn2_saveexec_b64 s[0:1], s[0:1]
	s_cbranch_execnz .LBB62_327
.LBB62_302:
	s_or_b64 exec, exec, s[0:1]
	s_and_saveexec_b64 s[0:1], s[2:3]
.LBB62_303:
	; divergent unreachable
.LBB62_304:
	s_endpgm
.LBB62_305:
	s_and_saveexec_b64 s[2:3], s[4:5]
	s_xor_b64 s[4:5], exec, s[2:3]
	s_cbranch_execz .LBB62_325
; %bb.306:
	s_and_saveexec_b64 s[2:3], s[6:7]
	s_xor_b64 s[2:3], exec, s[2:3]
; %bb.307:
	v_and_b32_e32 v3, 0x8000, v2
	v_mov_b32_e32 v4, 0x8000
	v_mov_b32_e32 v5, 0xffff
	v_cmp_eq_u32_e32 vcc, 0, v3
	v_cndmask_b32_e32 v3, v4, v5, vcc
	v_xor_b32_e32 v50, v3, v2
; %bb.308:
	s_or_b64 exec, exec, s[2:3]
	s_mov_b64 s[2:3], exec
	v_readlane_b32 s6, v56, 32
	v_readlane_b32 s7, v56, 33
	v_readlane_b32 s36, v56, 24
	v_readlane_b32 s30, v56, 22
	s_and_b64 s[6:7], s[2:3], s[6:7]
	v_readlane_b32 s28, v56, 34
	v_readlane_b32 s37, v56, 25
	;; [unrolled: 1-line block ×6, first 2 shown]
	s_mov_b64 exec, s[6:7]
	s_cbranch_execz .LBB62_310
; %bb.309:
	v_mov_b32_e32 v2, 0
	v_mov_b32_e32 v3, s52
	ds_write_b32 v2, v3 offset:5140
.LBB62_310:
	s_or_b64 exec, exec, s[2:3]
	s_waitcnt lgkmcnt(0)
	s_barrier
	s_mov_b64 s[6:7], exec
	v_readlane_b32 s2, v56, 42
	v_readlane_b32 s3, v56, 43
	s_and_b64 s[2:3], s[6:7], s[2:3]
	s_mov_b64 exec, s[2:3]
	s_cbranch_execz .LBB62_322
; %bb.311:
	v_mov_b32_e32 v2, 0
	ds_read_b32 v4, v2 offset:5140
	v_cmp_u_f16_e32 vcc, v50, v50
	s_mov_b64 s[8:9], 0
	s_xor_b64 s[10:11], vcc, -1
                                        ; implicit-def: $sgpr12_sgpr13
                                        ; implicit-def: $sgpr14_sgpr15
                                        ; implicit-def: $sgpr16_sgpr17
	s_waitcnt lgkmcnt(0)
	v_ashrrev_i32_e32 v5, 31, v4
	s_branch .LBB62_314
.LBB62_312:                             ;   in Loop: Header=BB62_314 Depth=1
	s_or_b64 exec, exec, s[22:23]
	s_andn2_b64 s[16:17], s[16:17], exec
	s_and_b64 s[2:3], s[2:3], exec
	s_or_b64 s[16:17], s[16:17], s[2:3]
	s_andn2_b64 s[2:3], s[14:15], exec
	s_and_b64 s[14:15], s[20:21], exec
	s_or_b64 s[14:15], s[2:3], s[14:15]
.LBB62_313:                             ;   in Loop: Header=BB62_314 Depth=1
	s_or_b64 exec, exec, s[18:19]
	s_and_b64 s[2:3], exec, s[14:15]
	s_or_b64 s[8:9], s[2:3], s[8:9]
	s_andn2_b64 s[2:3], s[12:13], exec
	s_and_b64 s[12:13], s[16:17], exec
	s_or_b64 s[12:13], s[2:3], s[12:13]
	s_andn2_b64 exec, exec, s[8:9]
	s_cbranch_execz .LBB62_317
.LBB62_314:                             ; =>This Inner Loop Header: Depth=1
	v_pk_mov_b32 v[2:3], v[0:1], v[0:1] op_sel:[0,1]
	v_cmp_lt_i64_e32 vcc, v[2:3], v[4:5]
	s_or_b64 s[16:17], s[16:17], exec
	s_or_b64 s[14:15], s[14:15], exec
                                        ; implicit-def: $vgpr0_vgpr1
	s_and_saveexec_b64 s[18:19], vcc
	s_cbranch_execz .LBB62_313
; %bb.315:                              ;   in Loop: Header=BB62_314 Depth=1
	global_load_ushort v0, v[10:11], off
	s_mov_b64 s[20:21], -1
	s_waitcnt vmcnt(0)
	v_cmp_o_f16_e64 s[2:3], v0, v0
	v_cmp_neq_f16_e32 vcc, v0, v50
	s_or_b64 s[2:3], s[10:11], s[2:3]
	s_and_b64 s[24:25], vcc, s[2:3]
	s_mov_b64 s[2:3], 0
                                        ; implicit-def: $vgpr0_vgpr1
	s_and_saveexec_b64 s[22:23], s[24:25]
	s_cbranch_execz .LBB62_312
; %bb.316:                              ;   in Loop: Header=BB62_314 Depth=1
	v_mov_b32_e32 v1, s26
	v_add_co_u32_e32 v0, vcc, s33, v2
	v_addc_co_u32_e32 v1, vcc, v3, v1, vcc
	v_mov_b32_e32 v3, s95
	v_add_co_u32_e32 v10, vcc, s94, v10
	v_addc_co_u32_e32 v11, vcc, v11, v3, vcc
	v_cmp_le_i64_e32 vcc, s[52:53], v[0:1]
	s_mov_b64 s[2:3], exec
	s_orn2_b64 s[20:21], vcc, exec
	s_branch .LBB62_312
.LBB62_317:
	s_or_b64 exec, exec, s[8:9]
	s_xor_b64 s[2:3], s[12:13], -1
	s_and_saveexec_b64 s[8:9], s[2:3]
	s_xor_b64 s[8:9], exec, s[8:9]
	s_cbranch_execz .LBB62_322
; %bb.318:
	s_mov_b64 s[2:3], exec
	s_brev_b32 s8, -2
.LBB62_319:                             ; =>This Inner Loop Header: Depth=1
	s_ff1_i32_b64 s9, s[2:3]
	v_readlane_b32 s12, v2, s9
	s_lshl_b64 s[10:11], 1, s9
	s_min_i32 s8, s8, s12
	s_andn2_b64 s[2:3], s[2:3], s[10:11]
	s_cmp_lg_u64 s[2:3], 0
	s_cbranch_scc1 .LBB62_319
; %bb.320:
	v_mbcnt_lo_u32_b32 v0, exec_lo, 0
	v_mbcnt_hi_u32_b32 v0, exec_hi, v0
	v_cmp_eq_u32_e32 vcc, 0, v0
	s_and_saveexec_b64 s[2:3], vcc
	s_xor_b64 s[2:3], exec, s[2:3]
	s_cbranch_execz .LBB62_322
; %bb.321:
	v_mov_b32_e32 v0, 0
	v_mov_b32_e32 v1, s8
	ds_min_i32 v0, v1 offset:5140
.LBB62_322:
	s_or_b64 exec, exec, s[6:7]
	s_waitcnt lgkmcnt(0)
	s_barrier
	s_mov_b64 s[2:3], exec
	v_readlane_b32 s6, v56, 32
	v_readlane_b32 s7, v56, 33
	s_and_b64 s[6:7], s[2:3], s[6:7]
	s_mov_b64 exec, s[6:7]
	s_cbranch_execz .LBB62_324
; %bb.323:
	s_mul_i32 s6, s30, s39
	s_mul_hi_u32 s7, s30, s38
	s_add_i32 s6, s7, s6
	s_mul_i32 s7, s31, s38
	s_add_i32 s6, s6, s7
	s_mul_i32 s7, s30, s38
	v_readlane_b32 s10, v56, 8
	s_sub_u32 s8, s28, s7
	v_readlane_b32 s11, v56, 9
	s_subb_u32 s6, 0, s6
	s_mul_i32 s7, s8, s11
	s_mul_hi_u32 s9, s8, s10
	v_readlane_b32 s12, v56, 0
	s_add_i32 s7, s9, s7
	s_mul_i32 s6, s6, s10
	v_readlane_b32 s13, v56, 1
	v_readlane_b32 s18, v56, 6
	s_add_i32 s7, s7, s6
	s_mul_i32 s6, s8, s10
	v_readlane_b32 s19, v56, 7
	s_mul_i32 s8, s18, s13
	s_mul_hi_u32 s9, s18, s12
	s_add_i32 s8, s9, s8
	s_mul_i32 s9, s19, s12
	s_add_i32 s8, s8, s9
	s_mul_i32 s9, s18, s12
	v_readlane_b32 s16, v56, 4
	v_readlane_b32 s20, v56, 16
	;; [unrolled: 1-line block ×3, first 2 shown]
	s_sub_u32 s10, s16, s9
	v_readlane_b32 s22, v56, 18
	v_readlane_b32 s23, v56, 19
	s_subb_u32 s8, s17, s8
	s_mul_i32 s9, s10, s23
	s_mul_hi_u32 s11, s10, s22
	v_readlane_b32 s14, v56, 2
	v_readlane_b32 s15, v56, 3
	v_readlane_b32 s21, v56, 17
	s_add_i32 s9, s11, s9
	s_mul_i32 s8, s8, s22
	s_add_i32 s9, s9, s8
	s_mul_i32 s8, s10, s22
	s_mul_i32 s10, s18, s21
	s_mul_hi_u32 s11, s18, s20
	s_mul_i32 s12, s16, s15
	s_mul_hi_u32 s13, s16, s14
	s_add_i32 s10, s11, s10
	s_mul_i32 s11, s19, s20
	s_add_i32 s12, s13, s12
	s_mul_i32 s13, s17, s14
	s_add_i32 s11, s10, s11
	s_add_i32 s12, s12, s13
	s_mul_i32 s13, s16, s14
	v_readlane_b32 s16, v56, 14
	s_sub_u32 s14, s28, s13
	v_readlane_b32 s17, v56, 15
	s_subb_u32 s12, 0, s12
	s_mul_i32 s13, s14, s17
	s_mul_hi_u32 s15, s14, s16
	s_mul_i32 s10, s18, s20
	s_add_i32 s13, s15, s13
	s_mul_i32 s12, s12, s16
	v_readlane_b32 s18, v56, 20
	s_add_i32 s13, s13, s12
	s_mul_i32 s12, s14, s16
	v_readlane_b32 s19, v56, 21
	s_mul_i32 s14, s18, s37
	s_mul_hi_u32 s15, s18, s36
	s_add_i32 s14, s15, s14
	s_mul_i32 s15, s19, s36
	s_add_i32 s14, s14, s15
	s_mul_i32 s15, s18, s36
	v_readlane_b32 s20, v56, 10
	s_sub_u32 s16, s30, s15
	v_readlane_b32 s22, v56, 12
	v_readlane_b32 s23, v56, 13
	s_subb_u32 s14, s31, s14
	s_mul_i32 s15, s16, s23
	s_mul_hi_u32 s17, s16, s22
	v_readlane_b32 s21, v56, 11
	s_add_i32 s15, s17, s15
	s_mul_i32 s14, s14, s22
	s_add_i32 s15, s15, s14
	s_mul_i32 s14, s16, s22
	s_mul_i32 s16, s18, s21
	s_mul_hi_u32 s17, s18, s20
	s_add_i32 s16, s17, s16
	s_mul_i32 s17, s19, s20
	s_add_i32 s17, s16, s17
	s_mul_i32 s16, s18, s20
	s_lshl_b64 s[10:11], s[10:11], 1
	v_readlane_b32 s18, v56, 30
	v_readlane_b32 s19, v56, 31
	s_add_u32 s10, s18, s10
	s_addc_u32 s11, s19, s11
	s_lshl_b64 s[8:9], s[8:9], 1
	s_add_u32 s10, s10, s8
	s_addc_u32 s11, s11, s9
	s_lshl_b64 s[8:9], s[12:13], 1
	;; [unrolled: 3-line block ×3, first 2 shown]
	v_readlane_b32 s12, v56, 28
	v_mov_b32_e32 v2, 0
	v_readlane_b32 s13, v56, 29
	s_add_u32 s12, s12, s10
	ds_read_b32 v0, v2 offset:5140
	s_addc_u32 s13, s13, s11
	s_lshl_b64 s[10:11], s[14:15], 3
	s_add_u32 s10, s12, s10
	s_addc_u32 s11, s13, s11
	s_lshl_b64 s[6:7], s[6:7], 3
	s_add_u32 s6, s10, s6
	s_addc_u32 s7, s11, s7
	s_waitcnt lgkmcnt(0)
	v_ashrrev_i32_e32 v1, 31, v0
	global_store_dwordx2 v2, v[0:1], s[6:7]
	global_store_short v2, v50, s[8:9]
.LBB62_324:
	s_or_b64 exec, exec, s[2:3]
.LBB62_325:
	s_or_saveexec_b64 s[2:3], s[4:5]
	s_mov_b64 s[4:5], 0
	s_xor_b64 exec, exec, s[2:3]
	s_cbranch_execnz .LBB62_328
.LBB62_326:
	s_or_b64 exec, exec, s[2:3]
	s_and_b64 s[2:3], s[4:5], exec
	s_andn2_saveexec_b64 s[0:1], s[0:1]
	s_cbranch_execz .LBB62_302
.LBB62_327:
	s_or_b64 s[2:3], s[2:3], exec
	s_trap 2
	s_or_b64 exec, exec, s[0:1]
	s_and_saveexec_b64 s[0:1], s[2:3]
	s_cbranch_execnz .LBB62_303
	s_branch .LBB62_304
.LBB62_328:
	s_mov_b64 s[4:5], exec
	s_trap 2
	s_branch .LBB62_326
	.section	.rodata,"a",@progbits
	.p2align	6, 0x0
	.amdhsa_kernel _ZN2at6native12_GLOBAL__N_114gatherKthValueIN3c104HalfElLi3EEEvNS_4cuda6detail10TensorInfoIKT_T0_EESA_SA_SA_SA_NS7_IS8_SA_EENS7_IlSA_EE
		.amdhsa_group_segment_fixed_size 5144
		.amdhsa_private_segment_fixed_size 0
		.amdhsa_kernarg_size 1536
		.amdhsa_user_sgpr_count 6
		.amdhsa_user_sgpr_private_segment_buffer 1
		.amdhsa_user_sgpr_dispatch_ptr 0
		.amdhsa_user_sgpr_queue_ptr 0
		.amdhsa_user_sgpr_kernarg_segment_ptr 1
		.amdhsa_user_sgpr_dispatch_id 0
		.amdhsa_user_sgpr_flat_scratch_init 0
		.amdhsa_user_sgpr_kernarg_preload_length 0
		.amdhsa_user_sgpr_kernarg_preload_offset 0
		.amdhsa_user_sgpr_private_segment_size 0
		.amdhsa_uses_dynamic_stack 0
		.amdhsa_system_sgpr_private_segment_wavefront_offset 0
		.amdhsa_system_sgpr_workgroup_id_x 1
		.amdhsa_system_sgpr_workgroup_id_y 1
		.amdhsa_system_sgpr_workgroup_id_z 1
		.amdhsa_system_sgpr_workgroup_info 0
		.amdhsa_system_vgpr_workitem_id 0
		.amdhsa_next_free_vgpr 57
		.amdhsa_next_free_sgpr 96
		.amdhsa_accum_offset 60
		.amdhsa_reserve_vcc 1
		.amdhsa_reserve_flat_scratch 0
		.amdhsa_float_round_mode_32 0
		.amdhsa_float_round_mode_16_64 0
		.amdhsa_float_denorm_mode_32 3
		.amdhsa_float_denorm_mode_16_64 3
		.amdhsa_dx10_clamp 1
		.amdhsa_ieee_mode 1
		.amdhsa_fp16_overflow 0
		.amdhsa_tg_split 0
		.amdhsa_exception_fp_ieee_invalid_op 0
		.amdhsa_exception_fp_denorm_src 0
		.amdhsa_exception_fp_ieee_div_zero 0
		.amdhsa_exception_fp_ieee_overflow 0
		.amdhsa_exception_fp_ieee_underflow 0
		.amdhsa_exception_fp_ieee_inexact 0
		.amdhsa_exception_int_div_zero 0
	.end_amdhsa_kernel
	.section	.text._ZN2at6native12_GLOBAL__N_114gatherKthValueIN3c104HalfElLi3EEEvNS_4cuda6detail10TensorInfoIKT_T0_EESA_SA_SA_SA_NS7_IS8_SA_EENS7_IlSA_EE,"axG",@progbits,_ZN2at6native12_GLOBAL__N_114gatherKthValueIN3c104HalfElLi3EEEvNS_4cuda6detail10TensorInfoIKT_T0_EESA_SA_SA_SA_NS7_IS8_SA_EENS7_IlSA_EE,comdat
.Lfunc_end62:
	.size	_ZN2at6native12_GLOBAL__N_114gatherKthValueIN3c104HalfElLi3EEEvNS_4cuda6detail10TensorInfoIKT_T0_EESA_SA_SA_SA_NS7_IS8_SA_EENS7_IlSA_EE, .Lfunc_end62-_ZN2at6native12_GLOBAL__N_114gatherKthValueIN3c104HalfElLi3EEEvNS_4cuda6detail10TensorInfoIKT_T0_EESA_SA_SA_SA_NS7_IS8_SA_EENS7_IlSA_EE
                                        ; -- End function
	.section	.AMDGPU.csdata,"",@progbits
; Kernel info:
; codeLenInByte = 21436
; NumSgprs: 100
; NumVgprs: 57
; NumAgprs: 0
; TotalNumVgprs: 57
; ScratchSize: 0
; MemoryBound: 0
; FloatMode: 240
; IeeeMode: 1
; LDSByteSize: 5144 bytes/workgroup (compile time only)
; SGPRBlocks: 12
; VGPRBlocks: 7
; NumSGPRsForWavesPerEU: 100
; NumVGPRsForWavesPerEU: 57
; AccumOffset: 60
; Occupancy: 8
; WaveLimiterHint : 1
; COMPUTE_PGM_RSRC2:SCRATCH_EN: 0
; COMPUTE_PGM_RSRC2:USER_SGPR: 6
; COMPUTE_PGM_RSRC2:TRAP_HANDLER: 0
; COMPUTE_PGM_RSRC2:TGID_X_EN: 1
; COMPUTE_PGM_RSRC2:TGID_Y_EN: 1
; COMPUTE_PGM_RSRC2:TGID_Z_EN: 1
; COMPUTE_PGM_RSRC2:TIDIG_COMP_CNT: 0
; COMPUTE_PGM_RSRC3_GFX90A:ACCUM_OFFSET: 14
; COMPUTE_PGM_RSRC3_GFX90A:TG_SPLIT: 0
	.section	.text._ZN2at6native12_GLOBAL__N_114gatherKthValueIN3c104HalfElLin1EEEvNS_4cuda6detail10TensorInfoIKT_T0_EESA_SA_SA_SA_NS7_IS8_SA_EENS7_IlSA_EE,"axG",@progbits,_ZN2at6native12_GLOBAL__N_114gatherKthValueIN3c104HalfElLin1EEEvNS_4cuda6detail10TensorInfoIKT_T0_EESA_SA_SA_SA_NS7_IS8_SA_EENS7_IlSA_EE,comdat
	.globl	_ZN2at6native12_GLOBAL__N_114gatherKthValueIN3c104HalfElLin1EEEvNS_4cuda6detail10TensorInfoIKT_T0_EESA_SA_SA_SA_NS7_IS8_SA_EENS7_IlSA_EE ; -- Begin function _ZN2at6native12_GLOBAL__N_114gatherKthValueIN3c104HalfElLin1EEEvNS_4cuda6detail10TensorInfoIKT_T0_EESA_SA_SA_SA_NS7_IS8_SA_EENS7_IlSA_EE
	.p2align	8
	.type	_ZN2at6native12_GLOBAL__N_114gatherKthValueIN3c104HalfElLin1EEEvNS_4cuda6detail10TensorInfoIKT_T0_EESA_SA_SA_SA_NS7_IS8_SA_EENS7_IlSA_EE,@function
_ZN2at6native12_GLOBAL__N_114gatherKthValueIN3c104HalfElLin1EEEvNS_4cuda6detail10TensorInfoIKT_T0_EESA_SA_SA_SA_NS7_IS8_SA_EENS7_IlSA_EE: ; @_ZN2at6native12_GLOBAL__N_114gatherKthValueIN3c104HalfElLin1EEEvNS_4cuda6detail10TensorInfoIKT_T0_EESA_SA_SA_SA_NS7_IS8_SA_EENS7_IlSA_EE
; %bb.0:
	s_load_dwordx8 s[52:59], s[4:5], 0x1a0
	s_load_dwordx2 s[12:13], s[4:5], 0x500
	s_add_u32 s10, s4, 0x500
	s_addc_u32 s11, s5, 0
	s_mov_b32 s9, 0
	s_waitcnt lgkmcnt(0)
	v_mov_b32_e32 v2, s56
	s_mul_i32 s0, s13, s8
	s_add_i32 s0, s0, s7
	s_mul_i32 s0, s0, s12
	v_mov_b32_e32 v3, s57
	s_add_i32 s8, s0, s6
	v_cmp_ge_i64_e32 vcc, s[8:9], v[2:3]
	s_cbranch_vccnz .LBB63_304
; %bb.1:
	s_load_dword s0, s[4:5], 0x198
	s_mov_b64 s[2:3], 0
	s_mov_b64 s[14:15], s[8:9]
	s_waitcnt lgkmcnt(0)
	s_cmp_lt_i32 s0, 2
	s_cbranch_scc1 .LBB63_9
; %bb.2:
	s_mov_b32 s16, 0
	s_add_i32 s7, s0, 1
	s_add_i32 s0, s0, -1
	s_mov_b32 s1, s16
	s_lshl_b64 s[0:1], s[0:1], 3
	s_add_u32 s0, s0, s4
	s_addc_u32 s1, s1, s5
	s_add_u32 s18, s0, 8
	s_addc_u32 s19, s1, 0
	s_mov_b64 s[20:21], s[8:9]
.LBB63_3:                               ; =>This Inner Loop Header: Depth=1
	s_load_dwordx2 s[22:23], s[18:19], 0x0
	s_waitcnt lgkmcnt(0)
	s_or_b64 s[0:1], s[20:21], s[22:23]
	s_mov_b32 s17, s1
	s_cmp_lg_u64 s[16:17], 0
	s_cbranch_scc0 .LBB63_8
; %bb.4:                                ;   in Loop: Header=BB63_3 Depth=1
	s_ashr_i32 s14, s23, 31
	s_add_u32 s0, s22, s14
	s_mov_b32 s15, s14
	s_addc_u32 s1, s23, s14
	s_xor_b64 s[24:25], s[0:1], s[14:15]
	v_cvt_f32_u32_e32 v1, s24
	v_cvt_f32_u32_e32 v2, s25
	s_sub_u32 s0, 0, s24
	s_subb_u32 s1, 0, s25
	v_mac_f32_e32 v1, 0x4f800000, v2
	v_rcp_f32_e32 v1, v1
	v_mul_f32_e32 v1, 0x5f7ffffc, v1
	v_mul_f32_e32 v2, 0x2f800000, v1
	v_trunc_f32_e32 v2, v2
	v_mac_f32_e32 v1, 0xcf800000, v2
	v_cvt_u32_f32_e32 v2, v2
	v_cvt_u32_f32_e32 v1, v1
	v_readfirstlane_b32 s13, v2
	v_readfirstlane_b32 s17, v1
	s_mul_i32 s26, s0, s13
	s_mul_hi_u32 s28, s0, s17
	s_mul_i32 s27, s1, s17
	s_add_i32 s26, s28, s26
	s_add_i32 s26, s26, s27
	s_mul_i32 s29, s0, s17
	s_mul_hi_u32 s27, s17, s26
	s_mul_i32 s28, s17, s26
	s_mul_hi_u32 s17, s17, s29
	s_add_u32 s17, s17, s28
	s_addc_u32 s27, 0, s27
	s_mul_hi_u32 s30, s13, s29
	s_mul_i32 s29, s13, s29
	s_add_u32 s17, s17, s29
	s_mul_hi_u32 s28, s13, s26
	s_addc_u32 s17, s27, s30
	s_addc_u32 s27, s28, 0
	s_mul_i32 s26, s13, s26
	s_add_u32 s17, s17, s26
	s_addc_u32 s26, 0, s27
	v_add_co_u32_e32 v1, vcc, s17, v1
	s_cmp_lg_u64 vcc, 0
	s_addc_u32 s13, s13, s26
	v_readfirstlane_b32 s26, v1
	s_mul_i32 s17, s0, s13
	s_mul_hi_u32 s27, s0, s26
	s_add_i32 s17, s27, s17
	s_mul_i32 s1, s1, s26
	s_add_i32 s17, s17, s1
	s_mul_i32 s0, s0, s26
	s_mul_hi_u32 s27, s13, s0
	s_mul_i32 s28, s13, s0
	s_mul_i32 s30, s26, s17
	s_mul_hi_u32 s0, s26, s0
	s_mul_hi_u32 s29, s26, s17
	s_add_u32 s0, s0, s30
	s_addc_u32 s26, 0, s29
	s_add_u32 s0, s0, s28
	s_mul_hi_u32 s1, s13, s17
	s_addc_u32 s0, s26, s27
	s_addc_u32 s1, s1, 0
	s_mul_i32 s17, s13, s17
	s_add_u32 s0, s0, s17
	s_addc_u32 s1, 0, s1
	v_add_co_u32_e32 v1, vcc, s0, v1
	s_cmp_lg_u64 vcc, 0
	s_addc_u32 s13, s13, s1
	s_ashr_i32 s26, s21, 31
	s_add_u32 s0, s20, s26
	s_mov_b32 s27, s26
	s_addc_u32 s1, s21, s26
	s_xor_b64 s[28:29], s[0:1], s[26:27]
	v_readfirstlane_b32 s17, v1
	s_mul_i32 s1, s28, s13
	s_mul_hi_u32 s30, s28, s17
	s_mul_hi_u32 s0, s28, s13
	s_add_u32 s1, s30, s1
	s_addc_u32 s0, 0, s0
	s_mul_hi_u32 s31, s29, s17
	s_mul_i32 s17, s29, s17
	s_add_u32 s1, s1, s17
	s_mul_hi_u32 s30, s29, s13
	s_addc_u32 s0, s0, s31
	s_addc_u32 s1, s30, 0
	s_mul_i32 s13, s29, s13
	s_add_u32 s13, s0, s13
	s_addc_u32 s17, 0, s1
	s_mul_i32 s0, s24, s17
	s_mul_hi_u32 s1, s24, s13
	s_add_i32 s0, s1, s0
	s_mul_i32 s1, s25, s13
	s_add_i32 s30, s0, s1
	s_mul_i32 s1, s24, s13
	v_mov_b32_e32 v1, s1
	s_sub_i32 s0, s29, s30
	v_sub_co_u32_e32 v1, vcc, s28, v1
	s_cmp_lg_u64 vcc, 0
	s_subb_u32 s28, s0, s25
	v_subrev_co_u32_e64 v2, s[0:1], s24, v1
	s_cmp_lg_u64 s[0:1], 0
	s_subb_u32 s0, s28, 0
	s_cmp_ge_u32 s0, s25
	v_readfirstlane_b32 s28, v2
	s_cselect_b32 s1, -1, 0
	s_cmp_ge_u32 s28, s24
	s_cselect_b32 s28, -1, 0
	s_cmp_eq_u32 s0, s25
	s_cselect_b32 s0, s28, s1
	s_add_u32 s1, s13, 1
	s_addc_u32 s28, s17, 0
	s_add_u32 s31, s13, 2
	s_addc_u32 s33, s17, 0
	s_cmp_lg_u32 s0, 0
	s_cselect_b32 s0, s31, s1
	s_cselect_b32 s1, s33, s28
	s_cmp_lg_u64 vcc, 0
	s_subb_u32 s28, s29, s30
	s_cmp_ge_u32 s28, s25
	v_readfirstlane_b32 s30, v1
	s_cselect_b32 s29, -1, 0
	s_cmp_ge_u32 s30, s24
	s_cselect_b32 s24, -1, 0
	s_cmp_eq_u32 s28, s25
	s_cselect_b32 s24, s24, s29
	s_cmp_lg_u32 s24, 0
	s_cselect_b32 s1, s1, s17
	s_cselect_b32 s0, s0, s13
	s_xor_b64 s[14:15], s[26:27], s[14:15]
	s_xor_b64 s[0:1], s[0:1], s[14:15]
	s_sub_u32 s14, s0, s14
	s_subb_u32 s15, s1, s15
	s_cbranch_execnz .LBB63_6
.LBB63_5:                               ;   in Loop: Header=BB63_3 Depth=1
	v_cvt_f32_u32_e32 v1, s22
	s_sub_i32 s0, 0, s22
	s_mov_b32 s15, s16
	v_rcp_iflag_f32_e32 v1, v1
	v_mul_f32_e32 v1, 0x4f7ffffe, v1
	v_cvt_u32_f32_e32 v1, v1
	v_readfirstlane_b32 s1, v1
	s_mul_i32 s0, s0, s1
	s_mul_hi_u32 s0, s1, s0
	s_add_i32 s1, s1, s0
	s_mul_hi_u32 s0, s20, s1
	s_mul_i32 s13, s0, s22
	s_sub_i32 s13, s20, s13
	s_add_i32 s1, s0, 1
	s_sub_i32 s14, s13, s22
	s_cmp_ge_u32 s13, s22
	s_cselect_b32 s0, s1, s0
	s_cselect_b32 s13, s14, s13
	s_add_i32 s1, s0, 1
	s_cmp_ge_u32 s13, s22
	s_cselect_b32 s14, s1, s0
.LBB63_6:                               ;   in Loop: Header=BB63_3 Depth=1
	s_mul_i32 s0, s14, s23
	s_mul_hi_u32 s1, s14, s22
	s_add_i32 s13, s1, s0
	s_load_dwordx2 s[0:1], s[18:19], 0xc8
	s_mul_i32 s17, s15, s22
	s_add_i32 s13, s13, s17
	s_mul_i32 s17, s14, s22
	s_sub_u32 s17, s20, s17
	s_subb_u32 s13, s21, s13
	s_waitcnt lgkmcnt(0)
	s_mul_i32 s13, s0, s13
	s_mul_hi_u32 s20, s0, s17
	s_add_i32 s13, s20, s13
	s_mul_i32 s1, s1, s17
	s_add_i32 s13, s13, s1
	s_mul_i32 s0, s0, s17
	s_add_u32 s2, s0, s2
	s_addc_u32 s3, s13, s3
	s_add_i32 s7, s7, -1
	s_add_u32 s18, s18, -8
	s_addc_u32 s19, s19, -1
	s_cmp_gt_u32 s7, 2
	s_cbranch_scc0 .LBB63_9
; %bb.7:                                ;   in Loop: Header=BB63_3 Depth=1
	s_mov_b64 s[20:21], s[14:15]
	s_branch .LBB63_3
.LBB63_8:                               ;   in Loop: Header=BB63_3 Depth=1
                                        ; implicit-def: $sgpr14_sgpr15
	s_branch .LBB63_5
.LBB63_9:
	s_load_dword s0, s[4:5], 0x358
	s_load_dwordx2 s[16:17], s[4:5], 0xd0
	s_add_u32 s18, s4, 0x1c0
	s_addc_u32 s19, s5, 0
	s_mov_b64 s[40:41], 0
	s_waitcnt lgkmcnt(0)
	s_cmp_lt_i32 s0, 2
	s_mov_b64 s[28:29], s[8:9]
	s_cbranch_scc1 .LBB63_17
; %bb.10:
	s_mov_b32 s20, 0
	s_add_i32 s7, s0, 1
	s_add_i32 s0, s0, -1
	s_mov_b32 s1, s20
	s_lshl_b64 s[0:1], s[0:1], 3
	s_add_u32 s0, s0, s18
	s_addc_u32 s1, s1, s19
	s_add_u32 s22, s0, 8
	s_addc_u32 s23, s1, 0
	s_mov_b64 s[24:25], s[8:9]
.LBB63_11:                              ; =>This Inner Loop Header: Depth=1
	s_load_dwordx2 s[26:27], s[22:23], 0x0
	s_waitcnt lgkmcnt(0)
	s_or_b64 s[0:1], s[24:25], s[26:27]
	s_mov_b32 s21, s1
	s_cmp_lg_u64 s[20:21], 0
	s_cbranch_scc0 .LBB63_16
; %bb.12:                               ;   in Loop: Header=BB63_11 Depth=1
	s_ashr_i32 s28, s27, 31
	s_add_u32 s0, s26, s28
	s_mov_b32 s29, s28
	s_addc_u32 s1, s27, s28
	s_xor_b64 s[30:31], s[0:1], s[28:29]
	v_cvt_f32_u32_e32 v1, s30
	v_cvt_f32_u32_e32 v2, s31
	s_sub_u32 s0, 0, s30
	s_subb_u32 s1, 0, s31
	v_mac_f32_e32 v1, 0x4f800000, v2
	v_rcp_f32_e32 v1, v1
	v_mul_f32_e32 v1, 0x5f7ffffc, v1
	v_mul_f32_e32 v2, 0x2f800000, v1
	v_trunc_f32_e32 v2, v2
	v_mac_f32_e32 v1, 0xcf800000, v2
	v_cvt_u32_f32_e32 v2, v2
	v_cvt_u32_f32_e32 v1, v1
	v_readfirstlane_b32 s13, v2
	v_readfirstlane_b32 s21, v1
	s_mul_i32 s33, s0, s13
	s_mul_hi_u32 s35, s0, s21
	s_mul_i32 s34, s1, s21
	s_add_i32 s33, s35, s33
	s_add_i32 s33, s33, s34
	s_mul_i32 s36, s0, s21
	s_mul_hi_u32 s34, s21, s33
	s_mul_i32 s35, s21, s33
	s_mul_hi_u32 s21, s21, s36
	s_add_u32 s21, s21, s35
	s_addc_u32 s34, 0, s34
	s_mul_hi_u32 s37, s13, s36
	s_mul_i32 s36, s13, s36
	s_add_u32 s21, s21, s36
	s_mul_hi_u32 s35, s13, s33
	s_addc_u32 s21, s34, s37
	s_addc_u32 s34, s35, 0
	s_mul_i32 s33, s13, s33
	s_add_u32 s21, s21, s33
	s_addc_u32 s33, 0, s34
	v_add_co_u32_e32 v1, vcc, s21, v1
	s_cmp_lg_u64 vcc, 0
	s_addc_u32 s13, s13, s33
	v_readfirstlane_b32 s33, v1
	s_mul_i32 s21, s0, s13
	s_mul_hi_u32 s34, s0, s33
	s_add_i32 s21, s34, s21
	s_mul_i32 s1, s1, s33
	s_add_i32 s21, s21, s1
	s_mul_i32 s0, s0, s33
	s_mul_hi_u32 s34, s13, s0
	s_mul_i32 s35, s13, s0
	s_mul_i32 s37, s33, s21
	s_mul_hi_u32 s0, s33, s0
	s_mul_hi_u32 s36, s33, s21
	s_add_u32 s0, s0, s37
	s_addc_u32 s33, 0, s36
	s_add_u32 s0, s0, s35
	s_mul_hi_u32 s1, s13, s21
	s_addc_u32 s0, s33, s34
	s_addc_u32 s1, s1, 0
	s_mul_i32 s21, s13, s21
	s_add_u32 s0, s0, s21
	s_addc_u32 s1, 0, s1
	v_add_co_u32_e32 v1, vcc, s0, v1
	s_cmp_lg_u64 vcc, 0
	s_addc_u32 s13, s13, s1
	s_ashr_i32 s34, s25, 31
	s_add_u32 s0, s24, s34
	s_mov_b32 s35, s34
	s_addc_u32 s1, s25, s34
	s_xor_b64 s[36:37], s[0:1], s[34:35]
	v_readfirstlane_b32 s21, v1
	s_mul_i32 s1, s36, s13
	s_mul_hi_u32 s33, s36, s21
	s_mul_hi_u32 s0, s36, s13
	s_add_u32 s1, s33, s1
	s_addc_u32 s0, 0, s0
	s_mul_hi_u32 s38, s37, s21
	s_mul_i32 s21, s37, s21
	s_add_u32 s1, s1, s21
	s_mul_hi_u32 s33, s37, s13
	s_addc_u32 s0, s0, s38
	s_addc_u32 s1, s33, 0
	s_mul_i32 s13, s37, s13
	s_add_u32 s13, s0, s13
	s_addc_u32 s21, 0, s1
	s_mul_i32 s0, s30, s21
	s_mul_hi_u32 s1, s30, s13
	s_add_i32 s0, s1, s0
	s_mul_i32 s1, s31, s13
	s_add_i32 s33, s0, s1
	s_mul_i32 s1, s30, s13
	v_mov_b32_e32 v1, s1
	s_sub_i32 s0, s37, s33
	v_sub_co_u32_e32 v1, vcc, s36, v1
	s_cmp_lg_u64 vcc, 0
	s_subb_u32 s36, s0, s31
	v_subrev_co_u32_e64 v2, s[0:1], s30, v1
	s_cmp_lg_u64 s[0:1], 0
	s_subb_u32 s0, s36, 0
	s_cmp_ge_u32 s0, s31
	v_readfirstlane_b32 s36, v2
	s_cselect_b32 s1, -1, 0
	s_cmp_ge_u32 s36, s30
	s_cselect_b32 s36, -1, 0
	s_cmp_eq_u32 s0, s31
	s_cselect_b32 s0, s36, s1
	s_add_u32 s1, s13, 1
	s_addc_u32 s36, s21, 0
	s_add_u32 s38, s13, 2
	s_addc_u32 s39, s21, 0
	s_cmp_lg_u32 s0, 0
	s_cselect_b32 s0, s38, s1
	s_cselect_b32 s1, s39, s36
	s_cmp_lg_u64 vcc, 0
	s_subb_u32 s33, s37, s33
	s_cmp_ge_u32 s33, s31
	v_readfirstlane_b32 s37, v1
	s_cselect_b32 s36, -1, 0
	s_cmp_ge_u32 s37, s30
	s_cselect_b32 s30, -1, 0
	s_cmp_eq_u32 s33, s31
	s_cselect_b32 s30, s30, s36
	s_cmp_lg_u32 s30, 0
	s_cselect_b32 s1, s1, s21
	s_cselect_b32 s0, s0, s13
	s_xor_b64 s[28:29], s[34:35], s[28:29]
	s_xor_b64 s[0:1], s[0:1], s[28:29]
	s_sub_u32 s28, s0, s28
	s_subb_u32 s29, s1, s29
	s_cbranch_execnz .LBB63_14
.LBB63_13:                              ;   in Loop: Header=BB63_11 Depth=1
	v_cvt_f32_u32_e32 v1, s26
	s_sub_i32 s0, 0, s26
	s_mov_b32 s29, s20
	v_rcp_iflag_f32_e32 v1, v1
	v_mul_f32_e32 v1, 0x4f7ffffe, v1
	v_cvt_u32_f32_e32 v1, v1
	v_readfirstlane_b32 s1, v1
	s_mul_i32 s0, s0, s1
	s_mul_hi_u32 s0, s1, s0
	s_add_i32 s1, s1, s0
	s_mul_hi_u32 s0, s24, s1
	s_mul_i32 s13, s0, s26
	s_sub_i32 s13, s24, s13
	s_add_i32 s1, s0, 1
	s_sub_i32 s21, s13, s26
	s_cmp_ge_u32 s13, s26
	s_cselect_b32 s0, s1, s0
	s_cselect_b32 s13, s21, s13
	s_add_i32 s1, s0, 1
	s_cmp_ge_u32 s13, s26
	s_cselect_b32 s28, s1, s0
.LBB63_14:                              ;   in Loop: Header=BB63_11 Depth=1
	s_mul_i32 s0, s28, s27
	s_mul_hi_u32 s1, s28, s26
	s_add_i32 s13, s1, s0
	s_load_dwordx2 s[0:1], s[22:23], 0xc8
	s_mul_i32 s21, s29, s26
	s_add_i32 s13, s13, s21
	s_mul_i32 s21, s28, s26
	s_sub_u32 s21, s24, s21
	s_subb_u32 s13, s25, s13
	s_waitcnt lgkmcnt(0)
	s_mul_i32 s13, s0, s13
	s_mul_hi_u32 s24, s0, s21
	s_add_i32 s13, s24, s13
	s_mul_i32 s1, s1, s21
	s_add_i32 s13, s13, s1
	s_mul_i32 s0, s0, s21
	s_add_u32 s40, s0, s40
	s_addc_u32 s41, s13, s41
	s_add_i32 s7, s7, -1
	s_add_u32 s22, s22, -8
	s_addc_u32 s23, s23, -1
	s_cmp_gt_u32 s7, 2
	s_cbranch_scc0 .LBB63_17
; %bb.15:                               ;   in Loop: Header=BB63_11 Depth=1
	s_mov_b64 s[24:25], s[28:29]
	s_branch .LBB63_11
.LBB63_16:                              ;   in Loop: Header=BB63_11 Depth=1
                                        ; implicit-def: $sgpr28_sgpr29
	s_branch .LBB63_13
.LBB63_17:
                                        ; implicit-def: $vgpr58 : SGPR spill to VGPR lane
	s_load_dword s13, s[4:5], 0x4f8
	s_load_dwordx2 s[0:1], s[18:19], 0xd0
	v_writelane_b32 v58, s28, 0
	v_writelane_b32 v58, s29, 1
	;; [unrolled: 1-line block ×4, first 2 shown]
	s_waitcnt lgkmcnt(0)
	v_writelane_b32 v58, s0, 4
	v_writelane_b32 v58, s1, 5
	s_add_u32 s0, s4, 0x360
	s_addc_u32 s1, s5, 0
	s_cmp_lt_i32 s13, 2
	s_mov_b64 s[62:63], 0
                                        ; kill: killed $sgpr18 killed $sgpr19
	s_cbranch_scc1 .LBB63_25
; %bb.18:
	s_mov_b32 s18, 0
	s_add_i32 s20, s13, -1
	s_mov_b32 s21, s18
	s_add_i32 s7, s13, 1
	s_lshl_b64 s[20:21], s[20:21], 3
	s_add_u32 s0, s20, s0
	s_addc_u32 s1, s21, s1
	s_add_u32 s20, s0, 8
	s_addc_u32 s21, s1, 0
.LBB63_19:                              ; =>This Inner Loop Header: Depth=1
	s_load_dwordx2 s[22:23], s[20:21], 0x0
	s_waitcnt lgkmcnt(0)
	s_or_b64 s[0:1], s[8:9], s[22:23]
	s_mov_b32 s19, s1
	s_cmp_lg_u64 s[18:19], 0
	s_cbranch_scc0 .LBB63_24
; %bb.20:                               ;   in Loop: Header=BB63_19 Depth=1
	s_ashr_i32 s24, s23, 31
	s_add_u32 s0, s22, s24
	s_mov_b32 s25, s24
	s_addc_u32 s1, s23, s24
	s_xor_b64 s[26:27], s[0:1], s[24:25]
	v_cvt_f32_u32_e32 v1, s26
	v_cvt_f32_u32_e32 v2, s27
	s_sub_u32 s0, 0, s26
	s_subb_u32 s1, 0, s27
	v_mac_f32_e32 v1, 0x4f800000, v2
	v_rcp_f32_e32 v1, v1
	v_mul_f32_e32 v1, 0x5f7ffffc, v1
	v_mul_f32_e32 v2, 0x2f800000, v1
	v_trunc_f32_e32 v2, v2
	v_mac_f32_e32 v1, 0xcf800000, v2
	v_cvt_u32_f32_e32 v2, v2
	v_cvt_u32_f32_e32 v1, v1
	v_readfirstlane_b32 s13, v2
	v_readfirstlane_b32 s19, v1
	s_mul_i32 s28, s0, s13
	s_mul_hi_u32 s30, s0, s19
	s_mul_i32 s29, s1, s19
	s_add_i32 s28, s30, s28
	s_add_i32 s28, s28, s29
	s_mul_i32 s31, s0, s19
	s_mul_hi_u32 s29, s19, s28
	s_mul_i32 s30, s19, s28
	s_mul_hi_u32 s19, s19, s31
	s_add_u32 s19, s19, s30
	s_addc_u32 s29, 0, s29
	s_mul_hi_u32 s33, s13, s31
	s_mul_i32 s31, s13, s31
	s_add_u32 s19, s19, s31
	s_mul_hi_u32 s30, s13, s28
	s_addc_u32 s19, s29, s33
	s_addc_u32 s29, s30, 0
	s_mul_i32 s28, s13, s28
	s_add_u32 s19, s19, s28
	s_addc_u32 s28, 0, s29
	v_add_co_u32_e32 v1, vcc, s19, v1
	s_cmp_lg_u64 vcc, 0
	s_addc_u32 s13, s13, s28
	v_readfirstlane_b32 s28, v1
	s_mul_i32 s19, s0, s13
	s_mul_hi_u32 s29, s0, s28
	s_add_i32 s19, s29, s19
	s_mul_i32 s1, s1, s28
	s_add_i32 s19, s19, s1
	s_mul_i32 s0, s0, s28
	s_mul_hi_u32 s29, s13, s0
	s_mul_i32 s30, s13, s0
	s_mul_i32 s33, s28, s19
	s_mul_hi_u32 s0, s28, s0
	s_mul_hi_u32 s31, s28, s19
	s_add_u32 s0, s0, s33
	s_addc_u32 s28, 0, s31
	s_add_u32 s0, s0, s30
	s_mul_hi_u32 s1, s13, s19
	s_addc_u32 s0, s28, s29
	s_addc_u32 s1, s1, 0
	s_mul_i32 s19, s13, s19
	s_add_u32 s0, s0, s19
	s_addc_u32 s1, 0, s1
	v_add_co_u32_e32 v1, vcc, s0, v1
	s_cmp_lg_u64 vcc, 0
	s_addc_u32 s13, s13, s1
	s_ashr_i32 s28, s9, 31
	s_add_u32 s0, s8, s28
	s_mov_b32 s29, s28
	s_addc_u32 s1, s9, s28
	s_xor_b64 s[30:31], s[0:1], s[28:29]
	v_readfirstlane_b32 s19, v1
	s_mul_i32 s1, s30, s13
	s_mul_hi_u32 s33, s30, s19
	s_mul_hi_u32 s0, s30, s13
	s_add_u32 s1, s33, s1
	s_addc_u32 s0, 0, s0
	s_mul_hi_u32 s34, s31, s19
	s_mul_i32 s19, s31, s19
	s_add_u32 s1, s1, s19
	s_mul_hi_u32 s33, s31, s13
	s_addc_u32 s0, s0, s34
	s_addc_u32 s1, s33, 0
	s_mul_i32 s13, s31, s13
	s_add_u32 s13, s0, s13
	s_addc_u32 s19, 0, s1
	s_mul_i32 s0, s26, s19
	s_mul_hi_u32 s1, s26, s13
	s_add_i32 s0, s1, s0
	s_mul_i32 s1, s27, s13
	s_add_i32 s33, s0, s1
	s_mul_i32 s1, s26, s13
	v_mov_b32_e32 v1, s1
	s_sub_i32 s0, s31, s33
	v_sub_co_u32_e32 v1, vcc, s30, v1
	s_cmp_lg_u64 vcc, 0
	s_subb_u32 s30, s0, s27
	v_subrev_co_u32_e64 v2, s[0:1], s26, v1
	s_cmp_lg_u64 s[0:1], 0
	s_subb_u32 s0, s30, 0
	s_cmp_ge_u32 s0, s27
	v_readfirstlane_b32 s30, v2
	s_cselect_b32 s1, -1, 0
	s_cmp_ge_u32 s30, s26
	s_cselect_b32 s30, -1, 0
	s_cmp_eq_u32 s0, s27
	s_cselect_b32 s0, s30, s1
	s_add_u32 s1, s13, 1
	s_addc_u32 s30, s19, 0
	s_add_u32 s34, s13, 2
	s_addc_u32 s35, s19, 0
	s_cmp_lg_u32 s0, 0
	s_cselect_b32 s0, s34, s1
	s_cselect_b32 s1, s35, s30
	s_cmp_lg_u64 vcc, 0
	s_subb_u32 s30, s31, s33
	s_cmp_ge_u32 s30, s27
	v_readfirstlane_b32 s33, v1
	s_cselect_b32 s31, -1, 0
	s_cmp_ge_u32 s33, s26
	s_cselect_b32 s26, -1, 0
	s_cmp_eq_u32 s30, s27
	s_cselect_b32 s26, s26, s31
	s_cmp_lg_u32 s26, 0
	s_cselect_b32 s1, s1, s19
	s_cselect_b32 s0, s0, s13
	s_xor_b64 s[24:25], s[28:29], s[24:25]
	s_xor_b64 s[0:1], s[0:1], s[24:25]
	s_sub_u32 s48, s0, s24
	s_subb_u32 s49, s1, s25
	s_cbranch_execnz .LBB63_22
.LBB63_21:                              ;   in Loop: Header=BB63_19 Depth=1
	v_cvt_f32_u32_e32 v1, s22
	s_sub_i32 s0, 0, s22
	s_mov_b32 s49, s18
	v_rcp_iflag_f32_e32 v1, v1
	v_mul_f32_e32 v1, 0x4f7ffffe, v1
	v_cvt_u32_f32_e32 v1, v1
	v_readfirstlane_b32 s1, v1
	s_mul_i32 s0, s0, s1
	s_mul_hi_u32 s0, s1, s0
	s_add_i32 s1, s1, s0
	s_mul_hi_u32 s0, s8, s1
	s_mul_i32 s13, s0, s22
	s_sub_i32 s13, s8, s13
	s_add_i32 s1, s0, 1
	s_sub_i32 s19, s13, s22
	s_cmp_ge_u32 s13, s22
	s_cselect_b32 s0, s1, s0
	s_cselect_b32 s13, s19, s13
	s_add_i32 s1, s0, 1
	s_cmp_ge_u32 s13, s22
	s_cselect_b32 s48, s1, s0
.LBB63_22:                              ;   in Loop: Header=BB63_19 Depth=1
	s_mul_i32 s0, s48, s23
	s_mul_hi_u32 s1, s48, s22
	s_add_i32 s13, s1, s0
	s_load_dwordx2 s[0:1], s[20:21], 0xc8
	s_mul_i32 s19, s49, s22
	s_add_i32 s13, s13, s19
	s_mul_i32 s19, s48, s22
	s_sub_u32 s8, s8, s19
	s_subb_u32 s9, s9, s13
	s_waitcnt lgkmcnt(0)
	s_mul_i32 s9, s0, s9
	s_mul_hi_u32 s13, s0, s8
	s_add_i32 s9, s13, s9
	s_mul_i32 s1, s1, s8
	s_add_i32 s9, s9, s1
	s_mul_i32 s0, s0, s8
	s_add_u32 s62, s0, s62
	s_addc_u32 s63, s9, s63
	s_add_i32 s7, s7, -1
	s_add_u32 s20, s20, -8
	s_addc_u32 s21, s21, -1
	s_cmp_gt_u32 s7, 2
	s_cbranch_scc0 .LBB63_26
; %bb.23:                               ;   in Loop: Header=BB63_19 Depth=1
	s_mov_b64 s[8:9], s[48:49]
	s_branch .LBB63_19
.LBB63_24:                              ;   in Loop: Header=BB63_19 Depth=1
                                        ; implicit-def: $sgpr48_sgpr49
	s_branch .LBB63_21
.LBB63_25:
	s_mov_b64 s[48:49], s[8:9]
.LBB63_26:
	s_load_dwordx2 s[0:1], s[4:5], 0x0
	s_load_dwordx2 s[8:9], s[4:5], 0x1c0
	s_mov_b32 s75, 0
                                        ; kill: killed $sgpr4 killed $sgpr5
	s_waitcnt lgkmcnt(0)
	v_writelane_b32 v58, s8, 6
	v_writelane_b32 v58, s9, 7
	s_load_dwordx2 s[8:9], s[4:5], 0x430
	s_waitcnt lgkmcnt(0)
	v_writelane_b32 v58, s8, 8
	v_writelane_b32 v58, s9, 9
	s_load_dwordx2 s[8:9], s[4:5], 0x360
	s_waitcnt lgkmcnt(0)
	v_writelane_b32 v58, s8, 10
	v_writelane_b32 v58, s9, 11
	v_cmp_eq_u32_e64 s[8:9], 0, v0
	s_mov_b64 s[4:5], exec
	v_writelane_b32 v58, s8, 12
	v_writelane_b32 v58, s9, 13
	s_and_b64 s[8:9], s[4:5], s[8:9]
	s_mov_b64 exec, s[8:9]
	s_cbranch_execz .LBB63_28
; %bb.27:
	v_mov_b32_e32 v2, 0
	v_mov_b32_e32 v4, s52
	;; [unrolled: 1-line block ×4, first 2 shown]
	ds_write_b32 v2, v2 offset:5136
	ds_write_b128 v2, v[2:5] offset:5120
.LBB63_28:
	s_or_b64 exec, exec, s[4:5]
	s_mul_i32 s4, s16, s15
	s_mul_hi_u32 s5, s16, s14
	s_add_i32 s4, s5, s4
	s_mul_i32 s5, s17, s14
	s_add_i32 s5, s4, s5
	s_mul_i32 s4, s16, s14
	s_lshl_b64 s[8:9], s[4:5], 1
	s_lshl_b64 s[78:79], s[2:3], 1
	s_add_u32 s14, s0, s8
	v_mbcnt_lo_u32_b32 v1, -1, 0
	s_addc_u32 s15, s1, s9
	v_mbcnt_hi_u32_b32 v42, -1, v1
	s_add_u32 s7, s14, s78
	v_cmp_gt_u32_e32 vcc, 64, v0
	v_cmp_gt_i32_e64 s[2:3], 4, v42
	s_addc_u32 s13, s15, s79
	s_and_b64 s[50:51], vcc, s[2:3]
	v_cmp_gt_u32_e64 s[2:3], 2, v0
	v_mov_b32_e32 v2, 0x600
	v_writelane_b32 v58, s2, 14
	v_mov_b32_e32 v3, 0
	v_writelane_b32 v58, s3, 15
	v_cmp_gt_i64_e64 s[2:3], s[52:53], v[2:3]
	v_writelane_b32 v58, s2, 16
	v_writelane_b32 v58, s3, 17
	v_mad_u64_u32 v[2:3], s[2:3], v0, s58, 0
	v_mov_b32_e32 v13, 0
	v_mov_b32_e32 v4, v3
	;; [unrolled: 1-line block ×3, first 2 shown]
	v_mad_u64_u32 v[4:5], s[2:3], v0, s59, v[4:5]
	v_writelane_b32 v58, s13, 18
	v_writelane_b32 v58, s7, 19
	v_cmp_gt_i64_e64 s[2:3], s[52:53], v[0:1]
	v_writelane_b32 v58, s2, 20
	s_waitcnt lgkmcnt(0)
	s_barrier
	v_writelane_b32 v58, s3, 21
	s_load_dword s2, s[10:11], 0xc
	v_mov_b32_e32 v3, v4
	v_lshlrev_b64 v[4:5], 1, v[2:3]
	v_add_co_u32_e32 v14, vcc, s7, v4
	s_waitcnt lgkmcnt(0)
	s_and_b32 s33, s2, 0xffff
	s_bfe_u32 s3, s2, 0xa0006
	v_cmp_gt_u16_e64 s[16:17], s2, 63
	s_add_u32 s2, s33, -1
	s_addc_u32 s7, 0, -1
	s_add_u32 s90, s2, s52
	v_writelane_b32 v58, s16, 22
	s_addc_u32 s87, s7, s53
	v_writelane_b32 v58, s17, 23
	s_cmp_lt_u32 s6, s12
	v_writelane_b32 v58, s2, 24
	s_cselect_b32 s2, 12, 18
	s_add_u32 s68, s10, s2
	s_addc_u32 s69, s11, 0
	s_add_i32 s2, s3, -1
	s_bfe_u32 s6, s33, 0x30006
	s_cmp_gt_u32 s2, 6
	v_writelane_b32 v58, s7, 25
	s_cselect_b64 s[10:11], -1, 0
	v_writelane_b32 v58, s10, 26
	s_and_b32 s57, s3, 0x3f8
	v_writelane_b32 v58, s11, 27
	s_cmp_lg_u32 s6, 0
	v_writelane_b32 v58, s6, 28
	s_cselect_b64 s[2:3], -1, 0
	v_writelane_b32 v58, s2, 29
	v_writelane_b32 v58, s3, 30
	s_add_u32 s2, s8, s78
	s_addc_u32 s3, s9, s79
	v_mov_b32_e32 v6, s13
	s_add_u32 s2, s0, s2
	v_addc_co_u32_e32 v15, vcc, v6, v5, vcc
	v_lshrrev_b32_e32 v6, 4, v0
	s_addc_u32 s3, s1, s3
	v_and_b32_e32 v45, 60, v6
	v_lshlrev_b32_e32 v6, 2, v42
	v_writelane_b32 v58, s2, 31
	v_and_b32_e32 v46, 0x100, v6
	v_lshlrev_b64 v[6:7], v42, -1
	v_writelane_b32 v58, s3, 32
	s_lshl_b64 s[2:3], s[58:59], 1
	v_lshlrev_b32_e32 v47, 3, v0
	v_not_b32_e32 v19, v7
	v_not_b32_e32 v18, v6
	v_writelane_b32 v58, s2, 33
	v_or_b32_e32 v9, 6, v47
	v_pk_mov_b32 v[6:7], s[14:15], s[14:15] op_sel:[0,1]
	v_writelane_b32 v58, s3, 34
	v_mad_u64_u32 v[20:21], s[2:3], s58, v9, v[6:7]
	v_mov_b32_e32 v8, v21
	v_mad_u64_u32 v[8:9], s[2:3], s59, v9, v[8:9]
	s_lshl_b64 s[2:3], s[58:59], 3
	v_writelane_b32 v58, s2, 35
	v_or_b32_e32 v9, 4, v47
	v_writelane_b32 v58, s3, 36
	v_mad_u64_u32 v[22:23], s[2:3], s58, v9, v[6:7]
	v_mov_b32_e32 v21, v8
	v_mov_b32_e32 v8, v23
	v_mad_u64_u32 v[8:9], s[2:3], s59, v9, v[8:9]
	v_mov_b32_e32 v23, v8
	v_or_b32_e32 v8, 2, v47
	v_mad_u64_u32 v[24:25], s[2:3], s58, v8, v[6:7]
	v_mov_b32_e32 v6, v25
	v_mad_u64_u32 v[6:7], s[2:3], s59, v8, v[6:7]
	v_lshlrev_b64 v[2:3], 3, v[2:3]
	v_writelane_b32 v58, s48, 37
	v_mov_b32_e32 v25, v6
	v_mov_b32_e32 v6, s15
	v_add_co_u32_e32 v26, vcc, s14, v2
	s_add_u32 s0, s0, s78
	v_writelane_b32 v58, s49, 38
	v_addc_co_u32_e32 v27, vcc, v6, v3, vcc
	s_addc_u32 s1, s1, s79
	v_writelane_b32 v58, s50, 39
	v_mov_b32_e32 v2, s53
	v_add_co_u32_e32 v48, vcc, s52, v0
	s_add_u32 s0, s0, s8
	v_writelane_b32 v58, s51, 40
	v_addc_co_u32_e32 v49, vcc, 0, v2, vcc
	v_mov_b32_e32 v2, 0xc00
	s_addc_u32 s1, s1, s9
	v_writelane_b32 v58, s68, 41
	v_cmp_eq_u32_e64 s[4:5], 0, v42
	v_lshl_or_b32 v50, v42, 3, v2
	v_mov_b32_e32 v2, s1
	v_add_co_u32_e32 v10, vcc, s0, v4
	s_mul_i32 s0, s59, s33
	s_mul_hi_u32 s1, s58, s33
	v_writelane_b32 v58, s69, 42
	v_lshlrev_b32_e32 v43, 1, v0
	s_add_i32 s1, s1, s0
	s_mul_i32 s0, s58, s33
	v_writelane_b32 v58, s4, 43
	v_add_u32_e32 v44, 0xc00, v43
	v_lshlrev_b32_e32 v16, 2, v0
	v_mov_b32_e32 v17, v13
	s_mov_b32 s84, s75
	v_addc_co_u32_e32 v11, vcc, v2, v5, vcc
	s_lshl_b64 s[76:77], s[0:1], 1
	s_lshl_b32 s94, s33, 1
	s_mov_b32 s80, 14
	s_mov_b64 s[70:71], 0
	s_movk_i32 s66, 0x3c00
	v_mov_b32_e32 v51, 0xffff
	v_mov_b32_e32 v52, 0x8000
	v_cvt_f32_ubyte0_e32 v53, 0
	v_mov_b32_e32 v54, -1
	v_mov_b32_e32 v55, 0x5040100
	v_mov_b32_e32 v56, 0
	s_mov_b32 s85, 0
	s_mov_b32 s60, 0
	;; [unrolled: 1-line block ×3, first 2 shown]
	v_writelane_b32 v58, s5, 44
                                        ; implicit-def: $sgpr36_sgpr37
                                        ; implicit-def: $sgpr34_sgpr35
                                        ; implicit-def: $sgpr38_sgpr39
                                        ; implicit-def: $sgpr42_sgpr43
                                        ; implicit-def: $sgpr0_sgpr1
                                        ; implicit-def: $sgpr88_sgpr89
	v_writelane_b32 v58, s57, 45
	s_branch .LBB63_33
.LBB63_29:                              ;   in Loop: Header=BB63_33 Depth=1
	s_xor_b32 s85, s85, 1
	s_add_i32 s14, s80, -2
	s_cmp_eq_u32 s80, 0
	s_mov_b64 s[6:7], 0
	s_cselect_b64 s[10:11], -1, 0
	s_mov_b32 s80, s14
.LBB63_30:                              ;   in Loop: Header=BB63_33 Depth=1
	s_andn2_b64 s[14:15], s[20:21], exec
	s_and_b64 s[6:7], s[6:7], exec
	s_or_b64 s[20:21], s[14:15], s[6:7]
	s_andn2_b64 s[22:23], s[22:23], exec
	s_andn2_b64 s[18:19], s[18:19], exec
	s_orn2_b64 s[14:15], s[10:11], exec
.LBB63_31:                              ;   in Loop: Header=BB63_33 Depth=1
	s_or_b64 exec, exec, s[2:3]
	s_andn2_b64 s[2:3], s[88:89], exec
	s_and_b64 s[6:7], s[20:21], exec
	s_or_b64 s[88:89], s[2:3], s[6:7]
	s_andn2_b64 s[0:1], s[0:1], exec
	s_and_b64 s[2:3], s[22:23], exec
	s_or_b64 s[0:1], s[0:1], s[2:3]
	;; [unrolled: 3-line block ×3, first 2 shown]
	s_orn2_b64 s[18:19], s[14:15], exec
.LBB63_32:                              ;   in Loop: Header=BB63_33 Depth=1
	s_or_b64 exec, exec, s[12:13]
	s_and_b64 s[2:3], exec, s[18:19]
	s_or_b64 s[70:71], s[2:3], s[70:71]
	s_andn2_b64 s[2:3], s[38:39], exec
	s_and_b64 s[6:7], s[88:89], exec
	s_or_b64 s[38:39], s[2:3], s[6:7]
	s_andn2_b64 s[2:3], s[34:35], exec
	s_and_b64 s[6:7], s[0:1], exec
	s_or_b64 s[34:35], s[2:3], s[6:7]
	s_andn2_b64 s[2:3], s[36:37], exec
	s_and_b64 s[6:7], s[42:43], exec
	v_mov_b32_e32 v2, s60
	s_or_b64 s[36:37], s[2:3], s[6:7]
	s_andn2_b64 exec, exec, s[70:71]
	s_cbranch_execz .LBB63_300
.LBB63_33:                              ; =>This Loop Header: Depth=1
                                        ;     Child Loop BB63_38 Depth 2
                                        ;     Child Loop BB63_57 Depth 2
	;; [unrolled: 1-line block ×16, first 2 shown]
	ds_read_b128 v[2:5], v13 offset:5120
	s_waitcnt lgkmcnt(0)
	v_readfirstlane_b32 s83, v3
	v_readfirstlane_b32 s82, v2
	v_cmp_gt_i64_e64 s[2:3], s[82:83], 0
	s_and_b64 vcc, exec, s[2:3]
	s_cbranch_vccnz .LBB63_64
; %bb.34:                               ;   in Loop: Header=BB63_33 Depth=1
	v_readlane_b32 s2, v58, 16
	v_readlane_b32 s3, v58, 17
	s_and_b64 vcc, exec, s[2:3]
	s_cbranch_vccz .LBB63_46
; %bb.35:                               ;   in Loop: Header=BB63_33 Depth=1
	s_mov_b64 s[2:3], 0x601
	v_cmp_gt_i64_e32 vcc, s[2:3], v[4:5]
	s_mov_b64 s[2:3], 0
	s_mov_b64 s[6:7], 0
	s_cbranch_vccz .LBB63_51
; %bb.36:                               ;   in Loop: Header=BB63_33 Depth=1
	global_load_ushort v6, v13, s[68:69]
	global_load_ushort v7, v[14:15], off
	v_readlane_b32 s6, v58, 31
	v_readlane_b32 s7, v58, 32
	v_pk_mov_b32 v[2:3], s[6:7], s[6:7] op_sel:[0,1]
	v_readlane_b32 s14, v58, 33
	v_readlane_b32 s15, v58, 34
	s_mov_b64 s[12:13], 0
	s_waitcnt vmcnt(1)
	v_readfirstlane_b32 s6, v6
	s_and_b32 s6, 0xffff, s6
	v_add_u32_e32 v5, s6, v0
	s_mul_i32 s10, s15, s6
	s_mul_hi_u32 s11, s14, s6
	s_mul_i32 s20, s14, s6
	v_mad_u64_u32 v[2:3], s[6:7], s14, v5, v[2:3]
	v_mov_b32_e32 v4, v3
	v_mad_u64_u32 v[4:5], s[6:7], s15, v5, v[4:5]
	s_add_i32 s21, s11, s10
	v_mov_b32_e32 v3, v4
	v_pk_mov_b32 v[4:5], v[0:1], v[0:1] op_sel:[0,1]
	s_branch .LBB63_38
.LBB63_37:                              ;   in Loop: Header=BB63_38 Depth=2
	s_or_b64 exec, exec, s[6:7]
	v_mov_b32_e32 v7, s21
	v_add_co_u32_e32 v2, vcc, s20, v2
	v_addc_co_u32_e32 v3, vcc, v3, v7, vcc
	v_mov_b32_e32 v7, v8
	s_andn2_b64 exec, exec, s[12:13]
	s_cbranch_execz .LBB63_47
.LBB63_38:                              ;   Parent Loop BB63_33 Depth=1
                                        ; =>  This Inner Loop Header: Depth=2
	v_add_co_u32_sdwa v4, vcc, v4, v6 dst_sel:DWORD dst_unused:UNUSED_PAD src0_sel:DWORD src1_sel:WORD_0
	v_addc_co_u32_e32 v5, vcc, 0, v5, vcc
	v_cmp_gt_i64_e64 s[6:7], s[52:53], v[4:5]
	v_cmp_le_i64_e32 vcc, s[52:53], v[4:5]
	s_waitcnt lgkmcnt(0)
	v_mov_b32_e32 v9, 0
	v_mov_b32_e32 v8, 0
	s_and_saveexec_b64 s[10:11], s[6:7]
	s_cbranch_execz .LBB63_40
; %bb.39:                               ;   in Loop: Header=BB63_38 Depth=2
	global_load_ushort v8, v[2:3], off
.LBB63_40:                              ;   in Loop: Header=BB63_38 Depth=2
	s_or_b64 exec, exec, s[10:11]
	s_waitcnt vmcnt(0)
	v_cmp_lt_i16_e64 s[6:7], -1, v7
	v_cndmask_b32_e64 v12, v51, v52, s[6:7]
	v_xor_b32_sdwa v12, v12, v7 dst_sel:DWORD dst_unused:UNUSED_PAD src0_sel:DWORD src1_sel:WORD_0
	v_cmp_o_f16_e64 s[6:7], v7, v7
	v_cndmask_b32_e64 v12, v51, v12, s[6:7]
	v_and_b32_e32 v12, s95, v12
	v_cmp_eq_u32_e64 s[10:11], s60, v12
	s_cmp_lg_u64 s[10:11], 0
	s_cselect_b64 s[6:7], -1, 0
	s_and_b64 s[6:7], s[4:5], s[6:7]
	s_and_saveexec_b64 s[14:15], s[6:7]
	s_cbranch_execz .LBB63_44
; %bb.41:                               ;   in Loop: Header=BB63_38 Depth=2
	s_mov_b64 s[18:19], exec
	v_mbcnt_lo_u32_b32 v9, s18, 0
	v_mbcnt_hi_u32_b32 v9, s19, v9
	s_bcnt1_i32_b64 s22, s[10:11]
	v_cmp_eq_u32_e64 s[6:7], 0, v9
                                        ; implicit-def: $vgpr12
	s_and_saveexec_b64 s[16:17], s[6:7]
	s_cbranch_execz .LBB63_43
; %bb.42:                               ;   in Loop: Header=BB63_38 Depth=2
	s_bcnt1_i32_b64 s6, s[18:19]
	s_mul_i32 s6, s22, s6
	v_mov_b32_e32 v12, s6
	ds_add_rtn_u32 v12, v13, v12 offset:5136
.LBB63_43:                              ;   in Loop: Header=BB63_38 Depth=2
	s_or_b64 exec, exec, s[16:17]
	s_waitcnt lgkmcnt(0)
	v_readfirstlane_b32 s6, v12
	v_mov_b32_e32 v12, s6
	v_mad_u32_u24 v9, s22, v9, v12
.LBB63_44:                              ;   in Loop: Header=BB63_38 Depth=2
	s_or_b64 exec, exec, s[14:15]
	ds_bpermute_b32 v9, v46, v9
	s_and_b64 s[6:7], exec, vcc
	s_or_b64 s[12:13], s[6:7], s[12:13]
	s_and_saveexec_b64 s[6:7], s[10:11]
	s_cbranch_execz .LBB63_37
; %bb.45:                               ;   in Loop: Header=BB63_38 Depth=2
	v_and_b32_e32 v28, s10, v18
	v_and_b32_e32 v12, s11, v19
	v_bcnt_u32_b32 v28, v28, 0
	v_bcnt_u32_b32 v12, v12, v28
	v_lshlrev_b32_e32 v12, 1, v12
	s_waitcnt lgkmcnt(0)
	v_lshl_add_u32 v9, v9, 1, v12
	ds_write_b16 v9, v7
	s_branch .LBB63_37
.LBB63_46:                              ;   in Loop: Header=BB63_33 Depth=1
	s_mov_b64 s[2:3], -1
	s_mov_b64 s[6:7], 0
	s_branch .LBB63_50
.LBB63_47:                              ;   in Loop: Header=BB63_33 Depth=1
	s_or_b64 exec, exec, s[12:13]
	s_waitcnt lgkmcnt(0)
	s_barrier
	s_mov_b64 s[6:7], exec
	v_readlane_b32 s10, v58, 12
	v_readlane_b32 s11, v58, 13
	s_and_b64 s[10:11], s[6:7], s[10:11]
	s_mov_b64 exec, s[10:11]
	s_cbranch_execz .LBB63_49
; %bb.48:                               ;   in Loop: Header=BB63_33 Depth=1
	ds_read_b32 v2, v13 offset:5136
	s_waitcnt lgkmcnt(0)
	v_ashrrev_i32_e32 v3, 31, v2
	ds_write_b64 v13, v[2:3] offset:5120
.LBB63_49:                              ;   in Loop: Header=BB63_33 Depth=1
	s_or_b64 exec, exec, s[6:7]
	s_waitcnt lgkmcnt(0)
	s_barrier
	s_mov_b64 s[6:7], -1
.LBB63_50:                              ;   in Loop: Header=BB63_33 Depth=1
                                        ; implicit-def: $sgpr82_sgpr83
.LBB63_51:                              ;   in Loop: Header=BB63_33 Depth=1
	s_and_b64 vcc, exec, s[2:3]
	s_cbranch_vccz .LBB63_62
; %bb.52:                               ;   in Loop: Header=BB63_33 Depth=1
	v_mov_b32_e32 v6, 0
	s_mov_b64 s[2:3], exec
	v_readlane_b32 s6, v58, 20
	v_readlane_b32 s7, v58, 21
	s_and_b64 s[6:7], s[2:3], s[6:7]
	s_mov_b64 exec, s[6:7]
	s_cbranch_execz .LBB63_54
; %bb.53:                               ;   in Loop: Header=BB63_33 Depth=1
	global_load_ushort v6, v[14:15], off
.LBB63_54:                              ;   in Loop: Header=BB63_33 Depth=1
	s_or_b64 exec, exec, s[2:3]
	s_mov_b64 s[2:3], exec
	v_readlane_b32 s6, v58, 20
	v_readlane_b32 s7, v58, 21
	s_and_b64 s[6:7], s[2:3], s[6:7]
	s_mov_b64 exec, s[6:7]
	s_cbranch_execz .LBB63_59
; %bb.55:                               ;   in Loop: Header=BB63_33 Depth=1
	global_load_ushort v7, v13, s[68:69]
	v_readlane_b32 s6, v58, 31
	v_readlane_b32 s7, v58, 32
	v_pk_mov_b32 v[2:3], s[6:7], s[6:7] op_sel:[0,1]
	v_readlane_b32 s16, v58, 33
	v_readlane_b32 s17, v58, 34
	s_mov_b64 s[10:11], 0
	v_mov_b32_e32 v8, v43
	s_waitcnt vmcnt(0)
	v_readfirstlane_b32 s6, v7
	s_and_b32 s6, 0xffff, s6
	v_add_u32_e32 v5, s6, v0
	s_lshl_b32 s14, s6, 1
	s_mul_i32 s12, s17, s6
	s_mul_hi_u32 s13, s16, s6
	s_mul_i32 s15, s16, s6
	v_mad_u64_u32 v[2:3], s[6:7], s16, v5, v[2:3]
	v_mov_b32_e32 v4, v3
	v_mad_u64_u32 v[4:5], s[6:7], s17, v5, v[4:5]
	s_add_i32 s16, s13, s12
	v_mov_b32_e32 v3, v4
	v_pk_mov_b32 v[4:5], v[0:1], v[0:1] op_sel:[0,1]
	s_branch .LBB63_57
.LBB63_56:                              ;   in Loop: Header=BB63_57 Depth=2
	s_or_b64 exec, exec, s[12:13]
	s_and_b64 s[6:7], exec, vcc
	ds_write_b16 v8, v6
	v_mov_b32_e32 v6, s16
	v_add_co_u32_e32 v2, vcc, s15, v2
	s_or_b64 s[10:11], s[6:7], s[10:11]
	v_add_u32_e32 v8, s14, v8
	v_addc_co_u32_e32 v3, vcc, v3, v6, vcc
	s_waitcnt vmcnt(0)
	v_mov_b32_e32 v6, v9
	s_andn2_b64 exec, exec, s[10:11]
	s_cbranch_execz .LBB63_59
.LBB63_57:                              ;   Parent Loop BB63_33 Depth=1
                                        ; =>  This Inner Loop Header: Depth=2
	v_add_co_u32_sdwa v4, vcc, v4, v7 dst_sel:DWORD dst_unused:UNUSED_PAD src0_sel:DWORD src1_sel:WORD_0
	v_addc_co_u32_e32 v5, vcc, 0, v5, vcc
	v_cmp_gt_i64_e64 s[6:7], s[52:53], v[4:5]
	v_cmp_le_i64_e32 vcc, s[52:53], v[4:5]
	v_mov_b32_e32 v9, 0
	s_and_saveexec_b64 s[12:13], s[6:7]
	s_cbranch_execz .LBB63_56
; %bb.58:                               ;   in Loop: Header=BB63_57 Depth=2
	global_load_ushort v9, v[2:3], off
	s_branch .LBB63_56
.LBB63_59:                              ;   in Loop: Header=BB63_33 Depth=1
	s_or_b64 exec, exec, s[2:3]
	s_waitcnt lgkmcnt(0)
	s_barrier
	s_mov_b64 s[2:3], exec
	v_readlane_b32 s6, v58, 12
	v_readlane_b32 s7, v58, 13
	s_and_b64 s[6:7], s[2:3], s[6:7]
	s_mov_b64 exec, s[6:7]
	s_cbranch_execz .LBB63_61
; %bb.60:                               ;   in Loop: Header=BB63_33 Depth=1
	v_pk_mov_b32 v[2:3], s[52:53], s[52:53] op_sel:[0,1]
	ds_write_b64 v13, v[2:3] offset:5120
.LBB63_61:                              ;   in Loop: Header=BB63_33 Depth=1
	s_or_b64 exec, exec, s[2:3]
	s_mov_b64 s[6:7], -1
	s_waitcnt lgkmcnt(0)
	s_barrier
                                        ; implicit-def: $sgpr82_sgpr83
.LBB63_62:                              ;   in Loop: Header=BB63_33 Depth=1
	s_and_b64 vcc, exec, s[6:7]
	s_cbranch_vccz .LBB63_64
; %bb.63:                               ;   in Loop: Header=BB63_33 Depth=1
	ds_read_b64 v[2:3], v13 offset:5120
	s_waitcnt lgkmcnt(0)
	v_readfirstlane_b32 s82, v2
.LBB63_64:                              ;   in Loop: Header=BB63_33 Depth=1
	s_cmp_lt_i32 s82, 1
	s_cbranch_scc0 .LBB63_79
; %bb.65:                               ;   in Loop: Header=BB63_33 Depth=1
	global_load_ushort v2, v13, s[68:69]
	s_mov_b32 s2, s75
	s_waitcnt vmcnt(0)
	v_readfirstlane_b32 s3, v2
	s_and_b32 s61, s3, 0xffff
	s_lshl_b32 s74, s61, 2
	s_mov_b32 s3, s53
	s_cmp_lg_u64 s[2:3], 0
	s_cbranch_scc0 .LBB63_99
; %bb.66:                               ;   in Loop: Header=BB63_33 Depth=1
	v_cvt_f32_u32_e32 v2, s74
	s_sub_u32 s2, 0, s74
	s_subb_u32 s3, 0, 0
	v_mac_f32_e32 v2, 0x4f800000, v53
	v_rcp_f32_e32 v2, v2
	v_mul_f32_e32 v2, 0x5f7ffffc, v2
	v_mul_f32_e32 v3, 0x2f800000, v2
	v_trunc_f32_e32 v3, v3
	v_mac_f32_e32 v2, 0xcf800000, v3
	v_cvt_u32_f32_e32 v3, v3
	v_cvt_u32_f32_e32 v2, v2
	v_readfirstlane_b32 s6, v3
	v_readfirstlane_b32 s7, v2
	s_mul_i32 s10, s2, s6
	s_mul_hi_u32 s12, s2, s7
	s_mul_i32 s11, s3, s7
	s_add_i32 s10, s12, s10
	s_mul_i32 s13, s2, s7
	s_add_i32 s10, s10, s11
	s_mul_hi_u32 s12, s7, s13
	s_mul_hi_u32 s11, s7, s10
	s_mul_i32 s7, s7, s10
	s_add_u32 s7, s12, s7
	s_addc_u32 s11, 0, s11
	s_mul_hi_u32 s14, s6, s13
	s_mul_i32 s13, s6, s13
	s_add_u32 s7, s7, s13
	s_mul_hi_u32 s12, s6, s10
	s_addc_u32 s7, s11, s14
	s_addc_u32 s11, s12, 0
	s_mul_i32 s10, s6, s10
	s_add_u32 s7, s7, s10
	s_addc_u32 s10, 0, s11
	v_add_co_u32_e32 v2, vcc, s7, v2
	s_cmp_lg_u64 vcc, 0
	s_addc_u32 s6, s6, s10
	v_readfirstlane_b32 s10, v2
	s_mul_i32 s7, s2, s6
	s_mul_hi_u32 s11, s2, s10
	s_add_i32 s7, s11, s7
	s_mul_i32 s3, s3, s10
	s_add_i32 s7, s7, s3
	s_mul_i32 s2, s2, s10
	s_mul_hi_u32 s11, s6, s2
	s_mul_i32 s12, s6, s2
	s_mul_i32 s14, s10, s7
	s_mul_hi_u32 s2, s10, s2
	s_mul_hi_u32 s13, s10, s7
	s_add_u32 s2, s2, s14
	s_addc_u32 s10, 0, s13
	s_add_u32 s2, s2, s12
	s_mul_hi_u32 s3, s6, s7
	s_addc_u32 s2, s10, s11
	s_addc_u32 s3, s3, 0
	s_mul_i32 s7, s6, s7
	s_add_u32 s2, s2, s7
	s_addc_u32 s3, 0, s3
	v_add_co_u32_e32 v2, vcc, s2, v2
	s_cmp_lg_u64 vcc, 0
	s_addc_u32 s10, s6, s3
	s_ashr_i32 s2, s53, 31
	s_add_u32 s6, s52, s2
	s_mov_b32 s3, s2
	s_addc_u32 s7, s53, s2
	s_xor_b64 s[6:7], s[6:7], s[2:3]
	v_readfirstlane_b32 s12, v2
	s_mul_i32 s11, s6, s10
	s_mul_hi_u32 s13, s6, s12
	s_mul_hi_u32 s3, s6, s10
	s_add_u32 s11, s13, s11
	s_addc_u32 s3, 0, s3
	s_mul_hi_u32 s14, s7, s12
	s_mul_i32 s12, s7, s12
	s_add_u32 s11, s11, s12
	s_mul_hi_u32 s13, s7, s10
	s_addc_u32 s3, s3, s14
	s_addc_u32 s11, s13, 0
	s_mul_i32 s10, s7, s10
	s_add_u32 s3, s3, s10
	s_addc_u32 s10, 0, s11
	s_mul_hi_u32 s11, s74, s3
	s_mul_i32 s3, s74, s3
	s_mul_i32 s10, s74, s10
	v_mov_b32_e32 v2, s3
	s_add_i32 s11, s11, s10
	v_sub_co_u32_e32 v2, vcc, s6, v2
	s_cmp_lg_u64 vcc, 0
	s_subb_u32 s3, s7, s11
	v_subrev_co_u32_e32 v3, vcc, s74, v2
	s_cmp_lg_u64 vcc, 0
	s_subb_u32 s6, s3, 0
	v_subrev_co_u32_e32 v4, vcc, s74, v3
	s_cmp_lg_u64 vcc, 0
	s_subb_u32 s7, s6, 0
	v_cmp_le_u32_e32 vcc, s74, v3
	s_cmp_eq_u32 s6, 0
	v_cndmask_b32_e64 v5, 0, -1, vcc
	s_cselect_b64 vcc, -1, 0
	v_cndmask_b32_e32 v5, -1, v5, vcc
	v_mov_b32_e32 v6, s6
	v_mov_b32_e32 v7, s7
	v_cmp_ne_u32_e32 vcc, 0, v5
	v_cndmask_b32_e32 v5, v6, v7, vcc
	v_cndmask_b32_e32 v3, v3, v4, vcc
	v_cmp_le_u32_e32 vcc, s74, v2
	s_cmp_eq_u32 s3, 0
	v_cndmask_b32_e64 v4, 0, -1, vcc
	s_cselect_b64 vcc, -1, 0
	v_cndmask_b32_e32 v4, -1, v4, vcc
	v_cmp_ne_u32_e32 vcc, 0, v4
	v_mov_b32_e32 v6, s3
	v_cndmask_b32_e32 v2, v2, v3, vcc
	v_cndmask_b32_e32 v4, v6, v5, vcc
	v_xor_b32_e32 v2, s2, v2
	v_xor_b32_e32 v3, s2, v4
	v_mov_b32_e32 v4, s2
	v_subrev_co_u32_e32 v28, vcc, s2, v2
	v_subb_co_u32_e32 v29, vcc, v3, v4, vcc
	s_cbranch_execnz .LBB63_68
.LBB63_67:                              ;   in Loop: Header=BB63_33 Depth=1
	v_cvt_f32_u32_e32 v2, s74
	s_sub_i32 s2, 0, s74
	v_rcp_iflag_f32_e32 v2, v2
	v_mul_f32_e32 v2, 0x4f7ffffe, v2
	v_cvt_u32_f32_e32 v2, v2
	v_mul_lo_u32 v3, s2, v2
	v_mul_hi_u32 v3, v2, v3
	v_add_u32_e32 v2, v2, v3
	v_mul_hi_u32 v2, s52, v2
	v_mul_lo_u32 v2, v2, s74
	v_sub_u32_e32 v2, s52, v2
	v_subrev_u32_e32 v3, s74, v2
	v_cmp_le_u32_e32 vcc, s74, v2
	v_cndmask_b32_e32 v2, v2, v3, vcc
	v_subrev_u32_e32 v3, s74, v2
	v_cmp_le_u32_e32 vcc, s74, v2
	v_cndmask_b32_e32 v12, v2, v3, vcc
	v_pk_mov_b32 v[28:29], v[12:13], v[12:13] op_sel:[0,1]
.LBB63_68:                              ;   in Loop: Header=BB63_33 Depth=1
	v_mov_b32_e32 v2, s53
	v_sub_co_u32_e32 v30, vcc, s52, v28
	v_subb_co_u32_e32 v31, vcc, v2, v29, vcc
	v_pk_mov_b32 v[2:3], 0, 0
	v_cmp_gt_i64_e32 vcc, v[30:31], v[16:17]
	s_mov_b64 s[92:93], 0
	v_pk_mov_b32 v[4:5], v[2:3], v[2:3] op_sel:[0,1]
	v_pk_mov_b32 v[6:7], v[2:3], v[2:3] op_sel:[0,1]
	v_pk_mov_b32 v[8:9], v[2:3], v[2:3] op_sel:[0,1]
	s_and_saveexec_b64 s[2:3], vcc
	s_cbranch_execz .LBB63_72
; %bb.69:                               ;   in Loop: Header=BB63_33 Depth=1
	v_readlane_b32 s10, v58, 35
	v_readlane_b32 s11, v58, 36
	s_mul_i32 s6, s11, s61
	s_mul_hi_u32 s7, s10, s61
	s_mov_b64 s[4:5], s[34:35]
	s_mov_b64 s[56:57], s[38:39]
	;; [unrolled: 1-line block ×5, first 2 shown]
	s_mov_b32 s1, s87
	s_mov_b32 s91, s80
	s_and_b32 s83, s80, 0xfe
	s_add_i32 s66, s7, s6
	s_mul_i32 s67, s10, s61
	v_pk_mov_b32 v[32:33], v[26:27], v[26:27] op_sel:[0,1]
	v_pk_mov_b32 v[34:35], v[24:25], v[24:25] op_sel:[0,1]
	;; [unrolled: 1-line block ×4, first 2 shown]
	s_mov_b64 s[26:27], 0
	s_mov_b64 s[68:69], 0
	;; [unrolled: 1-line block ×4, first 2 shown]
	v_pk_mov_b32 v[40:41], v[16:17], v[16:17] op_sel:[0,1]
.LBB63_70:                              ;   Parent Loop BB63_33 Depth=1
                                        ; =>  This Inner Loop Header: Depth=2
	v_mov_b32_e32 v7, s79
	v_add_co_u32_e32 v2, vcc, s78, v34
	v_add_co_u32_e64 v8, s[18:19], s78, v32
	v_add_co_u32_e64 v4, s[10:11], s78, v36
	;; [unrolled: 1-line block ×3, first 2 shown]
	v_addc_co_u32_e64 v9, s[18:19], v33, v7, s[18:19]
	v_addc_co_u32_e32 v3, vcc, v35, v7, vcc
	v_addc_co_u32_e64 v5, vcc, v37, v7, s[10:11]
	v_addc_co_u32_e64 v7, vcc, v39, v7, s[12:13]
	global_load_ushort v8, v[8:9], off
	s_nop 0
	global_load_ushort v2, v[2:3], off
	s_nop 0
	;; [unrolled: 2-line block ×3, first 2 shown]
	global_load_ushort v4, v[6:7], off
	v_mov_b32_e32 v12, s66
	v_add_co_u32_e64 v38, s[6:7], s67, v38
	v_addc_co_u32_e64 v39, vcc, v39, v12, s[6:7]
	v_add_co_u32_e64 v36, s[14:15], s67, v36
	v_addc_co_u32_e64 v37, vcc, v37, v12, s[14:15]
	;; [unrolled: 2-line block ×4, first 2 shown]
	v_add_co_u32_e64 v40, s[22:23], s74, v40
	v_addc_co_u32_e64 v41, s[22:23], 0, v41, s[22:23]
	v_cmp_ge_i64_e32 vcc, v[40:41], v[30:31]
	s_waitcnt vmcnt(3)
	v_cmp_lt_i16_e64 s[6:7], -1, v8
	v_cndmask_b32_e64 v5, v51, v52, s[6:7]
	s_waitcnt vmcnt(2)
	v_cmp_lt_i16_e64 s[6:7], -1, v2
	v_cndmask_b32_e64 v6, v51, v52, s[6:7]
	;; [unrolled: 3-line block ×4, first 2 shown]
	v_xor_b32_sdwa v6, v6, v2 dst_sel:DWORD dst_unused:UNUSED_PAD src0_sel:DWORD src1_sel:WORD_0
	v_cmp_o_f16_e64 s[6:7], v2, v2
	v_xor_b32_sdwa v2, v7, v3 dst_sel:DWORD dst_unused:UNUSED_PAD src0_sel:DWORD src1_sel:WORD_0
	v_cmp_o_f16_e64 s[10:11], v3, v3
	;; [unrolled: 2-line block ×4, first 2 shown]
	v_cndmask_b32_e64 v4, v51, v4, s[14:15]
	v_cndmask_b32_e64 v5, v51, v6, s[6:7]
	v_and_b32_e32 v6, s95, v4
	v_bfe_u32 v4, v4, s83, 2
	v_cndmask_b32_e64 v2, v51, v2, s[10:11]
	v_and_b32_e32 v7, s95, v5
	v_bfe_u32 v5, v5, s83, 2
	v_cmp_eq_u32_e64 s[16:17], s60, v6
	v_cmp_eq_u32_e64 s[6:7], 0, v4
	v_cndmask_b32_e64 v3, v51, v3, s[12:13]
	v_and_b32_e32 v8, s95, v2
	v_bfe_u32 v2, v2, s83, 2
	v_cmp_eq_u32_e64 s[14:15], s60, v7
	v_cmp_eq_u32_e64 s[28:29], 0, v5
	s_and_b64 s[6:7], s[16:17], s[6:7]
	v_and_b32_e32 v9, s95, v3
	v_bfe_u32 v3, v3, s83, 2
	v_cmp_eq_u32_e64 s[12:13], s60, v8
	v_cmp_eq_u32_e64 s[30:31], 0, v2
	;; [unrolled: 1-line block ×5, first 2 shown]
	v_cndmask_b32_e64 v2, 0, 1, s[6:7]
	s_and_b64 s[6:7], s[14:15], s[28:29]
	v_cmp_eq_u32_e64 s[10:11], s60, v9
	v_cmp_eq_u32_e64 s[34:35], 0, v3
	;; [unrolled: 1-line block ×5, first 2 shown]
	v_cndmask_b32_e64 v3, 0, 1, s[6:7]
	s_and_b64 s[6:7], s[12:13], s[30:31]
	v_cmp_eq_u32_e64 s[36:37], 1, v4
	v_cmp_eq_u32_e64 s[44:45], 2, v4
	v_cmp_eq_u32_e64 s[24:25], 3, v4
	v_cndmask_b32_e64 v4, 0, 1, s[6:7]
	s_and_b64 s[6:7], s[10:11], s[34:35]
	v_cmp_eq_u32_e64 s[38:39], 1, v5
	v_cmp_eq_u32_e64 s[46:47], 2, v5
	;; [unrolled: 1-line block ×3, first 2 shown]
	v_cndmask_b32_e64 v5, 0, 1, s[6:7]
	v_cmp_ne_u32_e64 s[6:7], 0, v2
	v_cmp_ne_u32_e64 s[28:29], 0, v3
	v_cmp_ne_u32_e64 s[30:31], 0, v4
	v_cmp_ne_u32_e64 s[34:35], 0, v5
	s_bcnt1_i32_b64 s6, s[6:7]
	s_bcnt1_i32_b64 s7, s[28:29]
	s_bcnt1_i32_b64 s28, s[30:31]
	s_bcnt1_i32_b64 s29, s[34:35]
	s_add_u32 s6, s6, s86
	s_addc_u32 s30, 0, s87
	s_add_u32 s6, s6, s7
	s_addc_u32 s7, s30, 0
	s_add_u32 s6, s6, s28
	s_addc_u32 s7, s7, 0
	s_add_u32 s86, s6, s29
	s_addc_u32 s87, s7, 0
	s_and_b64 s[6:7], s[16:17], s[36:37]
	v_cndmask_b32_e64 v4, 0, 1, s[6:7]
	s_and_b64 s[6:7], s[14:15], s[38:39]
	v_cndmask_b32_e64 v5, 0, 1, s[6:7]
	s_and_b64 s[6:7], s[12:13], s[40:41]
	v_cndmask_b32_e64 v6, 0, 1, s[6:7]
	s_and_b64 s[6:7], s[10:11], s[42:43]
	v_cndmask_b32_e64 v7, 0, 1, s[6:7]
	v_cmp_ne_u32_e64 s[6:7], 0, v4
	v_cmp_ne_u32_e64 s[28:29], 0, v5
	v_cmp_ne_u32_e64 s[30:31], 0, v6
	v_cmp_ne_u32_e64 s[34:35], 0, v7
	s_bcnt1_i32_b64 s6, s[6:7]
	s_bcnt1_i32_b64 s7, s[28:29]
	s_bcnt1_i32_b64 s28, s[30:31]
	s_bcnt1_i32_b64 s29, s[34:35]
	s_add_u32 s6, s6, s80
	s_addc_u32 s30, 0, s81
	s_add_u32 s6, s6, s7
	s_addc_u32 s7, s30, 0
	s_add_u32 s6, s6, s28
	s_addc_u32 s7, s7, 0
	s_add_u32 s80, s6, s29
	s_addc_u32 s81, s7, 0
	s_and_b64 s[6:7], s[16:17], s[44:45]
	v_cndmask_b32_e64 v6, 0, 1, s[6:7]
	s_and_b64 s[6:7], s[14:15], s[46:47]
	v_cndmask_b32_e64 v7, 0, 1, s[6:7]
	s_and_b64 s[6:7], s[12:13], s[48:49]
	v_cndmask_b32_e64 v8, 0, 1, s[6:7]
	s_and_b64 s[6:7], s[10:11], s[50:51]
	;; [unrolled: 24-line block ×3, first 2 shown]
	v_cndmask_b32_e64 v57, 0, 1, s[6:7]
	v_cmp_ne_u32_e64 s[6:7], 0, v8
	v_cmp_ne_u32_e64 s[10:11], 0, v9
	;; [unrolled: 1-line block ×4, first 2 shown]
	s_bcnt1_i32_b64 s6, s[6:7]
	s_bcnt1_i32_b64 s7, s[10:11]
	;; [unrolled: 1-line block ×4, first 2 shown]
	s_add_u32 s6, s6, s26
	s_addc_u32 s12, 0, s27
	s_add_u32 s6, s6, s7
	s_addc_u32 s7, s12, 0
	;; [unrolled: 2-line block ×4, first 2 shown]
	v_pk_mov_b32 v[2:3], s[86:87], s[86:87] op_sel:[0,1]
	v_pk_mov_b32 v[4:5], s[80:81], s[80:81] op_sel:[0,1]
	;; [unrolled: 1-line block ×3, first 2 shown]
	s_or_b64 s[92:93], vcc, s[92:93]
	v_pk_mov_b32 v[8:9], s[26:27], s[26:27] op_sel:[0,1]
	s_andn2_b64 exec, exec, s[92:93]
	s_cbranch_execnz .LBB63_70
; %bb.71:                               ;   in Loop: Header=BB63_33 Depth=1
	s_or_b64 exec, exec, s[92:93]
	v_readlane_b32 s48, v58, 37
	v_readlane_b32 s50, v58, 39
	;; [unrolled: 1-line block ×3, first 2 shown]
	s_mov_b64 s[34:35], s[4:5]
	v_readlane_b32 s4, v58, 43
	v_readlane_b32 s49, v58, 38
	v_readlane_b32 s51, v58, 40
	v_readlane_b32 s69, v58, 42
	s_movk_i32 s66, 0x3c00
	s_mov_b32 s80, s91
	s_mov_b32 s87, s1
	s_mov_b64 s[42:43], s[8:9]
	s_mov_b64 s[0:1], s[72:73]
	;; [unrolled: 1-line block ×4, first 2 shown]
	v_readlane_b32 s5, v58, 44
	v_readlane_b32 s57, v58, 45
.LBB63_72:                              ;   in Loop: Header=BB63_33 Depth=1
	s_or_b64 exec, exec, s[2:3]
	v_add_co_u32_e32 v30, vcc, v30, v0
	v_addc_co_u32_e32 v31, vcc, 0, v31, vcc
	v_cmp_gt_i64_e32 vcc, s[52:53], v[30:31]
	v_mov_b32_e32 v12, 0
	s_and_saveexec_b64 s[2:3], vcc
	s_cbranch_execz .LBB63_74
; %bb.73:                               ;   in Loop: Header=BB63_33 Depth=1
	v_mul_lo_u32 v12, v31, s58
	v_mul_lo_u32 v34, v30, s59
	v_mad_u64_u32 v[32:33], s[6:7], v30, s58, 0
	v_add3_u32 v33, v33, v34, v12
	v_readlane_b32 s6, v58, 18
	v_lshlrev_b64 v[32:33], 1, v[32:33]
	v_mov_b32_e32 v12, s6
	v_readlane_b32 s6, v58, 19
	v_add_co_u32_e64 v32, s[6:7], s6, v32
	v_addc_co_u32_e64 v33, s[6:7], v12, v33, s[6:7]
	global_load_ushort v12, v[32:33], off
.LBB63_74:                              ;   in Loop: Header=BB63_33 Depth=1
	s_or_b64 exec, exec, s[2:3]
	s_and_saveexec_b64 s[2:3], vcc
	s_cbranch_execz .LBB63_81
; %bb.75:                               ;   in Loop: Header=BB63_33 Depth=1
	v_mov_b32_e32 v32, s75
	v_add_co_u32_e32 v33, vcc, s61, v48
	v_addc_co_u32_e32 v32, vcc, v49, v32, vcc
	v_sub_co_u32_e32 v33, vcc, v33, v28
	v_readlane_b32 s6, v58, 31
	v_subb_co_u32_e32 v28, vcc, v32, v29, vcc
	v_readlane_b32 s10, v58, 33
	v_readlane_b32 s7, v58, 32
	v_mul_lo_u32 v32, s10, v28
	v_pk_mov_b32 v[28:29], s[6:7], s[6:7] op_sel:[0,1]
	v_readlane_b32 s11, v58, 34
	v_mad_u64_u32 v[28:29], s[6:7], s10, v33, v[28:29]
	v_mul_lo_u32 v34, s11, v33
	s_mul_i32 s6, s11, s61
	s_mul_hi_u32 s7, s10, s61
	s_and_b32 s14, s80, 0xfe
	v_add3_u32 v29, v34, v29, v32
	s_add_i32 s15, s7, s6
	s_mul_i32 s16, s10, s61
	s_mov_b64 s[10:11], 0
	s_branch .LBB63_77
.LBB63_76:                              ;   in Loop: Header=BB63_77 Depth=2
	s_or_b64 exec, exec, s[12:13]
	s_and_b64 s[6:7], exec, vcc
	s_waitcnt vmcnt(0)
	v_cmp_lt_i16_e32 vcc, -1, v12
	v_cndmask_b32_e32 v33, v51, v52, vcc
	v_xor_b32_sdwa v33, v33, v12 dst_sel:DWORD dst_unused:UNUSED_PAD src0_sel:DWORD src1_sel:WORD_0
	v_cmp_o_f16_e32 vcc, v12, v12
	v_cndmask_b32_e32 v12, v51, v33, vcc
	v_and_b32_e32 v33, s95, v12
	v_bfe_u32 v12, v12, s14, 2
	s_or_b64 s[10:11], s[6:7], s[10:11]
	v_cmp_eq_u32_e32 vcc, s60, v33
	v_cmp_eq_u32_e64 s[6:7], 0, v12
	s_and_b64 s[6:7], vcc, s[6:7]
	v_cndmask_b32_e64 v33, 0, 1, s[6:7]
	v_cmp_ne_u32_e64 s[6:7], 0, v33
	s_bcnt1_i32_b64 s6, s[6:7]
	v_add_co_u32_e64 v2, s[6:7], s6, v2
	v_addc_co_u32_e64 v3, s[6:7], 0, v3, s[6:7]
	v_cmp_eq_u32_e64 s[6:7], 1, v12
	s_and_b64 s[6:7], vcc, s[6:7]
	v_cndmask_b32_e64 v33, 0, 1, s[6:7]
	v_cmp_ne_u32_e64 s[6:7], 0, v33
	s_bcnt1_i32_b64 s6, s[6:7]
	v_add_co_u32_e64 v4, s[6:7], s6, v4
	v_addc_co_u32_e64 v5, s[6:7], 0, v5, s[6:7]
	;; [unrolled: 7-line block ×3, first 2 shown]
	v_cmp_eq_u32_e64 s[6:7], 3, v12
	s_and_b64 s[6:7], vcc, s[6:7]
	v_cndmask_b32_e64 v12, 0, 1, s[6:7]
	v_cmp_ne_u32_e32 vcc, 0, v12
	s_bcnt1_i32_b64 s6, vcc
	v_add_co_u32_e32 v8, vcc, s6, v8
	v_addc_co_u32_e32 v9, vcc, 0, v9, vcc
	v_mov_b32_e32 v12, s15
	v_add_co_u32_e32 v28, vcc, s16, v28
	v_addc_co_u32_e32 v29, vcc, v29, v12, vcc
	v_mov_b32_e32 v12, v32
	s_andn2_b64 exec, exec, s[10:11]
	s_cbranch_execz .LBB63_80
.LBB63_77:                              ;   Parent Loop BB63_33 Depth=1
                                        ; =>  This Inner Loop Header: Depth=2
	v_mov_b32_e32 v32, s75
	v_add_co_u32_e32 v30, vcc, s61, v30
	v_addc_co_u32_e32 v31, vcc, v31, v32, vcc
	v_cmp_gt_i64_e64 s[6:7], s[52:53], v[30:31]
	v_cmp_le_i64_e32 vcc, s[52:53], v[30:31]
	v_mov_b32_e32 v32, 0
	s_and_saveexec_b64 s[12:13], s[6:7]
	s_cbranch_execz .LBB63_76
; %bb.78:                               ;   in Loop: Header=BB63_77 Depth=2
	global_load_ushort v32, v[28:29], off
	s_branch .LBB63_76
.LBB63_79:                              ;   in Loop: Header=BB63_33 Depth=1
                                        ; implicit-def: $vgpr8_vgpr9
                                        ; implicit-def: $vgpr4_vgpr5
	s_cbranch_execnz .LBB63_82
	s_branch .LBB63_91
.LBB63_80:                              ;   in Loop: Header=BB63_33 Depth=1
	s_or_b64 exec, exec, s[10:11]
.LBB63_81:                              ;   in Loop: Header=BB63_33 Depth=1
	s_or_b64 exec, exec, s[2:3]
	s_branch .LBB63_91
.LBB63_82:                              ;   in Loop: Header=BB63_33 Depth=1
	global_load_ushort v8, v13, s[68:69]
	s_waitcnt vmcnt(0)
	v_readfirstlane_b32 s2, v8
	s_and_b32 s2, 0xffff, s2
	s_lshl_b32 s61, s2, 2
	v_cvt_f32_u32_e32 v2, s61
	s_sub_i32 s6, 0, s61
	s_mov_b64 s[2:3], 0
	v_and_b32_e32 v30, 0xffff, v8
	v_rcp_iflag_f32_e32 v6, v2
	v_pk_mov_b32 v[2:3], 0, 0
	v_pk_mov_b32 v[4:5], v[2:3], v[2:3] op_sel:[0,1]
	v_mul_f32_e32 v6, 0x4f7ffffe, v6
	v_cvt_u32_f32_e32 v9, v6
	v_pk_mov_b32 v[6:7], v[2:3], v[2:3] op_sel:[0,1]
	v_readfirstlane_b32 s7, v9
	s_mul_i32 s6, s6, s7
	s_mul_hi_u32 s6, s7, s6
	s_add_i32 s7, s7, s6
	s_mul_hi_u32 s6, s82, s7
	s_mul_i32 s6, s6, s61
	s_sub_i32 s6, s82, s6
	s_sub_i32 s7, s6, s61
	s_cmp_ge_u32 s6, s61
	s_cselect_b32 s6, s7, s6
	s_sub_i32 s7, s6, s61
	s_cmp_ge_u32 s6, s61
	s_cselect_b32 s6, s7, s6
	s_sub_i32 s74, s82, s6
	v_cmp_gt_u32_e32 vcc, s74, v16
	v_pk_mov_b32 v[8:9], v[2:3], v[2:3] op_sel:[0,1]
	s_and_saveexec_b64 s[26:27], vcc
	s_cbranch_execz .LBB63_86
; %bb.83:                               ;   in Loop: Header=BB63_33 Depth=1
	s_mov_b64 s[56:57], s[88:89]
	s_mov_b64 s[4:5], s[34:35]
	;; [unrolled: 1-line block ×6, first 2 shown]
	s_mov_b32 s1, s87
	s_mov_b32 s83, s80
	s_and_b32 s66, s80, 0xfe
	v_lshlrev_b32_e32 v12, 3, v30
	v_mov_b32_e32 v31, v47
	s_mov_b64 s[68:69], 0
	s_mov_b64 s[80:81], 0
	;; [unrolled: 1-line block ×4, first 2 shown]
	v_pk_mov_b32 v[28:29], v[16:17], v[16:17] op_sel:[0,1]
.LBB63_84:                              ;   Parent Loop BB63_33 Depth=1
                                        ; =>  This Inner Loop Header: Depth=2
	ds_read_b64 v[2:3], v31
	v_add_co_u32_e32 v28, vcc, s61, v28
	v_addc_co_u32_e32 v29, vcc, 0, v29, vcc
	s_waitcnt lgkmcnt(0)
	v_cmp_lt_i16_e64 s[6:7], -1, v2
	v_cndmask_b32_e64 v4, v51, v52, s[6:7]
	v_cmp_gt_i16_sdwa s[6:7], v2, v54 src0_sel:WORD_1 src1_sel:DWORD
	v_cndmask_b32_e64 v5, v51, v52, s[6:7]
	v_cmp_lt_i16_e64 s[6:7], -1, v3
	v_cndmask_b32_e64 v6, v51, v52, s[6:7]
	v_cmp_gt_i16_sdwa s[6:7], v3, v54 src0_sel:WORD_1 src1_sel:DWORD
	v_cndmask_b32_e64 v7, v51, v52, s[6:7]
	v_xor_b32_sdwa v6, v6, v3 dst_sel:DWORD dst_unused:UNUSED_PAD src0_sel:DWORD src1_sel:WORD_0
	v_cmp_o_f16_e64 s[10:11], v3, v3
	v_xor_b32_sdwa v7, v7, v3 dst_sel:DWORD dst_unused:UNUSED_PAD src0_sel:DWORD src1_sel:WORD_1
	v_cmp_o_f16_sdwa s[12:13], v3, v3 src0_sel:WORD_1 src1_sel:WORD_1
	v_xor_b32_sdwa v3, v4, v2 dst_sel:DWORD dst_unused:UNUSED_PAD src0_sel:DWORD src1_sel:WORD_0
	v_cmp_o_f16_e64 s[14:15], v2, v2
	v_xor_b32_sdwa v5, v5, v2 dst_sel:DWORD dst_unused:UNUSED_PAD src0_sel:DWORD src1_sel:WORD_1
	v_cmp_o_f16_sdwa s[6:7], v2, v2 src0_sel:WORD_1 src1_sel:WORD_1
	v_cndmask_b32_e64 v2, v51, v3, s[14:15]
	v_cndmask_b32_e64 v3, v51, v5, s[6:7]
	;; [unrolled: 1-line block ×3, first 2 shown]
	v_and_b32_e32 v6, s95, v2
	v_bfe_u32 v2, v2, s66, 2
	v_cndmask_b32_e64 v5, v51, v7, s[12:13]
	v_and_b32_e32 v7, s95, v3
	v_bfe_u32 v3, v3, s66, 2
	v_cmp_eq_u32_e64 s[16:17], s60, v6
	v_cmp_eq_u32_e64 s[6:7], 0, v2
	v_and_b32_e32 v8, s95, v4
	v_bfe_u32 v4, v4, s66, 2
	v_cmp_eq_u32_e64 s[14:15], s60, v7
	v_cmp_eq_u32_e64 s[28:29], 0, v3
	s_and_b64 s[6:7], s[16:17], s[6:7]
	v_and_b32_e32 v9, s95, v5
	v_bfe_u32 v5, v5, s66, 2
	v_cmp_eq_u32_e64 s[12:13], s60, v8
	v_cmp_eq_u32_e64 s[30:31], 0, v4
	;; [unrolled: 1-line block ×5, first 2 shown]
	v_cndmask_b32_e64 v2, 0, 1, s[6:7]
	s_and_b64 s[6:7], s[14:15], s[28:29]
	v_cmp_eq_u32_e64 s[10:11], s60, v9
	v_cmp_eq_u32_e64 s[34:35], 0, v5
	v_cmp_eq_u32_e64 s[38:39], 1, v3
	v_cmp_eq_u32_e64 s[46:47], 2, v3
	v_cmp_eq_u32_e64 s[22:23], 3, v3
	v_cndmask_b32_e64 v3, 0, 1, s[6:7]
	s_and_b64 s[6:7], s[12:13], s[30:31]
	v_cmp_eq_u32_e64 s[40:41], 1, v4
	v_cmp_eq_u32_e64 s[48:49], 2, v4
	;; [unrolled: 1-line block ×3, first 2 shown]
	v_cndmask_b32_e64 v4, 0, 1, s[6:7]
	s_and_b64 s[6:7], s[10:11], s[34:35]
	v_cmp_eq_u32_e64 s[42:43], 1, v5
	v_cmp_eq_u32_e64 s[50:51], 2, v5
	;; [unrolled: 1-line block ×3, first 2 shown]
	v_cndmask_b32_e64 v5, 0, 1, s[6:7]
	v_cmp_ne_u32_e64 s[6:7], 0, v2
	v_cmp_ne_u32_e64 s[28:29], 0, v3
	v_cmp_ne_u32_e64 s[30:31], 0, v4
	v_cmp_ne_u32_e64 s[34:35], 0, v5
	s_bcnt1_i32_b64 s6, s[6:7]
	s_bcnt1_i32_b64 s7, s[28:29]
	s_bcnt1_i32_b64 s28, s[30:31]
	s_bcnt1_i32_b64 s29, s[34:35]
	s_add_u32 s6, s6, s92
	s_addc_u32 s30, 0, s93
	s_add_u32 s6, s6, s7
	s_addc_u32 s7, s30, 0
	s_add_u32 s6, s6, s28
	s_addc_u32 s7, s7, 0
	s_add_u32 s92, s6, s29
	s_addc_u32 s93, s7, 0
	s_and_b64 s[6:7], s[16:17], s[36:37]
	v_cndmask_b32_e64 v4, 0, 1, s[6:7]
	s_and_b64 s[6:7], s[14:15], s[38:39]
	v_cndmask_b32_e64 v5, 0, 1, s[6:7]
	s_and_b64 s[6:7], s[12:13], s[40:41]
	v_cndmask_b32_e64 v6, 0, 1, s[6:7]
	s_and_b64 s[6:7], s[10:11], s[42:43]
	v_cndmask_b32_e64 v7, 0, 1, s[6:7]
	v_cmp_ne_u32_e64 s[6:7], 0, v4
	v_cmp_ne_u32_e64 s[28:29], 0, v5
	v_cmp_ne_u32_e64 s[30:31], 0, v6
	v_cmp_ne_u32_e64 s[34:35], 0, v7
	s_bcnt1_i32_b64 s6, s[6:7]
	s_bcnt1_i32_b64 s7, s[28:29]
	s_bcnt1_i32_b64 s28, s[30:31]
	s_bcnt1_i32_b64 s29, s[34:35]
	s_add_u32 s6, s6, s86
	s_addc_u32 s30, 0, s87
	s_add_u32 s6, s6, s7
	s_addc_u32 s7, s30, 0
	s_add_u32 s6, s6, s28
	s_addc_u32 s7, s7, 0
	s_add_u32 s86, s6, s29
	s_addc_u32 s87, s7, 0
	s_and_b64 s[6:7], s[16:17], s[44:45]
	v_cndmask_b32_e64 v6, 0, 1, s[6:7]
	s_and_b64 s[6:7], s[14:15], s[46:47]
	v_cndmask_b32_e64 v7, 0, 1, s[6:7]
	s_and_b64 s[6:7], s[12:13], s[48:49]
	v_cndmask_b32_e64 v8, 0, 1, s[6:7]
	s_and_b64 s[6:7], s[10:11], s[50:51]
	;; [unrolled: 24-line block ×3, first 2 shown]
	v_cndmask_b32_e64 v33, 0, 1, s[6:7]
	v_cmp_ne_u32_e64 s[6:7], 0, v8
	v_cmp_ne_u32_e64 s[10:11], 0, v9
	;; [unrolled: 1-line block ×4, first 2 shown]
	s_bcnt1_i32_b64 s6, s[6:7]
	s_bcnt1_i32_b64 s7, s[10:11]
	s_bcnt1_i32_b64 s10, s[12:13]
	s_bcnt1_i32_b64 s11, s[14:15]
	s_add_u32 s6, s6, s68
	s_addc_u32 s12, 0, s69
	s_add_u32 s6, s6, s7
	s_addc_u32 s7, s12, 0
	;; [unrolled: 2-line block ×3, first 2 shown]
	s_add_u32 s68, s6, s11
	v_cmp_le_u64_e32 vcc, s[74:75], v[28:29]
	s_addc_u32 s69, s7, 0
	v_add_u32_e32 v31, v31, v12
	v_pk_mov_b32 v[2:3], s[92:93], s[92:93] op_sel:[0,1]
	v_pk_mov_b32 v[4:5], s[86:87], s[86:87] op_sel:[0,1]
	;; [unrolled: 1-line block ×3, first 2 shown]
	s_or_b64 s[2:3], vcc, s[2:3]
	v_pk_mov_b32 v[8:9], s[68:69], s[68:69] op_sel:[0,1]
	s_andn2_b64 exec, exec, s[2:3]
	s_cbranch_execnz .LBB63_84
; %bb.85:                               ;   in Loop: Header=BB63_33 Depth=1
	s_or_b64 exec, exec, s[2:3]
	v_readlane_b32 s48, v58, 37
	v_readlane_b32 s50, v58, 39
	;; [unrolled: 1-line block ×3, first 2 shown]
	s_mov_b64 s[34:35], s[4:5]
	v_readlane_b32 s4, v58, 43
	v_readlane_b32 s49, v58, 38
	;; [unrolled: 1-line block ×4, first 2 shown]
	s_movk_i32 s66, 0x3c00
	s_mov_b32 s80, s83
	s_mov_b32 s87, s1
	s_mov_b64 s[42:43], s[8:9]
	s_mov_b64 s[0:1], s[72:73]
	;; [unrolled: 1-line block ×4, first 2 shown]
	v_readlane_b32 s5, v58, 44
	s_mov_b64 s[88:89], s[56:57]
	v_readlane_b32 s57, v58, 45
.LBB63_86:                              ;   in Loop: Header=BB63_33 Depth=1
	s_or_b64 exec, exec, s[26:27]
	v_add_u32_e32 v12, s74, v0
	v_cmp_gt_u32_e32 vcc, s82, v12
	s_and_saveexec_b64 s[2:3], vcc
	s_cbranch_execz .LBB63_90
; %bb.87:                               ;   in Loop: Header=BB63_33 Depth=1
	s_and_b32 s74, s82, 0x7fffffff
	s_and_b32 s20, s80, 0xfe
	v_lshlrev_b32_e32 v31, 1, v12
	v_lshlrev_b32_e32 v32, 1, v30
	s_mov_b64 s[18:19], 0
	v_pk_mov_b32 v[28:29], v[12:13], v[12:13] op_sel:[0,1]
.LBB63_88:                              ;   Parent Loop BB63_33 Depth=1
                                        ; =>  This Inner Loop Header: Depth=2
	ds_read_u16 v12, v31
	v_add_co_u32_e32 v28, vcc, v28, v30
	v_addc_co_u32_e32 v29, vcc, 0, v29, vcc
	s_waitcnt lgkmcnt(0)
	v_cmp_lt_i16_e64 s[6:7], -1, v12
	v_cndmask_b32_e64 v33, v51, v52, s[6:7]
	v_xor_b32_sdwa v33, v33, v12 dst_sel:DWORD dst_unused:UNUSED_PAD src0_sel:DWORD src1_sel:WORD_0
	v_cmp_o_f16_e64 s[6:7], v12, v12
	v_cndmask_b32_e64 v12, v51, v33, s[6:7]
	v_and_b32_e32 v33, s95, v12
	v_bfe_u32 v12, v12, s20, 2
	v_cmp_eq_u32_e64 s[6:7], s60, v33
	v_cmp_eq_u32_e64 s[10:11], 0, v12
	v_cmp_eq_u32_e64 s[12:13], 1, v12
	s_and_b64 s[10:11], s[6:7], s[10:11]
	v_cmp_eq_u32_e64 s[14:15], 2, v12
	v_cmp_eq_u32_e64 s[16:17], 3, v12
	v_cndmask_b32_e64 v12, 0, 1, s[10:11]
	s_and_b64 s[10:11], s[6:7], s[12:13]
	v_cndmask_b32_e64 v33, 0, 1, s[10:11]
	s_and_b64 s[10:11], s[6:7], s[14:15]
	s_and_b64 s[6:7], s[6:7], s[16:17]
	v_cndmask_b32_e64 v34, 0, 1, s[10:11]
	v_cndmask_b32_e64 v35, 0, 1, s[6:7]
	v_cmp_ne_u32_e64 s[6:7], 0, v12
	v_cmp_ne_u32_e64 s[10:11], 0, v33
	;; [unrolled: 1-line block ×4, first 2 shown]
	v_cmp_le_u64_e32 vcc, s[74:75], v[28:29]
	s_bcnt1_i32_b64 s6, s[6:7]
	s_bcnt1_i32_b64 s7, s[10:11]
	;; [unrolled: 1-line block ×4, first 2 shown]
	s_or_b64 s[18:19], vcc, s[18:19]
	v_add_co_u32_e32 v2, vcc, s6, v2
	v_addc_co_u32_e32 v3, vcc, 0, v3, vcc
	v_add_co_u32_e32 v4, vcc, s7, v4
	v_addc_co_u32_e32 v5, vcc, 0, v5, vcc
	;; [unrolled: 2-line block ×3, first 2 shown]
	v_add_co_u32_e32 v8, vcc, s11, v8
	v_add_u32_e32 v31, v31, v32
	v_addc_co_u32_e32 v9, vcc, 0, v9, vcc
	s_andn2_b64 exec, exec, s[18:19]
	s_cbranch_execnz .LBB63_88
; %bb.89:                               ;   in Loop: Header=BB63_33 Depth=1
	s_or_b64 exec, exec, s[18:19]
.LBB63_90:                              ;   in Loop: Header=BB63_33 Depth=1
	s_or_b64 exec, exec, s[2:3]
.LBB63_91:                              ;   in Loop: Header=BB63_33 Depth=1
	s_lshl_b32 s6, s85, 6
	s_and_saveexec_b64 s[2:3], s[4:5]
	s_cbranch_execz .LBB63_93
; %bb.92:                               ;   in Loop: Header=BB63_33 Depth=1
	s_waitcnt vmcnt(0)
	v_or_b32_e32 v12, s6, v45
	v_lshlrev_b32_e32 v12, 3, v12
	ds_write_b128 v12, v[2:5] offset:3072
	ds_write_b128 v12, v[6:9] offset:3088
.LBB63_93:                              ;   in Loop: Header=BB63_33 Depth=1
	s_or_b64 exec, exec, s[2:3]
	s_waitcnt lgkmcnt(0)
	s_barrier
	s_and_saveexec_b64 s[2:3], s[50:51]
	s_cbranch_execz .LBB63_105
; %bb.94:                               ;   in Loop: Header=BB63_33 Depth=1
	v_readlane_b32 s10, v58, 22
	v_readlane_b32 s11, v58, 23
	s_andn2_b64 vcc, exec, s[10:11]
	v_pk_mov_b32 v[2:3], 0, 0
	s_cbranch_vccnz .LBB63_104
; %bb.95:                               ;   in Loop: Header=BB63_33 Depth=1
	v_readlane_b32 s10, v58, 26
	v_readlane_b32 s11, v58, 27
	s_andn2_b64 vcc, exec, s[10:11]
	s_cbranch_vccnz .LBB63_100
; %bb.96:                               ;   in Loop: Header=BB63_33 Depth=1
	v_lshl_add_u32 v4, s85, 9, v50
	s_mov_b32 s7, 0
	v_pk_mov_b32 v[2:3], 0, 0
.LBB63_97:                              ;   Parent Loop BB63_33 Depth=1
                                        ; =>  This Inner Loop Header: Depth=2
	s_waitcnt vmcnt(0)
	ds_read2_b64 v[6:9], v4 offset1:4
	ds_read2_b64 v[28:31], v4 offset0:8 offset1:12
	ds_read2_b64 v[32:35], v4 offset0:16 offset1:20
	;; [unrolled: 1-line block ×3, first 2 shown]
	s_add_i32 s7, s7, 8
	s_waitcnt lgkmcnt(3)
	v_add_co_u32_e32 v2, vcc, v6, v2
	v_addc_co_u32_e32 v3, vcc, v7, v3, vcc
	v_add_co_u32_e32 v2, vcc, v8, v2
	v_addc_co_u32_e32 v3, vcc, v9, v3, vcc
	s_waitcnt lgkmcnt(2)
	v_add_co_u32_e32 v2, vcc, v28, v2
	v_addc_co_u32_e32 v3, vcc, v29, v3, vcc
	v_add_co_u32_e32 v2, vcc, v30, v2
	v_addc_co_u32_e32 v3, vcc, v31, v3, vcc
	;; [unrolled: 5-line block ×3, first 2 shown]
	s_waitcnt lgkmcnt(0)
	v_add_co_u32_e32 v2, vcc, v36, v2
	v_addc_co_u32_e32 v3, vcc, v37, v3, vcc
	v_add_co_u32_e32 v2, vcc, v38, v2
	v_add_u32_e32 v4, 0x100, v4
	s_cmp_eq_u32 s57, s7
	v_addc_co_u32_e32 v3, vcc, v39, v3, vcc
	s_cbranch_scc0 .LBB63_97
; %bb.98:                               ;   in Loop: Header=BB63_33 Depth=1
	s_mov_b32 s7, s57
	s_branch .LBB63_101
.LBB63_99:                              ;   in Loop: Header=BB63_33 Depth=1
                                        ; implicit-def: $vgpr28_vgpr29
	s_branch .LBB63_67
.LBB63_100:                             ;   in Loop: Header=BB63_33 Depth=1
	s_mov_b32 s7, 0
	v_pk_mov_b32 v[2:3], 0, 0
.LBB63_101:                             ;   in Loop: Header=BB63_33 Depth=1
	v_readlane_b32 s10, v58, 29
	v_readlane_b32 s11, v58, 30
	s_andn2_b64 vcc, exec, s[10:11]
	s_cbranch_vccnz .LBB63_104
; %bb.102:                              ;   in Loop: Header=BB63_33 Depth=1
	s_lshl_b32 s10, s85, 9
	s_lshl_b32 s7, s7, 5
	s_add_i32 s10, s10, s7
	v_add_u32_e32 v4, s10, v50
	v_readlane_b32 s7, v58, 28
.LBB63_103:                             ;   Parent Loop BB63_33 Depth=1
                                        ; =>  This Inner Loop Header: Depth=2
	s_waitcnt vmcnt(0)
	ds_read_b64 v[6:7], v4
	s_add_i32 s7, s7, -1
	v_add_u32_e32 v4, 32, v4
	s_cmp_lg_u32 s7, 0
	s_waitcnt lgkmcnt(0)
	v_add_co_u32_e32 v2, vcc, v6, v2
	v_addc_co_u32_e32 v3, vcc, v7, v3, vcc
	s_cbranch_scc1 .LBB63_103
.LBB63_104:                             ;   in Loop: Header=BB63_33 Depth=1
	v_add_lshl_u32 v4, s6, v42, 3
	ds_write_b64 v4, v[2:3] offset:3072
.LBB63_105:                             ;   in Loop: Header=BB63_33 Depth=1
	s_or_b64 exec, exec, s[2:3]
	s_lshl_b32 s2, s6, 3
	s_waitcnt vmcnt(0)
	v_mov_b32_e32 v6, s2
	s_waitcnt lgkmcnt(0)
	s_barrier
	ds_read_b128 v[2:5], v6 offset:3072
	ds_read_b128 v[6:9], v6 offset:3088
	s_and_b32 s40, s80, 0xfe
	s_lshl_b32 s46, 3, s40
	s_not_b32 s41, s46
	s_waitcnt lgkmcnt(1)
	v_readfirstlane_b32 s15, v3
	v_readfirstlane_b32 s14, v2
	s_cmp_eq_u64 s[14:15], 1
	s_cselect_b64 s[2:3], -1, 0
	s_cmp_eq_u64 s[54:55], 1
	s_cselect_b64 s[6:7], -1, 0
	s_and_b64 s[20:21], s[2:3], s[6:7]
	v_readfirstlane_b32 s28, v4
	v_readfirstlane_b32 s29, v5
	s_waitcnt lgkmcnt(0)
	v_readfirstlane_b32 s16, v6
	v_readfirstlane_b32 s17, v7
	;; [unrolled: 1-line block ×4, first 2 shown]
	s_mov_b64 s[18:19], -1
	s_and_b64 vcc, exec, s[20:21]
	s_cbranch_vccz .LBB63_120
; %bb.106:                              ;   in Loop: Header=BB63_33 Depth=1
	ds_read_b64 v[2:3], v13 offset:5120
	s_waitcnt lgkmcnt(0)
	s_barrier
	v_readfirstlane_b32 s12, v2
	v_readfirstlane_b32 s13, v3
	s_mov_b64 s[2:3], exec
	v_readlane_b32 s6, v58, 14
	v_readlane_b32 s7, v58, 15
	s_and_b64 s[6:7], s[2:3], s[6:7]
	s_mov_b64 exec, s[6:7]
	s_cbranch_execz .LBB63_108
; %bb.107:                              ;   in Loop: Header=BB63_33 Depth=1
	ds_write_b16 v44, v13
.LBB63_108:                             ;   in Loop: Header=BB63_33 Depth=1
	s_or_b64 exec, exec, s[2:3]
	v_cmp_lt_i64_e64 s[2:3], s[12:13], 1
	s_and_b32 s60, s60, s41
	s_or_b32 s95, s95, s46
	s_and_b64 vcc, exec, s[2:3]
	s_waitcnt lgkmcnt(0)
	s_barrier
	s_cbranch_vccz .LBB63_121
; %bb.109:                              ;   in Loop: Header=BB63_33 Depth=1
	s_mov_b32 s86, s75
	s_cmp_lg_u64 s[86:87], 0
	s_cbranch_scc0 .LBB63_166
; %bb.110:                              ;   in Loop: Header=BB63_33 Depth=1
	v_cvt_f32_u32_e32 v2, s33
	s_sub_u32 s2, 0, s33
	s_subb_u32 s3, 0, 0
	v_mac_f32_e32 v2, 0x4f800000, v53
	v_rcp_f32_e32 v2, v2
	v_mul_f32_e32 v2, 0x5f7ffffc, v2
	v_mul_f32_e32 v3, 0x2f800000, v2
	v_trunc_f32_e32 v3, v3
	v_mac_f32_e32 v2, 0xcf800000, v3
	v_cvt_u32_f32_e32 v3, v3
	v_cvt_u32_f32_e32 v2, v2
	v_readfirstlane_b32 s6, v3
	v_readfirstlane_b32 s7, v2
	s_mul_i32 s22, s2, s6
	s_mul_hi_u32 s24, s2, s7
	s_mul_i32 s23, s3, s7
	s_add_i32 s22, s24, s22
	s_mul_i32 s25, s2, s7
	s_add_i32 s22, s22, s23
	s_mul_hi_u32 s24, s7, s25
	s_mul_hi_u32 s23, s7, s22
	s_mul_i32 s7, s7, s22
	s_add_u32 s7, s24, s7
	s_addc_u32 s23, 0, s23
	s_mul_hi_u32 s26, s6, s25
	s_mul_i32 s25, s6, s25
	s_add_u32 s7, s7, s25
	s_mul_hi_u32 s24, s6, s22
	s_addc_u32 s7, s23, s26
	s_addc_u32 s23, s24, 0
	s_mul_i32 s22, s6, s22
	s_add_u32 s7, s7, s22
	s_addc_u32 s22, 0, s23
	v_add_co_u32_e32 v2, vcc, s7, v2
	s_cmp_lg_u64 vcc, 0
	s_addc_u32 s6, s6, s22
	v_readfirstlane_b32 s22, v2
	s_mul_i32 s7, s2, s6
	s_mul_hi_u32 s23, s2, s22
	s_add_i32 s7, s23, s7
	s_mul_i32 s3, s3, s22
	s_add_i32 s7, s7, s3
	s_mul_i32 s2, s2, s22
	s_mul_hi_u32 s23, s6, s2
	s_mul_i32 s24, s6, s2
	s_mul_i32 s26, s22, s7
	s_mul_hi_u32 s2, s22, s2
	s_mul_hi_u32 s25, s22, s7
	s_add_u32 s2, s2, s26
	s_addc_u32 s22, 0, s25
	s_add_u32 s2, s2, s24
	s_mul_hi_u32 s3, s6, s7
	s_addc_u32 s2, s22, s23
	s_addc_u32 s3, s3, 0
	s_mul_i32 s7, s6, s7
	s_add_u32 s2, s2, s7
	s_addc_u32 s3, 0, s3
	v_add_co_u32_e32 v2, vcc, s2, v2
	s_cmp_lg_u64 vcc, 0
	s_addc_u32 s22, s6, s3
	s_ashr_i32 s2, s87, 31
	s_add_u32 s6, s90, s2
	s_mov_b32 s3, s2
	s_addc_u32 s7, s87, s2
	s_xor_b64 s[6:7], s[6:7], s[2:3]
	v_readfirstlane_b32 s24, v2
	s_mul_i32 s23, s6, s22
	s_mul_hi_u32 s25, s6, s24
	s_mul_hi_u32 s3, s6, s22
	s_add_u32 s23, s25, s23
	s_addc_u32 s3, 0, s3
	s_mul_hi_u32 s26, s7, s24
	s_mul_i32 s24, s7, s24
	s_add_u32 s23, s23, s24
	s_mul_hi_u32 s25, s7, s22
	s_addc_u32 s3, s3, s26
	s_addc_u32 s23, s25, 0
	s_mul_i32 s22, s7, s22
	s_add_u32 s3, s3, s22
	s_addc_u32 s22, 0, s23
	s_mul_hi_u32 s23, s33, s3
	s_mul_i32 s3, s33, s3
	s_mul_i32 s22, s33, s22
	v_mov_b32_e32 v2, s3
	s_add_i32 s23, s23, s22
	v_sub_co_u32_e32 v2, vcc, s6, v2
	s_cmp_lg_u64 vcc, 0
	s_subb_u32 s3, s7, s23
	v_subrev_co_u32_e32 v3, vcc, s33, v2
	s_cmp_lg_u64 vcc, 0
	s_subb_u32 s6, s3, 0
	v_subrev_co_u32_e32 v4, vcc, s33, v3
	s_cmp_lg_u64 vcc, 0
	s_subb_u32 s7, s6, 0
	v_cmp_le_u32_e32 vcc, s33, v3
	s_cmp_eq_u32 s6, 0
	v_cndmask_b32_e64 v5, 0, -1, vcc
	s_cselect_b64 vcc, -1, 0
	v_cndmask_b32_e32 v5, -1, v5, vcc
	v_mov_b32_e32 v6, s6
	v_mov_b32_e32 v7, s7
	v_cmp_ne_u32_e32 vcc, 0, v5
	v_cndmask_b32_e32 v5, v6, v7, vcc
	v_cndmask_b32_e32 v3, v3, v4, vcc
	v_cmp_le_u32_e32 vcc, s33, v2
	s_cmp_eq_u32 s3, 0
	v_cndmask_b32_e64 v4, 0, -1, vcc
	s_cselect_b64 vcc, -1, 0
	v_cndmask_b32_e32 v4, -1, v4, vcc
	v_cmp_ne_u32_e32 vcc, 0, v4
	v_mov_b32_e32 v6, s3
	v_cndmask_b32_e32 v2, v2, v3, vcc
	v_cndmask_b32_e32 v4, v6, v5, vcc
	v_xor_b32_e32 v2, s2, v2
	v_xor_b32_e32 v3, s2, v4
	v_mov_b32_e32 v4, s2
	v_subrev_co_u32_e32 v2, vcc, s2, v2
	v_subb_co_u32_e32 v3, vcc, v3, v4, vcc
	s_cbranch_execnz .LBB63_112
.LBB63_111:                             ;   in Loop: Header=BB63_33 Depth=1
	v_cvt_f32_u32_e32 v2, s33
	s_sub_i32 s2, 0, s33
	v_rcp_iflag_f32_e32 v2, v2
	v_mul_f32_e32 v2, 0x4f7ffffe, v2
	v_cvt_u32_f32_e32 v2, v2
	v_mul_lo_u32 v3, s2, v2
	v_mul_hi_u32 v3, v2, v3
	v_add_u32_e32 v2, v2, v3
	v_mul_hi_u32 v2, s90, v2
	v_mul_lo_u32 v2, v2, s33
	v_sub_u32_e32 v2, s90, v2
	v_subrev_u32_e32 v3, s33, v2
	v_cmp_le_u32_e32 vcc, s33, v2
	v_cndmask_b32_e32 v2, v2, v3, vcc
	v_subrev_u32_e32 v3, s33, v2
	v_cmp_le_u32_e32 vcc, s33, v2
	v_cndmask_b32_e32 v12, v2, v3, vcc
	v_pk_mov_b32 v[2:3], v[12:13], v[12:13] op_sel:[0,1]
.LBB63_112:                             ;   in Loop: Header=BB63_33 Depth=1
	v_mov_b32_e32 v4, s87
	v_sub_co_u32_e32 v2, vcc, s90, v2
	v_subb_co_u32_e32 v3, vcc, v4, v3, vcc
	v_cmp_gt_i64_e32 vcc, v[2:3], v[0:1]
	s_mov_b64 s[2:3], 0
                                        ; implicit-def: $vgpr56
	s_and_saveexec_b64 s[22:23], vcc
	s_cbranch_execz .LBB63_123
; %bb.113:                              ;   in Loop: Header=BB63_33 Depth=1
	v_pk_mov_b32 v[4:5], v[10:11], v[10:11] op_sel:[0,1]
	v_pk_mov_b32 v[6:7], v[0:1], v[0:1] op_sel:[0,1]
                                        ; implicit-def: $sgpr24_sgpr25
	s_branch .LBB63_115
.LBB63_114:                             ;   in Loop: Header=BB63_115 Depth=2
	s_or_b64 exec, exec, s[6:7]
	s_waitcnt lgkmcnt(0)
	s_barrier
	s_waitcnt vmcnt(0)
	ds_read_b32 v8, v13 offset:3072
	v_mov_b32_e32 v9, s84
	v_add_co_u32_e64 v6, s[6:7], s33, v6
	v_addc_co_u32_e64 v7, s[6:7], v7, v9, s[6:7]
	s_waitcnt lgkmcnt(0)
	v_cmp_neq_f16_e32 vcc, 0, v8
	v_cmp_ge_i64_e64 s[6:7], v[6:7], v[2:3]
	s_or_b64 s[26:27], vcc, s[6:7]
	v_mov_b32_e32 v9, s77
	v_add_co_u32_e64 v4, s[6:7], s76, v4
	v_addc_co_u32_e64 v5, s[6:7], v5, v9, s[6:7]
	s_and_b64 s[6:7], exec, s[26:27]
	s_or_b64 s[2:3], s[6:7], s[2:3]
	s_andn2_b64 s[6:7], s[24:25], exec
	s_and_b64 s[24:25], vcc, exec
	s_or_b64 s[24:25], s[6:7], s[24:25]
	s_barrier
	s_andn2_b64 exec, exec, s[2:3]
	s_cbranch_execz .LBB63_122
.LBB63_115:                             ;   Parent Loop BB63_33 Depth=1
                                        ; =>  This Inner Loop Header: Depth=2
	v_cmp_gt_i64_e32 vcc, s[52:53], v[6:7]
	v_mov_b32_e32 v8, 0
	s_and_saveexec_b64 s[6:7], vcc
	s_cbranch_execz .LBB63_117
; %bb.116:                              ;   in Loop: Header=BB63_115 Depth=2
	global_load_ushort v8, v[4:5], off
.LBB63_117:                             ;   in Loop: Header=BB63_115 Depth=2
	s_or_b64 exec, exec, s[6:7]
	s_and_saveexec_b64 s[6:7], vcc
	s_cbranch_execz .LBB63_114
; %bb.118:                              ;   in Loop: Header=BB63_115 Depth=2
	s_waitcnt vmcnt(0)
	v_cmp_lt_i16_e32 vcc, -1, v8
	v_cndmask_b32_e32 v9, v51, v52, vcc
	v_xor_b32_sdwa v9, v9, v8 dst_sel:DWORD dst_unused:UNUSED_PAD src0_sel:DWORD src1_sel:WORD_0
	v_cmp_o_f16_e32 vcc, v8, v8
	v_cndmask_b32_e32 v9, v51, v9, vcc
	v_and_b32_e32 v9, s95, v9
	v_cmp_eq_u32_e32 vcc, s60, v9
	s_and_b64 exec, exec, vcc
	s_cbranch_execz .LBB63_114
; %bb.119:                              ;   in Loop: Header=BB63_115 Depth=2
	v_perm_b32 v8, v8, s66, v55
	ds_write_b32 v13, v8 offset:3072
	s_branch .LBB63_114
.LBB63_120:                             ;   in Loop: Header=BB63_33 Depth=1
	s_mov_b64 s[2:3], -1
                                        ; implicit-def: $sgpr6_sgpr7
                                        ; implicit-def: $sgpr24_sgpr25
                                        ; implicit-def: $sgpr22_sgpr23
	s_branch .LBB63_137
.LBB63_121:                             ;   in Loop: Header=BB63_33 Depth=1
	s_mov_b64 s[6:7], -1
	s_mov_b64 s[2:3], 0
                                        ; implicit-def: $sgpr22_sgpr23
                                        ; implicit-def: $vgpr56
	s_mov_b64 s[24:25], s[6:7]
	s_cbranch_execnz .LBB63_124
	s_branch .LBB63_137
.LBB63_122:                             ;   in Loop: Header=BB63_33 Depth=1
	s_or_b64 exec, exec, s[2:3]
	v_lshrrev_b32_e32 v56, 16, v8
	s_and_b64 s[2:3], s[24:25], exec
.LBB63_123:                             ;   in Loop: Header=BB63_33 Depth=1
	s_or_b64 exec, exec, s[22:23]
	s_mov_b64 s[22:23], -1
	s_mov_b64 s[6:7], 0
	s_mov_b64 s[24:25], s[6:7]
	s_branch .LBB63_137
.LBB63_124:                             ;   in Loop: Header=BB63_33 Depth=1
	v_readlane_b32 s2, v58, 24
	s_add_u32 s22, s2, s12
	v_readlane_b32 s2, v58, 25
	s_addc_u32 s3, s2, s13
	s_mov_b32 s2, s75
	s_cmp_lg_u64 s[2:3], 0
	s_cbranch_scc0 .LBB63_167
; %bb.125:                              ;   in Loop: Header=BB63_33 Depth=1
	v_cvt_f32_u32_e32 v2, s33
	s_sub_u32 s2, 0, s33
	s_subb_u32 s6, 0, 0
	v_mac_f32_e32 v2, 0x4f800000, v53
	v_rcp_f32_e32 v2, v2
	v_mul_f32_e32 v2, 0x5f7ffffc, v2
	v_mul_f32_e32 v3, 0x2f800000, v2
	v_trunc_f32_e32 v3, v3
	v_mac_f32_e32 v2, 0xcf800000, v3
	v_cvt_u32_f32_e32 v3, v3
	v_cvt_u32_f32_e32 v2, v2
	v_readfirstlane_b32 s7, v3
	v_readfirstlane_b32 s23, v2
	s_mul_i32 s24, s2, s7
	s_mul_hi_u32 s26, s2, s23
	s_mul_i32 s25, s6, s23
	s_add_i32 s24, s26, s24
	s_mul_i32 s27, s2, s23
	s_add_i32 s24, s24, s25
	s_mul_hi_u32 s26, s23, s27
	s_mul_hi_u32 s25, s23, s24
	s_mul_i32 s23, s23, s24
	s_add_u32 s23, s26, s23
	s_addc_u32 s25, 0, s25
	s_mul_hi_u32 s30, s7, s27
	s_mul_i32 s27, s7, s27
	s_add_u32 s23, s23, s27
	s_mul_hi_u32 s26, s7, s24
	s_addc_u32 s23, s25, s30
	s_addc_u32 s25, s26, 0
	s_mul_i32 s24, s7, s24
	s_add_u32 s23, s23, s24
	s_addc_u32 s24, 0, s25
	v_add_co_u32_e32 v2, vcc, s23, v2
	s_cmp_lg_u64 vcc, 0
	s_addc_u32 s7, s7, s24
	v_readfirstlane_b32 s24, v2
	s_mul_i32 s23, s2, s7
	s_mul_hi_u32 s25, s2, s24
	s_add_i32 s23, s25, s23
	s_mul_i32 s6, s6, s24
	s_add_i32 s23, s23, s6
	s_mul_i32 s2, s2, s24
	s_mul_hi_u32 s25, s7, s2
	s_mul_i32 s26, s7, s2
	s_mul_i32 s30, s24, s23
	s_mul_hi_u32 s2, s24, s2
	s_mul_hi_u32 s27, s24, s23
	s_add_u32 s2, s2, s30
	s_addc_u32 s24, 0, s27
	s_add_u32 s2, s2, s26
	s_mul_hi_u32 s6, s7, s23
	s_addc_u32 s2, s24, s25
	s_addc_u32 s6, s6, 0
	s_mul_i32 s23, s7, s23
	s_add_u32 s2, s2, s23
	s_addc_u32 s6, 0, s6
	v_add_co_u32_e32 v2, vcc, s2, v2
	s_cmp_lg_u64 vcc, 0
	s_addc_u32 s2, s7, s6
	s_ashr_i32 s6, s3, 31
	s_add_u32 s24, s22, s6
	s_mov_b32 s7, s6
	s_addc_u32 s25, s3, s6
	s_xor_b64 s[24:25], s[24:25], s[6:7]
	v_readfirstlane_b32 s26, v2
	s_mul_i32 s23, s24, s2
	s_mul_hi_u32 s27, s24, s26
	s_mul_hi_u32 s7, s24, s2
	s_add_u32 s23, s27, s23
	s_addc_u32 s7, 0, s7
	s_mul_hi_u32 s30, s25, s26
	s_mul_i32 s26, s25, s26
	s_add_u32 s23, s23, s26
	s_mul_hi_u32 s27, s25, s2
	s_addc_u32 s7, s7, s30
	s_addc_u32 s23, s27, 0
	s_mul_i32 s2, s25, s2
	s_add_u32 s2, s7, s2
	s_addc_u32 s7, 0, s23
	s_mul_hi_u32 s23, s33, s2
	s_mul_i32 s2, s33, s2
	s_mul_i32 s7, s33, s7
	v_mov_b32_e32 v2, s2
	s_add_i32 s23, s23, s7
	v_sub_co_u32_e32 v2, vcc, s24, v2
	s_cmp_lg_u64 vcc, 0
	s_subb_u32 s2, s25, s23
	v_subrev_co_u32_e32 v3, vcc, s33, v2
	s_cmp_lg_u64 vcc, 0
	s_subb_u32 s7, s2, 0
	v_subrev_co_u32_e32 v4, vcc, s33, v3
	s_cmp_lg_u64 vcc, 0
	s_subb_u32 s23, s7, 0
	v_cmp_le_u32_e32 vcc, s33, v3
	s_cmp_eq_u32 s7, 0
	v_cndmask_b32_e64 v5, 0, -1, vcc
	s_cselect_b64 vcc, -1, 0
	v_cndmask_b32_e32 v5, -1, v5, vcc
	v_mov_b32_e32 v6, s7
	v_mov_b32_e32 v7, s23
	v_cmp_ne_u32_e32 vcc, 0, v5
	v_cndmask_b32_e32 v5, v6, v7, vcc
	v_cndmask_b32_e32 v3, v3, v4, vcc
	v_cmp_le_u32_e32 vcc, s33, v2
	s_cmp_eq_u32 s2, 0
	v_cndmask_b32_e64 v4, 0, -1, vcc
	s_cselect_b64 vcc, -1, 0
	v_cndmask_b32_e32 v4, -1, v4, vcc
	v_cmp_ne_u32_e32 vcc, 0, v4
	v_mov_b32_e32 v6, s2
	v_cndmask_b32_e32 v2, v2, v3, vcc
	v_cndmask_b32_e32 v4, v6, v5, vcc
	v_xor_b32_e32 v2, s6, v2
	v_xor_b32_e32 v3, s6, v4
	v_mov_b32_e32 v4, s6
	v_subrev_co_u32_e32 v2, vcc, s6, v2
	v_subb_co_u32_e32 v3, vcc, v3, v4, vcc
	s_cbranch_execnz .LBB63_127
.LBB63_126:                             ;   in Loop: Header=BB63_33 Depth=1
	v_cvt_f32_u32_e32 v2, s33
	s_sub_i32 s2, 0, s33
	v_rcp_iflag_f32_e32 v2, v2
	v_mul_f32_e32 v2, 0x4f7ffffe, v2
	v_cvt_u32_f32_e32 v2, v2
	v_mul_lo_u32 v3, s2, v2
	v_mul_hi_u32 v3, v2, v3
	v_add_u32_e32 v2, v2, v3
	v_mul_hi_u32 v2, s22, v2
	v_mul_lo_u32 v2, v2, s33
	v_sub_u32_e32 v2, s22, v2
	v_subrev_u32_e32 v3, s33, v2
	v_cmp_le_u32_e32 vcc, s33, v2
	v_cndmask_b32_e32 v2, v2, v3, vcc
	v_subrev_u32_e32 v3, s33, v2
	v_cmp_le_u32_e32 vcc, s33, v2
	v_cndmask_b32_e32 v12, v2, v3, vcc
	v_pk_mov_b32 v[2:3], v[12:13], v[12:13] op_sel:[0,1]
.LBB63_127:                             ;   in Loop: Header=BB63_33 Depth=1
	v_mov_b32_e32 v4, s3
	v_sub_co_u32_e32 v2, vcc, s22, v2
	v_subb_co_u32_e32 v3, vcc, v4, v3, vcc
	v_cmp_gt_i64_e32 vcc, v[2:3], v[0:1]
	s_mov_b64 s[2:3], 0
                                        ; implicit-def: $vgpr56
	s_and_saveexec_b64 s[22:23], vcc
	v_readlane_b32 s4, v58, 43
	v_readlane_b32 s5, v58, 44
	s_cbranch_execz .LBB63_136
; %bb.128:                              ;   in Loop: Header=BB63_33 Depth=1
	v_mov_b32_e32 v6, v43
	v_pk_mov_b32 v[4:5], v[0:1], v[0:1] op_sel:[0,1]
                                        ; implicit-def: $sgpr24_sgpr25
	s_branch .LBB63_130
.LBB63_129:                             ;   in Loop: Header=BB63_130 Depth=2
	s_or_b64 exec, exec, s[6:7]
	s_waitcnt lgkmcnt(0)
	s_barrier
	ds_read_b32 v7, v13 offset:3072
	v_mov_b32_e32 v8, s84
	v_add_co_u32_e64 v4, s[6:7], s33, v4
	v_addc_co_u32_e64 v5, s[6:7], v5, v8, s[6:7]
	s_waitcnt lgkmcnt(0)
	v_cmp_neq_f16_e32 vcc, 0, v7
	v_cmp_ge_i64_e64 s[6:7], v[4:5], v[2:3]
	s_or_b64 s[6:7], vcc, s[6:7]
	s_and_b64 s[6:7], exec, s[6:7]
	s_or_b64 s[2:3], s[6:7], s[2:3]
	s_andn2_b64 s[6:7], s[24:25], exec
	s_and_b64 s[24:25], vcc, exec
	v_add_u32_e32 v6, s94, v6
	s_or_b64 s[24:25], s[6:7], s[24:25]
	s_barrier
	s_andn2_b64 exec, exec, s[2:3]
	s_cbranch_execz .LBB63_135
.LBB63_130:                             ;   Parent Loop BB63_33 Depth=1
                                        ; =>  This Inner Loop Header: Depth=2
	v_cmp_gt_i64_e32 vcc, s[12:13], v[4:5]
	v_mov_b32_e32 v7, 0
	s_and_saveexec_b64 s[6:7], vcc
	s_cbranch_execz .LBB63_132
; %bb.131:                              ;   in Loop: Header=BB63_130 Depth=2
	ds_read_u16 v7, v6
.LBB63_132:                             ;   in Loop: Header=BB63_130 Depth=2
	s_or_b64 exec, exec, s[6:7]
	s_and_saveexec_b64 s[6:7], vcc
	s_cbranch_execz .LBB63_129
; %bb.133:                              ;   in Loop: Header=BB63_130 Depth=2
	s_waitcnt lgkmcnt(0)
	v_cmp_lt_i16_e32 vcc, -1, v7
	v_cndmask_b32_e32 v8, v51, v52, vcc
	v_xor_b32_sdwa v8, v8, v7 dst_sel:DWORD dst_unused:UNUSED_PAD src0_sel:DWORD src1_sel:WORD_0
	v_cmp_o_f16_e32 vcc, v7, v7
	v_cndmask_b32_e32 v8, v51, v8, vcc
	v_and_b32_e32 v8, s95, v8
	v_cmp_eq_u32_e32 vcc, s60, v8
	s_and_b64 exec, exec, vcc
	s_cbranch_execz .LBB63_129
; %bb.134:                              ;   in Loop: Header=BB63_130 Depth=2
	v_perm_b32 v7, v7, s66, v55
	ds_write_b32 v13, v7 offset:3072
	s_branch .LBB63_129
.LBB63_135:                             ;   in Loop: Header=BB63_33 Depth=1
	s_or_b64 exec, exec, s[2:3]
	v_lshrrev_b32_e32 v56, 16, v7
	s_and_b64 s[2:3], s[24:25], exec
.LBB63_136:                             ;   in Loop: Header=BB63_33 Depth=1
	s_or_b64 exec, exec, s[22:23]
	s_mov_b64 s[24:25], -1
	s_mov_b64 s[6:7], 0
	s_mov_b64 s[22:23], 0
.LBB63_137:                             ;   in Loop: Header=BB63_33 Depth=1
	s_andn2_b64 s[8:9], s[88:89], exec
	s_and_b64 s[6:7], s[6:7], exec
	s_or_b64 s[88:89], s[8:9], s[6:7]
	s_andn2_b64 s[0:1], s[0:1], exec
	s_and_b64 s[6:7], s[24:25], exec
	s_or_b64 s[0:1], s[0:1], s[6:7]
	;; [unrolled: 3-line block ×3, first 2 shown]
	s_and_saveexec_b64 s[12:13], s[2:3]
	s_cbranch_execz .LBB63_32
; %bb.138:                              ;   in Loop: Header=BB63_33 Depth=1
	s_xor_b64 s[2:3], s[20:21], -1
	s_andn2_b64 vcc, exec, s[2:3]
	s_mov_b32 s47, 1
	s_cbranch_vccnz .LBB63_149
; %bb.139:                              ;   in Loop: Header=BB63_33 Depth=1
	v_pk_mov_b32 v[2:3], s[14:15], s[14:15] op_sel:[0,1]
	v_cmp_gt_i64_e32 vcc, s[54:55], v[2:3]
	s_mov_b64 s[2:3], -1
                                        ; implicit-def: $sgpr47
                                        ; implicit-def: $sgpr6
                                        ; implicit-def: $sgpr7
	s_cbranch_vccnz .LBB63_145
; %bb.140:                              ;   in Loop: Header=BB63_33 Depth=1
	ds_read_b64 v[2:3], v13 offset:5120
	s_waitcnt lgkmcnt(0)
	v_cmp_ne_u64_e32 vcc, 0, v[2:3]
	s_cbranch_vccnz .LBB63_144
; %bb.141:                              ;   in Loop: Header=BB63_33 Depth=1
	s_mov_b64 s[2:3], exec
	v_readlane_b32 s6, v58, 12
	v_readlane_b32 s7, v58, 13
	s_and_b64 s[6:7], s[2:3], s[6:7]
	s_mov_b64 exec, s[6:7]
	s_cbranch_execz .LBB63_143
; %bb.142:                              ;   in Loop: Header=BB63_33 Depth=1
	v_pk_mov_b32 v[2:3], s[14:15], s[14:15] op_sel:[0,1]
	ds_write_b64 v13, v[2:3] offset:5128
.LBB63_143:                             ;   in Loop: Header=BB63_33 Depth=1
	s_or_b64 exec, exec, s[2:3]
	s_waitcnt lgkmcnt(0)
	s_barrier
.LBB63_144:                             ;   in Loop: Header=BB63_33 Depth=1
	s_and_b32 s6, s60, s41
	s_or_b32 s7, s95, s46
	s_mov_b64 s[2:3], 0
	s_mov_b32 s47, 8
.LBB63_145:                             ;   in Loop: Header=BB63_33 Depth=1
	s_andn2_b64 vcc, exec, s[2:3]
	s_cbranch_vccnz .LBB63_147
; %bb.146:                              ;   in Loop: Header=BB63_33 Depth=1
	s_sub_u32 s54, s54, s14
	s_subb_u32 s55, s55, s15
	s_mov_b64 s[2:3], -1
	s_mov_b32 s47, 0
	s_mov_b32 s6, s60
	;; [unrolled: 1-line block ×3, first 2 shown]
.LBB63_147:                             ;   in Loop: Header=BB63_33 Depth=1
	s_mov_b32 s95, s7
	s_mov_b32 s60, s6
	s_mov_b64 s[14:15], -1
	s_and_b64 vcc, exec, s[2:3]
	s_cbranch_vccnz .LBB63_150
.LBB63_148:                             ;   in Loop: Header=BB63_33 Depth=1
	s_mov_b64 s[6:7], -1
                                        ; implicit-def: $sgpr18_sgpr19
                                        ; implicit-def: $sgpr22_sgpr23
                                        ; implicit-def: $sgpr20_sgpr21
	s_and_saveexec_b64 s[2:3], s[6:7]
	s_xor_b64 s[2:3], exec, s[2:3]
	s_cbranch_execz .LBB63_31
	s_branch .LBB63_296
.LBB63_149:                             ;   in Loop: Header=BB63_33 Depth=1
	s_mov_b64 s[54:55], 1
	s_mov_b64 s[14:15], -1
	s_branch .LBB63_148
.LBB63_150:                             ;   in Loop: Header=BB63_33 Depth=1
	s_cmp_eq_u64 s[28:29], 1
	s_cselect_b64 s[2:3], -1, 0
	s_cmp_eq_u64 s[54:55], 1
	s_cselect_b64 s[6:7], -1, 0
	s_and_b64 s[30:31], s[2:3], s[6:7]
	s_mov_b64 s[2:3], -1
	s_and_b64 vcc, exec, s[30:31]
	s_cbranch_vccz .LBB63_165
; %bb.151:                              ;   in Loop: Header=BB63_33 Depth=1
	ds_read_b64 v[2:3], v13 offset:5120
	s_waitcnt lgkmcnt(0)
	s_barrier
	v_readfirstlane_b32 s24, v2
	v_readfirstlane_b32 s25, v3
	s_mov_b64 s[2:3], exec
	v_readlane_b32 s6, v58, 14
	v_readlane_b32 s7, v58, 15
	s_and_b64 s[6:7], s[2:3], s[6:7]
	s_mov_b64 exec, s[6:7]
	s_cbranch_execz .LBB63_153
; %bb.152:                              ;   in Loop: Header=BB63_33 Depth=1
	ds_write_b16 v44, v13
.LBB63_153:                             ;   in Loop: Header=BB63_33 Depth=1
	s_or_b64 exec, exec, s[2:3]
	s_lshl_b32 s2, 1, s40
	s_and_b32 s3, s60, s41
	s_or_b32 s60, s3, s2
	v_cmp_gt_i64_e64 s[2:3], s[24:25], 0
	s_or_b32 s95, s95, s46
	s_and_b64 vcc, exec, s[2:3]
	s_waitcnt lgkmcnt(0)
	s_barrier
	s_cbranch_vccnz .LBB63_168
; %bb.154:                              ;   in Loop: Header=BB63_33 Depth=1
	s_mov_b32 s86, s75
	s_cmp_lg_u64 s[86:87], 0
	s_cbranch_scc0 .LBB63_213
; %bb.155:                              ;   in Loop: Header=BB63_33 Depth=1
	v_cvt_f32_u32_e32 v2, s33
	s_sub_u32 s2, 0, s33
	s_subb_u32 s3, 0, 0
	v_mac_f32_e32 v2, 0x4f800000, v53
	v_rcp_f32_e32 v2, v2
	v_mul_f32_e32 v2, 0x5f7ffffc, v2
	v_mul_f32_e32 v3, 0x2f800000, v2
	v_trunc_f32_e32 v3, v3
	v_mac_f32_e32 v2, 0xcf800000, v3
	v_cvt_u32_f32_e32 v3, v3
	v_cvt_u32_f32_e32 v2, v2
	v_readfirstlane_b32 s6, v3
	v_readfirstlane_b32 s7, v2
	s_mul_i32 s18, s2, s6
	s_mul_hi_u32 s20, s2, s7
	s_mul_i32 s19, s3, s7
	s_add_i32 s18, s20, s18
	s_mul_i32 s21, s2, s7
	s_add_i32 s18, s18, s19
	s_mul_hi_u32 s20, s7, s21
	s_mul_hi_u32 s19, s7, s18
	s_mul_i32 s7, s7, s18
	s_add_u32 s7, s20, s7
	s_addc_u32 s19, 0, s19
	s_mul_hi_u32 s22, s6, s21
	s_mul_i32 s21, s6, s21
	s_add_u32 s7, s7, s21
	s_mul_hi_u32 s20, s6, s18
	s_addc_u32 s7, s19, s22
	s_addc_u32 s19, s20, 0
	s_mul_i32 s18, s6, s18
	s_add_u32 s7, s7, s18
	s_addc_u32 s18, 0, s19
	v_add_co_u32_e32 v2, vcc, s7, v2
	s_cmp_lg_u64 vcc, 0
	s_addc_u32 s6, s6, s18
	v_readfirstlane_b32 s18, v2
	s_mul_i32 s7, s2, s6
	s_mul_hi_u32 s19, s2, s18
	s_add_i32 s7, s19, s7
	s_mul_i32 s3, s3, s18
	s_add_i32 s7, s7, s3
	s_mul_i32 s2, s2, s18
	s_mul_hi_u32 s19, s6, s2
	s_mul_i32 s20, s6, s2
	s_mul_i32 s22, s18, s7
	s_mul_hi_u32 s2, s18, s2
	s_mul_hi_u32 s21, s18, s7
	s_add_u32 s2, s2, s22
	s_addc_u32 s18, 0, s21
	s_add_u32 s2, s2, s20
	s_mul_hi_u32 s3, s6, s7
	s_addc_u32 s2, s18, s19
	s_addc_u32 s3, s3, 0
	s_mul_i32 s7, s6, s7
	s_add_u32 s2, s2, s7
	s_addc_u32 s3, 0, s3
	v_add_co_u32_e32 v2, vcc, s2, v2
	s_cmp_lg_u64 vcc, 0
	s_addc_u32 s18, s6, s3
	s_ashr_i32 s2, s87, 31
	s_add_u32 s6, s90, s2
	s_mov_b32 s3, s2
	s_addc_u32 s7, s87, s2
	s_xor_b64 s[6:7], s[6:7], s[2:3]
	v_readfirstlane_b32 s20, v2
	s_mul_i32 s19, s6, s18
	s_mul_hi_u32 s21, s6, s20
	s_mul_hi_u32 s3, s6, s18
	s_add_u32 s19, s21, s19
	s_addc_u32 s3, 0, s3
	s_mul_hi_u32 s22, s7, s20
	s_mul_i32 s20, s7, s20
	s_add_u32 s19, s19, s20
	s_mul_hi_u32 s21, s7, s18
	s_addc_u32 s3, s3, s22
	s_addc_u32 s19, s21, 0
	s_mul_i32 s18, s7, s18
	s_add_u32 s3, s3, s18
	s_addc_u32 s18, 0, s19
	s_mul_hi_u32 s19, s33, s3
	s_mul_i32 s3, s33, s3
	s_mul_i32 s18, s33, s18
	v_mov_b32_e32 v2, s3
	s_add_i32 s19, s19, s18
	v_sub_co_u32_e32 v2, vcc, s6, v2
	s_cmp_lg_u64 vcc, 0
	s_subb_u32 s3, s7, s19
	v_subrev_co_u32_e32 v3, vcc, s33, v2
	s_cmp_lg_u64 vcc, 0
	s_subb_u32 s6, s3, 0
	v_subrev_co_u32_e32 v4, vcc, s33, v3
	s_cmp_lg_u64 vcc, 0
	s_subb_u32 s7, s6, 0
	v_cmp_le_u32_e32 vcc, s33, v3
	s_cmp_eq_u32 s6, 0
	v_cndmask_b32_e64 v5, 0, -1, vcc
	s_cselect_b64 vcc, -1, 0
	v_cndmask_b32_e32 v5, -1, v5, vcc
	v_mov_b32_e32 v6, s6
	v_mov_b32_e32 v7, s7
	v_cmp_ne_u32_e32 vcc, 0, v5
	v_cndmask_b32_e32 v5, v6, v7, vcc
	v_cndmask_b32_e32 v3, v3, v4, vcc
	v_cmp_le_u32_e32 vcc, s33, v2
	s_cmp_eq_u32 s3, 0
	v_cndmask_b32_e64 v4, 0, -1, vcc
	s_cselect_b64 vcc, -1, 0
	v_cndmask_b32_e32 v4, -1, v4, vcc
	v_cmp_ne_u32_e32 vcc, 0, v4
	v_mov_b32_e32 v6, s3
	v_cndmask_b32_e32 v2, v2, v3, vcc
	v_cndmask_b32_e32 v4, v6, v5, vcc
	v_xor_b32_e32 v2, s2, v2
	v_xor_b32_e32 v3, s2, v4
	v_mov_b32_e32 v4, s2
	v_subrev_co_u32_e32 v2, vcc, s2, v2
	v_subb_co_u32_e32 v3, vcc, v3, v4, vcc
	s_cbranch_execnz .LBB63_157
.LBB63_156:                             ;   in Loop: Header=BB63_33 Depth=1
	v_cvt_f32_u32_e32 v2, s33
	s_sub_i32 s2, 0, s33
	v_rcp_iflag_f32_e32 v2, v2
	v_mul_f32_e32 v2, 0x4f7ffffe, v2
	v_cvt_u32_f32_e32 v2, v2
	v_mul_lo_u32 v3, s2, v2
	v_mul_hi_u32 v3, v2, v3
	v_add_u32_e32 v2, v2, v3
	v_mul_hi_u32 v2, s90, v2
	v_mul_lo_u32 v2, v2, s33
	v_sub_u32_e32 v2, s90, v2
	v_subrev_u32_e32 v3, s33, v2
	v_cmp_le_u32_e32 vcc, s33, v2
	v_cndmask_b32_e32 v2, v2, v3, vcc
	v_subrev_u32_e32 v3, s33, v2
	v_cmp_le_u32_e32 vcc, s33, v2
	v_cndmask_b32_e32 v12, v2, v3, vcc
	v_pk_mov_b32 v[2:3], v[12:13], v[12:13] op_sel:[0,1]
.LBB63_157:                             ;   in Loop: Header=BB63_33 Depth=1
	v_mov_b32_e32 v4, s87
	v_sub_co_u32_e32 v2, vcc, s90, v2
	v_subb_co_u32_e32 v3, vcc, v4, v3, vcc
	v_cmp_gt_i64_e32 vcc, v[2:3], v[0:1]
	s_mov_b64 s[2:3], 0
                                        ; implicit-def: $vgpr56
	s_and_saveexec_b64 s[18:19], vcc
	s_cbranch_execz .LBB63_170
; %bb.158:                              ;   in Loop: Header=BB63_33 Depth=1
	v_pk_mov_b32 v[4:5], v[10:11], v[10:11] op_sel:[0,1]
	v_pk_mov_b32 v[6:7], v[0:1], v[0:1] op_sel:[0,1]
                                        ; implicit-def: $sgpr20_sgpr21
	s_branch .LBB63_160
.LBB63_159:                             ;   in Loop: Header=BB63_160 Depth=2
	s_or_b64 exec, exec, s[6:7]
	s_waitcnt lgkmcnt(0)
	s_barrier
	s_waitcnt vmcnt(0)
	ds_read_b32 v8, v13 offset:3072
	v_mov_b32_e32 v9, s84
	v_add_co_u32_e64 v6, s[6:7], s33, v6
	v_addc_co_u32_e64 v7, s[6:7], v7, v9, s[6:7]
	s_waitcnt lgkmcnt(0)
	v_cmp_neq_f16_e32 vcc, 0, v8
	v_cmp_ge_i64_e64 s[6:7], v[6:7], v[2:3]
	s_or_b64 s[22:23], vcc, s[6:7]
	v_mov_b32_e32 v9, s77
	v_add_co_u32_e64 v4, s[6:7], s76, v4
	v_addc_co_u32_e64 v5, s[6:7], v5, v9, s[6:7]
	s_and_b64 s[6:7], exec, s[22:23]
	s_or_b64 s[2:3], s[6:7], s[2:3]
	s_andn2_b64 s[6:7], s[20:21], exec
	s_and_b64 s[20:21], vcc, exec
	s_or_b64 s[20:21], s[6:7], s[20:21]
	s_barrier
	s_andn2_b64 exec, exec, s[2:3]
	s_cbranch_execz .LBB63_169
.LBB63_160:                             ;   Parent Loop BB63_33 Depth=1
                                        ; =>  This Inner Loop Header: Depth=2
	v_cmp_gt_i64_e32 vcc, s[52:53], v[6:7]
	v_mov_b32_e32 v8, 0
	s_and_saveexec_b64 s[6:7], vcc
	s_cbranch_execz .LBB63_162
; %bb.161:                              ;   in Loop: Header=BB63_160 Depth=2
	global_load_ushort v8, v[4:5], off
.LBB63_162:                             ;   in Loop: Header=BB63_160 Depth=2
	s_or_b64 exec, exec, s[6:7]
	s_and_saveexec_b64 s[6:7], vcc
	s_cbranch_execz .LBB63_159
; %bb.163:                              ;   in Loop: Header=BB63_160 Depth=2
	s_waitcnt vmcnt(0)
	v_cmp_lt_i16_e32 vcc, -1, v8
	v_cndmask_b32_e32 v9, v51, v52, vcc
	v_xor_b32_sdwa v9, v9, v8 dst_sel:DWORD dst_unused:UNUSED_PAD src0_sel:DWORD src1_sel:WORD_0
	v_cmp_o_f16_e32 vcc, v8, v8
	v_cndmask_b32_e32 v9, v51, v9, vcc
	v_and_b32_e32 v9, s95, v9
	v_cmp_eq_u32_e32 vcc, s60, v9
	s_and_b64 exec, exec, vcc
	s_cbranch_execz .LBB63_159
; %bb.164:                              ;   in Loop: Header=BB63_160 Depth=2
	v_perm_b32 v8, v8, s66, v55
	ds_write_b32 v13, v8 offset:3072
	s_branch .LBB63_159
.LBB63_165:                             ;   in Loop: Header=BB63_33 Depth=1
                                        ; implicit-def: $sgpr20_sgpr21
                                        ; implicit-def: $sgpr22_sgpr23
                                        ; implicit-def: $sgpr18_sgpr19
	s_branch .LBB63_184
.LBB63_166:                             ;   in Loop: Header=BB63_33 Depth=1
                                        ; implicit-def: $vgpr2_vgpr3
	s_branch .LBB63_111
.LBB63_167:                             ;   in Loop: Header=BB63_33 Depth=1
                                        ; implicit-def: $vgpr2_vgpr3
	s_branch .LBB63_126
.LBB63_168:                             ;   in Loop: Header=BB63_33 Depth=1
	s_mov_b64 s[20:21], -1
	s_mov_b64 s[2:3], 0
                                        ; implicit-def: $sgpr18_sgpr19
                                        ; implicit-def: $vgpr56
	s_mov_b64 s[22:23], s[20:21]
	s_cbranch_execnz .LBB63_171
	s_branch .LBB63_184
.LBB63_169:                             ;   in Loop: Header=BB63_33 Depth=1
	s_or_b64 exec, exec, s[2:3]
	v_lshrrev_b32_e32 v56, 16, v8
	s_and_b64 s[2:3], s[20:21], exec
.LBB63_170:                             ;   in Loop: Header=BB63_33 Depth=1
	s_or_b64 exec, exec, s[18:19]
	s_mov_b64 s[18:19], -1
	s_mov_b64 s[20:21], 0
	s_mov_b64 s[22:23], s[20:21]
	s_branch .LBB63_184
.LBB63_171:                             ;   in Loop: Header=BB63_33 Depth=1
	v_readlane_b32 s2, v58, 24
	s_add_u32 s18, s2, s24
	v_readlane_b32 s2, v58, 25
	s_addc_u32 s3, s2, s25
	s_mov_b32 s2, s75
	s_cmp_lg_u64 s[2:3], 0
	s_cbranch_scc0 .LBB63_214
; %bb.172:                              ;   in Loop: Header=BB63_33 Depth=1
	v_cvt_f32_u32_e32 v2, s33
	s_sub_u32 s2, 0, s33
	s_subb_u32 s6, 0, 0
	v_mac_f32_e32 v2, 0x4f800000, v53
	v_rcp_f32_e32 v2, v2
	v_mul_f32_e32 v2, 0x5f7ffffc, v2
	v_mul_f32_e32 v3, 0x2f800000, v2
	v_trunc_f32_e32 v3, v3
	v_mac_f32_e32 v2, 0xcf800000, v3
	v_cvt_u32_f32_e32 v3, v3
	v_cvt_u32_f32_e32 v2, v2
	v_readfirstlane_b32 s7, v3
	v_readfirstlane_b32 s19, v2
	s_mul_i32 s20, s2, s7
	s_mul_hi_u32 s22, s2, s19
	s_mul_i32 s21, s6, s19
	s_add_i32 s20, s22, s20
	s_mul_i32 s23, s2, s19
	s_add_i32 s20, s20, s21
	s_mul_hi_u32 s22, s19, s23
	s_mul_hi_u32 s21, s19, s20
	s_mul_i32 s19, s19, s20
	s_add_u32 s19, s22, s19
	s_addc_u32 s21, 0, s21
	s_mul_hi_u32 s26, s7, s23
	s_mul_i32 s23, s7, s23
	s_add_u32 s19, s19, s23
	s_mul_hi_u32 s22, s7, s20
	s_addc_u32 s19, s21, s26
	s_addc_u32 s21, s22, 0
	s_mul_i32 s20, s7, s20
	s_add_u32 s19, s19, s20
	s_addc_u32 s20, 0, s21
	v_add_co_u32_e32 v2, vcc, s19, v2
	s_cmp_lg_u64 vcc, 0
	s_addc_u32 s7, s7, s20
	v_readfirstlane_b32 s20, v2
	s_mul_i32 s19, s2, s7
	s_mul_hi_u32 s21, s2, s20
	s_add_i32 s19, s21, s19
	s_mul_i32 s6, s6, s20
	s_add_i32 s19, s19, s6
	s_mul_i32 s2, s2, s20
	s_mul_hi_u32 s21, s7, s2
	s_mul_i32 s22, s7, s2
	s_mul_i32 s26, s20, s19
	s_mul_hi_u32 s2, s20, s2
	s_mul_hi_u32 s23, s20, s19
	s_add_u32 s2, s2, s26
	s_addc_u32 s20, 0, s23
	s_add_u32 s2, s2, s22
	s_mul_hi_u32 s6, s7, s19
	s_addc_u32 s2, s20, s21
	s_addc_u32 s6, s6, 0
	s_mul_i32 s19, s7, s19
	s_add_u32 s2, s2, s19
	s_addc_u32 s6, 0, s6
	v_add_co_u32_e32 v2, vcc, s2, v2
	s_cmp_lg_u64 vcc, 0
	s_addc_u32 s2, s7, s6
	s_ashr_i32 s6, s3, 31
	s_add_u32 s20, s18, s6
	s_mov_b32 s7, s6
	s_addc_u32 s21, s3, s6
	s_xor_b64 s[20:21], s[20:21], s[6:7]
	v_readfirstlane_b32 s22, v2
	s_mul_i32 s19, s20, s2
	s_mul_hi_u32 s23, s20, s22
	s_mul_hi_u32 s7, s20, s2
	s_add_u32 s19, s23, s19
	s_addc_u32 s7, 0, s7
	s_mul_hi_u32 s26, s21, s22
	s_mul_i32 s22, s21, s22
	s_add_u32 s19, s19, s22
	s_mul_hi_u32 s23, s21, s2
	s_addc_u32 s7, s7, s26
	s_addc_u32 s19, s23, 0
	s_mul_i32 s2, s21, s2
	s_add_u32 s2, s7, s2
	s_addc_u32 s7, 0, s19
	s_mul_hi_u32 s19, s33, s2
	s_mul_i32 s2, s33, s2
	s_mul_i32 s7, s33, s7
	v_mov_b32_e32 v2, s2
	s_add_i32 s19, s19, s7
	v_sub_co_u32_e32 v2, vcc, s20, v2
	s_cmp_lg_u64 vcc, 0
	s_subb_u32 s2, s21, s19
	v_subrev_co_u32_e32 v3, vcc, s33, v2
	s_cmp_lg_u64 vcc, 0
	s_subb_u32 s7, s2, 0
	v_subrev_co_u32_e32 v4, vcc, s33, v3
	s_cmp_lg_u64 vcc, 0
	s_subb_u32 s19, s7, 0
	v_cmp_le_u32_e32 vcc, s33, v3
	s_cmp_eq_u32 s7, 0
	v_cndmask_b32_e64 v5, 0, -1, vcc
	s_cselect_b64 vcc, -1, 0
	v_cndmask_b32_e32 v5, -1, v5, vcc
	v_mov_b32_e32 v6, s7
	v_mov_b32_e32 v7, s19
	v_cmp_ne_u32_e32 vcc, 0, v5
	v_cndmask_b32_e32 v5, v6, v7, vcc
	v_cndmask_b32_e32 v3, v3, v4, vcc
	v_cmp_le_u32_e32 vcc, s33, v2
	s_cmp_eq_u32 s2, 0
	v_cndmask_b32_e64 v4, 0, -1, vcc
	s_cselect_b64 vcc, -1, 0
	v_cndmask_b32_e32 v4, -1, v4, vcc
	v_cmp_ne_u32_e32 vcc, 0, v4
	v_mov_b32_e32 v6, s2
	v_cndmask_b32_e32 v2, v2, v3, vcc
	v_cndmask_b32_e32 v4, v6, v5, vcc
	v_xor_b32_e32 v2, s6, v2
	v_xor_b32_e32 v3, s6, v4
	v_mov_b32_e32 v4, s6
	v_subrev_co_u32_e32 v2, vcc, s6, v2
	v_subb_co_u32_e32 v3, vcc, v3, v4, vcc
	s_cbranch_execnz .LBB63_174
.LBB63_173:                             ;   in Loop: Header=BB63_33 Depth=1
	v_cvt_f32_u32_e32 v2, s33
	s_sub_i32 s2, 0, s33
	v_rcp_iflag_f32_e32 v2, v2
	v_mul_f32_e32 v2, 0x4f7ffffe, v2
	v_cvt_u32_f32_e32 v2, v2
	v_mul_lo_u32 v3, s2, v2
	v_mul_hi_u32 v3, v2, v3
	v_add_u32_e32 v2, v2, v3
	v_mul_hi_u32 v2, s18, v2
	v_mul_lo_u32 v2, v2, s33
	v_sub_u32_e32 v2, s18, v2
	v_subrev_u32_e32 v3, s33, v2
	v_cmp_le_u32_e32 vcc, s33, v2
	v_cndmask_b32_e32 v2, v2, v3, vcc
	v_subrev_u32_e32 v3, s33, v2
	v_cmp_le_u32_e32 vcc, s33, v2
	v_cndmask_b32_e32 v12, v2, v3, vcc
	v_pk_mov_b32 v[2:3], v[12:13], v[12:13] op_sel:[0,1]
.LBB63_174:                             ;   in Loop: Header=BB63_33 Depth=1
	v_mov_b32_e32 v4, s3
	v_sub_co_u32_e32 v2, vcc, s18, v2
	v_subb_co_u32_e32 v3, vcc, v4, v3, vcc
	v_cmp_gt_i64_e32 vcc, v[2:3], v[0:1]
	s_mov_b64 s[2:3], 0
                                        ; implicit-def: $vgpr56
	s_and_saveexec_b64 s[18:19], vcc
	s_cbranch_execz .LBB63_183
; %bb.175:                              ;   in Loop: Header=BB63_33 Depth=1
	v_mov_b32_e32 v6, v43
	v_pk_mov_b32 v[4:5], v[0:1], v[0:1] op_sel:[0,1]
                                        ; implicit-def: $sgpr20_sgpr21
	s_branch .LBB63_177
.LBB63_176:                             ;   in Loop: Header=BB63_177 Depth=2
	s_or_b64 exec, exec, s[6:7]
	s_waitcnt lgkmcnt(0)
	s_barrier
	ds_read_b32 v7, v13 offset:3072
	v_mov_b32_e32 v8, s84
	v_add_co_u32_e64 v4, s[6:7], s33, v4
	v_addc_co_u32_e64 v5, s[6:7], v5, v8, s[6:7]
	s_waitcnt lgkmcnt(0)
	v_cmp_neq_f16_e32 vcc, 0, v7
	v_cmp_ge_i64_e64 s[6:7], v[4:5], v[2:3]
	s_or_b64 s[6:7], vcc, s[6:7]
	s_and_b64 s[6:7], exec, s[6:7]
	s_or_b64 s[2:3], s[6:7], s[2:3]
	s_andn2_b64 s[6:7], s[20:21], exec
	s_and_b64 s[20:21], vcc, exec
	v_add_u32_e32 v6, s94, v6
	s_or_b64 s[20:21], s[6:7], s[20:21]
	s_barrier
	s_andn2_b64 exec, exec, s[2:3]
	s_cbranch_execz .LBB63_182
.LBB63_177:                             ;   Parent Loop BB63_33 Depth=1
                                        ; =>  This Inner Loop Header: Depth=2
	v_cmp_gt_i64_e32 vcc, s[24:25], v[4:5]
	v_mov_b32_e32 v7, 0
	s_and_saveexec_b64 s[6:7], vcc
	s_cbranch_execz .LBB63_179
; %bb.178:                              ;   in Loop: Header=BB63_177 Depth=2
	ds_read_u16 v7, v6
.LBB63_179:                             ;   in Loop: Header=BB63_177 Depth=2
	s_or_b64 exec, exec, s[6:7]
	s_and_saveexec_b64 s[6:7], vcc
	s_cbranch_execz .LBB63_176
; %bb.180:                              ;   in Loop: Header=BB63_177 Depth=2
	s_waitcnt lgkmcnt(0)
	v_cmp_lt_i16_e32 vcc, -1, v7
	v_cndmask_b32_e32 v8, v51, v52, vcc
	v_xor_b32_sdwa v8, v8, v7 dst_sel:DWORD dst_unused:UNUSED_PAD src0_sel:DWORD src1_sel:WORD_0
	v_cmp_o_f16_e32 vcc, v7, v7
	v_cndmask_b32_e32 v8, v51, v8, vcc
	v_and_b32_e32 v8, s95, v8
	v_cmp_eq_u32_e32 vcc, s60, v8
	s_and_b64 exec, exec, vcc
	s_cbranch_execz .LBB63_176
; %bb.181:                              ;   in Loop: Header=BB63_177 Depth=2
	v_perm_b32 v7, v7, s66, v55
	ds_write_b32 v13, v7 offset:3072
	s_branch .LBB63_176
.LBB63_182:                             ;   in Loop: Header=BB63_33 Depth=1
	s_or_b64 exec, exec, s[2:3]
	v_lshrrev_b32_e32 v56, 16, v7
	s_and_b64 s[2:3], s[20:21], exec
.LBB63_183:                             ;   in Loop: Header=BB63_33 Depth=1
	s_or_b64 exec, exec, s[18:19]
	s_mov_b64 s[22:23], -1
	s_mov_b64 s[20:21], 0
	s_mov_b64 s[18:19], 0
.LBB63_184:                             ;   in Loop: Header=BB63_33 Depth=1
	s_mov_b64 s[6:7], 0
                                        ; implicit-def: $sgpr47
	s_and_saveexec_b64 s[24:25], s[2:3]
	s_cbranch_execz .LBB63_295
; %bb.185:                              ;   in Loop: Header=BB63_33 Depth=1
	s_xor_b64 s[2:3], s[30:31], -1
	s_andn2_b64 vcc, exec, s[2:3]
	s_mov_b32 s47, 1
	s_cbranch_vccnz .LBB63_196
; %bb.186:                              ;   in Loop: Header=BB63_33 Depth=1
	v_pk_mov_b32 v[2:3], s[28:29], s[28:29] op_sel:[0,1]
	v_cmp_gt_i64_e32 vcc, s[54:55], v[2:3]
	s_mov_b64 s[2:3], -1
                                        ; implicit-def: $sgpr47
                                        ; implicit-def: $sgpr6
                                        ; implicit-def: $sgpr7
	s_cbranch_vccnz .LBB63_192
; %bb.187:                              ;   in Loop: Header=BB63_33 Depth=1
	ds_read_b64 v[2:3], v13 offset:5120
	s_waitcnt lgkmcnt(0)
	v_cmp_ne_u64_e32 vcc, 0, v[2:3]
	s_cbranch_vccnz .LBB63_191
; %bb.188:                              ;   in Loop: Header=BB63_33 Depth=1
	s_mov_b64 s[2:3], exec
	v_readlane_b32 s6, v58, 12
	v_readlane_b32 s7, v58, 13
	s_and_b64 s[6:7], s[2:3], s[6:7]
	s_mov_b64 exec, s[6:7]
	s_cbranch_execz .LBB63_190
; %bb.189:                              ;   in Loop: Header=BB63_33 Depth=1
	v_pk_mov_b32 v[2:3], s[28:29], s[28:29] op_sel:[0,1]
	ds_write_b64 v13, v[2:3] offset:5128
.LBB63_190:                             ;   in Loop: Header=BB63_33 Depth=1
	s_or_b64 exec, exec, s[2:3]
	s_waitcnt lgkmcnt(0)
	s_barrier
.LBB63_191:                             ;   in Loop: Header=BB63_33 Depth=1
	s_lshl_b32 s2, 1, s40
	s_and_b32 s3, s60, s41
	s_or_b32 s6, s3, s2
	s_or_b32 s7, s95, s46
	s_mov_b64 s[2:3], 0
	s_mov_b32 s47, 8
.LBB63_192:                             ;   in Loop: Header=BB63_33 Depth=1
	s_andn2_b64 vcc, exec, s[2:3]
	s_cbranch_vccnz .LBB63_194
; %bb.193:                              ;   in Loop: Header=BB63_33 Depth=1
	s_sub_u32 s54, s54, s28
	s_subb_u32 s55, s55, s29
	s_mov_b64 s[2:3], -1
	s_mov_b32 s47, 0
	s_mov_b32 s6, s60
	;; [unrolled: 1-line block ×3, first 2 shown]
.LBB63_194:                             ;   in Loop: Header=BB63_33 Depth=1
	s_mov_b32 s95, s7
	s_mov_b32 s60, s6
	s_andn2_b64 vcc, exec, s[2:3]
	s_mov_b64 s[6:7], -1
	s_cbranch_vccz .LBB63_197
.LBB63_195:                             ;   in Loop: Header=BB63_33 Depth=1
	s_mov_b64 s[82:83], s[34:35]
                                        ; implicit-def: $sgpr30_sgpr31
                                        ; implicit-def: $sgpr34_sgpr35
                                        ; implicit-def: $sgpr28_sgpr29
	s_branch .LBB63_294
.LBB63_196:                             ;   in Loop: Header=BB63_33 Depth=1
	s_mov_b64 s[54:55], 1
	s_mov_b64 s[6:7], -1
	s_cbranch_execnz .LBB63_195
.LBB63_197:                             ;   in Loop: Header=BB63_33 Depth=1
	s_cmp_eq_u64 s[16:17], 1
	s_cselect_b64 s[2:3], -1, 0
	s_cmp_eq_u64 s[54:55], 1
	s_cselect_b64 s[6:7], -1, 0
	s_mov_b64 s[64:65], s[38:39]
	s_and_b64 s[38:39], s[2:3], s[6:7]
	s_mov_b64 s[72:73], s[36:37]
	s_mov_b64 s[8:9], s[0:1]
	s_mov_b64 s[2:3], -1
	s_and_b64 vcc, exec, s[38:39]
	s_cbranch_vccz .LBB63_212
; %bb.198:                              ;   in Loop: Header=BB63_33 Depth=1
	ds_read_b64 v[2:3], v13 offset:5120
	s_waitcnt lgkmcnt(0)
	s_barrier
	v_readfirstlane_b32 s36, v2
	v_readfirstlane_b32 s37, v3
	s_mov_b64 s[2:3], exec
	v_readlane_b32 s6, v58, 14
	v_readlane_b32 s7, v58, 15
	s_and_b64 s[6:7], s[2:3], s[6:7]
	s_mov_b64 exec, s[6:7]
	s_cbranch_execz .LBB63_200
; %bb.199:                              ;   in Loop: Header=BB63_33 Depth=1
	ds_write_b16 v44, v13
.LBB63_200:                             ;   in Loop: Header=BB63_33 Depth=1
	s_or_b64 exec, exec, s[2:3]
	s_lshl_b32 s2, 2, s40
	s_and_b32 s3, s60, s41
	s_or_b32 s60, s3, s2
	v_cmp_gt_i64_e64 s[2:3], s[36:37], 0
	s_or_b32 s95, s95, s46
	s_and_b64 vcc, exec, s[2:3]
	s_waitcnt lgkmcnt(0)
	s_barrier
	s_cbranch_vccnz .LBB63_215
; %bb.201:                              ;   in Loop: Header=BB63_33 Depth=1
	s_mov_b32 s86, s75
	s_cmp_lg_u64 s[86:87], 0
	s_cbranch_scc0 .LBB63_260
; %bb.202:                              ;   in Loop: Header=BB63_33 Depth=1
	v_cvt_f32_u32_e32 v2, s33
	s_sub_u32 s2, 0, s33
	s_subb_u32 s3, 0, 0
	v_mac_f32_e32 v2, 0x4f800000, v53
	v_rcp_f32_e32 v2, v2
	v_mul_f32_e32 v2, 0x5f7ffffc, v2
	v_mul_f32_e32 v3, 0x2f800000, v2
	v_trunc_f32_e32 v3, v3
	v_mac_f32_e32 v2, 0xcf800000, v3
	v_cvt_u32_f32_e32 v3, v3
	v_cvt_u32_f32_e32 v2, v2
	v_readfirstlane_b32 s6, v3
	v_readfirstlane_b32 s7, v2
	s_mul_i32 s26, s2, s6
	s_mul_hi_u32 s28, s2, s7
	s_mul_i32 s27, s3, s7
	s_add_i32 s26, s28, s26
	s_mul_i32 s29, s2, s7
	s_add_i32 s26, s26, s27
	s_mul_hi_u32 s28, s7, s29
	s_mul_hi_u32 s27, s7, s26
	s_mul_i32 s7, s7, s26
	s_add_u32 s7, s28, s7
	s_addc_u32 s27, 0, s27
	s_mul_hi_u32 s30, s6, s29
	s_mul_i32 s29, s6, s29
	s_add_u32 s7, s7, s29
	s_mul_hi_u32 s28, s6, s26
	s_addc_u32 s7, s27, s30
	s_addc_u32 s27, s28, 0
	s_mul_i32 s26, s6, s26
	s_add_u32 s7, s7, s26
	s_addc_u32 s26, 0, s27
	v_add_co_u32_e32 v2, vcc, s7, v2
	s_cmp_lg_u64 vcc, 0
	s_addc_u32 s6, s6, s26
	v_readfirstlane_b32 s26, v2
	s_mul_i32 s7, s2, s6
	s_mul_hi_u32 s27, s2, s26
	s_add_i32 s7, s27, s7
	s_mul_i32 s3, s3, s26
	s_add_i32 s7, s7, s3
	s_mul_i32 s2, s2, s26
	s_mul_hi_u32 s27, s6, s2
	s_mul_i32 s28, s6, s2
	s_mul_i32 s30, s26, s7
	s_mul_hi_u32 s2, s26, s2
	s_mul_hi_u32 s29, s26, s7
	s_add_u32 s2, s2, s30
	s_addc_u32 s26, 0, s29
	s_add_u32 s2, s2, s28
	s_mul_hi_u32 s3, s6, s7
	s_addc_u32 s2, s26, s27
	s_addc_u32 s3, s3, 0
	s_mul_i32 s7, s6, s7
	s_add_u32 s2, s2, s7
	s_addc_u32 s3, 0, s3
	v_add_co_u32_e32 v2, vcc, s2, v2
	s_cmp_lg_u64 vcc, 0
	s_addc_u32 s26, s6, s3
	s_ashr_i32 s2, s87, 31
	s_add_u32 s6, s90, s2
	s_mov_b32 s3, s2
	s_addc_u32 s7, s87, s2
	s_xor_b64 s[6:7], s[6:7], s[2:3]
	v_readfirstlane_b32 s28, v2
	s_mul_i32 s27, s6, s26
	s_mul_hi_u32 s29, s6, s28
	s_mul_hi_u32 s3, s6, s26
	s_add_u32 s27, s29, s27
	s_addc_u32 s3, 0, s3
	s_mul_hi_u32 s30, s7, s28
	s_mul_i32 s28, s7, s28
	s_add_u32 s27, s27, s28
	s_mul_hi_u32 s29, s7, s26
	s_addc_u32 s3, s3, s30
	s_addc_u32 s27, s29, 0
	s_mul_i32 s26, s7, s26
	s_add_u32 s3, s3, s26
	s_addc_u32 s26, 0, s27
	s_mul_hi_u32 s27, s33, s3
	s_mul_i32 s3, s33, s3
	s_mul_i32 s26, s33, s26
	v_mov_b32_e32 v2, s3
	s_add_i32 s27, s27, s26
	v_sub_co_u32_e32 v2, vcc, s6, v2
	s_cmp_lg_u64 vcc, 0
	s_subb_u32 s3, s7, s27
	v_subrev_co_u32_e32 v3, vcc, s33, v2
	s_cmp_lg_u64 vcc, 0
	s_subb_u32 s6, s3, 0
	v_subrev_co_u32_e32 v4, vcc, s33, v3
	s_cmp_lg_u64 vcc, 0
	s_subb_u32 s7, s6, 0
	v_cmp_le_u32_e32 vcc, s33, v3
	s_cmp_eq_u32 s6, 0
	v_cndmask_b32_e64 v5, 0, -1, vcc
	s_cselect_b64 vcc, -1, 0
	v_cndmask_b32_e32 v5, -1, v5, vcc
	v_mov_b32_e32 v6, s6
	v_mov_b32_e32 v7, s7
	v_cmp_ne_u32_e32 vcc, 0, v5
	v_cndmask_b32_e32 v5, v6, v7, vcc
	v_cndmask_b32_e32 v3, v3, v4, vcc
	v_cmp_le_u32_e32 vcc, s33, v2
	s_cmp_eq_u32 s3, 0
	v_cndmask_b32_e64 v4, 0, -1, vcc
	s_cselect_b64 vcc, -1, 0
	v_cndmask_b32_e32 v4, -1, v4, vcc
	v_cmp_ne_u32_e32 vcc, 0, v4
	v_mov_b32_e32 v6, s3
	v_cndmask_b32_e32 v2, v2, v3, vcc
	v_cndmask_b32_e32 v4, v6, v5, vcc
	v_xor_b32_e32 v2, s2, v2
	v_xor_b32_e32 v3, s2, v4
	v_mov_b32_e32 v4, s2
	v_subrev_co_u32_e32 v2, vcc, s2, v2
	v_subb_co_u32_e32 v3, vcc, v3, v4, vcc
	s_cbranch_execnz .LBB63_204
.LBB63_203:                             ;   in Loop: Header=BB63_33 Depth=1
	v_cvt_f32_u32_e32 v2, s33
	s_sub_i32 s2, 0, s33
	v_rcp_iflag_f32_e32 v2, v2
	v_mul_f32_e32 v2, 0x4f7ffffe, v2
	v_cvt_u32_f32_e32 v2, v2
	v_mul_lo_u32 v3, s2, v2
	v_mul_hi_u32 v3, v2, v3
	v_add_u32_e32 v2, v2, v3
	v_mul_hi_u32 v2, s90, v2
	v_mul_lo_u32 v2, v2, s33
	v_sub_u32_e32 v2, s90, v2
	v_subrev_u32_e32 v3, s33, v2
	v_cmp_le_u32_e32 vcc, s33, v2
	v_cndmask_b32_e32 v2, v2, v3, vcc
	v_subrev_u32_e32 v3, s33, v2
	v_cmp_le_u32_e32 vcc, s33, v2
	v_cndmask_b32_e32 v12, v2, v3, vcc
	v_pk_mov_b32 v[2:3], v[12:13], v[12:13] op_sel:[0,1]
.LBB63_204:                             ;   in Loop: Header=BB63_33 Depth=1
	v_mov_b32_e32 v4, s87
	v_sub_co_u32_e32 v2, vcc, s90, v2
	v_subb_co_u32_e32 v3, vcc, v4, v3, vcc
	v_cmp_gt_i64_e32 vcc, v[2:3], v[0:1]
	s_mov_b64 s[2:3], 0
                                        ; implicit-def: $vgpr56
	s_and_saveexec_b64 s[26:27], vcc
	s_cbranch_execz .LBB63_217
; %bb.205:                              ;   in Loop: Header=BB63_33 Depth=1
	v_pk_mov_b32 v[4:5], v[10:11], v[10:11] op_sel:[0,1]
	v_pk_mov_b32 v[6:7], v[0:1], v[0:1] op_sel:[0,1]
                                        ; implicit-def: $sgpr28_sgpr29
	s_branch .LBB63_207
.LBB63_206:                             ;   in Loop: Header=BB63_207 Depth=2
	s_or_b64 exec, exec, s[6:7]
	s_waitcnt lgkmcnt(0)
	s_barrier
	s_waitcnt vmcnt(0)
	ds_read_b32 v8, v13 offset:3072
	v_mov_b32_e32 v9, s84
	v_add_co_u32_e64 v6, s[6:7], s33, v6
	v_addc_co_u32_e64 v7, s[6:7], v7, v9, s[6:7]
	s_waitcnt lgkmcnt(0)
	v_cmp_neq_f16_e32 vcc, 0, v8
	v_cmp_ge_i64_e64 s[6:7], v[6:7], v[2:3]
	s_or_b64 s[30:31], vcc, s[6:7]
	v_mov_b32_e32 v9, s77
	v_add_co_u32_e64 v4, s[6:7], s76, v4
	v_addc_co_u32_e64 v5, s[6:7], v5, v9, s[6:7]
	s_and_b64 s[6:7], exec, s[30:31]
	s_or_b64 s[2:3], s[6:7], s[2:3]
	s_andn2_b64 s[6:7], s[28:29], exec
	s_and_b64 s[28:29], vcc, exec
	s_or_b64 s[28:29], s[6:7], s[28:29]
	s_barrier
	s_andn2_b64 exec, exec, s[2:3]
	s_cbranch_execz .LBB63_216
.LBB63_207:                             ;   Parent Loop BB63_33 Depth=1
                                        ; =>  This Inner Loop Header: Depth=2
	v_cmp_gt_i64_e32 vcc, s[52:53], v[6:7]
	v_mov_b32_e32 v8, 0
	s_and_saveexec_b64 s[6:7], vcc
	s_cbranch_execz .LBB63_209
; %bb.208:                              ;   in Loop: Header=BB63_207 Depth=2
	global_load_ushort v8, v[4:5], off
.LBB63_209:                             ;   in Loop: Header=BB63_207 Depth=2
	s_or_b64 exec, exec, s[6:7]
	s_and_saveexec_b64 s[6:7], vcc
	s_cbranch_execz .LBB63_206
; %bb.210:                              ;   in Loop: Header=BB63_207 Depth=2
	s_waitcnt vmcnt(0)
	v_cmp_lt_i16_e32 vcc, -1, v8
	v_cndmask_b32_e32 v9, v51, v52, vcc
	v_xor_b32_sdwa v9, v9, v8 dst_sel:DWORD dst_unused:UNUSED_PAD src0_sel:DWORD src1_sel:WORD_0
	v_cmp_o_f16_e32 vcc, v8, v8
	v_cndmask_b32_e32 v9, v51, v9, vcc
	v_and_b32_e32 v9, s95, v9
	v_cmp_eq_u32_e32 vcc, s60, v9
	s_and_b64 exec, exec, vcc
	s_cbranch_execz .LBB63_206
; %bb.211:                              ;   in Loop: Header=BB63_207 Depth=2
	v_perm_b32 v8, v8, s66, v55
	ds_write_b32 v13, v8 offset:3072
	s_branch .LBB63_206
.LBB63_212:                             ;   in Loop: Header=BB63_33 Depth=1
	s_mov_b64 s[82:83], s[34:35]
                                        ; implicit-def: $sgpr28_sgpr29
                                        ; implicit-def: $sgpr34_sgpr35
                                        ; implicit-def: $sgpr30_sgpr31
	s_branch .LBB63_231
.LBB63_213:                             ;   in Loop: Header=BB63_33 Depth=1
                                        ; implicit-def: $vgpr2_vgpr3
	s_branch .LBB63_156
.LBB63_214:                             ;   in Loop: Header=BB63_33 Depth=1
                                        ; implicit-def: $vgpr2_vgpr3
	s_branch .LBB63_173
.LBB63_215:                             ;   in Loop: Header=BB63_33 Depth=1
	s_mov_b64 s[82:83], s[34:35]
	s_mov_b64 s[28:29], -1
	s_mov_b64 s[2:3], 0
                                        ; implicit-def: $sgpr30_sgpr31
                                        ; implicit-def: $vgpr56
	s_mov_b64 s[34:35], s[28:29]
	s_cbranch_execnz .LBB63_218
	s_branch .LBB63_231
.LBB63_216:                             ;   in Loop: Header=BB63_33 Depth=1
	s_or_b64 exec, exec, s[2:3]
	v_lshrrev_b32_e32 v56, 16, v8
	s_and_b64 s[2:3], s[28:29], exec
.LBB63_217:                             ;   in Loop: Header=BB63_33 Depth=1
	s_or_b64 exec, exec, s[26:27]
	s_mov_b64 s[82:83], s[34:35]
	s_mov_b64 s[30:31], -1
	s_mov_b64 s[28:29], 0
	s_mov_b64 s[34:35], s[28:29]
	s_branch .LBB63_231
.LBB63_218:                             ;   in Loop: Header=BB63_33 Depth=1
	v_readlane_b32 s2, v58, 24
	s_add_u32 s26, s2, s36
	v_readlane_b32 s2, v58, 25
	s_addc_u32 s3, s2, s37
	s_mov_b32 s2, s75
	s_cmp_lg_u64 s[2:3], 0
	s_cbranch_scc0 .LBB63_261
; %bb.219:                              ;   in Loop: Header=BB63_33 Depth=1
	v_cvt_f32_u32_e32 v2, s33
	s_sub_u32 s2, 0, s33
	s_subb_u32 s6, 0, 0
	v_mac_f32_e32 v2, 0x4f800000, v53
	v_rcp_f32_e32 v2, v2
	v_mul_f32_e32 v2, 0x5f7ffffc, v2
	v_mul_f32_e32 v3, 0x2f800000, v2
	v_trunc_f32_e32 v3, v3
	v_mac_f32_e32 v2, 0xcf800000, v3
	v_cvt_u32_f32_e32 v3, v3
	v_cvt_u32_f32_e32 v2, v2
	v_readfirstlane_b32 s7, v3
	v_readfirstlane_b32 s27, v2
	s_mul_i32 s28, s2, s7
	s_mul_hi_u32 s30, s2, s27
	s_mul_i32 s29, s6, s27
	s_add_i32 s28, s30, s28
	s_mul_i32 s31, s2, s27
	s_add_i32 s28, s28, s29
	s_mul_hi_u32 s30, s27, s31
	s_mul_hi_u32 s29, s27, s28
	s_mul_i32 s27, s27, s28
	s_add_u32 s27, s30, s27
	s_addc_u32 s29, 0, s29
	s_mul_hi_u32 s34, s7, s31
	s_mul_i32 s31, s7, s31
	s_add_u32 s27, s27, s31
	s_mul_hi_u32 s30, s7, s28
	s_addc_u32 s27, s29, s34
	s_addc_u32 s29, s30, 0
	s_mul_i32 s28, s7, s28
	s_add_u32 s27, s27, s28
	s_addc_u32 s28, 0, s29
	v_add_co_u32_e32 v2, vcc, s27, v2
	s_cmp_lg_u64 vcc, 0
	s_addc_u32 s7, s7, s28
	v_readfirstlane_b32 s28, v2
	s_mul_i32 s27, s2, s7
	s_mul_hi_u32 s29, s2, s28
	s_add_i32 s27, s29, s27
	s_mul_i32 s6, s6, s28
	s_add_i32 s27, s27, s6
	s_mul_i32 s2, s2, s28
	s_mul_hi_u32 s29, s7, s2
	s_mul_i32 s30, s7, s2
	s_mul_i32 s34, s28, s27
	s_mul_hi_u32 s2, s28, s2
	s_mul_hi_u32 s31, s28, s27
	s_add_u32 s2, s2, s34
	s_addc_u32 s28, 0, s31
	s_add_u32 s2, s2, s30
	s_mul_hi_u32 s6, s7, s27
	s_addc_u32 s2, s28, s29
	s_addc_u32 s6, s6, 0
	s_mul_i32 s27, s7, s27
	s_add_u32 s2, s2, s27
	s_addc_u32 s6, 0, s6
	v_add_co_u32_e32 v2, vcc, s2, v2
	s_cmp_lg_u64 vcc, 0
	s_addc_u32 s2, s7, s6
	s_ashr_i32 s6, s3, 31
	s_add_u32 s28, s26, s6
	s_mov_b32 s7, s6
	s_addc_u32 s29, s3, s6
	s_xor_b64 s[28:29], s[28:29], s[6:7]
	v_readfirstlane_b32 s30, v2
	s_mul_i32 s27, s28, s2
	s_mul_hi_u32 s31, s28, s30
	s_mul_hi_u32 s7, s28, s2
	s_add_u32 s27, s31, s27
	s_addc_u32 s7, 0, s7
	s_mul_hi_u32 s34, s29, s30
	s_mul_i32 s30, s29, s30
	s_add_u32 s27, s27, s30
	s_mul_hi_u32 s31, s29, s2
	s_addc_u32 s7, s7, s34
	s_addc_u32 s27, s31, 0
	s_mul_i32 s2, s29, s2
	s_add_u32 s2, s7, s2
	s_addc_u32 s7, 0, s27
	s_mul_hi_u32 s27, s33, s2
	s_mul_i32 s2, s33, s2
	s_mul_i32 s7, s33, s7
	v_mov_b32_e32 v2, s2
	s_add_i32 s27, s27, s7
	v_sub_co_u32_e32 v2, vcc, s28, v2
	s_cmp_lg_u64 vcc, 0
	s_subb_u32 s2, s29, s27
	v_subrev_co_u32_e32 v3, vcc, s33, v2
	s_cmp_lg_u64 vcc, 0
	s_subb_u32 s7, s2, 0
	v_subrev_co_u32_e32 v4, vcc, s33, v3
	s_cmp_lg_u64 vcc, 0
	s_subb_u32 s27, s7, 0
	v_cmp_le_u32_e32 vcc, s33, v3
	s_cmp_eq_u32 s7, 0
	v_cndmask_b32_e64 v5, 0, -1, vcc
	s_cselect_b64 vcc, -1, 0
	v_cndmask_b32_e32 v5, -1, v5, vcc
	v_mov_b32_e32 v6, s7
	v_mov_b32_e32 v7, s27
	v_cmp_ne_u32_e32 vcc, 0, v5
	v_cndmask_b32_e32 v5, v6, v7, vcc
	v_cndmask_b32_e32 v3, v3, v4, vcc
	v_cmp_le_u32_e32 vcc, s33, v2
	s_cmp_eq_u32 s2, 0
	v_cndmask_b32_e64 v4, 0, -1, vcc
	s_cselect_b64 vcc, -1, 0
	v_cndmask_b32_e32 v4, -1, v4, vcc
	v_cmp_ne_u32_e32 vcc, 0, v4
	v_mov_b32_e32 v6, s2
	v_cndmask_b32_e32 v2, v2, v3, vcc
	v_cndmask_b32_e32 v4, v6, v5, vcc
	v_xor_b32_e32 v2, s6, v2
	v_xor_b32_e32 v3, s6, v4
	v_mov_b32_e32 v4, s6
	v_subrev_co_u32_e32 v2, vcc, s6, v2
	v_subb_co_u32_e32 v3, vcc, v3, v4, vcc
	s_cbranch_execnz .LBB63_221
.LBB63_220:                             ;   in Loop: Header=BB63_33 Depth=1
	v_cvt_f32_u32_e32 v2, s33
	s_sub_i32 s2, 0, s33
	v_rcp_iflag_f32_e32 v2, v2
	v_mul_f32_e32 v2, 0x4f7ffffe, v2
	v_cvt_u32_f32_e32 v2, v2
	v_mul_lo_u32 v3, s2, v2
	v_mul_hi_u32 v3, v2, v3
	v_add_u32_e32 v2, v2, v3
	v_mul_hi_u32 v2, s26, v2
	v_mul_lo_u32 v2, v2, s33
	v_sub_u32_e32 v2, s26, v2
	v_subrev_u32_e32 v3, s33, v2
	v_cmp_le_u32_e32 vcc, s33, v2
	v_cndmask_b32_e32 v2, v2, v3, vcc
	v_subrev_u32_e32 v3, s33, v2
	v_cmp_le_u32_e32 vcc, s33, v2
	v_cndmask_b32_e32 v12, v2, v3, vcc
	v_pk_mov_b32 v[2:3], v[12:13], v[12:13] op_sel:[0,1]
.LBB63_221:                             ;   in Loop: Header=BB63_33 Depth=1
	v_mov_b32_e32 v4, s3
	v_sub_co_u32_e32 v2, vcc, s26, v2
	v_subb_co_u32_e32 v3, vcc, v4, v3, vcc
	v_cmp_gt_i64_e32 vcc, v[2:3], v[0:1]
	s_mov_b64 s[2:3], 0
                                        ; implicit-def: $vgpr56
	s_and_saveexec_b64 s[26:27], vcc
	s_cbranch_execz .LBB63_230
; %bb.222:                              ;   in Loop: Header=BB63_33 Depth=1
	v_mov_b32_e32 v6, v43
	v_pk_mov_b32 v[4:5], v[0:1], v[0:1] op_sel:[0,1]
                                        ; implicit-def: $sgpr28_sgpr29
	s_branch .LBB63_224
.LBB63_223:                             ;   in Loop: Header=BB63_224 Depth=2
	s_or_b64 exec, exec, s[6:7]
	s_waitcnt lgkmcnt(0)
	s_barrier
	ds_read_b32 v7, v13 offset:3072
	v_mov_b32_e32 v8, s84
	v_add_co_u32_e64 v4, s[6:7], s33, v4
	v_addc_co_u32_e64 v5, s[6:7], v5, v8, s[6:7]
	s_waitcnt lgkmcnt(0)
	v_cmp_neq_f16_e32 vcc, 0, v7
	v_cmp_ge_i64_e64 s[6:7], v[4:5], v[2:3]
	s_or_b64 s[6:7], vcc, s[6:7]
	s_and_b64 s[6:7], exec, s[6:7]
	s_or_b64 s[2:3], s[6:7], s[2:3]
	s_andn2_b64 s[6:7], s[28:29], exec
	s_and_b64 s[28:29], vcc, exec
	v_add_u32_e32 v6, s94, v6
	s_or_b64 s[28:29], s[6:7], s[28:29]
	s_barrier
	s_andn2_b64 exec, exec, s[2:3]
	s_cbranch_execz .LBB63_229
.LBB63_224:                             ;   Parent Loop BB63_33 Depth=1
                                        ; =>  This Inner Loop Header: Depth=2
	v_cmp_gt_i64_e32 vcc, s[36:37], v[4:5]
	v_mov_b32_e32 v7, 0
	s_and_saveexec_b64 s[6:7], vcc
	s_cbranch_execz .LBB63_226
; %bb.225:                              ;   in Loop: Header=BB63_224 Depth=2
	ds_read_u16 v7, v6
.LBB63_226:                             ;   in Loop: Header=BB63_224 Depth=2
	s_or_b64 exec, exec, s[6:7]
	s_and_saveexec_b64 s[6:7], vcc
	s_cbranch_execz .LBB63_223
; %bb.227:                              ;   in Loop: Header=BB63_224 Depth=2
	s_waitcnt lgkmcnt(0)
	v_cmp_lt_i16_e32 vcc, -1, v7
	v_cndmask_b32_e32 v8, v51, v52, vcc
	v_xor_b32_sdwa v8, v8, v7 dst_sel:DWORD dst_unused:UNUSED_PAD src0_sel:DWORD src1_sel:WORD_0
	v_cmp_o_f16_e32 vcc, v7, v7
	v_cndmask_b32_e32 v8, v51, v8, vcc
	v_and_b32_e32 v8, s95, v8
	v_cmp_eq_u32_e32 vcc, s60, v8
	s_and_b64 exec, exec, vcc
	s_cbranch_execz .LBB63_223
; %bb.228:                              ;   in Loop: Header=BB63_224 Depth=2
	v_perm_b32 v7, v7, s66, v55
	ds_write_b32 v13, v7 offset:3072
	s_branch .LBB63_223
.LBB63_229:                             ;   in Loop: Header=BB63_33 Depth=1
	s_or_b64 exec, exec, s[2:3]
	v_lshrrev_b32_e32 v56, 16, v7
	s_and_b64 s[2:3], s[28:29], exec
.LBB63_230:                             ;   in Loop: Header=BB63_33 Depth=1
	s_or_b64 exec, exec, s[26:27]
	s_mov_b64 s[34:35], -1
	s_mov_b64 s[28:29], 0
	s_mov_b64 s[30:31], 0
.LBB63_231:                             ;   in Loop: Header=BB63_33 Depth=1
	s_mov_b64 s[6:7], 0
                                        ; implicit-def: $sgpr47
	s_and_saveexec_b64 s[36:37], s[2:3]
	s_cbranch_execz .LBB63_293
; %bb.232:                              ;   in Loop: Header=BB63_33 Depth=1
	s_xor_b64 s[2:3], s[38:39], -1
	s_andn2_b64 vcc, exec, s[2:3]
	s_mov_b32 s47, 1
	s_cbranch_vccnz .LBB63_243
; %bb.233:                              ;   in Loop: Header=BB63_33 Depth=1
	v_pk_mov_b32 v[2:3], s[16:17], s[16:17] op_sel:[0,1]
	v_cmp_gt_i64_e32 vcc, s[54:55], v[2:3]
	s_mov_b64 s[2:3], -1
                                        ; implicit-def: $sgpr47
                                        ; implicit-def: $sgpr6
                                        ; implicit-def: $sgpr7
	s_cbranch_vccnz .LBB63_239
; %bb.234:                              ;   in Loop: Header=BB63_33 Depth=1
	ds_read_b64 v[2:3], v13 offset:5120
	s_waitcnt lgkmcnt(0)
	v_cmp_ne_u64_e32 vcc, 0, v[2:3]
	s_cbranch_vccnz .LBB63_238
; %bb.235:                              ;   in Loop: Header=BB63_33 Depth=1
	s_mov_b64 s[2:3], exec
	v_readlane_b32 s6, v58, 12
	v_readlane_b32 s7, v58, 13
	s_and_b64 s[6:7], s[2:3], s[6:7]
	s_mov_b64 exec, s[6:7]
	s_cbranch_execz .LBB63_237
; %bb.236:                              ;   in Loop: Header=BB63_33 Depth=1
	v_pk_mov_b32 v[2:3], s[16:17], s[16:17] op_sel:[0,1]
	ds_write_b64 v13, v[2:3] offset:5128
.LBB63_237:                             ;   in Loop: Header=BB63_33 Depth=1
	s_or_b64 exec, exec, s[2:3]
	s_waitcnt lgkmcnt(0)
	s_barrier
.LBB63_238:                             ;   in Loop: Header=BB63_33 Depth=1
	s_lshl_b32 s2, 2, s40
	s_and_b32 s3, s60, s41
	s_or_b32 s6, s3, s2
	s_or_b32 s7, s95, s46
	s_mov_b64 s[2:3], 0
	s_mov_b32 s47, 8
.LBB63_239:                             ;   in Loop: Header=BB63_33 Depth=1
	s_mov_b64 s[0:1], s[42:43]
	s_andn2_b64 vcc, exec, s[2:3]
	s_cbranch_vccnz .LBB63_241
; %bb.240:                              ;   in Loop: Header=BB63_33 Depth=1
	s_sub_u32 s54, s54, s16
	s_subb_u32 s55, s55, s17
	s_mov_b64 s[2:3], -1
	s_mov_b32 s47, 0
	s_mov_b32 s6, s60
	;; [unrolled: 1-line block ×3, first 2 shown]
.LBB63_241:                             ;   in Loop: Header=BB63_33 Depth=1
	s_mov_b32 s95, s7
	s_mov_b32 s60, s6
	s_andn2_b64 vcc, exec, s[2:3]
	s_mov_b64 s[42:43], -1
	s_cbranch_vccz .LBB63_244
.LBB63_242:                             ;   in Loop: Header=BB63_33 Depth=1
                                        ; implicit-def: $sgpr2_sgpr3
                                        ; implicit-def: $sgpr26_sgpr27
                                        ; implicit-def: $sgpr6_sgpr7
	s_branch .LBB63_292
.LBB63_243:                             ;   in Loop: Header=BB63_33 Depth=1
	s_mov_b64 s[0:1], s[42:43]
	s_mov_b64 s[54:55], 1
	s_mov_b64 s[42:43], -1
	s_cbranch_execnz .LBB63_242
.LBB63_244:                             ;   in Loop: Header=BB63_33 Depth=1
	s_cmp_eq_u64 s[10:11], 1
	s_cselect_b64 s[2:3], -1, 0
	s_cmp_eq_u64 s[54:55], 1
	s_cselect_b64 s[6:7], -1, 0
	s_and_b64 s[16:17], s[2:3], s[6:7]
	s_mov_b64 s[40:41], -1
	s_and_b64 vcc, exec, s[16:17]
	s_cbranch_vccz .LBB63_259
; %bb.245:                              ;   in Loop: Header=BB63_33 Depth=1
	ds_read_b64 v[2:3], v13 offset:5120
	s_waitcnt lgkmcnt(0)
	s_barrier
	v_readfirstlane_b32 s38, v2
	v_readfirstlane_b32 s39, v3
	s_mov_b64 s[2:3], exec
	v_readlane_b32 s6, v58, 14
	v_readlane_b32 s7, v58, 15
	s_and_b64 s[6:7], s[2:3], s[6:7]
	s_mov_b64 exec, s[6:7]
	s_cbranch_execz .LBB63_247
; %bb.246:                              ;   in Loop: Header=BB63_33 Depth=1
	ds_write_b16 v44, v13
.LBB63_247:                             ;   in Loop: Header=BB63_33 Depth=1
	s_or_b64 exec, exec, s[2:3]
	v_cmp_gt_i64_e64 s[2:3], s[38:39], 0
	s_or_b32 s60, s60, s46
	s_or_b32 s95, s95, s46
	s_and_b64 vcc, exec, s[2:3]
	s_waitcnt lgkmcnt(0)
	s_barrier
	s_cbranch_vccnz .LBB63_262
; %bb.248:                              ;   in Loop: Header=BB63_33 Depth=1
	s_mov_b32 s86, s75
	s_cmp_lg_u64 s[86:87], 0
	s_cbranch_scc0 .LBB63_298
; %bb.249:                              ;   in Loop: Header=BB63_33 Depth=1
	v_cvt_f32_u32_e32 v2, s33
	s_sub_u32 s2, 0, s33
	s_subb_u32 s3, 0, 0
	v_mac_f32_e32 v2, 0x4f800000, v53
	v_rcp_f32_e32 v2, v2
	v_mul_f32_e32 v2, 0x5f7ffffc, v2
	v_mul_f32_e32 v3, 0x2f800000, v2
	v_trunc_f32_e32 v3, v3
	v_mac_f32_e32 v2, 0xcf800000, v3
	v_cvt_u32_f32_e32 v3, v3
	v_cvt_u32_f32_e32 v2, v2
	v_readfirstlane_b32 s6, v3
	v_readfirstlane_b32 s7, v2
	s_mul_i32 s26, s2, s6
	s_mul_hi_u32 s40, s2, s7
	s_mul_i32 s27, s3, s7
	s_add_i32 s26, s40, s26
	s_mul_i32 s41, s2, s7
	s_add_i32 s26, s26, s27
	s_mul_hi_u32 s40, s7, s41
	s_mul_hi_u32 s27, s7, s26
	s_mul_i32 s7, s7, s26
	s_add_u32 s7, s40, s7
	s_addc_u32 s27, 0, s27
	s_mul_hi_u32 s42, s6, s41
	s_mul_i32 s41, s6, s41
	s_add_u32 s7, s7, s41
	s_mul_hi_u32 s40, s6, s26
	s_addc_u32 s7, s27, s42
	s_addc_u32 s27, s40, 0
	s_mul_i32 s26, s6, s26
	s_add_u32 s7, s7, s26
	s_addc_u32 s26, 0, s27
	v_add_co_u32_e32 v2, vcc, s7, v2
	s_cmp_lg_u64 vcc, 0
	s_addc_u32 s6, s6, s26
	v_readfirstlane_b32 s26, v2
	s_mul_i32 s7, s2, s6
	s_mul_hi_u32 s27, s2, s26
	s_add_i32 s7, s27, s7
	s_mul_i32 s3, s3, s26
	s_add_i32 s7, s7, s3
	s_mul_i32 s2, s2, s26
	s_mul_hi_u32 s27, s6, s2
	s_mul_i32 s40, s6, s2
	s_mul_i32 s42, s26, s7
	s_mul_hi_u32 s2, s26, s2
	s_mul_hi_u32 s41, s26, s7
	s_add_u32 s2, s2, s42
	s_addc_u32 s26, 0, s41
	s_add_u32 s2, s2, s40
	s_mul_hi_u32 s3, s6, s7
	s_addc_u32 s2, s26, s27
	s_addc_u32 s3, s3, 0
	s_mul_i32 s7, s6, s7
	s_add_u32 s2, s2, s7
	s_addc_u32 s3, 0, s3
	v_add_co_u32_e32 v2, vcc, s2, v2
	s_cmp_lg_u64 vcc, 0
	s_addc_u32 s26, s6, s3
	s_ashr_i32 s2, s87, 31
	s_add_u32 s6, s90, s2
	s_mov_b32 s3, s2
	s_addc_u32 s7, s87, s2
	s_xor_b64 s[6:7], s[6:7], s[2:3]
	v_readfirstlane_b32 s40, v2
	s_mul_i32 s27, s6, s26
	s_mul_hi_u32 s41, s6, s40
	s_mul_hi_u32 s3, s6, s26
	s_add_u32 s27, s41, s27
	s_addc_u32 s3, 0, s3
	s_mul_hi_u32 s42, s7, s40
	s_mul_i32 s40, s7, s40
	s_add_u32 s27, s27, s40
	s_mul_hi_u32 s41, s7, s26
	s_addc_u32 s3, s3, s42
	s_addc_u32 s27, s41, 0
	s_mul_i32 s26, s7, s26
	s_add_u32 s3, s3, s26
	s_addc_u32 s26, 0, s27
	s_mul_hi_u32 s27, s33, s3
	s_mul_i32 s3, s33, s3
	s_mul_i32 s26, s33, s26
	v_mov_b32_e32 v2, s3
	s_add_i32 s27, s27, s26
	v_sub_co_u32_e32 v2, vcc, s6, v2
	s_cmp_lg_u64 vcc, 0
	s_subb_u32 s3, s7, s27
	v_subrev_co_u32_e32 v3, vcc, s33, v2
	s_cmp_lg_u64 vcc, 0
	s_subb_u32 s6, s3, 0
	v_subrev_co_u32_e32 v4, vcc, s33, v3
	s_cmp_lg_u64 vcc, 0
	s_subb_u32 s7, s6, 0
	v_cmp_le_u32_e32 vcc, s33, v3
	s_cmp_eq_u32 s6, 0
	v_cndmask_b32_e64 v5, 0, -1, vcc
	s_cselect_b64 vcc, -1, 0
	v_cndmask_b32_e32 v5, -1, v5, vcc
	v_mov_b32_e32 v6, s6
	v_mov_b32_e32 v7, s7
	v_cmp_ne_u32_e32 vcc, 0, v5
	v_cndmask_b32_e32 v5, v6, v7, vcc
	v_cndmask_b32_e32 v3, v3, v4, vcc
	v_cmp_le_u32_e32 vcc, s33, v2
	s_cmp_eq_u32 s3, 0
	v_cndmask_b32_e64 v4, 0, -1, vcc
	s_cselect_b64 vcc, -1, 0
	v_cndmask_b32_e32 v4, -1, v4, vcc
	v_cmp_ne_u32_e32 vcc, 0, v4
	v_mov_b32_e32 v6, s3
	v_cndmask_b32_e32 v2, v2, v3, vcc
	v_cndmask_b32_e32 v4, v6, v5, vcc
	v_xor_b32_e32 v2, s2, v2
	v_xor_b32_e32 v3, s2, v4
	v_mov_b32_e32 v4, s2
	v_subrev_co_u32_e32 v2, vcc, s2, v2
	v_subb_co_u32_e32 v3, vcc, v3, v4, vcc
	s_cbranch_execnz .LBB63_251
.LBB63_250:                             ;   in Loop: Header=BB63_33 Depth=1
	v_cvt_f32_u32_e32 v2, s33
	s_sub_i32 s2, 0, s33
	v_rcp_iflag_f32_e32 v2, v2
	v_mul_f32_e32 v2, 0x4f7ffffe, v2
	v_cvt_u32_f32_e32 v2, v2
	v_mul_lo_u32 v3, s2, v2
	v_mul_hi_u32 v3, v2, v3
	v_add_u32_e32 v2, v2, v3
	v_mul_hi_u32 v2, s90, v2
	v_mul_lo_u32 v2, v2, s33
	v_sub_u32_e32 v2, s90, v2
	v_subrev_u32_e32 v3, s33, v2
	v_cmp_le_u32_e32 vcc, s33, v2
	v_cndmask_b32_e32 v2, v2, v3, vcc
	v_subrev_u32_e32 v3, s33, v2
	v_cmp_le_u32_e32 vcc, s33, v2
	v_cndmask_b32_e32 v12, v2, v3, vcc
	v_pk_mov_b32 v[2:3], v[12:13], v[12:13] op_sel:[0,1]
.LBB63_251:                             ;   in Loop: Header=BB63_33 Depth=1
	v_mov_b32_e32 v4, s87
	v_sub_co_u32_e32 v2, vcc, s90, v2
	v_subb_co_u32_e32 v3, vcc, v4, v3, vcc
	v_cmp_gt_i64_e32 vcc, v[2:3], v[0:1]
	s_mov_b64 s[40:41], 0
                                        ; implicit-def: $vgpr56
	s_and_saveexec_b64 s[2:3], vcc
	s_cbranch_execz .LBB63_264
; %bb.252:                              ;   in Loop: Header=BB63_33 Depth=1
	s_mov_b64 s[26:27], 0
	v_pk_mov_b32 v[4:5], v[10:11], v[10:11] op_sel:[0,1]
	v_pk_mov_b32 v[6:7], v[0:1], v[0:1] op_sel:[0,1]
                                        ; implicit-def: $sgpr40_sgpr41
	s_branch .LBB63_254
.LBB63_253:                             ;   in Loop: Header=BB63_254 Depth=2
	s_or_b64 exec, exec, s[6:7]
	s_waitcnt lgkmcnt(0)
	s_barrier
	s_waitcnt vmcnt(0)
	ds_read_b32 v8, v13 offset:3072
	v_mov_b32_e32 v9, s84
	v_add_co_u32_e64 v6, s[6:7], s33, v6
	v_addc_co_u32_e64 v7, s[6:7], v7, v9, s[6:7]
	s_waitcnt lgkmcnt(0)
	v_cmp_neq_f16_e32 vcc, 0, v8
	v_cmp_ge_i64_e64 s[6:7], v[6:7], v[2:3]
	s_or_b64 s[42:43], vcc, s[6:7]
	v_mov_b32_e32 v9, s77
	v_add_co_u32_e64 v4, s[6:7], s76, v4
	v_addc_co_u32_e64 v5, s[6:7], v5, v9, s[6:7]
	s_and_b64 s[6:7], exec, s[42:43]
	s_or_b64 s[26:27], s[6:7], s[26:27]
	s_andn2_b64 s[6:7], s[40:41], exec
	s_and_b64 s[40:41], vcc, exec
	s_or_b64 s[40:41], s[6:7], s[40:41]
	s_barrier
	s_andn2_b64 exec, exec, s[26:27]
	s_cbranch_execz .LBB63_263
.LBB63_254:                             ;   Parent Loop BB63_33 Depth=1
                                        ; =>  This Inner Loop Header: Depth=2
	v_cmp_gt_i64_e32 vcc, s[52:53], v[6:7]
	v_mov_b32_e32 v8, 0
	s_and_saveexec_b64 s[6:7], vcc
	s_cbranch_execz .LBB63_256
; %bb.255:                              ;   in Loop: Header=BB63_254 Depth=2
	global_load_ushort v8, v[4:5], off
.LBB63_256:                             ;   in Loop: Header=BB63_254 Depth=2
	s_or_b64 exec, exec, s[6:7]
	s_and_saveexec_b64 s[6:7], vcc
	s_cbranch_execz .LBB63_253
; %bb.257:                              ;   in Loop: Header=BB63_254 Depth=2
	s_waitcnt vmcnt(0)
	v_cmp_lt_i16_e32 vcc, -1, v8
	v_cndmask_b32_e32 v9, v51, v52, vcc
	v_xor_b32_sdwa v9, v9, v8 dst_sel:DWORD dst_unused:UNUSED_PAD src0_sel:DWORD src1_sel:WORD_0
	v_cmp_o_f16_e32 vcc, v8, v8
	v_cndmask_b32_e32 v9, v51, v9, vcc
	v_and_b32_e32 v9, s95, v9
	v_cmp_eq_u32_e32 vcc, s60, v9
	s_and_b64 exec, exec, vcc
	s_cbranch_execz .LBB63_253
; %bb.258:                              ;   in Loop: Header=BB63_254 Depth=2
	v_perm_b32 v8, v8, s66, v55
	ds_write_b32 v13, v8 offset:3072
	s_branch .LBB63_253
.LBB63_259:                             ;   in Loop: Header=BB63_33 Depth=1
                                        ; implicit-def: $sgpr2_sgpr3
                                        ; implicit-def: $sgpr26_sgpr27
                                        ; implicit-def: $sgpr6_sgpr7
	s_branch .LBB63_278
.LBB63_260:                             ;   in Loop: Header=BB63_33 Depth=1
                                        ; implicit-def: $vgpr2_vgpr3
	s_branch .LBB63_203
.LBB63_261:                             ;   in Loop: Header=BB63_33 Depth=1
                                        ; implicit-def: $vgpr2_vgpr3
	s_branch .LBB63_220
.LBB63_262:                             ;   in Loop: Header=BB63_33 Depth=1
	s_mov_b64 s[2:3], -1
	s_mov_b64 s[40:41], 0
                                        ; implicit-def: $sgpr6_sgpr7
                                        ; implicit-def: $vgpr56
	s_mov_b64 s[26:27], s[2:3]
	s_cbranch_execnz .LBB63_265
	s_branch .LBB63_278
.LBB63_263:                             ;   in Loop: Header=BB63_33 Depth=1
	s_or_b64 exec, exec, s[26:27]
	v_lshrrev_b32_e32 v56, 16, v8
	s_and_b64 s[40:41], s[40:41], exec
.LBB63_264:                             ;   in Loop: Header=BB63_33 Depth=1
	s_or_b64 exec, exec, s[2:3]
	s_mov_b64 s[6:7], -1
	s_mov_b64 s[2:3], 0
	s_mov_b64 s[26:27], s[2:3]
	s_branch .LBB63_278
.LBB63_265:                             ;   in Loop: Header=BB63_33 Depth=1
	v_readlane_b32 s2, v58, 24
	s_add_u32 s26, s2, s38
	v_readlane_b32 s2, v58, 25
	s_addc_u32 s3, s2, s39
	s_mov_b32 s2, s75
	s_cmp_lg_u64 s[2:3], 0
	s_cbranch_scc0 .LBB63_299
; %bb.266:                              ;   in Loop: Header=BB63_33 Depth=1
	v_cvt_f32_u32_e32 v2, s33
	s_sub_u32 s2, 0, s33
	s_subb_u32 s6, 0, 0
	v_mac_f32_e32 v2, 0x4f800000, v53
	v_rcp_f32_e32 v2, v2
	v_mul_f32_e32 v2, 0x5f7ffffc, v2
	v_mul_f32_e32 v3, 0x2f800000, v2
	v_trunc_f32_e32 v3, v3
	v_mac_f32_e32 v2, 0xcf800000, v3
	v_cvt_u32_f32_e32 v3, v3
	v_cvt_u32_f32_e32 v2, v2
	v_readfirstlane_b32 s7, v3
	v_readfirstlane_b32 s27, v2
	s_mul_i32 s40, s2, s7
	s_mul_hi_u32 s42, s2, s27
	s_mul_i32 s41, s6, s27
	s_add_i32 s40, s42, s40
	s_mul_i32 s43, s2, s27
	s_add_i32 s40, s40, s41
	s_mul_hi_u32 s42, s27, s43
	s_mul_hi_u32 s41, s27, s40
	s_mul_i32 s27, s27, s40
	s_add_u32 s27, s42, s27
	s_addc_u32 s41, 0, s41
	s_mul_hi_u32 s44, s7, s43
	s_mul_i32 s43, s7, s43
	s_add_u32 s27, s27, s43
	s_mul_hi_u32 s42, s7, s40
	s_addc_u32 s27, s41, s44
	s_addc_u32 s41, s42, 0
	s_mul_i32 s40, s7, s40
	s_add_u32 s27, s27, s40
	s_addc_u32 s40, 0, s41
	v_add_co_u32_e32 v2, vcc, s27, v2
	s_cmp_lg_u64 vcc, 0
	s_addc_u32 s7, s7, s40
	v_readfirstlane_b32 s40, v2
	s_mul_i32 s27, s2, s7
	s_mul_hi_u32 s41, s2, s40
	s_add_i32 s27, s41, s27
	s_mul_i32 s6, s6, s40
	s_add_i32 s27, s27, s6
	s_mul_i32 s2, s2, s40
	s_mul_hi_u32 s41, s7, s2
	s_mul_i32 s42, s7, s2
	s_mul_i32 s44, s40, s27
	s_mul_hi_u32 s2, s40, s2
	s_mul_hi_u32 s43, s40, s27
	s_add_u32 s2, s2, s44
	s_addc_u32 s40, 0, s43
	s_add_u32 s2, s2, s42
	s_mul_hi_u32 s6, s7, s27
	s_addc_u32 s2, s40, s41
	s_addc_u32 s6, s6, 0
	s_mul_i32 s27, s7, s27
	s_add_u32 s2, s2, s27
	s_addc_u32 s6, 0, s6
	v_add_co_u32_e32 v2, vcc, s2, v2
	s_cmp_lg_u64 vcc, 0
	s_addc_u32 s2, s7, s6
	s_ashr_i32 s6, s3, 31
	s_add_u32 s40, s26, s6
	s_mov_b32 s7, s6
	s_addc_u32 s41, s3, s6
	s_xor_b64 s[40:41], s[40:41], s[6:7]
	v_readfirstlane_b32 s42, v2
	s_mul_i32 s27, s40, s2
	s_mul_hi_u32 s43, s40, s42
	s_mul_hi_u32 s7, s40, s2
	s_add_u32 s27, s43, s27
	s_addc_u32 s7, 0, s7
	s_mul_hi_u32 s44, s41, s42
	s_mul_i32 s42, s41, s42
	s_add_u32 s27, s27, s42
	s_mul_hi_u32 s43, s41, s2
	s_addc_u32 s7, s7, s44
	s_addc_u32 s27, s43, 0
	s_mul_i32 s2, s41, s2
	s_add_u32 s2, s7, s2
	s_addc_u32 s7, 0, s27
	s_mul_hi_u32 s27, s33, s2
	s_mul_i32 s2, s33, s2
	s_mul_i32 s7, s33, s7
	v_mov_b32_e32 v2, s2
	s_add_i32 s27, s27, s7
	v_sub_co_u32_e32 v2, vcc, s40, v2
	s_cmp_lg_u64 vcc, 0
	s_subb_u32 s2, s41, s27
	v_subrev_co_u32_e32 v3, vcc, s33, v2
	s_cmp_lg_u64 vcc, 0
	s_subb_u32 s7, s2, 0
	v_subrev_co_u32_e32 v4, vcc, s33, v3
	s_cmp_lg_u64 vcc, 0
	s_subb_u32 s27, s7, 0
	v_cmp_le_u32_e32 vcc, s33, v3
	s_cmp_eq_u32 s7, 0
	v_cndmask_b32_e64 v5, 0, -1, vcc
	s_cselect_b64 vcc, -1, 0
	v_cndmask_b32_e32 v5, -1, v5, vcc
	v_mov_b32_e32 v6, s7
	v_mov_b32_e32 v7, s27
	v_cmp_ne_u32_e32 vcc, 0, v5
	v_cndmask_b32_e32 v5, v6, v7, vcc
	v_cndmask_b32_e32 v3, v3, v4, vcc
	v_cmp_le_u32_e32 vcc, s33, v2
	s_cmp_eq_u32 s2, 0
	v_cndmask_b32_e64 v4, 0, -1, vcc
	s_cselect_b64 vcc, -1, 0
	v_cndmask_b32_e32 v4, -1, v4, vcc
	v_cmp_ne_u32_e32 vcc, 0, v4
	v_mov_b32_e32 v6, s2
	v_cndmask_b32_e32 v2, v2, v3, vcc
	v_cndmask_b32_e32 v4, v6, v5, vcc
	v_xor_b32_e32 v2, s6, v2
	v_xor_b32_e32 v3, s6, v4
	v_mov_b32_e32 v4, s6
	v_subrev_co_u32_e32 v2, vcc, s6, v2
	v_subb_co_u32_e32 v3, vcc, v3, v4, vcc
	s_cbranch_execnz .LBB63_268
.LBB63_267:                             ;   in Loop: Header=BB63_33 Depth=1
	v_cvt_f32_u32_e32 v2, s33
	s_sub_i32 s2, 0, s33
	v_rcp_iflag_f32_e32 v2, v2
	v_mul_f32_e32 v2, 0x4f7ffffe, v2
	v_cvt_u32_f32_e32 v2, v2
	v_mul_lo_u32 v3, s2, v2
	v_mul_hi_u32 v3, v2, v3
	v_add_u32_e32 v2, v2, v3
	v_mul_hi_u32 v2, s26, v2
	v_mul_lo_u32 v2, v2, s33
	v_sub_u32_e32 v2, s26, v2
	v_subrev_u32_e32 v3, s33, v2
	v_cmp_le_u32_e32 vcc, s33, v2
	v_cndmask_b32_e32 v2, v2, v3, vcc
	v_subrev_u32_e32 v3, s33, v2
	v_cmp_le_u32_e32 vcc, s33, v2
	v_cndmask_b32_e32 v12, v2, v3, vcc
	v_pk_mov_b32 v[2:3], v[12:13], v[12:13] op_sel:[0,1]
.LBB63_268:                             ;   in Loop: Header=BB63_33 Depth=1
	v_mov_b32_e32 v4, s3
	v_sub_co_u32_e32 v2, vcc, s26, v2
	v_subb_co_u32_e32 v3, vcc, v4, v3, vcc
	v_cmp_gt_i64_e32 vcc, v[2:3], v[0:1]
	s_mov_b64 s[40:41], 0
                                        ; implicit-def: $vgpr56
	s_and_saveexec_b64 s[2:3], vcc
	s_cbranch_execz .LBB63_277
; %bb.269:                              ;   in Loop: Header=BB63_33 Depth=1
	s_mov_b64 s[26:27], 0
	v_mov_b32_e32 v6, v43
	v_pk_mov_b32 v[4:5], v[0:1], v[0:1] op_sel:[0,1]
                                        ; implicit-def: $sgpr40_sgpr41
	s_branch .LBB63_271
.LBB63_270:                             ;   in Loop: Header=BB63_271 Depth=2
	s_or_b64 exec, exec, s[6:7]
	s_waitcnt lgkmcnt(0)
	s_barrier
	ds_read_b32 v7, v13 offset:3072
	v_mov_b32_e32 v8, s84
	v_add_co_u32_e64 v4, s[6:7], s33, v4
	v_addc_co_u32_e64 v5, s[6:7], v5, v8, s[6:7]
	s_waitcnt lgkmcnt(0)
	v_cmp_neq_f16_e32 vcc, 0, v7
	v_cmp_ge_i64_e64 s[6:7], v[4:5], v[2:3]
	s_or_b64 s[6:7], vcc, s[6:7]
	s_and_b64 s[6:7], exec, s[6:7]
	s_or_b64 s[26:27], s[6:7], s[26:27]
	s_andn2_b64 s[6:7], s[40:41], exec
	s_and_b64 s[40:41], vcc, exec
	v_add_u32_e32 v6, s94, v6
	s_or_b64 s[40:41], s[6:7], s[40:41]
	s_barrier
	s_andn2_b64 exec, exec, s[26:27]
	s_cbranch_execz .LBB63_276
.LBB63_271:                             ;   Parent Loop BB63_33 Depth=1
                                        ; =>  This Inner Loop Header: Depth=2
	v_cmp_gt_i64_e32 vcc, s[38:39], v[4:5]
	v_mov_b32_e32 v7, 0
	s_and_saveexec_b64 s[6:7], vcc
	s_cbranch_execz .LBB63_273
; %bb.272:                              ;   in Loop: Header=BB63_271 Depth=2
	ds_read_u16 v7, v6
.LBB63_273:                             ;   in Loop: Header=BB63_271 Depth=2
	s_or_b64 exec, exec, s[6:7]
	s_and_saveexec_b64 s[6:7], vcc
	s_cbranch_execz .LBB63_270
; %bb.274:                              ;   in Loop: Header=BB63_271 Depth=2
	s_waitcnt lgkmcnt(0)
	v_cmp_lt_i16_e32 vcc, -1, v7
	v_cndmask_b32_e32 v8, v51, v52, vcc
	v_xor_b32_sdwa v8, v8, v7 dst_sel:DWORD dst_unused:UNUSED_PAD src0_sel:DWORD src1_sel:WORD_0
	v_cmp_o_f16_e32 vcc, v7, v7
	v_cndmask_b32_e32 v8, v51, v8, vcc
	v_and_b32_e32 v8, s95, v8
	v_cmp_eq_u32_e32 vcc, s60, v8
	s_and_b64 exec, exec, vcc
	s_cbranch_execz .LBB63_270
; %bb.275:                              ;   in Loop: Header=BB63_271 Depth=2
	v_perm_b32 v7, v7, s66, v55
	ds_write_b32 v13, v7 offset:3072
	s_branch .LBB63_270
.LBB63_276:                             ;   in Loop: Header=BB63_33 Depth=1
	s_or_b64 exec, exec, s[26:27]
	v_lshrrev_b32_e32 v56, 16, v7
	s_and_b64 s[40:41], s[40:41], exec
.LBB63_277:                             ;   in Loop: Header=BB63_33 Depth=1
	s_or_b64 exec, exec, s[2:3]
	s_mov_b64 s[26:27], -1
	s_mov_b64 s[2:3], 0
	s_mov_b64 s[6:7], 0
.LBB63_278:                             ;   in Loop: Header=BB63_33 Depth=1
	s_mov_b64 s[42:43], 0
                                        ; implicit-def: $sgpr47
                                        ; implicit-def: $sgpr44_sgpr45
	s_and_saveexec_b64 s[38:39], s[40:41]
	s_cbranch_execz .LBB63_291
; %bb.279:                              ;   in Loop: Header=BB63_33 Depth=1
	s_xor_b64 s[16:17], s[16:17], -1
	s_mov_b64 s[44:45], 1
	s_andn2_b64 vcc, exec, s[16:17]
	s_mov_b32 s47, 1
	s_cbranch_vccnz .LBB63_290
; %bb.280:                              ;   in Loop: Header=BB63_33 Depth=1
	v_pk_mov_b32 v[2:3], s[10:11], s[10:11] op_sel:[0,1]
	v_cmp_gt_i64_e32 vcc, s[54:55], v[2:3]
	s_cbranch_vccnz .LBB63_286
; %bb.281:                              ;   in Loop: Header=BB63_33 Depth=1
	ds_read_b64 v[2:3], v13 offset:5120
	s_waitcnt lgkmcnt(0)
	v_cmp_ne_u64_e32 vcc, 0, v[2:3]
	s_cbranch_vccnz .LBB63_285
; %bb.282:                              ;   in Loop: Header=BB63_33 Depth=1
	s_mov_b64 s[16:17], exec
	v_readlane_b32 s40, v58, 12
	v_readlane_b32 s41, v58, 13
	s_and_b64 s[40:41], s[16:17], s[40:41]
	s_mov_b64 exec, s[40:41]
	s_cbranch_execz .LBB63_284
; %bb.283:                              ;   in Loop: Header=BB63_33 Depth=1
	v_pk_mov_b32 v[2:3], s[10:11], s[10:11] op_sel:[0,1]
	ds_write_b64 v13, v[2:3] offset:5128
.LBB63_284:                             ;   in Loop: Header=BB63_33 Depth=1
	s_or_b64 exec, exec, s[16:17]
	s_waitcnt lgkmcnt(0)
	s_barrier
.LBB63_285:                             ;   in Loop: Header=BB63_33 Depth=1
	s_or_b32 s40, s60, s46
	s_or_b32 s41, s95, s46
	s_mov_b64 s[16:17], 0
	s_mov_b32 s47, 8
	s_branch .LBB63_287
.LBB63_286:                             ;   in Loop: Header=BB63_33 Depth=1
	s_mov_b64 s[16:17], -1
                                        ; implicit-def: $sgpr47
                                        ; implicit-def: $sgpr40
                                        ; implicit-def: $sgpr41
.LBB63_287:                             ;   in Loop: Header=BB63_33 Depth=1
	s_andn2_b64 vcc, exec, s[16:17]
	s_cbranch_vccnz .LBB63_289
; %bb.288:                              ;   in Loop: Header=BB63_33 Depth=1
	s_sub_u32 s54, s54, s10
	s_subb_u32 s55, s55, s11
	s_mov_b32 s47, 8
	s_mov_b32 s40, s60
	;; [unrolled: 1-line block ×3, first 2 shown]
.LBB63_289:                             ;   in Loop: Header=BB63_33 Depth=1
	s_mov_b64 s[44:45], s[54:55]
	s_mov_b32 s60, s40
	s_mov_b32 s95, s41
.LBB63_290:                             ;   in Loop: Header=BB63_33 Depth=1
	s_mov_b64 s[42:43], exec
.LBB63_291:                             ;   in Loop: Header=BB63_33 Depth=1
	s_or_b64 exec, exec, s[38:39]
	s_mov_b64 s[54:55], s[44:45]
.LBB63_292:                             ;   in Loop: Header=BB63_33 Depth=1
	s_andn2_b64 s[10:11], s[28:29], exec
	s_and_b64 s[2:3], s[2:3], exec
	s_or_b64 s[28:29], s[10:11], s[2:3]
	s_andn2_b64 s[2:3], s[34:35], exec
	s_and_b64 s[10:11], s[26:27], exec
	s_or_b64 s[34:35], s[2:3], s[10:11]
	;; [unrolled: 3-line block ×3, first 2 shown]
	s_and_b64 s[6:7], s[42:43], exec
	s_mov_b64 s[42:43], s[0:1]
.LBB63_293:                             ;   in Loop: Header=BB63_33 Depth=1
	s_or_b64 exec, exec, s[36:37]
	s_mov_b64 s[0:1], s[8:9]
	s_mov_b64 s[36:37], s[72:73]
	;; [unrolled: 1-line block ×3, first 2 shown]
.LBB63_294:                             ;   in Loop: Header=BB63_33 Depth=1
	s_andn2_b64 s[2:3], s[20:21], exec
	s_and_b64 s[10:11], s[28:29], exec
	s_or_b64 s[20:21], s[2:3], s[10:11]
	s_andn2_b64 s[2:3], s[22:23], exec
	s_and_b64 s[10:11], s[34:35], exec
	s_or_b64 s[22:23], s[2:3], s[10:11]
	;; [unrolled: 3-line block ×3, first 2 shown]
	s_and_b64 s[6:7], s[6:7], exec
	s_mov_b64 s[34:35], s[82:83]
.LBB63_295:                             ;   in Loop: Header=BB63_33 Depth=1
	s_or_b64 exec, exec, s[24:25]
	v_readlane_b32 s4, v58, 43
	v_readlane_b32 s5, v58, 44
	s_and_saveexec_b64 s[2:3], s[6:7]
	s_xor_b64 s[2:3], exec, s[2:3]
	s_cbranch_execz .LBB63_31
.LBB63_296:                             ;   in Loop: Header=BB63_33 Depth=1
	s_and_b32 s6, s47, -9
	s_cmp_eq_u32 s6, 0
	s_cbranch_scc1 .LBB63_29
; %bb.297:                              ;   in Loop: Header=BB63_33 Depth=1
	s_mov_b64 s[6:7], -1
                                        ; implicit-def: $sgpr95
                                        ; implicit-def: $sgpr80
                                        ; implicit-def: $sgpr85
	s_mov_b64 s[10:11], -1
	s_branch .LBB63_30
.LBB63_298:                             ;   in Loop: Header=BB63_33 Depth=1
                                        ; implicit-def: $vgpr2_vgpr3
	s_branch .LBB63_250
.LBB63_299:                             ;   in Loop: Header=BB63_33 Depth=1
                                        ; implicit-def: $vgpr2_vgpr3
	s_branch .LBB63_267
.LBB63_300:
	s_or_b64 exec, exec, s[70:71]
	s_xor_b64 s[4:5], s[34:35], -1
	s_xor_b64 s[0:1], s[36:37], -1
	;; [unrolled: 1-line block ×3, first 2 shown]
	s_mov_b64 s[2:3], 0
	s_and_saveexec_b64 s[8:9], s[0:1]
	s_xor_b64 s[0:1], exec, s[8:9]
	s_cbranch_execnz .LBB63_305
; %bb.301:
	s_andn2_saveexec_b64 s[0:1], s[0:1]
	s_cbranch_execnz .LBB63_327
.LBB63_302:
	s_or_b64 exec, exec, s[0:1]
	s_and_saveexec_b64 s[0:1], s[2:3]
.LBB63_303:
	; divergent unreachable
.LBB63_304:
	s_endpgm
.LBB63_305:
	s_and_saveexec_b64 s[2:3], s[4:5]
	s_xor_b64 s[4:5], exec, s[2:3]
	s_cbranch_execz .LBB63_325
; %bb.306:
	s_and_saveexec_b64 s[2:3], s[6:7]
	s_xor_b64 s[2:3], exec, s[2:3]
; %bb.307:
	v_and_b32_e32 v3, 0x8000, v2
	v_mov_b32_e32 v4, 0x8000
	v_mov_b32_e32 v5, 0xffff
	v_cmp_eq_u32_e32 vcc, 0, v3
	v_cndmask_b32_e32 v3, v4, v5, vcc
	v_xor_b32_e32 v56, v3, v2
; %bb.308:
	s_or_b64 exec, exec, s[2:3]
	s_mov_b64 s[2:3], exec
	v_readlane_b32 s6, v58, 12
	v_readlane_b32 s7, v58, 13
	s_and_b64 s[6:7], s[2:3], s[6:7]
	s_mov_b64 exec, s[6:7]
	s_cbranch_execz .LBB63_310
; %bb.309:
	v_mov_b32_e32 v2, 0
	v_mov_b32_e32 v3, s52
	ds_write_b32 v2, v3 offset:5140
.LBB63_310:
	s_or_b64 exec, exec, s[2:3]
	s_waitcnt lgkmcnt(0)
	s_barrier
	s_mov_b64 s[6:7], exec
	v_readlane_b32 s2, v58, 20
	v_readlane_b32 s3, v58, 21
	s_and_b64 s[2:3], s[6:7], s[2:3]
	s_mov_b64 exec, s[2:3]
	s_cbranch_execz .LBB63_322
; %bb.311:
	v_mov_b32_e32 v2, 0
	ds_read_b32 v4, v2 offset:5140
	v_cmp_u_f16_e32 vcc, v56, v56
	s_mov_b64 s[8:9], 0
	s_xor_b64 s[10:11], vcc, -1
                                        ; implicit-def: $sgpr12_sgpr13
                                        ; implicit-def: $sgpr14_sgpr15
                                        ; implicit-def: $sgpr16_sgpr17
	s_waitcnt lgkmcnt(0)
	v_ashrrev_i32_e32 v5, 31, v4
	s_branch .LBB63_314
.LBB63_312:                             ;   in Loop: Header=BB63_314 Depth=1
	s_or_b64 exec, exec, s[22:23]
	s_andn2_b64 s[16:17], s[16:17], exec
	s_and_b64 s[2:3], s[2:3], exec
	s_or_b64 s[16:17], s[16:17], s[2:3]
	s_andn2_b64 s[2:3], s[14:15], exec
	s_and_b64 s[14:15], s[20:21], exec
	s_or_b64 s[14:15], s[2:3], s[14:15]
.LBB63_313:                             ;   in Loop: Header=BB63_314 Depth=1
	s_or_b64 exec, exec, s[18:19]
	s_and_b64 s[2:3], exec, s[14:15]
	s_or_b64 s[8:9], s[2:3], s[8:9]
	s_andn2_b64 s[2:3], s[12:13], exec
	s_and_b64 s[12:13], s[16:17], exec
	s_or_b64 s[12:13], s[2:3], s[12:13]
	s_andn2_b64 exec, exec, s[8:9]
	s_cbranch_execz .LBB63_317
.LBB63_314:                             ; =>This Inner Loop Header: Depth=1
	v_pk_mov_b32 v[2:3], v[0:1], v[0:1] op_sel:[0,1]
	v_cmp_lt_i64_e32 vcc, v[2:3], v[4:5]
	s_or_b64 s[16:17], s[16:17], exec
	s_or_b64 s[14:15], s[14:15], exec
                                        ; implicit-def: $vgpr0_vgpr1
	s_and_saveexec_b64 s[18:19], vcc
	s_cbranch_execz .LBB63_313
; %bb.315:                              ;   in Loop: Header=BB63_314 Depth=1
	global_load_ushort v0, v[10:11], off
	s_mov_b64 s[20:21], -1
	s_waitcnt vmcnt(0)
	v_cmp_o_f16_e64 s[2:3], v0, v0
	v_cmp_neq_f16_e32 vcc, v0, v56
	s_or_b64 s[2:3], s[10:11], s[2:3]
	s_and_b64 s[24:25], vcc, s[2:3]
	s_mov_b64 s[2:3], 0
                                        ; implicit-def: $vgpr0_vgpr1
	s_and_saveexec_b64 s[22:23], s[24:25]
	s_cbranch_execz .LBB63_312
; %bb.316:                              ;   in Loop: Header=BB63_314 Depth=1
	v_mov_b32_e32 v1, s84
	v_add_co_u32_e32 v0, vcc, s33, v2
	v_addc_co_u32_e32 v1, vcc, v3, v1, vcc
	v_mov_b32_e32 v3, s77
	v_add_co_u32_e32 v10, vcc, s76, v10
	v_addc_co_u32_e32 v11, vcc, v11, v3, vcc
	v_cmp_le_i64_e32 vcc, s[52:53], v[0:1]
	s_mov_b64 s[2:3], exec
	s_orn2_b64 s[20:21], vcc, exec
	s_branch .LBB63_312
.LBB63_317:
	s_or_b64 exec, exec, s[8:9]
	s_xor_b64 s[2:3], s[12:13], -1
	s_and_saveexec_b64 s[8:9], s[2:3]
	s_xor_b64 s[8:9], exec, s[8:9]
	s_cbranch_execz .LBB63_322
; %bb.318:
	s_mov_b64 s[2:3], exec
	s_brev_b32 s8, -2
.LBB63_319:                             ; =>This Inner Loop Header: Depth=1
	s_ff1_i32_b64 s9, s[2:3]
	v_readlane_b32 s12, v2, s9
	s_lshl_b64 s[10:11], 1, s9
	s_min_i32 s8, s8, s12
	s_andn2_b64 s[2:3], s[2:3], s[10:11]
	s_cmp_lg_u64 s[2:3], 0
	s_cbranch_scc1 .LBB63_319
; %bb.320:
	v_mbcnt_lo_u32_b32 v0, exec_lo, 0
	v_mbcnt_hi_u32_b32 v0, exec_hi, v0
	v_cmp_eq_u32_e32 vcc, 0, v0
	s_and_saveexec_b64 s[2:3], vcc
	s_xor_b64 s[2:3], exec, s[2:3]
	s_cbranch_execz .LBB63_322
; %bb.321:
	v_mov_b32_e32 v0, 0
	v_mov_b32_e32 v1, s8
	ds_min_i32 v0, v1 offset:5140
.LBB63_322:
	s_or_b64 exec, exec, s[6:7]
	s_waitcnt lgkmcnt(0)
	s_barrier
	s_mov_b64 s[2:3], exec
	v_readlane_b32 s6, v58, 12
	v_readlane_b32 s7, v58, 13
	s_and_b64 s[6:7], s[2:3], s[6:7]
	s_mov_b64 exec, s[6:7]
	s_cbranch_execz .LBB63_324
; %bb.323:
	v_readlane_b32 s8, v58, 0
	v_readlane_b32 s9, v58, 1
	;; [unrolled: 1-line block ×4, first 2 shown]
	s_mul_i32 s6, s10, s9
	s_mul_hi_u32 s7, s10, s8
	s_add_i32 s6, s7, s6
	s_mul_i32 s7, s11, s8
	s_add_i32 s7, s6, s7
	s_mul_i32 s6, s10, s8
	v_readlane_b32 s10, v58, 8
	v_readlane_b32 s11, v58, 9
	s_mul_i32 s8, s10, s49
	s_mul_hi_u32 s9, s10, s48
	s_add_i32 s8, s9, s8
	s_mul_i32 s9, s11, s48
	s_add_i32 s9, s8, s9
	s_mul_i32 s8, s10, s48
	s_lshl_b64 s[6:7], s[6:7], 1
	v_readlane_b32 s10, v58, 6
	v_readlane_b32 s11, v58, 7
	s_add_u32 s10, s10, s6
	s_addc_u32 s11, s11, s7
	v_readlane_b32 s6, v58, 2
	v_readlane_b32 s7, v58, 3
	s_lshl_b64 s[6:7], s[6:7], 1
	v_mov_b32_e32 v2, 0
	s_add_u32 s6, s10, s6
	ds_read_b32 v0, v2 offset:5140
	s_addc_u32 s7, s11, s7
	s_lshl_b64 s[8:9], s[8:9], 3
	v_readlane_b32 s10, v58, 10
	v_readlane_b32 s11, v58, 11
	s_add_u32 s10, s10, s8
	s_addc_u32 s11, s11, s9
	s_lshl_b64 s[8:9], s[62:63], 3
	s_add_u32 s8, s10, s8
	s_addc_u32 s9, s11, s9
	s_waitcnt lgkmcnt(0)
	v_ashrrev_i32_e32 v1, 31, v0
	global_store_dwordx2 v2, v[0:1], s[8:9]
	global_store_short v2, v56, s[6:7]
.LBB63_324:
	s_or_b64 exec, exec, s[2:3]
.LBB63_325:
	s_or_saveexec_b64 s[2:3], s[4:5]
	s_mov_b64 s[4:5], 0
	s_xor_b64 exec, exec, s[2:3]
	s_cbranch_execnz .LBB63_328
.LBB63_326:
	s_or_b64 exec, exec, s[2:3]
	s_and_b64 s[2:3], s[4:5], exec
	s_andn2_saveexec_b64 s[0:1], s[0:1]
	s_cbranch_execz .LBB63_302
.LBB63_327:
	s_or_b64 s[2:3], s[2:3], exec
	s_trap 2
	s_or_b64 exec, exec, s[0:1]
	s_and_saveexec_b64 s[0:1], s[2:3]
	s_cbranch_execnz .LBB63_303
	s_branch .LBB63_304
.LBB63_328:
	s_mov_b64 s[4:5], exec
	s_trap 2
	s_branch .LBB63_326
	.section	.rodata,"a",@progbits
	.p2align	6, 0x0
	.amdhsa_kernel _ZN2at6native12_GLOBAL__N_114gatherKthValueIN3c104HalfElLin1EEEvNS_4cuda6detail10TensorInfoIKT_T0_EESA_SA_SA_SA_NS7_IS8_SA_EENS7_IlSA_EE
		.amdhsa_group_segment_fixed_size 5144
		.amdhsa_private_segment_fixed_size 0
		.amdhsa_kernarg_size 1536
		.amdhsa_user_sgpr_count 6
		.amdhsa_user_sgpr_private_segment_buffer 1
		.amdhsa_user_sgpr_dispatch_ptr 0
		.amdhsa_user_sgpr_queue_ptr 0
		.amdhsa_user_sgpr_kernarg_segment_ptr 1
		.amdhsa_user_sgpr_dispatch_id 0
		.amdhsa_user_sgpr_flat_scratch_init 0
		.amdhsa_user_sgpr_kernarg_preload_length 0
		.amdhsa_user_sgpr_kernarg_preload_offset 0
		.amdhsa_user_sgpr_private_segment_size 0
		.amdhsa_uses_dynamic_stack 0
		.amdhsa_system_sgpr_private_segment_wavefront_offset 0
		.amdhsa_system_sgpr_workgroup_id_x 1
		.amdhsa_system_sgpr_workgroup_id_y 1
		.amdhsa_system_sgpr_workgroup_id_z 1
		.amdhsa_system_sgpr_workgroup_info 0
		.amdhsa_system_vgpr_workitem_id 0
		.amdhsa_next_free_vgpr 59
		.amdhsa_next_free_sgpr 96
		.amdhsa_accum_offset 60
		.amdhsa_reserve_vcc 1
		.amdhsa_reserve_flat_scratch 0
		.amdhsa_float_round_mode_32 0
		.amdhsa_float_round_mode_16_64 0
		.amdhsa_float_denorm_mode_32 3
		.amdhsa_float_denorm_mode_16_64 3
		.amdhsa_dx10_clamp 1
		.amdhsa_ieee_mode 1
		.amdhsa_fp16_overflow 0
		.amdhsa_tg_split 0
		.amdhsa_exception_fp_ieee_invalid_op 0
		.amdhsa_exception_fp_denorm_src 0
		.amdhsa_exception_fp_ieee_div_zero 0
		.amdhsa_exception_fp_ieee_overflow 0
		.amdhsa_exception_fp_ieee_underflow 0
		.amdhsa_exception_fp_ieee_inexact 0
		.amdhsa_exception_int_div_zero 0
	.end_amdhsa_kernel
	.section	.text._ZN2at6native12_GLOBAL__N_114gatherKthValueIN3c104HalfElLin1EEEvNS_4cuda6detail10TensorInfoIKT_T0_EESA_SA_SA_SA_NS7_IS8_SA_EENS7_IlSA_EE,"axG",@progbits,_ZN2at6native12_GLOBAL__N_114gatherKthValueIN3c104HalfElLin1EEEvNS_4cuda6detail10TensorInfoIKT_T0_EESA_SA_SA_SA_NS7_IS8_SA_EENS7_IlSA_EE,comdat
.Lfunc_end63:
	.size	_ZN2at6native12_GLOBAL__N_114gatherKthValueIN3c104HalfElLin1EEEvNS_4cuda6detail10TensorInfoIKT_T0_EESA_SA_SA_SA_NS7_IS8_SA_EENS7_IlSA_EE, .Lfunc_end63-_ZN2at6native12_GLOBAL__N_114gatherKthValueIN3c104HalfElLin1EEEvNS_4cuda6detail10TensorInfoIKT_T0_EESA_SA_SA_SA_NS7_IS8_SA_EENS7_IlSA_EE
                                        ; -- End function
	.section	.AMDGPU.csdata,"",@progbits
; Kernel info:
; codeLenInByte = 19580
; NumSgprs: 100
; NumVgprs: 59
; NumAgprs: 0
; TotalNumVgprs: 59
; ScratchSize: 0
; MemoryBound: 0
; FloatMode: 240
; IeeeMode: 1
; LDSByteSize: 5144 bytes/workgroup (compile time only)
; SGPRBlocks: 12
; VGPRBlocks: 7
; NumSGPRsForWavesPerEU: 100
; NumVGPRsForWavesPerEU: 59
; AccumOffset: 60
; Occupancy: 8
; WaveLimiterHint : 1
; COMPUTE_PGM_RSRC2:SCRATCH_EN: 0
; COMPUTE_PGM_RSRC2:USER_SGPR: 6
; COMPUTE_PGM_RSRC2:TRAP_HANDLER: 0
; COMPUTE_PGM_RSRC2:TGID_X_EN: 1
; COMPUTE_PGM_RSRC2:TGID_Y_EN: 1
; COMPUTE_PGM_RSRC2:TGID_Z_EN: 1
; COMPUTE_PGM_RSRC2:TIDIG_COMP_CNT: 0
; COMPUTE_PGM_RSRC3_GFX90A:ACCUM_OFFSET: 14
; COMPUTE_PGM_RSRC3_GFX90A:TG_SPLIT: 0
	.section	.text._ZN2at6native12_GLOBAL__N_114gatherKthValueIN3c108BFloat16EiLi1EEEvNS_4cuda6detail10TensorInfoIKT_T0_EESA_SA_SA_SA_NS7_IS8_SA_EENS7_IlSA_EE,"axG",@progbits,_ZN2at6native12_GLOBAL__N_114gatherKthValueIN3c108BFloat16EiLi1EEEvNS_4cuda6detail10TensorInfoIKT_T0_EESA_SA_SA_SA_NS7_IS8_SA_EENS7_IlSA_EE,comdat
	.globl	_ZN2at6native12_GLOBAL__N_114gatherKthValueIN3c108BFloat16EiLi1EEEvNS_4cuda6detail10TensorInfoIKT_T0_EESA_SA_SA_SA_NS7_IS8_SA_EENS7_IlSA_EE ; -- Begin function _ZN2at6native12_GLOBAL__N_114gatherKthValueIN3c108BFloat16EiLi1EEEvNS_4cuda6detail10TensorInfoIKT_T0_EESA_SA_SA_SA_NS7_IS8_SA_EENS7_IlSA_EE
	.p2align	8
	.type	_ZN2at6native12_GLOBAL__N_114gatherKthValueIN3c108BFloat16EiLi1EEEvNS_4cuda6detail10TensorInfoIKT_T0_EESA_SA_SA_SA_NS7_IS8_SA_EENS7_IlSA_EE,@function
_ZN2at6native12_GLOBAL__N_114gatherKthValueIN3c108BFloat16EiLi1EEEvNS_4cuda6detail10TensorInfoIKT_T0_EESA_SA_SA_SA_NS7_IS8_SA_EENS7_IlSA_EE: ; @_ZN2at6native12_GLOBAL__N_114gatherKthValueIN3c108BFloat16EiLi1EEEvNS_4cuda6detail10TensorInfoIKT_T0_EESA_SA_SA_SA_NS7_IS8_SA_EENS7_IlSA_EE
; %bb.0:
	s_load_dwordx2 s[12:13], s[4:5], 0x298
	s_load_dwordx4 s[60:63], s[4:5], 0xd8
	s_add_u32 s10, s4, 0x298
	s_addc_u32 s11, s5, 0
	s_waitcnt lgkmcnt(0)
	s_mul_i32 s0, s13, s8
	s_add_i32 s0, s0, s7
	s_mul_i32 s0, s0, s12
	s_add_i32 s7, s0, s6
	s_cmp_ge_i32 s7, s62
	s_cbranch_scc1 .LBB64_247
; %bb.1:
	s_load_dwordx2 s[0:1], s[4:5], 0x1c0
                                        ; implicit-def: $vgpr52 : SGPR spill to VGPR lane
	s_mov_b32 s68, 0
	v_cmp_eq_u32_e64 s[14:15], 0, v0
	s_waitcnt lgkmcnt(0)
	v_writelane_b32 v52, s0, 0
	v_writelane_b32 v52, s1, 1
	s_load_dwordx2 s[0:1], s[4:5], 0xe8
	s_waitcnt lgkmcnt(0)
	v_writelane_b32 v52, s0, 2
	v_writelane_b32 v52, s1, 3
	s_load_dword s0, s[4:5], 0x6c
	s_load_dwordx2 s[2:3], s[4:5], 0x0
	s_mov_b64 s[8:9], exec
	v_writelane_b32 v52, s14, 4
	v_writelane_b32 v52, s15, 5
	s_and_b64 s[14:15], s[8:9], s[14:15]
	s_mov_b64 exec, s[14:15]
	s_cbranch_execz .LBB64_3
; %bb.2:
	v_mov_b32_e32 v2, 0
	v_mov_b32_e32 v3, s60
	v_mov_b32_e32 v4, v2
	ds_write_b96 v2, v[2:4] offset:4096
.LBB64_3:
	s_or_b64 exec, exec, s[8:9]
	s_load_dword s1, s[4:5], 0x22c
                                        ; kill: killed $sgpr4 killed $sgpr5
	s_waitcnt lgkmcnt(0)
	s_barrier
	s_mul_i32 s0, s0, s7
	v_writelane_b32 v52, s1, 6
	s_load_dword s1, s[4:5], 0x154
	v_mbcnt_lo_u32_b32 v1, -1, 0
	s_load_dword s4, s[10:11], 0xc
	v_mbcnt_hi_u32_b32 v13, -1, v1
	v_cmp_gt_u32_e32 vcc, 64, v0
	s_waitcnt lgkmcnt(0)
	v_writelane_b32 v52, s1, 7
	s_ashr_i32 s1, s0, 31
	s_lshl_b64 s[0:1], s[0:1], 1
	s_add_u32 s62, s2, s0
	s_addc_u32 s78, s3, s1
	s_and_b32 s33, s4, 0xffff
	v_cmp_gt_i32_e64 s[2:3], 4, v13
	s_add_i32 s0, s33, -1
	v_writelane_b32 v52, s7, 8
	s_lshl_b32 s7, s33, 2
	s_bfe_u32 s8, s4, 0xa0006
	s_and_b64 s[70:71], vcc, s[2:3]
	s_add_i32 s77, s0, s60
	s_cmpk_gt_i32 s60, 0x600
	v_writelane_b32 v52, s0, 9
	s_cselect_b64 s[0:1], -1, 0
	v_writelane_b32 v52, s0, 10
	s_cmp_gt_u32 s33, 63
	v_writelane_b32 v52, s1, 11
	s_cselect_b64 s[0:1], -1, 0
	v_writelane_b32 v52, s0, 12
	s_cmp_lt_u32 s6, s12
	v_writelane_b32 v52, s1, 13
	s_cselect_b32 s0, 12, 18
	s_add_u32 s0, s10, s0
	s_addc_u32 s1, s11, 0
	v_writelane_b32 v52, s0, 14
	v_writelane_b32 v52, s1, 15
	s_add_i32 s0, s8, -2
	s_lshr_b32 s1, s0, 1
	v_mov_b32_e32 v9, 0
	s_add_i32 s1, s1, 1
	s_cmpk_gt_u32 s33, 0x7f
	v_mul_lo_u32 v6, v0, s63
	v_mov_b32_e32 v7, v9
	s_cselect_b64 s[2:3], -1, 0
	v_lshlrev_b64 v[2:3], 1, v[6:7]
	v_writelane_b32 v52, s2, 16
	v_mov_b32_e32 v7, s78
	v_add_co_u32_e32 v10, vcc, s62, v2
	v_writelane_b32 v52, s3, 17
	v_addc_co_u32_e32 v11, vcc, v7, v3, vcc
	v_cmp_gt_u32_e64 s[10:11], s60, v0
	v_lshlrev_b64 v[2:3], v13, -1
	v_writelane_b32 v52, s10, 18
	v_not_b32_e32 v12, v2
	v_cvt_f32_u32_e32 v2, s7
	v_writelane_b32 v52, s11, 19
	v_cmp_gt_i32_e64 s[10:11], s60, v0
	s_and_b32 s6, s8, 0x3fe
	s_and_b32 s9, s1, 7
	v_writelane_b32 v52, s10, 20
	s_cmp_gt_u32 s0, 13
	v_writelane_b32 v52, s11, 21
	s_cselect_b64 s[10:11], -1, 0
	v_writelane_b32 v52, s10, 22
	v_rcp_iflag_f32_e32 v2, v2
	v_writelane_b32 v52, s11, 23
	s_and_b32 s0, s1, -8
	v_writelane_b32 v52, s0, 24
	s_cmp_lg_u32 s9, 0
	v_writelane_b32 v52, s9, 25
	s_cselect_b64 s[0:1], -1, 0
	v_writelane_b32 v52, s0, 26
	v_mul_f32_e32 v2, 0x4f7ffffe, v2
	v_writelane_b32 v52, s1, 27
	v_cvt_u32_f32_e32 v2, v2
	v_writelane_b32 v52, s8, 28
	s_cmp_lg_u32 s6, s8
	v_writelane_b32 v52, s6, 29
	s_cselect_b64 s[0:1], -1, 0
	v_writelane_b32 v52, s0, 30
	v_writelane_b32 v52, s1, 31
	s_sub_i32 s0, 0, s7
	v_readfirstlane_b32 s1, v2
	s_mul_i32 s0, s0, s1
	s_mul_hi_u32 s0, s1, s0
	s_add_i32 s6, s1, s0
	s_mul_hi_u32 s0, s60, s6
	s_mul_i32 s0, s0, s7
	s_sub_i32 s0, s60, s0
	s_sub_i32 s1, s0, s7
	s_cmp_ge_u32 s0, s7
	s_cselect_b32 s0, s1, s0
	s_sub_i32 s1, s0, s7
	v_cvt_f32_u32_e32 v5, s33
	s_cmp_ge_u32 s0, s7
	s_cselect_b32 s0, s1, s0
	s_sub_i32 s9, s60, s0
	v_add_u32_e32 v25, s9, v0
	v_rcp_iflag_f32_e32 v5, v5
	v_lshrrev_b32_e32 v1, 4, v0
	v_mul_lo_u32 v2, v25, s63
	v_and_b32_e32 v23, 60, v1
	v_not_b32_e32 v1, v3
	v_ashrrev_i32_e32 v3, 31, v2
	v_lshlrev_b64 v[2:3], 1, v[2:3]
	v_lshlrev_b32_e32 v20, 2, v0
	v_add_co_u32_e32 v14, vcc, s62, v2
	v_mul_f32_e32 v2, 0x4f7ffffe, v5
	v_cmp_gt_i32_e64 s[10:11], s9, v20
	v_cvt_u32_f32_e32 v2, v2
	v_writelane_b32 v52, s10, 32
	v_writelane_b32 v52, s11, 33
	v_cmp_gt_u32_e64 s[10:11], s60, v25
	v_writelane_b32 v52, s10, 34
	v_writelane_b32 v52, s11, 35
	s_sub_i32 s10, 0, s33
	v_readfirstlane_b32 s11, v2
	s_mul_i32 s10, s10, s11
	s_mul_hi_u32 s10, s11, s10
	s_abs_i32 s8, s77
	s_add_i32 s10, s11, s10
	v_writelane_b32 v52, s10, 36
	s_mul_hi_u32 s10, s8, s10
	s_mul_i32 s10, s10, s33
	s_sub_i32 s8, s8, s10
	s_ashr_i32 s1, s77, 31
	s_sub_i32 s10, s8, s33
	s_cmp_ge_u32 s8, s33
	s_cselect_b32 s8, s10, s8
	s_sub_i32 s10, s8, s33
	s_cmp_ge_u32 s8, s33
	s_cselect_b32 s8, s10, s8
	s_xor_b32 s8, s8, s1
	v_mul_lo_u32 v2, s63, v20
	s_sub_i32 s1, s1, s8
	v_add_u32_e32 v26, s63, v2
	v_or_b32_e32 v2, 2, v20
	s_add_i32 s77, s77, s1
	v_mul_lo_u32 v27, s63, v2
	v_or_b32_e32 v2, 3, v20
	s_add_i32 s1, s33, s60
	v_mul_lo_u32 v28, s63, v2
	v_add_u32_e32 v2, s1, v0
	v_lshlrev_b32_e32 v21, 1, v0
	v_lshlrev_b32_e32 v4, 2, v13
	v_mov_b32_e32 v8, s78
	v_cmp_gt_i32_e64 s[10:11], s77, v0
	s_mul_i32 s79, s63, s33
	v_subrev_u32_e32 v2, s0, v2
	v_cmp_eq_u32_e64 s[2:3], 0, v13
	v_cmp_gt_u32_e64 s[4:5], 2, v0
	v_add_u32_e32 v22, 0xc00, v21
	v_and_b32_e32 v24, 0x100, v4
	v_addc_co_u32_e32 v15, vcc, v8, v3, vcc
	v_cmp_gt_i32_e64 s[14:15], s60, v25
	v_writelane_b32 v52, s10, 37
	s_lshl_b32 s16, s79, 2
	v_lshlrev_b32_e32 v29, 2, v6
	v_mul_lo_u32 v30, s63, v2
	v_lshlrev_b32_e32 v31, 3, v0
	s_lshl_b32 s17, s33, 3
	s_lshl_b32 s8, s33, 1
	v_or_b32_e32 v32, 0xc00, v4
	s_mov_b32 s0, 14
	s_mov_b64 s[86:87], 0
	s_movk_i32 s76, 0x3f80
	v_mov_b32_e32 v33, 0xffff
	v_mov_b32_e32 v34, 0x8000
	v_mov_b32_e32 v35, -1
	v_mov_b32_e32 v36, 0xc00
	v_mov_b32_e32 v37, 0x5040100
	;; [unrolled: 1-line block ×3, first 2 shown]
	s_mov_b32 s1, 0
	s_mov_b32 s73, 0
	;; [unrolled: 1-line block ×3, first 2 shown]
	v_writelane_b32 v52, s11, 38
                                        ; implicit-def: $sgpr88_sgpr89
                                        ; implicit-def: $sgpr92_sgpr93
                                        ; implicit-def: $sgpr90_sgpr91
                                        ; implicit-def: $sgpr94_sgpr95
                                        ; implicit-def: $sgpr64_sgpr65
                                        ; implicit-def: $sgpr66_sgpr67
	s_branch .LBB64_8
.LBB64_4:                               ;   in Loop: Header=BB64_8 Depth=1
	s_xor_b32 s1, s1, 1
	s_add_i32 s10, s0, -2
	s_cmp_eq_u32 s0, 0
	s_mov_b64 s[22:23], 0
	s_cselect_b64 s[30:31], -1, 0
	s_mov_b32 s0, s10
.LBB64_5:                               ;   in Loop: Header=BB64_8 Depth=1
	s_andn2_b64 s[10:11], s[26:27], exec
	s_and_b64 s[12:13], s[22:23], exec
	s_or_b64 s[26:27], s[10:11], s[12:13]
	s_andn2_b64 s[28:29], s[28:29], exec
	s_andn2_b64 s[24:25], s[24:25], exec
	s_orn2_b64 s[22:23], s[30:31], exec
	s_mov_b32 s61, s39
.LBB64_6:                               ;   in Loop: Header=BB64_8 Depth=1
	s_or_b64 exec, exec, s[18:19]
	s_andn2_b64 s[10:11], s[66:67], exec
	s_and_b64 s[12:13], s[26:27], exec
	s_or_b64 s[66:67], s[10:11], s[12:13]
	s_andn2_b64 s[10:11], s[64:65], exec
	s_and_b64 s[12:13], s[28:29], exec
	s_or_b64 s[64:65], s[10:11], s[12:13]
	;; [unrolled: 3-line block ×3, first 2 shown]
	s_orn2_b64 s[22:23], s[22:23], exec
.LBB64_7:                               ;   in Loop: Header=BB64_8 Depth=1
	s_or_b64 exec, exec, s[20:21]
	s_and_b64 s[10:11], exec, s[22:23]
	s_or_b64 s[86:87], s[10:11], s[86:87]
	s_andn2_b64 s[10:11], s[90:91], exec
	s_and_b64 s[12:13], s[66:67], exec
	s_or_b64 s[90:91], s[10:11], s[12:13]
	s_andn2_b64 s[10:11], s[92:93], exec
	s_and_b64 s[12:13], s[64:65], exec
	;; [unrolled: 3-line block ×3, first 2 shown]
	v_mov_b32_e32 v2, s73
	s_or_b64 s[88:89], s[10:11], s[12:13]
	s_andn2_b64 exec, exec, s[86:87]
	s_cbranch_execz .LBB64_243
.LBB64_8:                               ; =>This Loop Header: Depth=1
                                        ;     Child Loop BB64_13 Depth 2
                                        ;     Child Loop BB64_32 Depth 2
	;; [unrolled: 1-line block ×17, first 2 shown]
	ds_read_b64 v[2:3], v9 offset:4096
	s_waitcnt lgkmcnt(0)
	v_readfirstlane_b32 s69, v2
	s_cmp_gt_i32 s69, 0
	s_cbranch_scc1 .LBB64_39
; %bb.9:                                ;   in Loop: Header=BB64_8 Depth=1
	v_readlane_b32 s10, v52, 10
	v_readlane_b32 s11, v52, 11
	s_and_b64 vcc, exec, s[10:11]
	s_cbranch_vccz .LBB64_21
; %bb.10:                               ;   in Loop: Header=BB64_8 Depth=1
	s_movk_i32 s10, 0x601
	v_cmp_gt_i32_e32 vcc, s10, v3
	s_mov_b64 s[20:21], 0
	s_mov_b64 s[18:19], 0
	s_cbranch_vccz .LBB64_26
; %bb.11:                               ;   in Loop: Header=BB64_8 Depth=1
	v_readlane_b32 s10, v52, 14
	v_readlane_b32 s11, v52, 15
	s_nop 4
	global_load_ushort v2, v9, s[10:11]
	global_load_ushort v4, v[10:11], off
	s_mov_b64 s[22:23], 0
	s_waitcnt vmcnt(1)
	v_add_u32_e32 v5, v0, v2
	v_mul_lo_u32 v3, s63, v2
	v_mul_lo_u32 v8, s63, v5
	v_mov_b32_e32 v5, v0
	s_branch .LBB64_13
.LBB64_12:                              ;   in Loop: Header=BB64_13 Depth=2
	s_or_b64 exec, exec, s[18:19]
	v_cmp_le_i32_e32 vcc, s60, v5
	v_add_u32_e32 v8, v8, v3
	s_or_b64 s[22:23], vcc, s[22:23]
	v_mov_b32_e32 v4, v16
	s_andn2_b64 exec, exec, s[22:23]
	s_cbranch_execz .LBB64_22
.LBB64_13:                              ;   Parent Loop BB64_8 Depth=1
                                        ; =>  This Inner Loop Header: Depth=2
	v_add_u32_e32 v5, v5, v2
	v_cmp_gt_u32_e32 vcc, s60, v5
	s_waitcnt lgkmcnt(0)
	v_mov_b32_e32 v17, 0
	v_mov_b32_e32 v16, 0
	s_and_saveexec_b64 s[18:19], vcc
	s_cbranch_execz .LBB64_15
; %bb.14:                               ;   in Loop: Header=BB64_13 Depth=2
	v_lshlrev_b64 v[18:19], 1, v[8:9]
	v_add_co_u32_e32 v18, vcc, s62, v18
	v_addc_co_u32_e32 v19, vcc, v7, v19, vcc
	global_load_ushort v16, v[18:19], off
.LBB64_15:                              ;   in Loop: Header=BB64_13 Depth=2
	s_or_b64 exec, exec, s[18:19]
	s_waitcnt vmcnt(0)
	v_cmp_lt_i16_e32 vcc, -1, v4
	v_cndmask_b32_e32 v18, v33, v34, vcc
	v_lshlrev_b32_e32 v19, 16, v4
	v_xor_b32_sdwa v18, v18, v4 dst_sel:DWORD dst_unused:UNUSED_PAD src0_sel:DWORD src1_sel:WORD_0
	v_cmp_o_f32_e32 vcc, v19, v19
	v_cndmask_b32_e32 v18, v33, v18, vcc
	v_and_b32_e32 v18, s72, v18
	v_cmp_eq_u32_e32 vcc, s73, v18
	s_cmp_lg_u64 vcc, 0
	s_cselect_b64 s[10:11], -1, 0
	s_and_b64 s[10:11], s[2:3], s[10:11]
	s_and_saveexec_b64 s[24:25], s[10:11]
	s_cbranch_execz .LBB64_19
; %bb.16:                               ;   in Loop: Header=BB64_13 Depth=2
	s_mov_b64 s[28:29], exec
	v_mbcnt_lo_u32_b32 v17, s28, 0
	v_mbcnt_hi_u32_b32 v17, s29, v17
	s_bcnt1_i32_b64 s10, vcc
	v_cmp_eq_u32_e64 s[18:19], 0, v17
                                        ; implicit-def: $vgpr18
	s_and_saveexec_b64 s[26:27], s[18:19]
	s_cbranch_execz .LBB64_18
; %bb.17:                               ;   in Loop: Header=BB64_13 Depth=2
	s_bcnt1_i32_b64 s11, s[28:29]
	s_mul_i32 s11, s10, s11
	v_mov_b32_e32 v18, s11
	ds_add_rtn_u32 v18, v9, v18 offset:4104
.LBB64_18:                              ;   in Loop: Header=BB64_13 Depth=2
	s_or_b64 exec, exec, s[26:27]
	s_waitcnt lgkmcnt(0)
	v_readfirstlane_b32 s11, v18
	v_mov_b32_e32 v18, s11
	v_mad_u32_u24 v17, s10, v17, v18
.LBB64_19:                              ;   in Loop: Header=BB64_13 Depth=2
	s_or_b64 exec, exec, s[24:25]
	ds_bpermute_b32 v17, v24, v17
	s_and_saveexec_b64 s[18:19], vcc
	s_cbranch_execz .LBB64_12
; %bb.20:                               ;   in Loop: Header=BB64_13 Depth=2
	v_and_b32_e32 v19, vcc_lo, v12
	v_and_b32_e32 v18, vcc_hi, v1
	v_bcnt_u32_b32 v19, v19, 0
	v_bcnt_u32_b32 v18, v18, v19
	v_lshlrev_b32_e32 v18, 1, v18
	s_waitcnt lgkmcnt(0)
	v_lshl_add_u32 v17, v17, 1, v18
	ds_write_b16 v17, v4
	s_branch .LBB64_12
.LBB64_21:                              ;   in Loop: Header=BB64_8 Depth=1
	s_mov_b64 s[20:21], -1
	s_mov_b64 s[18:19], 0
	s_branch .LBB64_25
.LBB64_22:                              ;   in Loop: Header=BB64_8 Depth=1
	s_or_b64 exec, exec, s[22:23]
	s_waitcnt lgkmcnt(0)
	s_barrier
	s_mov_b64 s[18:19], exec
	v_readlane_b32 s10, v52, 4
	v_readlane_b32 s11, v52, 5
	s_and_b64 s[10:11], s[18:19], s[10:11]
	s_mov_b64 exec, s[10:11]
	s_cbranch_execz .LBB64_24
; %bb.23:                               ;   in Loop: Header=BB64_8 Depth=1
	ds_read_b32 v2, v9 offset:4104
	s_waitcnt lgkmcnt(0)
	ds_write_b32 v9, v2 offset:4096
.LBB64_24:                              ;   in Loop: Header=BB64_8 Depth=1
	s_or_b64 exec, exec, s[18:19]
	s_waitcnt lgkmcnt(0)
	s_barrier
	s_mov_b64 s[18:19], -1
.LBB64_25:                              ;   in Loop: Header=BB64_8 Depth=1
                                        ; implicit-def: $sgpr69
.LBB64_26:                              ;   in Loop: Header=BB64_8 Depth=1
	s_and_b64 vcc, exec, s[20:21]
	s_cbranch_vccz .LBB64_37
; %bb.27:                               ;   in Loop: Header=BB64_8 Depth=1
	v_mov_b32_e32 v2, 0
	s_mov_b64 s[18:19], exec
	v_readlane_b32 s10, v52, 18
	v_readlane_b32 s11, v52, 19
	s_and_b64 s[10:11], s[18:19], s[10:11]
	s_mov_b64 exec, s[10:11]
	s_cbranch_execz .LBB64_29
; %bb.28:                               ;   in Loop: Header=BB64_8 Depth=1
	global_load_ushort v2, v[10:11], off
.LBB64_29:                              ;   in Loop: Header=BB64_8 Depth=1
	s_or_b64 exec, exec, s[18:19]
	s_mov_b64 s[18:19], exec
	v_readlane_b32 s10, v52, 20
	v_readlane_b32 s11, v52, 21
	s_and_b64 s[10:11], s[18:19], s[10:11]
	s_mov_b64 exec, s[10:11]
	s_cbranch_execz .LBB64_34
; %bb.30:                               ;   in Loop: Header=BB64_8 Depth=1
	v_readlane_b32 s10, v52, 14
	v_readlane_b32 s11, v52, 15
	s_mov_b64 s[20:21], 0
	v_mov_b32_e32 v4, v21
	v_mov_b32_e32 v17, v0
	s_nop 1
	global_load_ushort v3, v9, s[10:11]
	s_waitcnt vmcnt(0)
	v_add_u32_e32 v8, v0, v3
	v_lshlrev_b32_e32 v5, 1, v3
	v_mul_lo_u32 v16, s63, v3
	v_mul_lo_u32 v8, s63, v8
	s_branch .LBB64_32
.LBB64_31:                              ;   in Loop: Header=BB64_32 Depth=2
	s_or_b64 exec, exec, s[22:23]
	v_cmp_le_i32_e32 vcc, s60, v17
	ds_write_b16 v4, v2
	v_add_u32_e32 v4, v4, v5
	v_add_u32_e32 v8, v8, v16
	s_or_b64 s[20:21], vcc, s[20:21]
	s_waitcnt vmcnt(0)
	v_mov_b32_e32 v2, v18
	s_andn2_b64 exec, exec, s[20:21]
	s_cbranch_execz .LBB64_34
.LBB64_32:                              ;   Parent Loop BB64_8 Depth=1
                                        ; =>  This Inner Loop Header: Depth=2
	v_add_u32_e32 v17, v17, v3
	v_cmp_gt_u32_e32 vcc, s60, v17
	v_mov_b32_e32 v18, 0
	s_and_saveexec_b64 s[22:23], vcc
	s_cbranch_execz .LBB64_31
; %bb.33:                               ;   in Loop: Header=BB64_32 Depth=2
	v_lshlrev_b64 v[18:19], 1, v[8:9]
	v_mov_b32_e32 v39, s78
	v_add_co_u32_e32 v18, vcc, s62, v18
	v_addc_co_u32_e32 v19, vcc, v39, v19, vcc
	global_load_ushort v18, v[18:19], off
	s_branch .LBB64_31
.LBB64_34:                              ;   in Loop: Header=BB64_8 Depth=1
	s_or_b64 exec, exec, s[18:19]
	s_waitcnt lgkmcnt(0)
	s_barrier
	s_mov_b64 s[18:19], exec
	v_readlane_b32 s10, v52, 4
	v_readlane_b32 s11, v52, 5
	s_and_b64 s[10:11], s[18:19], s[10:11]
	s_mov_b64 exec, s[10:11]
	s_cbranch_execz .LBB64_36
; %bb.35:                               ;   in Loop: Header=BB64_8 Depth=1
	s_waitcnt vmcnt(0)
	v_mov_b32_e32 v2, s60
	ds_write_b32 v9, v2 offset:4096
.LBB64_36:                              ;   in Loop: Header=BB64_8 Depth=1
	s_or_b64 exec, exec, s[18:19]
	s_mov_b64 s[18:19], -1
	s_waitcnt lgkmcnt(0)
	s_barrier
                                        ; implicit-def: $sgpr69
.LBB64_37:                              ;   in Loop: Header=BB64_8 Depth=1
	s_and_b64 vcc, exec, s[18:19]
	s_cbranch_vccz .LBB64_39
; %bb.38:                               ;   in Loop: Header=BB64_8 Depth=1
	s_waitcnt vmcnt(0)
	ds_read_b32 v2, v9 offset:4096
	s_waitcnt lgkmcnt(0)
	v_readfirstlane_b32 s69, v2
.LBB64_39:                              ;   in Loop: Header=BB64_8 Depth=1
	s_cmp_lt_i32 s69, 1
	s_cbranch_scc0 .LBB64_51
; %bb.40:                               ;   in Loop: Header=BB64_8 Depth=1
	s_waitcnt vmcnt(0)
	v_mov_b32_e32 v2, 0
	s_mov_b32 s84, 0
	v_mov_b32_e32 v3, 0
	v_mov_b32_e32 v4, v2
	;; [unrolled: 1-line block ×3, first 2 shown]
	s_mov_b64 s[80:81], exec
	v_readlane_b32 s10, v52, 32
	v_readlane_b32 s11, v52, 33
	s_and_b64 s[10:11], s[80:81], s[10:11]
	s_mov_b64 exec, s[10:11]
	s_cbranch_execz .LBB64_44
; %bb.41:                               ;   in Loop: Header=BB64_8 Depth=1
	s_and_b32 s85, s0, 0xfe
	s_mov_b64 s[82:83], 0
	s_mov_b32 s74, 0
	s_mov_b32 s75, 0
	;; [unrolled: 1-line block ×4, first 2 shown]
	v_mov_b32_e32 v8, v20
.LBB64_42:                              ;   Parent Loop BB64_8 Depth=1
                                        ; =>  This Inner Loop Header: Depth=2
	v_add_u32_e32 v2, s84, v29
	v_ashrrev_i32_e32 v3, 31, v2
	v_add_u32_e32 v4, s84, v26
	v_lshlrev_b64 v[2:3], 1, v[2:3]
	v_mov_b32_e32 v39, s78
	v_ashrrev_i32_e32 v5, 31, v4
	v_add_co_u32_e64 v2, s[18:19], s62, v2
	v_add_u32_e32 v16, s84, v27
	v_lshlrev_b64 v[4:5], 1, v[4:5]
	v_addc_co_u32_e64 v3, s[18:19], v39, v3, s[18:19]
	v_ashrrev_i32_e32 v17, 31, v16
	v_add_co_u32_e64 v4, s[18:19], s62, v4
	v_add_u32_e32 v18, s84, v28
	v_lshlrev_b64 v[16:17], 1, v[16:17]
	v_addc_co_u32_e64 v5, s[18:19], v39, v5, s[18:19]
	v_ashrrev_i32_e32 v19, 31, v18
	v_add_co_u32_e64 v16, s[18:19], s62, v16
	v_lshlrev_b64 v[18:19], 1, v[18:19]
	v_addc_co_u32_e64 v17, s[18:19], v39, v17, s[18:19]
	v_add_co_u32_e64 v18, s[18:19], s62, v18
	v_addc_co_u32_e64 v19, s[18:19], v39, v19, s[18:19]
	global_load_ushort v2, v[2:3], off
	s_nop 0
	global_load_ushort v3, v[4:5], off
	s_nop 0
	global_load_ushort v4, v[16:17], off
	global_load_ushort v5, v[18:19], off
	v_add_u32_e32 v8, s7, v8
	s_add_i32 s84, s84, s16
	v_cmp_le_i32_e32 vcc, s9, v8
	s_waitcnt vmcnt(3)
	v_cmp_lt_i16_e64 s[18:19], -1, v2
	v_cndmask_b32_e64 v39, v33, v34, s[18:19]
	s_waitcnt vmcnt(2)
	v_cmp_lt_i16_e64 s[18:19], -1, v3
	v_lshlrev_b32_e32 v16, 16, v2
	v_cndmask_b32_e64 v40, v33, v34, s[18:19]
	s_waitcnt vmcnt(1)
	v_cmp_lt_i16_e64 s[18:19], -1, v4
	v_lshlrev_b32_e32 v17, 16, v3
	v_cndmask_b32_e64 v41, v33, v34, s[18:19]
	s_waitcnt vmcnt(0)
	v_cmp_lt_i16_e64 s[18:19], -1, v5
	v_xor_b32_sdwa v2, v39, v2 dst_sel:DWORD dst_unused:UNUSED_PAD src0_sel:DWORD src1_sel:WORD_0
	v_cmp_o_f32_e64 s[24:25], v16, v16
	v_lshlrev_b32_e32 v18, 16, v4
	v_cndmask_b32_e64 v42, v33, v34, s[18:19]
	v_xor_b32_sdwa v3, v40, v3 dst_sel:DWORD dst_unused:UNUSED_PAD src0_sel:DWORD src1_sel:WORD_0
	v_cmp_o_f32_e64 s[18:19], v17, v17
	v_cndmask_b32_e64 v2, v33, v2, s[24:25]
	v_lshlrev_b32_e32 v19, 16, v5
	v_xor_b32_sdwa v4, v41, v4 dst_sel:DWORD dst_unused:UNUSED_PAD src0_sel:DWORD src1_sel:WORD_0
	v_cmp_o_f32_e64 s[20:21], v18, v18
	v_cndmask_b32_e64 v3, v33, v3, s[18:19]
	v_and_b32_e32 v16, s72, v2
	v_bfe_u32 v2, v2, s85, 2
	v_xor_b32_sdwa v5, v42, v5 dst_sel:DWORD dst_unused:UNUSED_PAD src0_sel:DWORD src1_sel:WORD_0
	v_cmp_o_f32_e64 s[22:23], v19, v19
	v_cndmask_b32_e64 v4, v33, v4, s[20:21]
	v_and_b32_e32 v17, s72, v3
	v_bfe_u32 v3, v3, s85, 2
	v_cmp_eq_u32_e64 s[18:19], s73, v16
	v_cmp_eq_u32_e64 s[26:27], 0, v2
	v_cndmask_b32_e64 v5, v33, v5, s[22:23]
	v_and_b32_e32 v18, s72, v4
	v_bfe_u32 v4, v4, s85, 2
	v_cmp_eq_u32_e64 s[20:21], s73, v17
	v_cmp_eq_u32_e64 s[28:29], 0, v3
	s_and_b64 s[12:13], s[18:19], s[26:27]
	v_and_b32_e32 v19, s72, v5
	v_bfe_u32 v5, v5, s85, 2
	v_cmp_eq_u32_e64 s[22:23], s73, v18
	v_cmp_eq_u32_e64 s[30:31], 0, v4
	v_cmp_eq_u32_e64 s[36:37], 1, v2
	v_cmp_eq_u32_e64 s[44:45], 2, v2
	v_cmp_eq_u32_e64 s[52:53], 3, v2
	v_cndmask_b32_e64 v2, 0, 1, s[12:13]
	s_and_b64 s[12:13], s[20:21], s[28:29]
	v_cmp_eq_u32_e64 s[24:25], s73, v19
	v_cmp_eq_u32_e64 s[34:35], 0, v5
	;; [unrolled: 1-line block ×5, first 2 shown]
	v_cndmask_b32_e64 v3, 0, 1, s[12:13]
	s_and_b64 s[12:13], s[22:23], s[30:31]
	v_cmp_eq_u32_e64 s[40:41], 1, v4
	v_cmp_eq_u32_e64 s[48:49], 2, v4
	;; [unrolled: 1-line block ×3, first 2 shown]
	v_cndmask_b32_e64 v4, 0, 1, s[12:13]
	s_and_b64 s[12:13], s[24:25], s[34:35]
	v_cmp_eq_u32_e64 s[42:43], 1, v5
	v_cmp_eq_u32_e64 s[50:51], 2, v5
	;; [unrolled: 1-line block ×3, first 2 shown]
	v_cndmask_b32_e64 v5, 0, 1, s[12:13]
	s_and_b64 s[12:13], s[18:19], s[36:37]
	v_cndmask_b32_e64 v16, 0, 1, s[12:13]
	s_and_b64 s[12:13], s[20:21], s[38:39]
	v_cndmask_b32_e64 v17, 0, 1, s[12:13]
	s_and_b64 s[12:13], s[22:23], s[40:41]
	v_cndmask_b32_e64 v18, 0, 1, s[12:13]
	s_and_b64 s[12:13], s[24:25], s[42:43]
	v_cndmask_b32_e64 v19, 0, 1, s[12:13]
	s_and_b64 s[12:13], s[18:19], s[44:45]
	v_cndmask_b32_e64 v39, 0, 1, s[12:13]
	s_and_b64 s[12:13], s[20:21], s[46:47]
	v_cndmask_b32_e64 v40, 0, 1, s[12:13]
	s_and_b64 s[12:13], s[22:23], s[48:49]
	v_cndmask_b32_e64 v41, 0, 1, s[12:13]
	s_and_b64 s[12:13], s[24:25], s[50:51]
	v_cndmask_b32_e64 v42, 0, 1, s[12:13]
	s_and_b64 s[12:13], s[18:19], s[52:53]
	v_cndmask_b32_e64 v43, 0, 1, s[12:13]
	s_and_b64 s[12:13], s[20:21], s[54:55]
	v_cndmask_b32_e64 v44, 0, 1, s[12:13]
	s_and_b64 s[12:13], s[22:23], s[56:57]
	v_cndmask_b32_e64 v45, 0, 1, s[12:13]
	s_and_b64 s[12:13], s[24:25], s[58:59]
	v_cmp_ne_u32_e64 s[18:19], 0, v2
	v_cmp_ne_u32_e64 s[20:21], 0, v3
	;; [unrolled: 1-line block ×7, first 2 shown]
	v_cndmask_b32_e64 v46, 0, 1, s[12:13]
	v_cmp_ne_u32_e64 s[38:39], 0, v40
	v_cmp_ne_u32_e64 s[46:47], 0, v44
	s_bcnt1_i32_b64 s12, s[18:19]
	s_bcnt1_i32_b64 s13, s[20:21]
	;; [unrolled: 1-line block ×7, first 2 shown]
	v_cmp_ne_u32_e64 s[22:23], 0, v4
	v_cmp_ne_u32_e64 s[30:31], 0, v18
	;; [unrolled: 1-line block ×4, first 2 shown]
	s_bcnt1_i32_b64 s25, s[38:39]
	s_bcnt1_i32_b64 s29, s[46:47]
	s_add_i32 s11, s11, s12
	s_add_i32 s10, s10, s20
	s_add_i32 s12, s75, s24
	s_add_i32 s20, s74, s28
	v_cmp_ne_u32_e64 s[34:35], 0, v19
	v_cmp_ne_u32_e64 s[42:43], 0, v42
	;; [unrolled: 1-line block ×3, first 2 shown]
	s_bcnt1_i32_b64 s18, s[22:23]
	s_bcnt1_i32_b64 s22, s[30:31]
	;; [unrolled: 1-line block ×4, first 2 shown]
	s_add_i32 s11, s11, s13
	s_add_i32 s10, s10, s21
	;; [unrolled: 1-line block ×4, first 2 shown]
	s_bcnt1_i32_b64 s23, s[34:35]
	s_bcnt1_i32_b64 s27, s[42:43]
	;; [unrolled: 1-line block ×3, first 2 shown]
	s_add_i32 s11, s11, s18
	s_add_i32 s10, s10, s22
	;; [unrolled: 1-line block ×8, first 2 shown]
	s_or_b64 s[82:83], vcc, s[82:83]
	v_mov_b32_e32 v2, s11
	v_mov_b32_e32 v3, s10
	;; [unrolled: 1-line block ×4, first 2 shown]
	s_andn2_b64 exec, exec, s[82:83]
	s_cbranch_execnz .LBB64_42
; %bb.43:                               ;   in Loop: Header=BB64_8 Depth=1
	s_or_b64 exec, exec, s[82:83]
.LBB64_44:                              ;   in Loop: Header=BB64_8 Depth=1
	s_or_b64 exec, exec, s[80:81]
	v_mov_b32_e32 v8, 0
	s_mov_b64 s[18:19], exec
	v_readlane_b32 s10, v52, 34
	v_readlane_b32 s11, v52, 35
	s_and_b64 s[10:11], s[18:19], s[10:11]
	s_mov_b64 exec, s[10:11]
	s_cbranch_execz .LBB64_46
; %bb.45:                               ;   in Loop: Header=BB64_8 Depth=1
	global_load_ushort v8, v[14:15], off
.LBB64_46:                              ;   in Loop: Header=BB64_8 Depth=1
	s_or_b64 exec, exec, s[18:19]
	s_mov_b64 s[20:21], 0
	s_mov_b64 s[80:81], 0
	s_and_saveexec_b64 s[22:23], s[14:15]
	s_cbranch_execz .LBB64_53
; %bb.47:                               ;   in Loop: Header=BB64_8 Depth=1
	s_and_b32 s10, s0, 0xfe
	s_mov_b64 s[24:25], 0
	v_mov_b32_e32 v16, v30
	v_mov_b32_e32 v18, v25
	s_branch .LBB64_49
.LBB64_48:                              ;   in Loop: Header=BB64_49 Depth=2
	s_or_b64 exec, exec, s[18:19]
	s_waitcnt vmcnt(0)
	v_cmp_lt_i16_e32 vcc, -1, v8
	v_cndmask_b32_e32 v19, v33, v34, vcc
	v_lshlrev_b32_e32 v39, 16, v8
	v_xor_b32_sdwa v8, v19, v8 dst_sel:DWORD dst_unused:UNUSED_PAD src0_sel:DWORD src1_sel:WORD_0
	v_cmp_o_f32_e32 vcc, v39, v39
	v_cndmask_b32_e32 v8, v33, v8, vcc
	v_and_b32_e32 v19, s72, v8
	v_bfe_u32 v8, v8, s10, 2
	v_cmp_eq_u32_e32 vcc, s73, v19
	v_cmp_eq_u32_e64 s[18:19], 0, v8
	s_and_b64 s[12:13], vcc, s[18:19]
	v_cndmask_b32_e64 v19, 0, 1, s[12:13]
	v_cmp_ne_u32_e64 s[18:19], 0, v19
	s_bcnt1_i32_b64 s11, s[18:19]
	v_cmp_eq_u32_e64 s[18:19], 1, v8
	s_and_b64 s[12:13], vcc, s[18:19]
	v_cndmask_b32_e64 v19, 0, 1, s[12:13]
	v_cmp_ne_u32_e64 s[18:19], 0, v19
	v_add_u32_e32 v2, s11, v2
	s_bcnt1_i32_b64 s11, s[18:19]
	v_cmp_eq_u32_e64 s[18:19], 2, v8
	s_and_b64 s[12:13], vcc, s[18:19]
	v_cndmask_b32_e64 v19, 0, 1, s[12:13]
	v_cmp_ne_u32_e64 s[18:19], 0, v19
	v_add_u32_e32 v3, s11, v3
	s_bcnt1_i32_b64 s11, s[18:19]
	v_cmp_eq_u32_e64 s[18:19], 3, v8
	s_and_b64 s[12:13], vcc, s[18:19]
	v_cndmask_b32_e64 v8, 0, 1, s[12:13]
	v_cmp_ne_u32_e32 vcc, 0, v8
	v_add_u32_e32 v4, s11, v4
	s_bcnt1_i32_b64 s11, vcc
	v_cmp_le_i32_e32 vcc, s60, v18
	v_add_u32_e32 v5, s11, v5
	v_add_u32_e32 v16, s79, v16
	s_or_b64 s[24:25], vcc, s[24:25]
	v_mov_b32_e32 v8, v17
	s_andn2_b64 exec, exec, s[24:25]
	s_cbranch_execz .LBB64_52
.LBB64_49:                              ;   Parent Loop BB64_8 Depth=1
                                        ; =>  This Inner Loop Header: Depth=2
	v_add_u32_e32 v18, s33, v18
	v_cmp_gt_u32_e32 vcc, s60, v18
	v_mov_b32_e32 v17, 0
	s_and_saveexec_b64 s[18:19], vcc
	s_cbranch_execz .LBB64_48
; %bb.50:                               ;   in Loop: Header=BB64_49 Depth=2
	v_ashrrev_i32_e32 v17, 31, v16
	v_lshlrev_b64 v[40:41], 1, v[16:17]
	v_mov_b32_e32 v17, s78
	v_add_co_u32_e32 v40, vcc, s62, v40
	v_addc_co_u32_e32 v41, vcc, v17, v41, vcc
	global_load_ushort v17, v[40:41], off
	s_branch .LBB64_48
.LBB64_51:                              ;   in Loop: Header=BB64_8 Depth=1
	s_mov_b64 s[80:81], 0
                                        ; implicit-def: $vgpr5
	s_cbranch_execnz .LBB64_54
	s_branch .LBB64_63
.LBB64_52:                              ;   in Loop: Header=BB64_8 Depth=1
	s_or_b64 exec, exec, s[24:25]
	s_mov_b64 s[80:81], exec
.LBB64_53:                              ;   in Loop: Header=BB64_8 Depth=1
	s_or_b64 exec, exec, s[22:23]
	s_and_b64 vcc, exec, s[20:21]
	s_cbranch_vccz .LBB64_63
.LBB64_54:                              ;   in Loop: Header=BB64_8 Depth=1
	s_mul_hi_u32 s10, s69, s6
	s_mul_i32 s10, s10, s7
	s_sub_i32 s10, s69, s10
	s_sub_i32 s11, s10, s7
	s_cmp_ge_u32 s10, s7
	s_cselect_b32 s10, s11, s10
	s_sub_i32 s11, s10, s7
	s_cmp_ge_u32 s10, s7
	s_cselect_b32 s10, s11, s10
	s_sub_i32 s10, s69, s10
	v_cmp_gt_u32_e32 vcc, s10, v20
	s_mov_b32 s74, 0
	s_waitcnt vmcnt(0)
	v_mov_b32_e32 v2, 0
	v_mov_b32_e32 v3, 0
	;; [unrolled: 1-line block ×4, first 2 shown]
	s_and_saveexec_b64 s[82:83], vcc
	s_cbranch_execz .LBB64_58
; %bb.55:                               ;   in Loop: Header=BB64_8 Depth=1
	s_and_b32 s11, s0, 0xfe
	s_mov_b64 s[84:85], 0
	v_mov_b32_e32 v8, v31
	s_mov_b32 s75, 0
	s_mov_b32 s12, 0
	;; [unrolled: 1-line block ×3, first 2 shown]
	v_mov_b32_e32 v16, v20
.LBB64_56:                              ;   Parent Loop BB64_8 Depth=1
                                        ; =>  This Inner Loop Header: Depth=2
	ds_read_b64 v[2:3], v8
	v_add_u32_e32 v16, s7, v16
	v_cmp_le_i32_e32 vcc, s10, v16
	v_add_u32_e32 v8, s17, v8
	s_waitcnt lgkmcnt(0)
	v_cmp_lt_i16_e64 s[18:19], -1, v2
	v_cndmask_b32_e64 v19, v33, v34, s[18:19]
	v_cmp_gt_i16_sdwa s[18:19], v2, v35 src0_sel:WORD_1 src1_sel:DWORD
	v_lshlrev_b32_e32 v4, 16, v2
	v_cndmask_b32_e64 v39, v33, v34, s[18:19]
	v_cmp_lt_i16_e64 s[18:19], -1, v3
	v_and_b32_e32 v5, 0xffff0000, v2
	v_cndmask_b32_e64 v40, v33, v34, s[18:19]
	v_cmp_gt_i16_sdwa s[18:19], v3, v35 src0_sel:WORD_1 src1_sel:DWORD
	v_xor_b32_sdwa v39, v39, v2 dst_sel:DWORD dst_unused:UNUSED_PAD src0_sel:DWORD src1_sel:WORD_1
	v_xor_b32_sdwa v2, v19, v2 dst_sel:DWORD dst_unused:UNUSED_PAD src0_sel:DWORD src1_sel:WORD_0
	v_cmp_o_f32_e64 s[24:25], v4, v4
	v_lshlrev_b32_e32 v17, 16, v3
	v_cndmask_b32_e64 v41, v33, v34, s[18:19]
	v_cmp_o_f32_e64 s[18:19], v5, v5
	v_cndmask_b32_e64 v2, v33, v2, s[24:25]
	v_and_b32_e32 v18, 0xffff0000, v3
	v_xor_b32_sdwa v5, v40, v3 dst_sel:DWORD dst_unused:UNUSED_PAD src0_sel:DWORD src1_sel:WORD_0
	v_cmp_o_f32_e64 s[20:21], v17, v17
	v_cndmask_b32_e64 v4, v33, v39, s[18:19]
	v_and_b32_e32 v17, s72, v2
	v_bfe_u32 v2, v2, s11, 2
	v_xor_b32_sdwa v3, v41, v3 dst_sel:DWORD dst_unused:UNUSED_PAD src0_sel:DWORD src1_sel:WORD_1
	v_cmp_o_f32_e64 s[22:23], v18, v18
	v_cndmask_b32_e64 v5, v33, v5, s[20:21]
	v_and_b32_e32 v18, s72, v4
	v_bfe_u32 v4, v4, s11, 2
	v_cmp_eq_u32_e64 s[18:19], s73, v17
	v_cmp_eq_u32_e64 s[26:27], 0, v2
	v_cndmask_b32_e64 v3, v33, v3, s[22:23]
	v_and_b32_e32 v19, s72, v5
	v_bfe_u32 v5, v5, s11, 2
	v_cmp_eq_u32_e64 s[20:21], s73, v18
	v_cmp_eq_u32_e64 s[28:29], 0, v4
	s_and_b64 s[26:27], s[18:19], s[26:27]
	v_and_b32_e32 v39, s72, v3
	v_bfe_u32 v3, v3, s11, 2
	v_cmp_eq_u32_e64 s[22:23], s73, v19
	v_cmp_eq_u32_e64 s[30:31], 0, v5
	;; [unrolled: 1-line block ×5, first 2 shown]
	v_cndmask_b32_e64 v2, 0, 1, s[26:27]
	s_and_b64 s[26:27], s[20:21], s[28:29]
	v_cmp_eq_u32_e64 s[24:25], s73, v39
	v_cmp_eq_u32_e64 s[34:35], 0, v3
	;; [unrolled: 1-line block ×5, first 2 shown]
	v_cndmask_b32_e64 v3, 0, 1, s[26:27]
	s_and_b64 s[26:27], s[22:23], s[30:31]
	v_cmp_eq_u32_e64 s[38:39], 1, v4
	v_cmp_eq_u32_e64 s[46:47], 2, v4
	v_cmp_eq_u32_e64 s[54:55], 3, v4
	v_cndmask_b32_e64 v4, 0, 1, s[26:27]
	s_and_b64 s[26:27], s[24:25], s[34:35]
	v_cmp_eq_u32_e64 s[40:41], 1, v5
	v_cmp_eq_u32_e64 s[48:49], 2, v5
	;; [unrolled: 1-line block ×3, first 2 shown]
	v_cndmask_b32_e64 v5, 0, 1, s[26:27]
	s_and_b64 s[26:27], s[18:19], s[36:37]
	v_cndmask_b32_e64 v17, 0, 1, s[26:27]
	s_and_b64 s[26:27], s[20:21], s[38:39]
	;; [unrolled: 2-line block ×5, first 2 shown]
	s_and_b64 s[18:19], s[18:19], s[52:53]
	v_cndmask_b32_e64 v40, 0, 1, s[26:27]
	s_and_b64 s[26:27], s[20:21], s[46:47]
	v_cndmask_b32_e64 v44, 0, 1, s[18:19]
	;; [unrolled: 2-line block ×7, first 2 shown]
	v_cndmask_b32_e64 v47, 0, 1, s[18:19]
	v_cmp_ne_u32_e64 s[18:19], 0, v2
	v_cmp_ne_u32_e64 s[20:21], 0, v3
	;; [unrolled: 1-line block ×11, first 2 shown]
	s_bcnt1_i32_b64 s18, s[18:19]
	s_bcnt1_i32_b64 s19, s[20:21]
	;; [unrolled: 1-line block ×8, first 2 shown]
	v_cmp_ne_u32_e64 s[34:35], 0, v39
	v_cmp_ne_u32_e64 s[40:41], 0, v42
	;; [unrolled: 1-line block ×3, first 2 shown]
	s_bcnt1_i32_b64 s23, s[28:29]
	s_bcnt1_i32_b64 s27, s[38:39]
	;; [unrolled: 1-line block ×3, first 2 shown]
	s_add_i32 s13, s13, s18
	s_add_i32 s12, s12, s22
	;; [unrolled: 1-line block ×4, first 2 shown]
	v_cmp_ne_u32_e64 s[42:43], 0, v43
	v_cmp_ne_u32_e64 s[50:51], 0, v47
	s_bcnt1_i32_b64 s25, s[34:35]
	s_bcnt1_i32_b64 s28, s[40:41]
	;; [unrolled: 1-line block ×3, first 2 shown]
	s_add_i32 s13, s13, s19
	s_add_i32 s12, s12, s23
	;; [unrolled: 1-line block ×4, first 2 shown]
	s_bcnt1_i32_b64 s29, s[42:43]
	s_bcnt1_i32_b64 s35, s[50:51]
	s_add_i32 s13, s13, s20
	s_add_i32 s12, s12, s24
	;; [unrolled: 1-line block ×8, first 2 shown]
	s_or_b64 s[84:85], vcc, s[84:85]
	v_mov_b32_e32 v2, s13
	v_mov_b32_e32 v3, s12
	;; [unrolled: 1-line block ×4, first 2 shown]
	s_andn2_b64 exec, exec, s[84:85]
	s_cbranch_execnz .LBB64_56
; %bb.57:                               ;   in Loop: Header=BB64_8 Depth=1
	s_or_b64 exec, exec, s[84:85]
.LBB64_58:                              ;   in Loop: Header=BB64_8 Depth=1
	s_or_b64 exec, exec, s[82:83]
	v_add_u32_e32 v8, s10, v0
	v_cmp_gt_i32_e32 vcc, s69, v8
	s_and_saveexec_b64 s[28:29], vcc
	s_cbranch_execz .LBB64_62
; %bb.59:                               ;   in Loop: Header=BB64_8 Depth=1
	s_and_b32 s10, s0, 0xfe
	v_lshlrev_b32_e32 v16, 1, v8
	s_mov_b64 s[30:31], 0
.LBB64_60:                              ;   Parent Loop BB64_8 Depth=1
                                        ; =>  This Inner Loop Header: Depth=2
	ds_read_u16 v17, v16
	v_add_u32_e32 v8, s33, v8
	v_cmp_le_i32_e32 vcc, s69, v8
	v_add_u32_e32 v16, s8, v16
	s_waitcnt lgkmcnt(0)
	v_cmp_lt_i16_e64 s[18:19], -1, v17
	v_lshlrev_b32_e32 v18, 16, v17
	v_cndmask_b32_e64 v19, v33, v34, s[18:19]
	v_xor_b32_sdwa v17, v19, v17 dst_sel:DWORD dst_unused:UNUSED_PAD src0_sel:DWORD src1_sel:WORD_0
	v_cmp_o_f32_e64 s[18:19], v18, v18
	v_cndmask_b32_e64 v17, v33, v17, s[18:19]
	v_and_b32_e32 v18, s72, v17
	v_bfe_u32 v17, v17, s10, 2
	v_cmp_eq_u32_e64 s[18:19], s73, v18
	v_cmp_eq_u32_e64 s[20:21], 0, v17
	;; [unrolled: 1-line block ×3, first 2 shown]
	s_and_b64 s[12:13], s[18:19], s[20:21]
	v_cmp_eq_u32_e64 s[24:25], 2, v17
	v_cmp_eq_u32_e64 s[26:27], 3, v17
	v_cndmask_b32_e64 v17, 0, 1, s[12:13]
	s_and_b64 s[12:13], s[18:19], s[22:23]
	v_cndmask_b32_e64 v18, 0, 1, s[12:13]
	s_and_b64 s[12:13], s[18:19], s[24:25]
	;; [unrolled: 2-line block ×3, first 2 shown]
	v_cndmask_b32_e64 v39, 0, 1, s[12:13]
	v_cmp_ne_u32_e64 s[18:19], 0, v17
	v_cmp_ne_u32_e64 s[20:21], 0, v18
	;; [unrolled: 1-line block ×4, first 2 shown]
	s_bcnt1_i32_b64 s11, s[18:19]
	s_bcnt1_i32_b64 s12, s[20:21]
	;; [unrolled: 1-line block ×4, first 2 shown]
	v_add_u32_e32 v2, s11, v2
	v_add_u32_e32 v3, s12, v3
	;; [unrolled: 1-line block ×3, first 2 shown]
	s_or_b64 s[30:31], vcc, s[30:31]
	v_add_u32_e32 v5, s18, v5
	s_andn2_b64 exec, exec, s[30:31]
	s_cbranch_execnz .LBB64_60
; %bb.61:                               ;   in Loop: Header=BB64_8 Depth=1
	s_or_b64 exec, exec, s[30:31]
	s_or_b64 s[80:81], s[80:81], exec
.LBB64_62:                              ;   in Loop: Header=BB64_8 Depth=1
	s_or_b64 exec, exec, s[28:29]
.LBB64_63:                              ;   in Loop: Header=BB64_8 Depth=1
	s_and_saveexec_b64 s[18:19], s[80:81]
	s_or_b64 exec, exec, s[18:19]
	s_lshl_b32 s10, s1, 6
	s_and_saveexec_b64 s[18:19], s[2:3]
	s_cbranch_execz .LBB64_65
; %bb.64:                               ;   in Loop: Header=BB64_8 Depth=1
	s_waitcnt vmcnt(0)
	v_or_b32_e32 v8, s10, v23
	v_lshlrev_b32_e32 v8, 2, v8
	ds_write_b128 v8, v[2:5] offset:3072
.LBB64_65:                              ;   in Loop: Header=BB64_8 Depth=1
	s_or_b64 exec, exec, s[18:19]
	s_waitcnt lgkmcnt(0)
	s_barrier
	s_and_saveexec_b64 s[18:19], s[70:71]
	s_cbranch_execz .LBB64_79
; %bb.66:                               ;   in Loop: Header=BB64_8 Depth=1
	v_readlane_b32 s12, v52, 12
	v_readlane_b32 s13, v52, 13
	v_add_u32_e32 v4, s10, v13
	s_andn2_b64 vcc, exec, s[12:13]
	s_waitcnt vmcnt(0)
	v_mov_b32_e32 v2, 0
	s_cbranch_vccnz .LBB64_78
; %bb.67:                               ;   in Loop: Header=BB64_8 Depth=1
	v_readlane_b32 s12, v52, 16
	v_readlane_b32 s13, v52, 17
	s_mov_b32 s11, 0
	s_and_b64 vcc, exec, s[12:13]
	v_mov_b32_e32 v2, 0
	s_cbranch_vccz .LBB64_71
; %bb.68:                               ;   in Loop: Header=BB64_8 Depth=1
	v_readlane_b32 s12, v52, 22
	v_readlane_b32 s13, v52, 23
	v_lshl_add_u32 v5, v4, 2, v36
	s_andn2_b64 vcc, exec, s[12:13]
	s_cbranch_vccnz .LBB64_72
; %bb.69:                               ;   in Loop: Header=BB64_8 Depth=1
	s_mov_b32 s21, 1
	s_mov_b32 s20, 0
	v_mov_b32_e32 v2, 0
	v_readlane_b32 s11, v52, 24
	v_mov_b32_e32 v3, 0
.LBB64_70:                              ;   Parent Loop BB64_8 Depth=1
                                        ; =>  This Inner Loop Header: Depth=2
	v_lshl_add_u32 v8, s20, 4, v5
	v_lshl_add_u32 v39, s21, 4, v5
	ds_read2_b32 v[16:17], v8 offset1:8
	ds_read2_b32 v[18:19], v39 offset1:8
	ds_read2_b32 v[40:41], v8 offset0:16 offset1:24
	ds_read2_b32 v[42:43], v39 offset0:16 offset1:24
	;; [unrolled: 1-line block ×6, first 2 shown]
	s_waitcnt lgkmcnt(7)
	v_add3_u32 v2, v16, v2, v17
	s_waitcnt lgkmcnt(6)
	v_add3_u32 v3, v18, v3, v19
	;; [unrolled: 2-line block ×3, first 2 shown]
	v_add3_u32 v2, v40, v2, v41
	s_add_i32 s21, s21, 16
	s_add_i32 s20, s20, 16
	s_add_i32 s11, s11, -8
	s_waitcnt lgkmcnt(3)
	v_add3_u32 v2, v44, v2, v45
	s_waitcnt lgkmcnt(2)
	v_add3_u32 v3, v46, v3, v47
	s_cmp_lg_u32 s11, 0
	s_waitcnt lgkmcnt(0)
	v_add3_u32 v3, v50, v3, v51
	v_add3_u32 v2, v48, v2, v49
	s_cbranch_scc1 .LBB64_70
	s_branch .LBB64_73
.LBB64_71:                              ;   in Loop: Header=BB64_8 Depth=1
	s_cbranch_execnz .LBB64_76
	s_branch .LBB64_78
.LBB64_72:                              ;   in Loop: Header=BB64_8 Depth=1
	s_mov_b32 s69, s68
	v_pk_mov_b32 v[2:3], s[68:69], s[68:69] op_sel:[0,1]
	s_mov_b32 s69, 1
	s_mov_b64 s[20:21], s[68:69]
.LBB64_73:                              ;   in Loop: Header=BB64_8 Depth=1
	v_readlane_b32 s12, v52, 26
	v_readlane_b32 s13, v52, 27
	s_andn2_b64 vcc, exec, s[12:13]
	v_readlane_b32 s11, v52, 25
	s_cbranch_vccnz .LBB64_75
.LBB64_74:                              ;   Parent Loop BB64_8 Depth=1
                                        ; =>  This Inner Loop Header: Depth=2
	v_lshl_add_u32 v8, s20, 4, v5
	v_lshl_add_u32 v16, s21, 4, v5
	ds_read_b32 v16, v16
	ds_read_b32 v8, v8
	s_add_i32 s21, s21, 2
	s_add_i32 s20, s20, 2
	s_add_i32 s11, s11, -1
	s_cmp_lg_u32 s11, 0
	s_waitcnt lgkmcnt(1)
	v_add_u32_e32 v3, v16, v3
	s_waitcnt lgkmcnt(0)
	v_add_u32_e32 v2, v8, v2
	s_cbranch_scc1 .LBB64_74
.LBB64_75:                              ;   in Loop: Header=BB64_8 Depth=1
	v_readlane_b32 s20, v52, 30
	v_add_u32_e32 v2, v2, v3
	v_readlane_b32 s11, v52, 29
	v_readlane_b32 s21, v52, 31
	s_and_b64 vcc, exec, s[20:21]
	s_cbranch_vccz .LBB64_78
.LBB64_76:                              ;   in Loop: Header=BB64_8 Depth=1
	s_lshl_b32 s12, s1, 8
	s_lshl_b32 s13, s11, 4
	s_add_i32 s12, s12, s13
	v_add_u32_e32 v3, s12, v32
	v_readlane_b32 s12, v52, 28
	s_sub_i32 s11, s12, s11
.LBB64_77:                              ;   Parent Loop BB64_8 Depth=1
                                        ; =>  This Inner Loop Header: Depth=2
	ds_read_b32 v5, v3
	s_add_i32 s11, s11, -1
	v_add_u32_e32 v3, 16, v3
	s_cmp_eq_u32 s11, 0
	s_waitcnt lgkmcnt(0)
	v_add_u32_e32 v2, v5, v2
	s_cbranch_scc0 .LBB64_77
.LBB64_78:                              ;   in Loop: Header=BB64_8 Depth=1
	v_lshlrev_b32_e32 v3, 2, v4
	ds_write_b32 v3, v2 offset:3072
.LBB64_79:                              ;   in Loop: Header=BB64_8 Depth=1
	s_or_b64 exec, exec, s[18:19]
	s_lshl_b32 s10, s10, 2
	s_waitcnt vmcnt(0)
	v_mov_b32_e32 v2, s10
	s_waitcnt lgkmcnt(0)
	s_barrier
	ds_read_b128 v[2:5], v2 offset:3072
	s_and_b32 s47, s0, 0xfe
	s_lshl_b32 s55, 3, s47
	s_not_b32 s48, s55
	s_mov_b64 s[22:23], -1
	s_waitcnt lgkmcnt(0)
	v_readfirstlane_b32 s34, v2
	s_cmp_eq_u32 s34, 1
	s_cselect_b64 s[10:11], -1, 0
	s_cmp_eq_u32 s61, 1
	s_cselect_b64 s[12:13], -1, 0
	s_and_b64 s[24:25], s[10:11], s[12:13]
	v_readfirstlane_b32 s38, v3
	v_readfirstlane_b32 s46, v4
	;; [unrolled: 1-line block ×3, first 2 shown]
	s_and_b64 vcc, exec, s[24:25]
	s_cbranch_vccz .LBB64_91
; %bb.80:                               ;   in Loop: Header=BB64_8 Depth=1
	ds_read_b32 v2, v9 offset:4096
	s_waitcnt lgkmcnt(0)
	s_barrier
	v_readfirstlane_b32 s10, v2
	s_and_saveexec_b64 s[18:19], s[4:5]
	s_cbranch_execz .LBB64_82
; %bb.81:                               ;   in Loop: Header=BB64_8 Depth=1
	ds_write_b16 v22, v9
.LBB64_82:                              ;   in Loop: Header=BB64_8 Depth=1
	s_or_b64 exec, exec, s[18:19]
	s_and_b32 s73, s73, s48
	s_or_b32 s72, s72, s55
	s_cmp_lt_i32 s10, 1
	s_waitcnt lgkmcnt(0)
	s_barrier
	s_cbranch_scc0 .LBB64_92
; %bb.83:                               ;   in Loop: Header=BB64_8 Depth=1
	s_mov_b64 s[18:19], 0
                                        ; implicit-def: $vgpr38
	s_mov_b64 s[20:21], exec
	v_readlane_b32 s12, v52, 37
	v_readlane_b32 s13, v52, 38
	s_and_b64 s[12:13], s[20:21], s[12:13]
	s_mov_b64 exec, s[12:13]
	s_cbranch_execz .LBB64_94
; %bb.84:                               ;   in Loop: Header=BB64_8 Depth=1
	s_mov_b64 s[26:27], 0
	v_mov_b32_e32 v2, v6
	v_mov_b32_e32 v4, v0
                                        ; implicit-def: $sgpr28_sgpr29
	s_branch .LBB64_86
.LBB64_85:                              ;   in Loop: Header=BB64_86 Depth=2
	s_or_b64 exec, exec, s[18:19]
	s_waitcnt lgkmcnt(0)
	s_barrier
	s_waitcnt vmcnt(0)
	ds_read_b32 v3, v9 offset:3072
	v_add_u32_e32 v4, s33, v4
	v_cmp_le_i32_e64 s[18:19], s77, v4
	v_add_u32_e32 v2, s79, v2
	s_waitcnt lgkmcnt(0)
	v_and_b32_e32 v5, 0x7fff, v3
	v_cmp_ne_u16_e32 vcc, 0, v5
	s_or_b64 s[12:13], s[18:19], vcc
	s_and_b64 s[12:13], exec, s[12:13]
	s_or_b64 s[26:27], s[12:13], s[26:27]
	s_andn2_b64 s[12:13], s[28:29], exec
	s_and_b64 s[18:19], vcc, exec
	s_or_b64 s[28:29], s[12:13], s[18:19]
	s_barrier
	s_andn2_b64 exec, exec, s[26:27]
	s_cbranch_execz .LBB64_93
.LBB64_86:                              ;   Parent Loop BB64_8 Depth=1
                                        ; =>  This Inner Loop Header: Depth=2
	v_cmp_gt_i32_e32 vcc, s60, v4
	v_mov_b32_e32 v3, 0
	s_and_saveexec_b64 s[30:31], vcc
	s_cbranch_execz .LBB64_88
; %bb.87:                               ;   in Loop: Header=BB64_86 Depth=2
	v_ashrrev_i32_e32 v3, 31, v2
	v_lshlrev_b64 v[16:17], 1, v[2:3]
	v_mov_b32_e32 v3, s78
	v_add_co_u32_e64 v16, s[18:19], s62, v16
	v_addc_co_u32_e64 v17, s[18:19], v3, v17, s[18:19]
	global_load_ushort v3, v[16:17], off
.LBB64_88:                              ;   in Loop: Header=BB64_86 Depth=2
	s_or_b64 exec, exec, s[30:31]
	s_and_saveexec_b64 s[18:19], vcc
	s_cbranch_execz .LBB64_85
; %bb.89:                               ;   in Loop: Header=BB64_86 Depth=2
	s_waitcnt vmcnt(0)
	v_cmp_lt_i16_e32 vcc, -1, v3
	v_cndmask_b32_e32 v5, v33, v34, vcc
	v_lshlrev_b32_e32 v8, 16, v3
	v_xor_b32_sdwa v5, v5, v3 dst_sel:DWORD dst_unused:UNUSED_PAD src0_sel:DWORD src1_sel:WORD_0
	v_cmp_o_f32_e32 vcc, v8, v8
	v_cndmask_b32_e32 v5, v33, v5, vcc
	v_and_b32_e32 v5, s72, v5
	v_cmp_eq_u32_e32 vcc, s73, v5
	s_and_b64 exec, exec, vcc
	s_cbranch_execz .LBB64_85
; %bb.90:                               ;   in Loop: Header=BB64_86 Depth=2
	v_perm_b32 v3, v3, s76, v37
	ds_write_b32 v9, v3 offset:3072
	s_branch .LBB64_85
.LBB64_91:                              ;   in Loop: Header=BB64_8 Depth=1
	s_mov_b64 s[18:19], -1
                                        ; implicit-def: $sgpr20_sgpr21
                                        ; implicit-def: $sgpr28_sgpr29
                                        ; implicit-def: $sgpr26_sgpr27
	s_branch .LBB64_105
.LBB64_92:                              ;   in Loop: Header=BB64_8 Depth=1
	s_mov_b64 s[20:21], -1
	s_mov_b64 s[18:19], 0
                                        ; implicit-def: $sgpr26_sgpr27
                                        ; implicit-def: $vgpr38
	s_mov_b64 s[28:29], s[20:21]
	s_cbranch_execnz .LBB64_95
	s_branch .LBB64_105
.LBB64_93:                              ;   in Loop: Header=BB64_8 Depth=1
	s_or_b64 exec, exec, s[26:27]
	v_lshrrev_b32_e32 v38, 16, v3
	s_and_b64 s[18:19], s[28:29], exec
.LBB64_94:                              ;   in Loop: Header=BB64_8 Depth=1
	s_or_b64 exec, exec, s[20:21]
	s_mov_b64 s[26:27], -1
	s_mov_b64 s[20:21], 0
	s_mov_b64 s[28:29], s[20:21]
	s_branch .LBB64_105
.LBB64_95:                              ;   in Loop: Header=BB64_8 Depth=1
	v_readlane_b32 s11, v52, 9
	s_add_i32 s11, s10, s11
	s_abs_i32 s13, s11
	v_readlane_b32 s18, v52, 36
	s_mul_hi_u32 s18, s13, s18
	s_mul_i32 s18, s18, s33
	s_sub_i32 s13, s13, s18
	s_ashr_i32 s12, s11, 31
	s_sub_i32 s18, s13, s33
	s_cmp_ge_u32 s13, s33
	s_cselect_b32 s13, s18, s13
	s_sub_i32 s18, s13, s33
	s_cmp_ge_u32 s13, s33
	s_cselect_b32 s13, s18, s13
	s_xor_b32 s13, s13, s12
	s_sub_i32 s12, s12, s13
	s_add_i32 s11, s11, s12
	v_cmp_gt_i32_e32 vcc, s11, v0
	s_mov_b64 s[18:19], 0
                                        ; implicit-def: $vgpr38
	s_and_saveexec_b64 s[20:21], vcc
	s_cbranch_execz .LBB64_104
; %bb.96:                               ;   in Loop: Header=BB64_8 Depth=1
	s_mov_b64 s[26:27], 0
	v_mov_b32_e32 v2, v21
	v_mov_b32_e32 v3, v0
                                        ; implicit-def: $sgpr28_sgpr29
	s_branch .LBB64_98
.LBB64_97:                              ;   in Loop: Header=BB64_98 Depth=2
	s_or_b64 exec, exec, s[18:19]
	s_waitcnt lgkmcnt(0)
	s_barrier
	ds_read_b32 v4, v9 offset:3072
	v_add_u32_e32 v3, s33, v3
	v_cmp_le_i32_e64 s[18:19], s11, v3
	v_add_u32_e32 v2, s8, v2
	s_waitcnt lgkmcnt(0)
	v_and_b32_e32 v5, 0x7fff, v4
	v_cmp_ne_u16_e32 vcc, 0, v5
	s_or_b64 s[12:13], s[18:19], vcc
	s_and_b64 s[12:13], exec, s[12:13]
	s_or_b64 s[26:27], s[12:13], s[26:27]
	s_andn2_b64 s[12:13], s[28:29], exec
	s_and_b64 s[18:19], vcc, exec
	s_or_b64 s[28:29], s[12:13], s[18:19]
	s_barrier
	s_andn2_b64 exec, exec, s[26:27]
	s_cbranch_execz .LBB64_103
.LBB64_98:                              ;   Parent Loop BB64_8 Depth=1
                                        ; =>  This Inner Loop Header: Depth=2
	v_cmp_gt_i32_e32 vcc, s10, v3
	v_mov_b32_e32 v4, 0
	s_and_saveexec_b64 s[18:19], vcc
	s_cbranch_execz .LBB64_100
; %bb.99:                               ;   in Loop: Header=BB64_98 Depth=2
	ds_read_u16 v4, v2
.LBB64_100:                             ;   in Loop: Header=BB64_98 Depth=2
	s_or_b64 exec, exec, s[18:19]
	s_and_saveexec_b64 s[18:19], vcc
	s_cbranch_execz .LBB64_97
; %bb.101:                              ;   in Loop: Header=BB64_98 Depth=2
	s_waitcnt lgkmcnt(0)
	v_cmp_lt_i16_e32 vcc, -1, v4
	v_cndmask_b32_e32 v5, v33, v34, vcc
	v_lshlrev_b32_e32 v8, 16, v4
	v_xor_b32_sdwa v5, v5, v4 dst_sel:DWORD dst_unused:UNUSED_PAD src0_sel:DWORD src1_sel:WORD_0
	v_cmp_o_f32_e32 vcc, v8, v8
	v_cndmask_b32_e32 v5, v33, v5, vcc
	v_and_b32_e32 v5, s72, v5
	v_cmp_eq_u32_e32 vcc, s73, v5
	s_and_b64 exec, exec, vcc
	s_cbranch_execz .LBB64_97
; %bb.102:                              ;   in Loop: Header=BB64_98 Depth=2
	v_perm_b32 v4, v4, s76, v37
	ds_write_b32 v9, v4 offset:3072
	s_branch .LBB64_97
.LBB64_103:                             ;   in Loop: Header=BB64_8 Depth=1
	s_or_b64 exec, exec, s[26:27]
	v_lshrrev_b32_e32 v38, 16, v4
	s_and_b64 s[18:19], s[28:29], exec
.LBB64_104:                             ;   in Loop: Header=BB64_8 Depth=1
	s_or_b64 exec, exec, s[20:21]
	s_mov_b64 s[28:29], -1
	s_mov_b64 s[20:21], 0
	s_mov_b64 s[26:27], 0
.LBB64_105:                             ;   in Loop: Header=BB64_8 Depth=1
	s_andn2_b64 s[10:11], s[66:67], exec
	s_and_b64 s[12:13], s[20:21], exec
	s_or_b64 s[66:67], s[10:11], s[12:13]
	s_andn2_b64 s[10:11], s[64:65], exec
	s_and_b64 s[12:13], s[28:29], exec
	s_or_b64 s[64:65], s[10:11], s[12:13]
	;; [unrolled: 3-line block ×3, first 2 shown]
	s_and_saveexec_b64 s[20:21], s[18:19]
	s_cbranch_execz .LBB64_7
; %bb.106:                              ;   in Loop: Header=BB64_8 Depth=1
	s_xor_b64 s[10:11], s[24:25], -1
	s_mov_b64 s[18:19], 0
	s_andn2_b64 vcc, exec, s[10:11]
	s_mov_b32 s39, 1
	s_cbranch_vccnz .LBB64_117
; %bb.107:                              ;   in Loop: Header=BB64_8 Depth=1
	s_cmp_gt_i32 s61, s34
	s_mov_b64 s[18:19], -1
                                        ; implicit-def: $sgpr57
                                        ; implicit-def: $sgpr10
                                        ; implicit-def: $sgpr11
	s_cbranch_scc1 .LBB64_113
; %bb.108:                              ;   in Loop: Header=BB64_8 Depth=1
	ds_read_b32 v2, v9 offset:4096
	s_waitcnt lgkmcnt(0)
	v_cmp_ne_u32_e32 vcc, 0, v2
	s_cbranch_vccnz .LBB64_112
; %bb.109:                              ;   in Loop: Header=BB64_8 Depth=1
	s_mov_b64 s[18:19], exec
	v_readlane_b32 s10, v52, 4
	v_readlane_b32 s11, v52, 5
	s_and_b64 s[10:11], s[18:19], s[10:11]
	s_mov_b64 exec, s[10:11]
	s_cbranch_execz .LBB64_111
; %bb.110:                              ;   in Loop: Header=BB64_8 Depth=1
	v_mov_b32_e32 v2, s34
	ds_write_b32 v9, v2 offset:4100
.LBB64_111:                             ;   in Loop: Header=BB64_8 Depth=1
	s_or_b64 exec, exec, s[18:19]
	s_waitcnt lgkmcnt(0)
	s_barrier
.LBB64_112:                             ;   in Loop: Header=BB64_8 Depth=1
	s_and_b32 s10, s73, s48
	s_or_b32 s11, s72, s55
	s_mov_b64 s[18:19], 0
	s_mov_b32 s57, 8
.LBB64_113:                             ;   in Loop: Header=BB64_8 Depth=1
	s_andn2_b64 vcc, exec, s[18:19]
	s_cbranch_vccnz .LBB64_115
; %bb.114:                              ;   in Loop: Header=BB64_8 Depth=1
	s_sub_i32 s61, s61, s34
	s_mov_b64 s[18:19], -1
	s_mov_b32 s57, 0
	s_mov_b32 s10, s73
	;; [unrolled: 1-line block ×3, first 2 shown]
.LBB64_115:                             ;   in Loop: Header=BB64_8 Depth=1
	s_mov_b32 s72, s11
	s_mov_b32 s73, s10
	;; [unrolled: 1-line block ×3, first 2 shown]
	s_mov_b64 s[22:23], -1
	s_and_b64 vcc, exec, s[18:19]
	s_cbranch_vccnz .LBB64_118
.LBB64_116:                             ;   in Loop: Header=BB64_8 Depth=1
	s_mov_b64 s[36:37], -1
                                        ; implicit-def: $sgpr24_sgpr25
                                        ; implicit-def: $sgpr28_sgpr29
                                        ; implicit-def: $sgpr26_sgpr27
	s_and_saveexec_b64 s[10:11], s[36:37]
	s_xor_b64 s[18:19], exec, s[10:11]
	s_cbranch_execz .LBB64_6
	s_branch .LBB64_241
.LBB64_117:                             ;   in Loop: Header=BB64_8 Depth=1
	s_mov_b32 s57, 1
	s_mov_b64 s[22:23], -1
	s_and_b64 vcc, exec, s[18:19]
	s_cbranch_vccz .LBB64_116
.LBB64_118:                             ;   in Loop: Header=BB64_8 Depth=1
	s_cmp_eq_u32 s38, 1
	s_cselect_b64 s[10:11], -1, 0
	s_cmp_eq_u32 s39, 1
	s_cselect_b64 s[12:13], -1, 0
	s_and_b64 s[34:35], s[10:11], s[12:13]
	s_mov_b64 s[18:19], -1
	s_and_b64 vcc, exec, s[34:35]
	s_cbranch_vccz .LBB64_130
; %bb.119:                              ;   in Loop: Header=BB64_8 Depth=1
	ds_read_b32 v2, v9 offset:4096
	s_waitcnt lgkmcnt(0)
	s_barrier
	v_readfirstlane_b32 s10, v2
	s_and_saveexec_b64 s[18:19], s[4:5]
	s_cbranch_execz .LBB64_121
; %bb.120:                              ;   in Loop: Header=BB64_8 Depth=1
	ds_write_b16 v22, v9
.LBB64_121:                             ;   in Loop: Header=BB64_8 Depth=1
	s_or_b64 exec, exec, s[18:19]
	s_lshl_b32 s11, 1, s47
	s_and_b32 s12, s73, s48
	s_or_b32 s73, s12, s11
	s_or_b32 s72, s72, s55
	s_cmp_gt_i32 s10, 0
	s_waitcnt lgkmcnt(0)
	s_barrier
	s_cbranch_scc1 .LBB64_131
; %bb.122:                              ;   in Loop: Header=BB64_8 Depth=1
	s_mov_b64 s[18:19], 0
                                        ; implicit-def: $vgpr38
	s_mov_b64 s[24:25], exec
	v_readlane_b32 s12, v52, 37
	v_readlane_b32 s13, v52, 38
	s_and_b64 s[12:13], s[24:25], s[12:13]
	s_mov_b64 exec, s[12:13]
	s_cbranch_execz .LBB64_133
; %bb.123:                              ;   in Loop: Header=BB64_8 Depth=1
	s_mov_b64 s[26:27], 0
	v_mov_b32_e32 v2, v6
	v_mov_b32_e32 v4, v0
                                        ; implicit-def: $sgpr28_sgpr29
	s_branch .LBB64_125
.LBB64_124:                             ;   in Loop: Header=BB64_125 Depth=2
	s_or_b64 exec, exec, s[18:19]
	s_waitcnt lgkmcnt(0)
	s_barrier
	s_waitcnt vmcnt(0)
	ds_read_b32 v3, v9 offset:3072
	v_add_u32_e32 v4, s33, v4
	v_cmp_le_i32_e64 s[18:19], s77, v4
	v_add_u32_e32 v2, s79, v2
	s_waitcnt lgkmcnt(0)
	v_and_b32_e32 v5, 0x7fff, v3
	v_cmp_ne_u16_e32 vcc, 0, v5
	s_or_b64 s[12:13], s[18:19], vcc
	s_and_b64 s[12:13], exec, s[12:13]
	s_or_b64 s[26:27], s[12:13], s[26:27]
	s_andn2_b64 s[12:13], s[28:29], exec
	s_and_b64 s[18:19], vcc, exec
	s_or_b64 s[28:29], s[12:13], s[18:19]
	s_barrier
	s_andn2_b64 exec, exec, s[26:27]
	s_cbranch_execz .LBB64_132
.LBB64_125:                             ;   Parent Loop BB64_8 Depth=1
                                        ; =>  This Inner Loop Header: Depth=2
	v_cmp_gt_i32_e32 vcc, s60, v4
	v_mov_b32_e32 v3, 0
	s_and_saveexec_b64 s[30:31], vcc
	s_cbranch_execz .LBB64_127
; %bb.126:                              ;   in Loop: Header=BB64_125 Depth=2
	v_ashrrev_i32_e32 v3, 31, v2
	v_lshlrev_b64 v[16:17], 1, v[2:3]
	v_mov_b32_e32 v3, s78
	v_add_co_u32_e64 v16, s[18:19], s62, v16
	v_addc_co_u32_e64 v17, s[18:19], v3, v17, s[18:19]
	global_load_ushort v3, v[16:17], off
.LBB64_127:                             ;   in Loop: Header=BB64_125 Depth=2
	s_or_b64 exec, exec, s[30:31]
	s_and_saveexec_b64 s[18:19], vcc
	s_cbranch_execz .LBB64_124
; %bb.128:                              ;   in Loop: Header=BB64_125 Depth=2
	s_waitcnt vmcnt(0)
	v_cmp_lt_i16_e32 vcc, -1, v3
	v_cndmask_b32_e32 v5, v33, v34, vcc
	v_lshlrev_b32_e32 v8, 16, v3
	v_xor_b32_sdwa v5, v5, v3 dst_sel:DWORD dst_unused:UNUSED_PAD src0_sel:DWORD src1_sel:WORD_0
	v_cmp_o_f32_e32 vcc, v8, v8
	v_cndmask_b32_e32 v5, v33, v5, vcc
	v_and_b32_e32 v5, s72, v5
	v_cmp_eq_u32_e32 vcc, s73, v5
	s_and_b64 exec, exec, vcc
	s_cbranch_execz .LBB64_124
; %bb.129:                              ;   in Loop: Header=BB64_125 Depth=2
	v_perm_b32 v3, v3, s76, v37
	ds_write_b32 v9, v3 offset:3072
	s_branch .LBB64_124
.LBB64_130:                             ;   in Loop: Header=BB64_8 Depth=1
                                        ; implicit-def: $sgpr26_sgpr27
                                        ; implicit-def: $sgpr28_sgpr29
                                        ; implicit-def: $sgpr24_sgpr25
	s_branch .LBB64_144
.LBB64_131:                             ;   in Loop: Header=BB64_8 Depth=1
	s_mov_b64 s[26:27], -1
	s_mov_b64 s[18:19], 0
                                        ; implicit-def: $sgpr24_sgpr25
                                        ; implicit-def: $vgpr38
	s_mov_b64 s[28:29], s[26:27]
	s_cbranch_execnz .LBB64_134
	s_branch .LBB64_144
.LBB64_132:                             ;   in Loop: Header=BB64_8 Depth=1
	s_or_b64 exec, exec, s[26:27]
	v_lshrrev_b32_e32 v38, 16, v3
	s_and_b64 s[18:19], s[28:29], exec
.LBB64_133:                             ;   in Loop: Header=BB64_8 Depth=1
	s_or_b64 exec, exec, s[24:25]
	s_mov_b64 s[24:25], -1
	s_mov_b64 s[26:27], 0
	s_mov_b64 s[28:29], s[26:27]
	s_branch .LBB64_144
.LBB64_134:                             ;   in Loop: Header=BB64_8 Depth=1
	v_readlane_b32 s11, v52, 9
	s_add_i32 s11, s10, s11
	s_abs_i32 s13, s11
	v_readlane_b32 s18, v52, 36
	s_mul_hi_u32 s18, s13, s18
	s_mul_i32 s18, s18, s33
	s_sub_i32 s13, s13, s18
	s_ashr_i32 s12, s11, 31
	s_sub_i32 s18, s13, s33
	s_cmp_ge_u32 s13, s33
	s_cselect_b32 s13, s18, s13
	s_sub_i32 s18, s13, s33
	s_cmp_ge_u32 s13, s33
	s_cselect_b32 s13, s18, s13
	s_xor_b32 s13, s13, s12
	s_sub_i32 s12, s12, s13
	s_add_i32 s11, s11, s12
	v_cmp_gt_i32_e32 vcc, s11, v0
	s_mov_b64 s[18:19], 0
                                        ; implicit-def: $vgpr38
	s_and_saveexec_b64 s[24:25], vcc
	s_cbranch_execz .LBB64_143
; %bb.135:                              ;   in Loop: Header=BB64_8 Depth=1
	s_mov_b64 s[26:27], 0
	v_mov_b32_e32 v2, v21
	v_mov_b32_e32 v3, v0
                                        ; implicit-def: $sgpr28_sgpr29
	s_branch .LBB64_137
.LBB64_136:                             ;   in Loop: Header=BB64_137 Depth=2
	s_or_b64 exec, exec, s[18:19]
	s_waitcnt lgkmcnt(0)
	s_barrier
	ds_read_b32 v4, v9 offset:3072
	v_add_u32_e32 v3, s33, v3
	v_cmp_le_i32_e64 s[18:19], s11, v3
	v_add_u32_e32 v2, s8, v2
	s_waitcnt lgkmcnt(0)
	v_and_b32_e32 v5, 0x7fff, v4
	v_cmp_ne_u16_e32 vcc, 0, v5
	s_or_b64 s[12:13], s[18:19], vcc
	s_and_b64 s[12:13], exec, s[12:13]
	s_or_b64 s[26:27], s[12:13], s[26:27]
	s_andn2_b64 s[12:13], s[28:29], exec
	s_and_b64 s[18:19], vcc, exec
	s_or_b64 s[28:29], s[12:13], s[18:19]
	s_barrier
	s_andn2_b64 exec, exec, s[26:27]
	s_cbranch_execz .LBB64_142
.LBB64_137:                             ;   Parent Loop BB64_8 Depth=1
                                        ; =>  This Inner Loop Header: Depth=2
	v_cmp_gt_i32_e32 vcc, s10, v3
	v_mov_b32_e32 v4, 0
	s_and_saveexec_b64 s[18:19], vcc
	s_cbranch_execz .LBB64_139
; %bb.138:                              ;   in Loop: Header=BB64_137 Depth=2
	ds_read_u16 v4, v2
.LBB64_139:                             ;   in Loop: Header=BB64_137 Depth=2
	s_or_b64 exec, exec, s[18:19]
	s_and_saveexec_b64 s[18:19], vcc
	s_cbranch_execz .LBB64_136
; %bb.140:                              ;   in Loop: Header=BB64_137 Depth=2
	s_waitcnt lgkmcnt(0)
	v_cmp_lt_i16_e32 vcc, -1, v4
	v_cndmask_b32_e32 v5, v33, v34, vcc
	v_lshlrev_b32_e32 v8, 16, v4
	v_xor_b32_sdwa v5, v5, v4 dst_sel:DWORD dst_unused:UNUSED_PAD src0_sel:DWORD src1_sel:WORD_0
	v_cmp_o_f32_e32 vcc, v8, v8
	v_cndmask_b32_e32 v5, v33, v5, vcc
	v_and_b32_e32 v5, s72, v5
	v_cmp_eq_u32_e32 vcc, s73, v5
	s_and_b64 exec, exec, vcc
	s_cbranch_execz .LBB64_136
; %bb.141:                              ;   in Loop: Header=BB64_137 Depth=2
	v_perm_b32 v4, v4, s76, v37
	ds_write_b32 v9, v4 offset:3072
	s_branch .LBB64_136
.LBB64_142:                             ;   in Loop: Header=BB64_8 Depth=1
	s_or_b64 exec, exec, s[26:27]
	v_lshrrev_b32_e32 v38, 16, v4
	s_and_b64 s[18:19], s[28:29], exec
.LBB64_143:                             ;   in Loop: Header=BB64_8 Depth=1
	s_or_b64 exec, exec, s[24:25]
	s_mov_b64 s[28:29], -1
	s_mov_b64 s[26:27], 0
	s_mov_b64 s[24:25], 0
.LBB64_144:                             ;   in Loop: Header=BB64_8 Depth=1
	s_mov_b64 s[36:37], 0
                                        ; implicit-def: $sgpr57
	s_and_saveexec_b64 s[30:31], s[18:19]
	s_cbranch_execz .LBB64_240
; %bb.145:                              ;   in Loop: Header=BB64_8 Depth=1
	s_xor_b64 s[10:11], s[34:35], -1
	s_mov_b64 s[18:19], 0
	s_andn2_b64 vcc, exec, s[10:11]
	s_mov_b32 s49, 1
	s_cbranch_vccnz .LBB64_156
; %bb.146:                              ;   in Loop: Header=BB64_8 Depth=1
	s_cmp_gt_i32 s39, s38
	s_mov_b64 s[18:19], -1
                                        ; implicit-def: $sgpr57
                                        ; implicit-def: $sgpr10
                                        ; implicit-def: $sgpr11
	s_cbranch_scc1 .LBB64_152
; %bb.147:                              ;   in Loop: Header=BB64_8 Depth=1
	ds_read_b32 v2, v9 offset:4096
	s_waitcnt lgkmcnt(0)
	v_cmp_ne_u32_e32 vcc, 0, v2
	s_cbranch_vccnz .LBB64_151
; %bb.148:                              ;   in Loop: Header=BB64_8 Depth=1
	s_mov_b64 s[18:19], exec
	v_readlane_b32 s10, v52, 4
	v_readlane_b32 s11, v52, 5
	s_and_b64 s[10:11], s[18:19], s[10:11]
	s_mov_b64 exec, s[10:11]
	s_cbranch_execz .LBB64_150
; %bb.149:                              ;   in Loop: Header=BB64_8 Depth=1
	v_mov_b32_e32 v2, s38
	ds_write_b32 v9, v2 offset:4100
.LBB64_150:                             ;   in Loop: Header=BB64_8 Depth=1
	s_or_b64 exec, exec, s[18:19]
	s_waitcnt lgkmcnt(0)
	s_barrier
.LBB64_151:                             ;   in Loop: Header=BB64_8 Depth=1
	s_lshl_b32 s10, 1, s47
	s_and_b32 s11, s73, s48
	s_or_b32 s10, s11, s10
	s_or_b32 s11, s72, s55
	s_mov_b64 s[18:19], 0
	s_mov_b32 s57, 8
.LBB64_152:                             ;   in Loop: Header=BB64_8 Depth=1
	s_andn2_b64 vcc, exec, s[18:19]
	s_cbranch_vccnz .LBB64_154
; %bb.153:                              ;   in Loop: Header=BB64_8 Depth=1
	s_sub_i32 s39, s39, s38
	s_mov_b64 s[18:19], -1
	s_mov_b32 s57, 0
	s_mov_b32 s10, s73
	;; [unrolled: 1-line block ×3, first 2 shown]
.LBB64_154:                             ;   in Loop: Header=BB64_8 Depth=1
	s_mov_b32 s72, s11
	s_mov_b32 s73, s10
	;; [unrolled: 1-line block ×3, first 2 shown]
	s_andn2_b64 vcc, exec, s[18:19]
	s_mov_b64 s[44:45], -1
	s_cbranch_vccz .LBB64_157
.LBB64_155:                             ;   in Loop: Header=BB64_8 Depth=1
                                        ; implicit-def: $sgpr36_sgpr37
                                        ; implicit-def: $sgpr38_sgpr39
                                        ; implicit-def: $sgpr34_sgpr35
	s_branch .LBB64_239
.LBB64_156:                             ;   in Loop: Header=BB64_8 Depth=1
	s_mov_b32 s57, 1
	s_andn2_b64 vcc, exec, s[18:19]
	s_mov_b64 s[44:45], -1
	s_cbranch_vccnz .LBB64_155
.LBB64_157:                             ;   in Loop: Header=BB64_8 Depth=1
	s_cmp_eq_u32 s46, 1
	s_cselect_b64 s[10:11], -1, 0
	s_cmp_eq_u32 s49, 1
	s_cselect_b64 s[12:13], -1, 0
	s_and_b64 s[42:43], s[10:11], s[12:13]
	s_mov_b64 s[18:19], -1
	s_and_b64 vcc, exec, s[42:43]
	s_cbranch_vccz .LBB64_169
; %bb.158:                              ;   in Loop: Header=BB64_8 Depth=1
	ds_read_b32 v2, v9 offset:4096
	s_waitcnt lgkmcnt(0)
	s_barrier
	v_readfirstlane_b32 s10, v2
	s_and_saveexec_b64 s[18:19], s[4:5]
	s_cbranch_execz .LBB64_160
; %bb.159:                              ;   in Loop: Header=BB64_8 Depth=1
	ds_write_b16 v22, v9
.LBB64_160:                             ;   in Loop: Header=BB64_8 Depth=1
	s_or_b64 exec, exec, s[18:19]
	s_lshl_b32 s11, 2, s47
	s_and_b32 s12, s73, s48
	s_or_b32 s73, s12, s11
	s_or_b32 s72, s72, s55
	s_cmp_gt_i32 s10, 0
	s_waitcnt lgkmcnt(0)
	s_barrier
	s_cbranch_scc1 .LBB64_170
; %bb.161:                              ;   in Loop: Header=BB64_8 Depth=1
	s_mov_b64 s[18:19], 0
                                        ; implicit-def: $vgpr38
	s_mov_b64 s[34:35], exec
	v_readlane_b32 s12, v52, 37
	v_readlane_b32 s13, v52, 38
	s_and_b64 s[12:13], s[34:35], s[12:13]
	s_mov_b64 exec, s[12:13]
	s_cbranch_execz .LBB64_172
; %bb.162:                              ;   in Loop: Header=BB64_8 Depth=1
	v_mov_b32_e32 v2, v6
	v_mov_b32_e32 v4, v0
                                        ; implicit-def: $sgpr38_sgpr39
	s_branch .LBB64_164
.LBB64_163:                             ;   in Loop: Header=BB64_164 Depth=2
	s_or_b64 exec, exec, s[18:19]
	s_waitcnt lgkmcnt(0)
	s_barrier
	s_waitcnt vmcnt(0)
	ds_read_b32 v3, v9 offset:3072
	v_add_u32_e32 v4, s33, v4
	v_cmp_le_i32_e64 s[18:19], s77, v4
	v_add_u32_e32 v2, s79, v2
	s_waitcnt lgkmcnt(0)
	v_and_b32_e32 v5, 0x7fff, v3
	v_cmp_ne_u16_e32 vcc, 0, v5
	s_or_b64 s[12:13], s[18:19], vcc
	s_and_b64 s[12:13], exec, s[12:13]
	s_or_b64 s[36:37], s[12:13], s[36:37]
	s_andn2_b64 s[12:13], s[38:39], exec
	s_and_b64 s[18:19], vcc, exec
	s_or_b64 s[38:39], s[12:13], s[18:19]
	s_barrier
	s_andn2_b64 exec, exec, s[36:37]
	s_cbranch_execz .LBB64_171
.LBB64_164:                             ;   Parent Loop BB64_8 Depth=1
                                        ; =>  This Inner Loop Header: Depth=2
	v_cmp_gt_i32_e32 vcc, s60, v4
	v_mov_b32_e32 v3, 0
	s_and_saveexec_b64 s[40:41], vcc
	s_cbranch_execz .LBB64_166
; %bb.165:                              ;   in Loop: Header=BB64_164 Depth=2
	v_ashrrev_i32_e32 v3, 31, v2
	v_lshlrev_b64 v[16:17], 1, v[2:3]
	v_mov_b32_e32 v3, s78
	v_add_co_u32_e64 v16, s[18:19], s62, v16
	v_addc_co_u32_e64 v17, s[18:19], v3, v17, s[18:19]
	global_load_ushort v3, v[16:17], off
.LBB64_166:                             ;   in Loop: Header=BB64_164 Depth=2
	s_or_b64 exec, exec, s[40:41]
	s_and_saveexec_b64 s[18:19], vcc
	s_cbranch_execz .LBB64_163
; %bb.167:                              ;   in Loop: Header=BB64_164 Depth=2
	s_waitcnt vmcnt(0)
	v_cmp_lt_i16_e32 vcc, -1, v3
	v_cndmask_b32_e32 v5, v33, v34, vcc
	v_lshlrev_b32_e32 v8, 16, v3
	v_xor_b32_sdwa v5, v5, v3 dst_sel:DWORD dst_unused:UNUSED_PAD src0_sel:DWORD src1_sel:WORD_0
	v_cmp_o_f32_e32 vcc, v8, v8
	v_cndmask_b32_e32 v5, v33, v5, vcc
	v_and_b32_e32 v5, s72, v5
	v_cmp_eq_u32_e32 vcc, s73, v5
	s_and_b64 exec, exec, vcc
	s_cbranch_execz .LBB64_163
; %bb.168:                              ;   in Loop: Header=BB64_164 Depth=2
	v_perm_b32 v3, v3, s76, v37
	ds_write_b32 v9, v3 offset:3072
	s_branch .LBB64_163
.LBB64_169:                             ;   in Loop: Header=BB64_8 Depth=1
                                        ; implicit-def: $sgpr34_sgpr35
                                        ; implicit-def: $sgpr38_sgpr39
                                        ; implicit-def: $sgpr36_sgpr37
	s_branch .LBB64_183
.LBB64_170:                             ;   in Loop: Header=BB64_8 Depth=1
	s_mov_b64 s[34:35], -1
	s_mov_b64 s[18:19], 0
                                        ; implicit-def: $sgpr36_sgpr37
                                        ; implicit-def: $vgpr38
	s_mov_b64 s[38:39], s[34:35]
	s_cbranch_execnz .LBB64_173
	s_branch .LBB64_183
.LBB64_171:                             ;   in Loop: Header=BB64_8 Depth=1
	s_or_b64 exec, exec, s[36:37]
	v_lshrrev_b32_e32 v38, 16, v3
	s_and_b64 s[18:19], s[38:39], exec
.LBB64_172:                             ;   in Loop: Header=BB64_8 Depth=1
	s_or_b64 exec, exec, s[34:35]
	s_mov_b64 s[36:37], -1
	s_mov_b64 s[34:35], 0
	s_mov_b64 s[38:39], s[34:35]
	s_branch .LBB64_183
.LBB64_173:                             ;   in Loop: Header=BB64_8 Depth=1
	v_readlane_b32 s11, v52, 9
	s_add_i32 s11, s10, s11
	s_abs_i32 s13, s11
	v_readlane_b32 s18, v52, 36
	s_mul_hi_u32 s18, s13, s18
	s_mul_i32 s18, s18, s33
	s_sub_i32 s13, s13, s18
	s_ashr_i32 s12, s11, 31
	s_sub_i32 s18, s13, s33
	s_cmp_ge_u32 s13, s33
	s_cselect_b32 s13, s18, s13
	s_sub_i32 s18, s13, s33
	s_cmp_ge_u32 s13, s33
	s_cselect_b32 s13, s18, s13
	s_xor_b32 s13, s13, s12
	s_sub_i32 s12, s12, s13
	s_add_i32 s11, s11, s12
	v_cmp_gt_i32_e32 vcc, s11, v0
	s_mov_b64 s[18:19], 0
                                        ; implicit-def: $vgpr38
	s_and_saveexec_b64 s[34:35], vcc
	s_cbranch_execz .LBB64_182
; %bb.174:                              ;   in Loop: Header=BB64_8 Depth=1
	s_mov_b64 s[36:37], 0
	v_mov_b32_e32 v2, v21
	v_mov_b32_e32 v3, v0
                                        ; implicit-def: $sgpr38_sgpr39
	s_branch .LBB64_176
.LBB64_175:                             ;   in Loop: Header=BB64_176 Depth=2
	s_or_b64 exec, exec, s[18:19]
	s_waitcnt lgkmcnt(0)
	s_barrier
	ds_read_b32 v4, v9 offset:3072
	v_add_u32_e32 v3, s33, v3
	v_cmp_le_i32_e64 s[18:19], s11, v3
	v_add_u32_e32 v2, s8, v2
	s_waitcnt lgkmcnt(0)
	v_and_b32_e32 v5, 0x7fff, v4
	v_cmp_ne_u16_e32 vcc, 0, v5
	s_or_b64 s[12:13], s[18:19], vcc
	s_and_b64 s[12:13], exec, s[12:13]
	s_or_b64 s[36:37], s[12:13], s[36:37]
	s_andn2_b64 s[12:13], s[38:39], exec
	s_and_b64 s[18:19], vcc, exec
	s_or_b64 s[38:39], s[12:13], s[18:19]
	s_barrier
	s_andn2_b64 exec, exec, s[36:37]
	s_cbranch_execz .LBB64_181
.LBB64_176:                             ;   Parent Loop BB64_8 Depth=1
                                        ; =>  This Inner Loop Header: Depth=2
	v_cmp_gt_i32_e32 vcc, s10, v3
	v_mov_b32_e32 v4, 0
	s_and_saveexec_b64 s[18:19], vcc
	s_cbranch_execz .LBB64_178
; %bb.177:                              ;   in Loop: Header=BB64_176 Depth=2
	ds_read_u16 v4, v2
.LBB64_178:                             ;   in Loop: Header=BB64_176 Depth=2
	s_or_b64 exec, exec, s[18:19]
	s_and_saveexec_b64 s[18:19], vcc
	s_cbranch_execz .LBB64_175
; %bb.179:                              ;   in Loop: Header=BB64_176 Depth=2
	s_waitcnt lgkmcnt(0)
	v_cmp_lt_i16_e32 vcc, -1, v4
	v_cndmask_b32_e32 v5, v33, v34, vcc
	v_lshlrev_b32_e32 v8, 16, v4
	v_xor_b32_sdwa v5, v5, v4 dst_sel:DWORD dst_unused:UNUSED_PAD src0_sel:DWORD src1_sel:WORD_0
	v_cmp_o_f32_e32 vcc, v8, v8
	v_cndmask_b32_e32 v5, v33, v5, vcc
	v_and_b32_e32 v5, s72, v5
	v_cmp_eq_u32_e32 vcc, s73, v5
	s_and_b64 exec, exec, vcc
	s_cbranch_execz .LBB64_175
; %bb.180:                              ;   in Loop: Header=BB64_176 Depth=2
	v_perm_b32 v4, v4, s76, v37
	ds_write_b32 v9, v4 offset:3072
	s_branch .LBB64_175
.LBB64_181:                             ;   in Loop: Header=BB64_8 Depth=1
	s_or_b64 exec, exec, s[36:37]
	v_lshrrev_b32_e32 v38, 16, v4
	s_and_b64 s[18:19], s[38:39], exec
.LBB64_182:                             ;   in Loop: Header=BB64_8 Depth=1
	s_or_b64 exec, exec, s[34:35]
	s_mov_b64 s[38:39], -1
	s_mov_b64 s[34:35], 0
	s_mov_b64 s[36:37], 0
.LBB64_183:                             ;   in Loop: Header=BB64_8 Depth=1
	s_mov_b64 s[44:45], 0
                                        ; implicit-def: $sgpr57
	s_and_saveexec_b64 s[40:41], s[18:19]
	s_cbranch_execz .LBB64_238
; %bb.184:                              ;   in Loop: Header=BB64_8 Depth=1
	s_xor_b64 s[10:11], s[42:43], -1
	s_mov_b64 s[18:19], 0
	s_andn2_b64 vcc, exec, s[10:11]
	s_mov_b32 s56, 1
	s_cbranch_vccnz .LBB64_195
; %bb.185:                              ;   in Loop: Header=BB64_8 Depth=1
	s_cmp_gt_i32 s49, s46
	s_mov_b64 s[18:19], -1
                                        ; implicit-def: $sgpr57
                                        ; implicit-def: $sgpr10
                                        ; implicit-def: $sgpr11
	s_cbranch_scc1 .LBB64_191
; %bb.186:                              ;   in Loop: Header=BB64_8 Depth=1
	ds_read_b32 v2, v9 offset:4096
	s_waitcnt lgkmcnt(0)
	v_cmp_ne_u32_e32 vcc, 0, v2
	s_cbranch_vccnz .LBB64_190
; %bb.187:                              ;   in Loop: Header=BB64_8 Depth=1
	s_mov_b64 s[18:19], exec
	v_readlane_b32 s10, v52, 4
	v_readlane_b32 s11, v52, 5
	s_and_b64 s[10:11], s[18:19], s[10:11]
	s_mov_b64 exec, s[10:11]
	s_cbranch_execz .LBB64_189
; %bb.188:                              ;   in Loop: Header=BB64_8 Depth=1
	v_mov_b32_e32 v2, s46
	ds_write_b32 v9, v2 offset:4100
.LBB64_189:                             ;   in Loop: Header=BB64_8 Depth=1
	s_or_b64 exec, exec, s[18:19]
	s_waitcnt lgkmcnt(0)
	s_barrier
.LBB64_190:                             ;   in Loop: Header=BB64_8 Depth=1
	s_lshl_b32 s10, 2, s47
	s_and_b32 s11, s73, s48
	s_or_b32 s10, s11, s10
	s_or_b32 s11, s72, s55
	s_mov_b64 s[18:19], 0
	s_mov_b32 s57, 8
.LBB64_191:                             ;   in Loop: Header=BB64_8 Depth=1
	s_andn2_b64 vcc, exec, s[18:19]
	s_cbranch_vccnz .LBB64_193
; %bb.192:                              ;   in Loop: Header=BB64_8 Depth=1
	s_sub_i32 s49, s49, s46
	s_mov_b64 s[18:19], -1
	s_mov_b32 s57, 0
	s_mov_b32 s10, s73
	;; [unrolled: 1-line block ×3, first 2 shown]
.LBB64_193:                             ;   in Loop: Header=BB64_8 Depth=1
	s_mov_b32 s72, s11
	s_mov_b32 s73, s10
	;; [unrolled: 1-line block ×3, first 2 shown]
	s_andn2_b64 vcc, exec, s[18:19]
	s_mov_b64 s[52:53], -1
	s_cbranch_vccz .LBB64_196
.LBB64_194:                             ;   in Loop: Header=BB64_8 Depth=1
                                        ; implicit-def: $sgpr18_sgpr19
                                        ; implicit-def: $sgpr46_sgpr47
                                        ; implicit-def: $sgpr44_sgpr45
	s_branch .LBB64_237
.LBB64_195:                             ;   in Loop: Header=BB64_8 Depth=1
	s_mov_b32 s57, 1
	s_andn2_b64 vcc, exec, s[18:19]
	s_mov_b64 s[52:53], -1
	s_cbranch_vccnz .LBB64_194
.LBB64_196:                             ;   in Loop: Header=BB64_8 Depth=1
	s_cmp_eq_u32 s54, 1
	s_cselect_b64 s[10:11], -1, 0
	s_cmp_eq_u32 s56, 1
	s_cselect_b64 s[12:13], -1, 0
	s_and_b64 s[42:43], s[10:11], s[12:13]
	s_mov_b64 s[48:49], -1
	s_and_b64 vcc, exec, s[42:43]
	s_cbranch_vccz .LBB64_208
; %bb.197:                              ;   in Loop: Header=BB64_8 Depth=1
	ds_read_b32 v2, v9 offset:4096
	s_waitcnt lgkmcnt(0)
	s_barrier
	v_readfirstlane_b32 s10, v2
	s_and_saveexec_b64 s[18:19], s[4:5]
	s_cbranch_execz .LBB64_199
; %bb.198:                              ;   in Loop: Header=BB64_8 Depth=1
	ds_write_b16 v22, v9
.LBB64_199:                             ;   in Loop: Header=BB64_8 Depth=1
	s_or_b64 exec, exec, s[18:19]
	s_or_b32 s73, s73, s55
	s_or_b32 s72, s72, s55
	s_cmp_gt_i32 s10, 0
	s_waitcnt lgkmcnt(0)
	s_barrier
	s_cbranch_scc1 .LBB64_209
; %bb.200:                              ;   in Loop: Header=BB64_8 Depth=1
	s_mov_b64 s[48:49], 0
                                        ; implicit-def: $vgpr38
	s_mov_b64 s[44:45], exec
	v_readlane_b32 s12, v52, 37
	v_readlane_b32 s13, v52, 38
	s_and_b64 s[12:13], s[44:45], s[12:13]
	s_mov_b64 exec, s[12:13]
	s_cbranch_execz .LBB64_211
; %bb.201:                              ;   in Loop: Header=BB64_8 Depth=1
	s_mov_b64 s[46:47], 0
	v_mov_b32_e32 v2, v6
	v_mov_b32_e32 v4, v0
                                        ; implicit-def: $sgpr48_sgpr49
	s_branch .LBB64_203
.LBB64_202:                             ;   in Loop: Header=BB64_203 Depth=2
	s_or_b64 exec, exec, s[18:19]
	s_waitcnt lgkmcnt(0)
	s_barrier
	s_waitcnt vmcnt(0)
	ds_read_b32 v3, v9 offset:3072
	v_add_u32_e32 v4, s33, v4
	v_cmp_le_i32_e64 s[18:19], s77, v4
	v_add_u32_e32 v2, s79, v2
	s_waitcnt lgkmcnt(0)
	v_and_b32_e32 v5, 0x7fff, v3
	v_cmp_ne_u16_e32 vcc, 0, v5
	s_or_b64 s[12:13], s[18:19], vcc
	s_and_b64 s[12:13], exec, s[12:13]
	s_or_b64 s[46:47], s[12:13], s[46:47]
	s_andn2_b64 s[12:13], s[48:49], exec
	s_and_b64 s[18:19], vcc, exec
	s_or_b64 s[48:49], s[12:13], s[18:19]
	s_barrier
	s_andn2_b64 exec, exec, s[46:47]
	s_cbranch_execz .LBB64_210
.LBB64_203:                             ;   Parent Loop BB64_8 Depth=1
                                        ; =>  This Inner Loop Header: Depth=2
	v_cmp_gt_i32_e32 vcc, s60, v4
	v_mov_b32_e32 v3, 0
	s_and_saveexec_b64 s[50:51], vcc
	s_cbranch_execz .LBB64_205
; %bb.204:                              ;   in Loop: Header=BB64_203 Depth=2
	v_ashrrev_i32_e32 v3, 31, v2
	v_lshlrev_b64 v[16:17], 1, v[2:3]
	v_mov_b32_e32 v3, s78
	v_add_co_u32_e64 v16, s[18:19], s62, v16
	v_addc_co_u32_e64 v17, s[18:19], v3, v17, s[18:19]
	global_load_ushort v3, v[16:17], off
.LBB64_205:                             ;   in Loop: Header=BB64_203 Depth=2
	s_or_b64 exec, exec, s[50:51]
	s_and_saveexec_b64 s[18:19], vcc
	s_cbranch_execz .LBB64_202
; %bb.206:                              ;   in Loop: Header=BB64_203 Depth=2
	s_waitcnt vmcnt(0)
	v_cmp_lt_i16_e32 vcc, -1, v3
	v_cndmask_b32_e32 v5, v33, v34, vcc
	v_lshlrev_b32_e32 v8, 16, v3
	v_xor_b32_sdwa v5, v5, v3 dst_sel:DWORD dst_unused:UNUSED_PAD src0_sel:DWORD src1_sel:WORD_0
	v_cmp_o_f32_e32 vcc, v8, v8
	v_cndmask_b32_e32 v5, v33, v5, vcc
	v_and_b32_e32 v5, s72, v5
	v_cmp_eq_u32_e32 vcc, s73, v5
	s_and_b64 exec, exec, vcc
	s_cbranch_execz .LBB64_202
; %bb.207:                              ;   in Loop: Header=BB64_203 Depth=2
	v_perm_b32 v3, v3, s76, v37
	ds_write_b32 v9, v3 offset:3072
	s_branch .LBB64_202
.LBB64_208:                             ;   in Loop: Header=BB64_8 Depth=1
                                        ; implicit-def: $sgpr18_sgpr19
                                        ; implicit-def: $sgpr46_sgpr47
                                        ; implicit-def: $sgpr44_sgpr45
	s_branch .LBB64_222
.LBB64_209:                             ;   in Loop: Header=BB64_8 Depth=1
	s_mov_b64 s[18:19], -1
	s_mov_b64 s[48:49], 0
                                        ; implicit-def: $sgpr44_sgpr45
                                        ; implicit-def: $vgpr38
	s_mov_b64 s[46:47], s[18:19]
	s_cbranch_execnz .LBB64_212
	s_branch .LBB64_222
.LBB64_210:                             ;   in Loop: Header=BB64_8 Depth=1
	s_or_b64 exec, exec, s[46:47]
	v_lshrrev_b32_e32 v38, 16, v3
	s_and_b64 s[48:49], s[48:49], exec
.LBB64_211:                             ;   in Loop: Header=BB64_8 Depth=1
	s_or_b64 exec, exec, s[44:45]
	s_mov_b64 s[44:45], -1
	s_mov_b64 s[18:19], 0
	s_mov_b64 s[46:47], s[18:19]
	s_branch .LBB64_222
.LBB64_212:                             ;   in Loop: Header=BB64_8 Depth=1
	v_readlane_b32 s11, v52, 9
	s_add_i32 s11, s10, s11
	s_abs_i32 s13, s11
	v_readlane_b32 s18, v52, 36
	s_mul_hi_u32 s18, s13, s18
	s_mul_i32 s18, s18, s33
	s_sub_i32 s13, s13, s18
	s_ashr_i32 s12, s11, 31
	s_sub_i32 s18, s13, s33
	s_cmp_ge_u32 s13, s33
	s_cselect_b32 s13, s18, s13
	s_sub_i32 s18, s13, s33
	s_cmp_ge_u32 s13, s33
	s_cselect_b32 s13, s18, s13
	s_xor_b32 s13, s13, s12
	s_sub_i32 s12, s12, s13
	s_add_i32 s11, s11, s12
	v_cmp_gt_i32_e32 vcc, s11, v0
	s_mov_b64 s[48:49], 0
                                        ; implicit-def: $vgpr38
	s_and_saveexec_b64 s[44:45], vcc
	s_cbranch_execz .LBB64_221
; %bb.213:                              ;   in Loop: Header=BB64_8 Depth=1
	s_mov_b64 s[46:47], 0
	v_mov_b32_e32 v2, v21
	v_mov_b32_e32 v3, v0
                                        ; implicit-def: $sgpr48_sgpr49
	s_branch .LBB64_215
.LBB64_214:                             ;   in Loop: Header=BB64_215 Depth=2
	s_or_b64 exec, exec, s[18:19]
	s_waitcnt lgkmcnt(0)
	s_barrier
	ds_read_b32 v4, v9 offset:3072
	v_add_u32_e32 v3, s33, v3
	v_cmp_le_i32_e64 s[18:19], s11, v3
	v_add_u32_e32 v2, s8, v2
	s_waitcnt lgkmcnt(0)
	v_and_b32_e32 v5, 0x7fff, v4
	v_cmp_ne_u16_e32 vcc, 0, v5
	s_or_b64 s[12:13], s[18:19], vcc
	s_and_b64 s[12:13], exec, s[12:13]
	s_or_b64 s[46:47], s[12:13], s[46:47]
	s_andn2_b64 s[12:13], s[48:49], exec
	s_and_b64 s[18:19], vcc, exec
	s_or_b64 s[48:49], s[12:13], s[18:19]
	s_barrier
	s_andn2_b64 exec, exec, s[46:47]
	s_cbranch_execz .LBB64_220
.LBB64_215:                             ;   Parent Loop BB64_8 Depth=1
                                        ; =>  This Inner Loop Header: Depth=2
	v_cmp_gt_i32_e32 vcc, s10, v3
	v_mov_b32_e32 v4, 0
	s_and_saveexec_b64 s[18:19], vcc
	s_cbranch_execz .LBB64_217
; %bb.216:                              ;   in Loop: Header=BB64_215 Depth=2
	ds_read_u16 v4, v2
.LBB64_217:                             ;   in Loop: Header=BB64_215 Depth=2
	s_or_b64 exec, exec, s[18:19]
	s_and_saveexec_b64 s[18:19], vcc
	s_cbranch_execz .LBB64_214
; %bb.218:                              ;   in Loop: Header=BB64_215 Depth=2
	s_waitcnt lgkmcnt(0)
	v_cmp_lt_i16_e32 vcc, -1, v4
	v_cndmask_b32_e32 v5, v33, v34, vcc
	v_lshlrev_b32_e32 v8, 16, v4
	v_xor_b32_sdwa v5, v5, v4 dst_sel:DWORD dst_unused:UNUSED_PAD src0_sel:DWORD src1_sel:WORD_0
	v_cmp_o_f32_e32 vcc, v8, v8
	v_cndmask_b32_e32 v5, v33, v5, vcc
	v_and_b32_e32 v5, s72, v5
	v_cmp_eq_u32_e32 vcc, s73, v5
	s_and_b64 exec, exec, vcc
	s_cbranch_execz .LBB64_214
; %bb.219:                              ;   in Loop: Header=BB64_215 Depth=2
	v_perm_b32 v4, v4, s76, v37
	ds_write_b32 v9, v4 offset:3072
	s_branch .LBB64_214
.LBB64_220:                             ;   in Loop: Header=BB64_8 Depth=1
	s_or_b64 exec, exec, s[46:47]
	v_lshrrev_b32_e32 v38, 16, v4
	s_and_b64 s[48:49], s[48:49], exec
.LBB64_221:                             ;   in Loop: Header=BB64_8 Depth=1
	s_or_b64 exec, exec, s[44:45]
	s_mov_b64 s[46:47], -1
	s_mov_b64 s[18:19], 0
	s_mov_b64 s[44:45], 0
.LBB64_222:                             ;   in Loop: Header=BB64_8 Depth=1
	s_mov_b64 s[52:53], 0
                                        ; implicit-def: $sgpr57
	s_and_saveexec_b64 s[50:51], s[48:49]
	s_cbranch_execz .LBB64_236
; %bb.223:                              ;   in Loop: Header=BB64_8 Depth=1
	s_xor_b64 s[10:11], s[42:43], -1
	s_andn2_b64 vcc, exec, s[10:11]
	s_mov_b32 s57, 1
	s_cbranch_vccnz .LBB64_230
; %bb.224:                              ;   in Loop: Header=BB64_8 Depth=1
	s_cmp_gt_i32 s56, s54
	s_cbranch_scc1 .LBB64_231
; %bb.225:                              ;   in Loop: Header=BB64_8 Depth=1
	ds_read_b32 v2, v9 offset:4096
	s_waitcnt lgkmcnt(0)
	v_cmp_ne_u32_e32 vcc, 0, v2
	s_cbranch_vccnz .LBB64_229
; %bb.226:                              ;   in Loop: Header=BB64_8 Depth=1
	s_mov_b64 s[42:43], exec
	v_readlane_b32 s10, v52, 4
	v_readlane_b32 s11, v52, 5
	s_and_b64 s[10:11], s[42:43], s[10:11]
	s_mov_b64 exec, s[10:11]
	s_cbranch_execz .LBB64_228
; %bb.227:                              ;   in Loop: Header=BB64_8 Depth=1
	v_mov_b32_e32 v2, s54
	ds_write_b32 v9, v2 offset:4100
.LBB64_228:                             ;   in Loop: Header=BB64_8 Depth=1
	s_or_b64 exec, exec, s[42:43]
	s_waitcnt lgkmcnt(0)
	s_barrier
.LBB64_229:                             ;   in Loop: Header=BB64_8 Depth=1
	s_or_b32 s10, s73, s55
	s_or_b32 s11, s72, s55
	s_mov_b64 s[42:43], 0
	s_mov_b32 s57, 8
	s_branch .LBB64_232
.LBB64_230:                             ;   in Loop: Header=BB64_8 Depth=1
	s_mov_b32 s56, 1
	s_branch .LBB64_235
.LBB64_231:                             ;   in Loop: Header=BB64_8 Depth=1
	s_mov_b64 s[42:43], -1
                                        ; implicit-def: $sgpr57
                                        ; implicit-def: $sgpr10
                                        ; implicit-def: $sgpr11
.LBB64_232:                             ;   in Loop: Header=BB64_8 Depth=1
	s_andn2_b64 vcc, exec, s[42:43]
	s_cbranch_vccnz .LBB64_234
; %bb.233:                              ;   in Loop: Header=BB64_8 Depth=1
	s_sub_i32 s56, s56, s54
	s_mov_b32 s57, 8
	s_mov_b32 s10, s73
	;; [unrolled: 1-line block ×3, first 2 shown]
.LBB64_234:                             ;   in Loop: Header=BB64_8 Depth=1
	s_mov_b32 s73, s10
	s_mov_b32 s72, s11
.LBB64_235:                             ;   in Loop: Header=BB64_8 Depth=1
	s_mov_b64 s[52:53], exec
.LBB64_236:                             ;   in Loop: Header=BB64_8 Depth=1
	s_or_b64 exec, exec, s[50:51]
.LBB64_237:                             ;   in Loop: Header=BB64_8 Depth=1
	s_andn2_b64 s[10:11], s[34:35], exec
	s_and_b64 s[12:13], s[18:19], exec
	s_or_b64 s[34:35], s[10:11], s[12:13]
	s_andn2_b64 s[10:11], s[38:39], exec
	s_and_b64 s[12:13], s[46:47], exec
	s_or_b64 s[38:39], s[10:11], s[12:13]
	;; [unrolled: 3-line block ×3, first 2 shown]
	s_and_b64 s[44:45], s[52:53], exec
	s_mov_b32 s49, s56
.LBB64_238:                             ;   in Loop: Header=BB64_8 Depth=1
	s_or_b64 exec, exec, s[40:41]
.LBB64_239:                             ;   in Loop: Header=BB64_8 Depth=1
	s_andn2_b64 s[10:11], s[26:27], exec
	s_and_b64 s[12:13], s[34:35], exec
	s_or_b64 s[26:27], s[10:11], s[12:13]
	s_andn2_b64 s[10:11], s[28:29], exec
	s_and_b64 s[12:13], s[38:39], exec
	s_or_b64 s[28:29], s[10:11], s[12:13]
	;; [unrolled: 3-line block ×3, first 2 shown]
	s_and_b64 s[36:37], s[44:45], exec
	s_mov_b32 s39, s49
.LBB64_240:                             ;   in Loop: Header=BB64_8 Depth=1
	s_or_b64 exec, exec, s[30:31]
	s_and_saveexec_b64 s[10:11], s[36:37]
	s_xor_b64 s[18:19], exec, s[10:11]
	s_cbranch_execz .LBB64_6
.LBB64_241:                             ;   in Loop: Header=BB64_8 Depth=1
	s_and_b32 s10, s57, -9
	s_cmp_eq_u32 s10, 0
	s_cbranch_scc1 .LBB64_4
; %bb.242:                              ;   in Loop: Header=BB64_8 Depth=1
	s_mov_b64 s[22:23], -1
                                        ; implicit-def: $sgpr72
                                        ; implicit-def: $sgpr39
                                        ; implicit-def: $sgpr0
                                        ; implicit-def: $sgpr1
	s_mov_b64 s[30:31], -1
	s_branch .LBB64_5
.LBB64_243:
	s_or_b64 exec, exec, s[86:87]
	s_xor_b64 s[6:7], s[92:93], -1
	s_xor_b64 s[0:1], s[88:89], -1
	;; [unrolled: 1-line block ×3, first 2 shown]
	s_mov_b64 s[2:3], 0
	s_and_saveexec_b64 s[4:5], s[0:1]
	s_xor_b64 s[4:5], exec, s[4:5]
	s_cbranch_execnz .LBB64_248
; %bb.244:
	s_andn2_saveexec_b64 s[0:1], s[4:5]
	s_cbranch_execnz .LBB64_268
.LBB64_245:
	s_or_b64 exec, exec, s[0:1]
	s_and_saveexec_b64 s[0:1], s[2:3]
.LBB64_246:
	; divergent unreachable
.LBB64_247:
	s_endpgm
.LBB64_248:
	s_and_saveexec_b64 s[0:1], s[6:7]
	s_xor_b64 s[6:7], exec, s[0:1]
	s_cbranch_execz .LBB64_266
; %bb.249:
	s_and_saveexec_b64 s[0:1], s[8:9]
	s_xor_b64 s[2:3], exec, s[0:1]
; %bb.250:
	v_and_b32_e32 v1, 0x8000, v2
	v_mov_b32_e32 v3, 0x8000
	v_mov_b32_e32 v4, 0xffff
	v_cmp_eq_u32_e32 vcc, 0, v1
	v_cndmask_b32_e32 v1, v3, v4, vcc
	v_xor_b32_e32 v38, v1, v2
; %bb.251:
	s_or_b64 exec, exec, s[2:3]
	s_mov_b64 s[2:3], exec
	v_readlane_b32 s0, v52, 4
	v_readlane_b32 s1, v52, 5
	s_and_b64 s[0:1], s[2:3], s[0:1]
	s_mov_b64 exec, s[0:1]
	s_cbranch_execz .LBB64_253
; %bb.252:
	v_mov_b32_e32 v1, 0
	v_mov_b32_e32 v2, s60
	ds_write_b32 v1, v2 offset:4108
.LBB64_253:
	s_or_b64 exec, exec, s[2:3]
	v_mov_b32_e32 v1, 0
	s_waitcnt lgkmcnt(0)
	s_barrier
	ds_read_b32 v1, v1 offset:4108
	s_waitcnt lgkmcnt(0)
	v_min_i32_e32 v1, s60, v1
	v_cmp_lt_i32_e32 vcc, v0, v1
	s_and_saveexec_b64 s[8:9], vcc
	s_cbranch_execz .LBB64_263
; %bb.254:
	v_lshlrev_b32_e32 v3, 16, v38
	v_cmp_u_f32_e32 vcc, v3, v3
	s_mov_b64 s[10:11], 0
	v_mov_b32_e32 v4, s78
	s_xor_b64 s[14:15], vcc, -1
                                        ; implicit-def: $sgpr12_sgpr13
                                        ; implicit-def: $sgpr18_sgpr19
                                        ; implicit-def: $sgpr16_sgpr17
	s_branch .LBB64_256
.LBB64_255:                             ;   in Loop: Header=BB64_256 Depth=1
	s_or_b64 exec, exec, s[2:3]
	s_and_b64 s[0:1], exec, s[18:19]
	s_or_b64 s[10:11], s[0:1], s[10:11]
	s_andn2_b64 s[0:1], s[12:13], exec
	s_and_b64 s[2:3], s[16:17], exec
	s_or_b64 s[12:13], s[0:1], s[2:3]
	s_andn2_b64 exec, exec, s[10:11]
	s_cbranch_execz .LBB64_258
.LBB64_256:                             ; =>This Inner Loop Header: Depth=1
	v_ashrrev_i32_e32 v7, 31, v6
	v_lshlrev_b64 v[8:9], 1, v[6:7]
	v_add_co_u32_e32 v8, vcc, s62, v8
	v_addc_co_u32_e32 v9, vcc, v4, v9, vcc
	global_load_ushort v5, v[8:9], off
	v_mov_b32_e32 v2, v0
	s_or_b64 s[16:17], s[16:17], exec
	s_or_b64 s[18:19], s[18:19], exec
	s_waitcnt vmcnt(0)
	v_lshlrev_b32_e32 v0, 16, v5
	v_cmp_o_f32_e64 s[2:3], v0, v0
	v_cmp_neq_f32_e32 vcc, v0, v3
	s_or_b64 s[0:1], s[14:15], s[2:3]
	s_and_b64 s[0:1], vcc, s[0:1]
                                        ; implicit-def: $vgpr0
	s_and_saveexec_b64 s[2:3], s[0:1]
	s_cbranch_execz .LBB64_255
; %bb.257:                              ;   in Loop: Header=BB64_256 Depth=1
	v_add_u32_e32 v0, s33, v2
	v_cmp_ge_i32_e32 vcc, v0, v1
	s_andn2_b64 s[0:1], s[18:19], exec
	s_and_b64 s[18:19], vcc, exec
	v_add_u32_e32 v6, s79, v6
	s_andn2_b64 s[16:17], s[16:17], exec
	s_or_b64 s[18:19], s[0:1], s[18:19]
	s_branch .LBB64_255
.LBB64_258:
	s_or_b64 exec, exec, s[10:11]
	s_and_saveexec_b64 s[0:1], s[12:13]
	s_xor_b64 s[0:1], exec, s[0:1]
	s_cbranch_execz .LBB64_263
; %bb.259:
	s_mov_b64 s[2:3], exec
	s_brev_b32 s0, -2
.LBB64_260:                             ; =>This Inner Loop Header: Depth=1
	s_ff1_i32_b64 s1, s[2:3]
	v_readlane_b32 s12, v2, s1
	s_lshl_b64 s[10:11], 1, s1
	s_min_i32 s0, s0, s12
	s_andn2_b64 s[2:3], s[2:3], s[10:11]
	s_cmp_lg_u64 s[2:3], 0
	s_cbranch_scc1 .LBB64_260
; %bb.261:
	v_mbcnt_lo_u32_b32 v0, exec_lo, 0
	v_mbcnt_hi_u32_b32 v0, exec_hi, v0
	v_cmp_eq_u32_e32 vcc, 0, v0
	s_and_saveexec_b64 s[2:3], vcc
	s_xor_b64 s[2:3], exec, s[2:3]
	s_cbranch_execz .LBB64_263
; %bb.262:
	v_mov_b32_e32 v0, 0
	v_mov_b32_e32 v1, s0
	ds_min_i32 v0, v1 offset:4108
.LBB64_263:
	s_or_b64 exec, exec, s[8:9]
	s_waitcnt lgkmcnt(0)
	s_barrier
	s_mov_b64 s[2:3], exec
	v_readlane_b32 s0, v52, 4
	v_readlane_b32 s1, v52, 5
	s_and_b64 s[0:1], s[2:3], s[0:1]
	s_mov_b64 exec, s[0:1]
	s_cbranch_execz .LBB64_265
; %bb.264:
	v_readlane_b32 s1, v52, 8
	v_readlane_b32 s0, v52, 7
	s_mul_i32 s0, s0, s1
	v_readlane_b32 s8, v52, 6
	s_mul_i32 s8, s8, s1
	s_ashr_i32 s1, s0, 31
	v_mov_b32_e32 v2, 0
	s_lshl_b64 s[0:1], s[0:1], 1
	v_readlane_b32 s10, v52, 2
	ds_read_b32 v0, v2 offset:4108
	v_readlane_b32 s11, v52, 3
	s_add_u32 s0, s10, s0
	s_addc_u32 s1, s11, s1
	s_ashr_i32 s9, s8, 31
	s_lshl_b64 s[8:9], s[8:9], 3
	v_readlane_b32 s10, v52, 0
	v_readlane_b32 s11, v52, 1
	s_add_u32 s8, s10, s8
	s_addc_u32 s9, s11, s9
	s_waitcnt lgkmcnt(0)
	v_ashrrev_i32_e32 v1, 31, v0
	global_store_dwordx2 v2, v[0:1], s[8:9]
	global_store_short v2, v38, s[0:1]
.LBB64_265:
	s_or_b64 exec, exec, s[2:3]
.LBB64_266:
	s_or_saveexec_b64 s[0:1], s[6:7]
	s_mov_b64 s[2:3], 0
	s_xor_b64 exec, exec, s[0:1]
	s_cbranch_execnz .LBB64_269
.LBB64_267:
	s_or_b64 exec, exec, s[0:1]
	s_and_b64 s[2:3], s[2:3], exec
	s_andn2_saveexec_b64 s[0:1], s[4:5]
	s_cbranch_execz .LBB64_245
.LBB64_268:
	s_or_b64 s[2:3], s[2:3], exec
	s_trap 2
	s_or_b64 exec, exec, s[0:1]
	s_and_saveexec_b64 s[0:1], s[2:3]
	s_cbranch_execnz .LBB64_246
	s_branch .LBB64_247
.LBB64_269:
	s_mov_b64 s[2:3], exec
	s_trap 2
	s_branch .LBB64_267
	.section	.rodata,"a",@progbits
	.p2align	6, 0x0
	.amdhsa_kernel _ZN2at6native12_GLOBAL__N_114gatherKthValueIN3c108BFloat16EiLi1EEEvNS_4cuda6detail10TensorInfoIKT_T0_EESA_SA_SA_SA_NS7_IS8_SA_EENS7_IlSA_EE
		.amdhsa_group_segment_fixed_size 4112
		.amdhsa_private_segment_fixed_size 0
		.amdhsa_kernarg_size 920
		.amdhsa_user_sgpr_count 6
		.amdhsa_user_sgpr_private_segment_buffer 1
		.amdhsa_user_sgpr_dispatch_ptr 0
		.amdhsa_user_sgpr_queue_ptr 0
		.amdhsa_user_sgpr_kernarg_segment_ptr 1
		.amdhsa_user_sgpr_dispatch_id 0
		.amdhsa_user_sgpr_flat_scratch_init 0
		.amdhsa_user_sgpr_kernarg_preload_length 0
		.amdhsa_user_sgpr_kernarg_preload_offset 0
		.amdhsa_user_sgpr_private_segment_size 0
		.amdhsa_uses_dynamic_stack 0
		.amdhsa_system_sgpr_private_segment_wavefront_offset 0
		.amdhsa_system_sgpr_workgroup_id_x 1
		.amdhsa_system_sgpr_workgroup_id_y 1
		.amdhsa_system_sgpr_workgroup_id_z 1
		.amdhsa_system_sgpr_workgroup_info 0
		.amdhsa_system_vgpr_workitem_id 0
		.amdhsa_next_free_vgpr 53
		.amdhsa_next_free_sgpr 96
		.amdhsa_accum_offset 56
		.amdhsa_reserve_vcc 1
		.amdhsa_reserve_flat_scratch 0
		.amdhsa_float_round_mode_32 0
		.amdhsa_float_round_mode_16_64 0
		.amdhsa_float_denorm_mode_32 3
		.amdhsa_float_denorm_mode_16_64 3
		.amdhsa_dx10_clamp 1
		.amdhsa_ieee_mode 1
		.amdhsa_fp16_overflow 0
		.amdhsa_tg_split 0
		.amdhsa_exception_fp_ieee_invalid_op 0
		.amdhsa_exception_fp_denorm_src 0
		.amdhsa_exception_fp_ieee_div_zero 0
		.amdhsa_exception_fp_ieee_overflow 0
		.amdhsa_exception_fp_ieee_underflow 0
		.amdhsa_exception_fp_ieee_inexact 0
		.amdhsa_exception_int_div_zero 0
	.end_amdhsa_kernel
	.section	.text._ZN2at6native12_GLOBAL__N_114gatherKthValueIN3c108BFloat16EiLi1EEEvNS_4cuda6detail10TensorInfoIKT_T0_EESA_SA_SA_SA_NS7_IS8_SA_EENS7_IlSA_EE,"axG",@progbits,_ZN2at6native12_GLOBAL__N_114gatherKthValueIN3c108BFloat16EiLi1EEEvNS_4cuda6detail10TensorInfoIKT_T0_EESA_SA_SA_SA_NS7_IS8_SA_EENS7_IlSA_EE,comdat
.Lfunc_end64:
	.size	_ZN2at6native12_GLOBAL__N_114gatherKthValueIN3c108BFloat16EiLi1EEEvNS_4cuda6detail10TensorInfoIKT_T0_EESA_SA_SA_SA_NS7_IS8_SA_EENS7_IlSA_EE, .Lfunc_end64-_ZN2at6native12_GLOBAL__N_114gatherKthValueIN3c108BFloat16EiLi1EEEvNS_4cuda6detail10TensorInfoIKT_T0_EESA_SA_SA_SA_NS7_IS8_SA_EENS7_IlSA_EE
                                        ; -- End function
	.section	.AMDGPU.csdata,"",@progbits
; Kernel info:
; codeLenInByte = 10548
; NumSgprs: 100
; NumVgprs: 53
; NumAgprs: 0
; TotalNumVgprs: 53
; ScratchSize: 0
; MemoryBound: 0
; FloatMode: 240
; IeeeMode: 1
; LDSByteSize: 4112 bytes/workgroup (compile time only)
; SGPRBlocks: 12
; VGPRBlocks: 6
; NumSGPRsForWavesPerEU: 100
; NumVGPRsForWavesPerEU: 53
; AccumOffset: 56
; Occupancy: 8
; WaveLimiterHint : 1
; COMPUTE_PGM_RSRC2:SCRATCH_EN: 0
; COMPUTE_PGM_RSRC2:USER_SGPR: 6
; COMPUTE_PGM_RSRC2:TRAP_HANDLER: 0
; COMPUTE_PGM_RSRC2:TGID_X_EN: 1
; COMPUTE_PGM_RSRC2:TGID_Y_EN: 1
; COMPUTE_PGM_RSRC2:TGID_Z_EN: 1
; COMPUTE_PGM_RSRC2:TIDIG_COMP_CNT: 0
; COMPUTE_PGM_RSRC3_GFX90A:ACCUM_OFFSET: 13
; COMPUTE_PGM_RSRC3_GFX90A:TG_SPLIT: 0
	.section	.text._ZN2at6native12_GLOBAL__N_114gatherKthValueIN3c108BFloat16EiLi2EEEvNS_4cuda6detail10TensorInfoIKT_T0_EESA_SA_SA_SA_NS7_IS8_SA_EENS7_IlSA_EE,"axG",@progbits,_ZN2at6native12_GLOBAL__N_114gatherKthValueIN3c108BFloat16EiLi2EEEvNS_4cuda6detail10TensorInfoIKT_T0_EESA_SA_SA_SA_NS7_IS8_SA_EENS7_IlSA_EE,comdat
	.globl	_ZN2at6native12_GLOBAL__N_114gatherKthValueIN3c108BFloat16EiLi2EEEvNS_4cuda6detail10TensorInfoIKT_T0_EESA_SA_SA_SA_NS7_IS8_SA_EENS7_IlSA_EE ; -- Begin function _ZN2at6native12_GLOBAL__N_114gatherKthValueIN3c108BFloat16EiLi2EEEvNS_4cuda6detail10TensorInfoIKT_T0_EESA_SA_SA_SA_NS7_IS8_SA_EENS7_IlSA_EE
	.p2align	8
	.type	_ZN2at6native12_GLOBAL__N_114gatherKthValueIN3c108BFloat16EiLi2EEEvNS_4cuda6detail10TensorInfoIKT_T0_EESA_SA_SA_SA_NS7_IS8_SA_EENS7_IlSA_EE,@function
_ZN2at6native12_GLOBAL__N_114gatherKthValueIN3c108BFloat16EiLi2EEEvNS_4cuda6detail10TensorInfoIKT_T0_EESA_SA_SA_SA_NS7_IS8_SA_EENS7_IlSA_EE: ; @_ZN2at6native12_GLOBAL__N_114gatherKthValueIN3c108BFloat16EiLi2EEEvNS_4cuda6detail10TensorInfoIKT_T0_EESA_SA_SA_SA_NS7_IS8_SA_EENS7_IlSA_EE
; %bb.0:
	s_load_dwordx2 s[12:13], s[4:5], 0x298
	s_load_dwordx4 s[60:63], s[4:5], 0xd8
	s_add_u32 s10, s4, 0x298
	s_addc_u32 s11, s5, 0
	s_waitcnt lgkmcnt(0)
	s_mul_i32 s0, s13, s8
	s_add_i32 s0, s0, s7
	s_mul_i32 s0, s0, s12
	s_add_i32 s16, s0, s6
	s_cmp_ge_i32 s16, s62
	s_cbranch_scc1 .LBB65_247
; %bb.1:
	s_load_dword s0, s[4:5], 0xc
	s_load_dwordx2 s[2:3], s[4:5], 0xe8
                                        ; implicit-def: $vgpr52 : SGPR spill to VGPR lane
                                        ; kill: killed $sgpr4 killed $sgpr5
	s_abs_i32 s19, s16
	s_ashr_i32 s18, s16, 31
	s_mov_b32 s72, 0
	s_waitcnt lgkmcnt(0)
	s_abs_i32 s1, s0
	v_writelane_b32 v52, s2, 0
	v_writelane_b32 v52, s3, 1
	s_load_dwordx2 s[8:9], s[4:5], 0x6c
	s_load_dwordx2 s[2:3], s[4:5], 0x0
	;; [unrolled: 1-line block ×3, first 2 shown]
	v_cvt_f32_u32_e32 v1, s1
	s_ashr_i32 s7, s0, 31
	s_load_dword s20, s[4:5], 0xf4
	s_waitcnt lgkmcnt(0)
	v_writelane_b32 v52, s14, 2
	v_writelane_b32 v52, s15, 3
	s_load_dword s17, s[4:5], 0x1cc
	s_load_dwordx2 s[14:15], s[4:5], 0x1c0
	v_rcp_iflag_f32_e32 v1, v1
	s_waitcnt lgkmcnt(0)
	v_writelane_b32 v52, s14, 4
	v_writelane_b32 v52, s15, 5
	s_load_dwordx2 s[14:15], s[4:5], 0x154
	v_mul_f32_e32 v1, 0x4f7ffffe, v1
	v_cvt_u32_f32_e32 v1, v1
	s_sub_i32 s4, 0, s1
	s_waitcnt lgkmcnt(0)
	v_writelane_b32 v52, s14, 6
	v_writelane_b32 v52, s15, 7
	s_abs_i32 s15, s20
	v_cvt_f32_u32_e32 v2, s15
	v_readfirstlane_b32 s5, v1
	s_abs_i32 s14, s17
	s_mul_i32 s4, s4, s5
	v_rcp_iflag_f32_e32 v1, v2
	v_cvt_f32_u32_e32 v2, s14
	s_mul_hi_u32 s4, s5, s4
	s_add_i32 s5, s5, s4
	v_mul_f32_e32 v1, 0x4f7ffffe, v1
	v_cvt_u32_f32_e32 v1, v1
	v_rcp_iflag_f32_e32 v2, v2
	s_mul_hi_u32 s13, s19, s5
	s_sub_i32 s4, 0, s15
	v_readfirstlane_b32 s5, v1
	v_mul_f32_e32 v1, 0x4f7ffffe, v2
	s_mul_i32 s4, s4, s5
	v_cvt_u32_f32_e32 v1, v1
	s_mul_hi_u32 s4, s5, s4
	s_add_i32 s5, s5, s4
	v_writelane_b32 v52, s15, 8
	s_mul_hi_u32 s4, s19, s5
	v_writelane_b32 v52, s4, 9
	s_sub_i32 s4, 0, s14
	v_readfirstlane_b32 s5, v1
	s_mul_i32 s4, s4, s5
	s_mul_hi_u32 s4, s5, s4
	s_add_i32 s5, s5, s4
	v_writelane_b32 v52, s14, 10
	s_mul_hi_u32 s4, s19, s5
	v_writelane_b32 v52, s4, 11
	v_cmp_eq_u32_e64 s[14:15], 0, v0
	s_mov_b64 s[4:5], exec
	v_writelane_b32 v52, s14, 12
	v_writelane_b32 v52, s15, 13
	s_and_b64 s[14:15], s[4:5], s[14:15]
	s_mov_b64 exec, s[14:15]
	s_cbranch_execz .LBB65_3
; %bb.2:
	v_mov_b32_e32 v2, 0
	v_mov_b32_e32 v3, s60
	;; [unrolled: 1-line block ×3, first 2 shown]
	ds_write_b96 v2, v[2:4] offset:4096
.LBB65_3:
	s_or_b64 exec, exec, s[4:5]
	v_writelane_b32 v52, s20, 14
	s_ashr_i32 s4, s20, 31
	v_writelane_b32 v52, s4, 15
	s_mul_i32 s5, s13, s1
	v_writelane_b32 v52, s17, 16
	s_ashr_i32 s4, s17, 31
	s_sub_i32 s5, s19, s5
	v_writelane_b32 v52, s4, 17
	s_xor_b32 s4, s18, s7
	s_add_i32 s7, s13, 1
	s_sub_i32 s14, s5, s1
	s_cmp_ge_u32 s5, s1
	s_cselect_b32 s7, s7, s13
	s_cselect_b32 s5, s14, s5
	s_add_i32 s13, s7, 1
	s_cmp_ge_u32 s5, s1
	s_cselect_b32 s1, s13, s7
	s_xor_b32 s1, s1, s4
	s_sub_i32 s1, s1, s4
	s_mul_i32 s0, s1, s0
	s_sub_i32 s0, s16, s0
	s_mul_i32 s0, s0, s9
	s_mul_i32 s1, s1, s8
	s_waitcnt lgkmcnt(0)
	s_barrier
	s_load_dword s4, s[10:11], 0xc
	s_add_i32 s0, s1, s0
	s_ashr_i32 s1, s0, 31
	s_lshl_b64 s[0:1], s[0:1], 1
	s_add_u32 s62, s2, s0
	v_mbcnt_lo_u32_b32 v1, -1, 0
	s_addc_u32 s82, s3, s1
	s_waitcnt lgkmcnt(0)
	s_and_b32 s33, s4, 0xffff
	v_mbcnt_hi_u32_b32 v13, -1, v1
	v_writelane_b32 v52, s18, 18
	v_cmp_gt_u32_e32 vcc, 64, v0
	v_cmp_gt_i32_e64 s[2:3], 4, v13
	s_add_i32 s0, s33, -1
	v_writelane_b32 v52, s19, 19
	s_lshl_b32 s7, s33, 2
	s_bfe_u32 s8, s4, 0xa0006
	s_and_b64 s[74:75], vcc, s[2:3]
	s_add_i32 s81, s0, s60
	v_writelane_b32 v52, s16, 20
	s_cmpk_gt_i32 s60, 0x600
	v_writelane_b32 v52, s0, 21
	s_cselect_b64 s[0:1], -1, 0
	v_writelane_b32 v52, s0, 22
	s_cmp_gt_u32 s33, 63
	v_writelane_b32 v52, s1, 23
	s_cselect_b64 s[0:1], -1, 0
	v_writelane_b32 v52, s0, 24
	s_cmp_lt_u32 s6, s12
	v_writelane_b32 v52, s1, 25
	s_cselect_b32 s0, 12, 18
	s_add_u32 s0, s10, s0
	s_addc_u32 s1, s11, 0
	v_writelane_b32 v52, s0, 26
	v_writelane_b32 v52, s1, 27
	s_add_i32 s0, s8, -2
	s_lshr_b32 s1, s0, 1
	v_mov_b32_e32 v9, 0
	s_add_i32 s1, s1, 1
	s_cmpk_gt_u32 s33, 0x7f
	v_mul_lo_u32 v6, v0, s63
	v_mov_b32_e32 v7, v9
	s_cselect_b64 s[2:3], -1, 0
	v_lshlrev_b64 v[2:3], 1, v[6:7]
	v_writelane_b32 v52, s2, 28
	v_mov_b32_e32 v7, s82
	v_add_co_u32_e32 v10, vcc, s62, v2
	v_writelane_b32 v52, s3, 29
	v_addc_co_u32_e32 v11, vcc, v7, v3, vcc
	v_cmp_gt_u32_e64 s[10:11], s60, v0
	v_lshlrev_b64 v[2:3], v13, -1
	v_writelane_b32 v52, s10, 30
	v_not_b32_e32 v12, v2
	v_cvt_f32_u32_e32 v2, s7
	v_writelane_b32 v52, s11, 31
	v_cmp_gt_i32_e64 s[10:11], s60, v0
	s_and_b32 s6, s8, 0x3fe
	s_and_b32 s9, s1, 7
	v_writelane_b32 v52, s10, 32
	s_cmp_gt_u32 s0, 13
	v_writelane_b32 v52, s11, 33
	s_cselect_b64 s[10:11], -1, 0
	v_writelane_b32 v52, s10, 34
	v_rcp_iflag_f32_e32 v2, v2
	v_writelane_b32 v52, s11, 35
	s_and_b32 s0, s1, -8
	v_writelane_b32 v52, s0, 36
	s_cmp_lg_u32 s9, 0
	v_writelane_b32 v52, s9, 37
	s_cselect_b64 s[0:1], -1, 0
	v_writelane_b32 v52, s0, 38
	v_mul_f32_e32 v2, 0x4f7ffffe, v2
	v_writelane_b32 v52, s1, 39
	v_cvt_u32_f32_e32 v2, v2
	v_writelane_b32 v52, s8, 40
	s_cmp_lg_u32 s6, s8
	v_writelane_b32 v52, s6, 41
	s_cselect_b64 s[0:1], -1, 0
	v_writelane_b32 v52, s0, 42
	v_writelane_b32 v52, s1, 43
	s_sub_i32 s0, 0, s7
	v_readfirstlane_b32 s1, v2
	s_mul_i32 s0, s0, s1
	s_mul_hi_u32 s0, s1, s0
	s_add_i32 s6, s1, s0
	s_mul_hi_u32 s0, s60, s6
	s_mul_i32 s0, s0, s7
	s_sub_i32 s0, s60, s0
	s_sub_i32 s1, s0, s7
	s_cmp_ge_u32 s0, s7
	s_cselect_b32 s0, s1, s0
	s_sub_i32 s1, s0, s7
	v_cvt_f32_u32_e32 v5, s33
	s_cmp_ge_u32 s0, s7
	s_cselect_b32 s0, s1, s0
	s_sub_i32 s9, s60, s0
	v_add_u32_e32 v25, s9, v0
	v_rcp_iflag_f32_e32 v5, v5
	v_lshrrev_b32_e32 v1, 4, v0
	v_mul_lo_u32 v2, v25, s63
	v_and_b32_e32 v23, 60, v1
	v_not_b32_e32 v1, v3
	v_ashrrev_i32_e32 v3, 31, v2
	v_lshlrev_b64 v[2:3], 1, v[2:3]
	v_lshlrev_b32_e32 v20, 2, v0
	v_add_co_u32_e32 v14, vcc, s62, v2
	v_mul_f32_e32 v2, 0x4f7ffffe, v5
	v_cmp_gt_i32_e64 s[10:11], s9, v20
	v_cvt_u32_f32_e32 v2, v2
	v_writelane_b32 v52, s10, 44
	v_writelane_b32 v52, s11, 45
	v_cmp_gt_u32_e64 s[10:11], s60, v25
	v_writelane_b32 v52, s10, 46
	v_writelane_b32 v52, s11, 47
	s_sub_i32 s10, 0, s33
	v_readfirstlane_b32 s11, v2
	s_mul_i32 s10, s10, s11
	s_mul_hi_u32 s10, s11, s10
	s_abs_i32 s8, s81
	s_add_i32 s10, s11, s10
	v_writelane_b32 v52, s10, 48
	s_mul_hi_u32 s10, s8, s10
	s_mul_i32 s10, s10, s33
	s_sub_i32 s8, s8, s10
	s_ashr_i32 s1, s81, 31
	s_sub_i32 s10, s8, s33
	s_cmp_ge_u32 s8, s33
	s_cselect_b32 s8, s10, s8
	s_sub_i32 s10, s8, s33
	s_cmp_ge_u32 s8, s33
	s_cselect_b32 s8, s10, s8
	s_xor_b32 s8, s8, s1
	v_mul_lo_u32 v2, s63, v20
	s_sub_i32 s1, s1, s8
	v_add_u32_e32 v26, s63, v2
	v_or_b32_e32 v2, 2, v20
	s_add_i32 s81, s81, s1
	v_mul_lo_u32 v27, s63, v2
	v_or_b32_e32 v2, 3, v20
	s_add_i32 s1, s33, s60
	v_mul_lo_u32 v28, s63, v2
	v_add_u32_e32 v2, s1, v0
	v_lshlrev_b32_e32 v21, 1, v0
	v_lshlrev_b32_e32 v4, 2, v13
	v_mov_b32_e32 v8, s82
	v_cmp_gt_i32_e64 s[10:11], s81, v0
	s_mul_i32 s83, s63, s33
	v_subrev_u32_e32 v2, s0, v2
	v_cmp_eq_u32_e64 s[2:3], 0, v13
	v_cmp_gt_u32_e64 s[4:5], 2, v0
	v_add_u32_e32 v22, 0xc00, v21
	v_and_b32_e32 v24, 0x100, v4
	v_addc_co_u32_e32 v15, vcc, v8, v3, vcc
	v_cmp_gt_i32_e64 s[14:15], s60, v25
	v_writelane_b32 v52, s10, 49
	s_lshl_b32 s16, s83, 2
	v_lshlrev_b32_e32 v29, 2, v6
	v_mul_lo_u32 v30, s63, v2
	v_lshlrev_b32_e32 v31, 3, v0
	s_lshl_b32 s17, s33, 3
	s_lshl_b32 s8, s33, 1
	v_or_b32_e32 v32, 0xc00, v4
	s_mov_b32 s0, 14
	s_mov_b64 s[90:91], 0
	s_movk_i32 s80, 0x3f80
	v_mov_b32_e32 v33, 0xffff
	v_mov_b32_e32 v34, 0x8000
	v_mov_b32_e32 v35, -1
	v_mov_b32_e32 v36, 0xc00
	v_mov_b32_e32 v37, 0x5040100
	;; [unrolled: 1-line block ×3, first 2 shown]
	s_mov_b32 s1, 0
	s_mov_b32 s77, 0
	;; [unrolled: 1-line block ×3, first 2 shown]
	v_writelane_b32 v52, s11, 50
                                        ; implicit-def: $sgpr92_sgpr93
                                        ; implicit-def: $sgpr64_sgpr65
                                        ; implicit-def: $sgpr94_sgpr95
                                        ; implicit-def: $sgpr66_sgpr67
                                        ; implicit-def: $sgpr68_sgpr69
                                        ; implicit-def: $sgpr70_sgpr71
	s_branch .LBB65_8
.LBB65_4:                               ;   in Loop: Header=BB65_8 Depth=1
	s_xor_b32 s1, s1, 1
	s_add_i32 s10, s0, -2
	s_cmp_eq_u32 s0, 0
	s_mov_b64 s[22:23], 0
	s_cselect_b64 s[30:31], -1, 0
	s_mov_b32 s0, s10
.LBB65_5:                               ;   in Loop: Header=BB65_8 Depth=1
	s_andn2_b64 s[10:11], s[26:27], exec
	s_and_b64 s[12:13], s[22:23], exec
	s_or_b64 s[26:27], s[10:11], s[12:13]
	s_andn2_b64 s[28:29], s[28:29], exec
	s_andn2_b64 s[24:25], s[24:25], exec
	s_orn2_b64 s[22:23], s[30:31], exec
	s_mov_b32 s61, s39
.LBB65_6:                               ;   in Loop: Header=BB65_8 Depth=1
	s_or_b64 exec, exec, s[18:19]
	s_andn2_b64 s[10:11], s[70:71], exec
	s_and_b64 s[12:13], s[26:27], exec
	s_or_b64 s[70:71], s[10:11], s[12:13]
	s_andn2_b64 s[10:11], s[68:69], exec
	s_and_b64 s[12:13], s[28:29], exec
	s_or_b64 s[68:69], s[10:11], s[12:13]
	;; [unrolled: 3-line block ×3, first 2 shown]
	s_orn2_b64 s[22:23], s[22:23], exec
.LBB65_7:                               ;   in Loop: Header=BB65_8 Depth=1
	s_or_b64 exec, exec, s[20:21]
	s_and_b64 s[10:11], exec, s[22:23]
	s_or_b64 s[90:91], s[10:11], s[90:91]
	s_andn2_b64 s[10:11], s[94:95], exec
	s_and_b64 s[12:13], s[70:71], exec
	s_or_b64 s[94:95], s[10:11], s[12:13]
	s_andn2_b64 s[10:11], s[64:65], exec
	s_and_b64 s[12:13], s[68:69], exec
	;; [unrolled: 3-line block ×3, first 2 shown]
	v_mov_b32_e32 v2, s77
	s_or_b64 s[92:93], s[10:11], s[12:13]
	s_andn2_b64 exec, exec, s[90:91]
	s_cbranch_execz .LBB65_243
.LBB65_8:                               ; =>This Loop Header: Depth=1
                                        ;     Child Loop BB65_13 Depth 2
                                        ;     Child Loop BB65_32 Depth 2
	;; [unrolled: 1-line block ×17, first 2 shown]
	ds_read_b64 v[2:3], v9 offset:4096
	s_waitcnt lgkmcnt(0)
	v_readfirstlane_b32 s73, v2
	s_cmp_gt_i32 s73, 0
	s_cbranch_scc1 .LBB65_39
; %bb.9:                                ;   in Loop: Header=BB65_8 Depth=1
	v_readlane_b32 s10, v52, 22
	v_readlane_b32 s11, v52, 23
	s_and_b64 vcc, exec, s[10:11]
	s_cbranch_vccz .LBB65_21
; %bb.10:                               ;   in Loop: Header=BB65_8 Depth=1
	s_movk_i32 s10, 0x601
	v_cmp_gt_i32_e32 vcc, s10, v3
	s_mov_b64 s[20:21], 0
	s_mov_b64 s[18:19], 0
	s_cbranch_vccz .LBB65_26
; %bb.11:                               ;   in Loop: Header=BB65_8 Depth=1
	v_readlane_b32 s10, v52, 26
	v_readlane_b32 s11, v52, 27
	s_nop 4
	global_load_ushort v2, v9, s[10:11]
	global_load_ushort v4, v[10:11], off
	s_mov_b64 s[22:23], 0
	s_waitcnt vmcnt(1)
	v_add_u32_e32 v5, v0, v2
	v_mul_lo_u32 v3, s63, v2
	v_mul_lo_u32 v8, s63, v5
	v_mov_b32_e32 v5, v0
	s_branch .LBB65_13
.LBB65_12:                              ;   in Loop: Header=BB65_13 Depth=2
	s_or_b64 exec, exec, s[18:19]
	v_cmp_le_i32_e32 vcc, s60, v5
	v_add_u32_e32 v8, v8, v3
	s_or_b64 s[22:23], vcc, s[22:23]
	v_mov_b32_e32 v4, v16
	s_andn2_b64 exec, exec, s[22:23]
	s_cbranch_execz .LBB65_22
.LBB65_13:                              ;   Parent Loop BB65_8 Depth=1
                                        ; =>  This Inner Loop Header: Depth=2
	v_add_u32_e32 v5, v5, v2
	v_cmp_gt_u32_e32 vcc, s60, v5
	s_waitcnt lgkmcnt(0)
	v_mov_b32_e32 v17, 0
	v_mov_b32_e32 v16, 0
	s_and_saveexec_b64 s[18:19], vcc
	s_cbranch_execz .LBB65_15
; %bb.14:                               ;   in Loop: Header=BB65_13 Depth=2
	v_lshlrev_b64 v[18:19], 1, v[8:9]
	v_add_co_u32_e32 v18, vcc, s62, v18
	v_addc_co_u32_e32 v19, vcc, v7, v19, vcc
	global_load_ushort v16, v[18:19], off
.LBB65_15:                              ;   in Loop: Header=BB65_13 Depth=2
	s_or_b64 exec, exec, s[18:19]
	s_waitcnt vmcnt(0)
	v_cmp_lt_i16_e32 vcc, -1, v4
	v_cndmask_b32_e32 v18, v33, v34, vcc
	v_lshlrev_b32_e32 v19, 16, v4
	v_xor_b32_sdwa v18, v18, v4 dst_sel:DWORD dst_unused:UNUSED_PAD src0_sel:DWORD src1_sel:WORD_0
	v_cmp_o_f32_e32 vcc, v19, v19
	v_cndmask_b32_e32 v18, v33, v18, vcc
	v_and_b32_e32 v18, s76, v18
	v_cmp_eq_u32_e32 vcc, s77, v18
	s_cmp_lg_u64 vcc, 0
	s_cselect_b64 s[10:11], -1, 0
	s_and_b64 s[10:11], s[2:3], s[10:11]
	s_and_saveexec_b64 s[24:25], s[10:11]
	s_cbranch_execz .LBB65_19
; %bb.16:                               ;   in Loop: Header=BB65_13 Depth=2
	s_mov_b64 s[28:29], exec
	v_mbcnt_lo_u32_b32 v17, s28, 0
	v_mbcnt_hi_u32_b32 v17, s29, v17
	s_bcnt1_i32_b64 s10, vcc
	v_cmp_eq_u32_e64 s[18:19], 0, v17
                                        ; implicit-def: $vgpr18
	s_and_saveexec_b64 s[26:27], s[18:19]
	s_cbranch_execz .LBB65_18
; %bb.17:                               ;   in Loop: Header=BB65_13 Depth=2
	s_bcnt1_i32_b64 s11, s[28:29]
	s_mul_i32 s11, s10, s11
	v_mov_b32_e32 v18, s11
	ds_add_rtn_u32 v18, v9, v18 offset:4104
.LBB65_18:                              ;   in Loop: Header=BB65_13 Depth=2
	s_or_b64 exec, exec, s[26:27]
	s_waitcnt lgkmcnt(0)
	v_readfirstlane_b32 s11, v18
	v_mov_b32_e32 v18, s11
	v_mad_u32_u24 v17, s10, v17, v18
.LBB65_19:                              ;   in Loop: Header=BB65_13 Depth=2
	s_or_b64 exec, exec, s[24:25]
	ds_bpermute_b32 v17, v24, v17
	s_and_saveexec_b64 s[18:19], vcc
	s_cbranch_execz .LBB65_12
; %bb.20:                               ;   in Loop: Header=BB65_13 Depth=2
	v_and_b32_e32 v19, vcc_lo, v12
	v_and_b32_e32 v18, vcc_hi, v1
	v_bcnt_u32_b32 v19, v19, 0
	v_bcnt_u32_b32 v18, v18, v19
	v_lshlrev_b32_e32 v18, 1, v18
	s_waitcnt lgkmcnt(0)
	v_lshl_add_u32 v17, v17, 1, v18
	ds_write_b16 v17, v4
	s_branch .LBB65_12
.LBB65_21:                              ;   in Loop: Header=BB65_8 Depth=1
	s_mov_b64 s[20:21], -1
	s_mov_b64 s[18:19], 0
	s_branch .LBB65_25
.LBB65_22:                              ;   in Loop: Header=BB65_8 Depth=1
	s_or_b64 exec, exec, s[22:23]
	s_waitcnt lgkmcnt(0)
	s_barrier
	s_mov_b64 s[18:19], exec
	v_readlane_b32 s10, v52, 12
	v_readlane_b32 s11, v52, 13
	s_and_b64 s[10:11], s[18:19], s[10:11]
	s_mov_b64 exec, s[10:11]
	s_cbranch_execz .LBB65_24
; %bb.23:                               ;   in Loop: Header=BB65_8 Depth=1
	ds_read_b32 v2, v9 offset:4104
	s_waitcnt lgkmcnt(0)
	ds_write_b32 v9, v2 offset:4096
.LBB65_24:                              ;   in Loop: Header=BB65_8 Depth=1
	s_or_b64 exec, exec, s[18:19]
	s_waitcnt lgkmcnt(0)
	s_barrier
	s_mov_b64 s[18:19], -1
.LBB65_25:                              ;   in Loop: Header=BB65_8 Depth=1
                                        ; implicit-def: $sgpr73
.LBB65_26:                              ;   in Loop: Header=BB65_8 Depth=1
	s_and_b64 vcc, exec, s[20:21]
	s_cbranch_vccz .LBB65_37
; %bb.27:                               ;   in Loop: Header=BB65_8 Depth=1
	v_mov_b32_e32 v2, 0
	s_mov_b64 s[18:19], exec
	v_readlane_b32 s10, v52, 30
	v_readlane_b32 s11, v52, 31
	s_and_b64 s[10:11], s[18:19], s[10:11]
	s_mov_b64 exec, s[10:11]
	s_cbranch_execz .LBB65_29
; %bb.28:                               ;   in Loop: Header=BB65_8 Depth=1
	global_load_ushort v2, v[10:11], off
.LBB65_29:                              ;   in Loop: Header=BB65_8 Depth=1
	s_or_b64 exec, exec, s[18:19]
	s_mov_b64 s[18:19], exec
	v_readlane_b32 s10, v52, 32
	v_readlane_b32 s11, v52, 33
	s_and_b64 s[10:11], s[18:19], s[10:11]
	s_mov_b64 exec, s[10:11]
	s_cbranch_execz .LBB65_34
; %bb.30:                               ;   in Loop: Header=BB65_8 Depth=1
	v_readlane_b32 s10, v52, 26
	v_readlane_b32 s11, v52, 27
	s_mov_b64 s[20:21], 0
	v_mov_b32_e32 v4, v21
	v_mov_b32_e32 v17, v0
	s_nop 1
	global_load_ushort v3, v9, s[10:11]
	s_waitcnt vmcnt(0)
	v_add_u32_e32 v8, v0, v3
	v_lshlrev_b32_e32 v5, 1, v3
	v_mul_lo_u32 v16, s63, v3
	v_mul_lo_u32 v8, s63, v8
	s_branch .LBB65_32
.LBB65_31:                              ;   in Loop: Header=BB65_32 Depth=2
	s_or_b64 exec, exec, s[22:23]
	v_cmp_le_i32_e32 vcc, s60, v17
	ds_write_b16 v4, v2
	v_add_u32_e32 v4, v4, v5
	v_add_u32_e32 v8, v8, v16
	s_or_b64 s[20:21], vcc, s[20:21]
	s_waitcnt vmcnt(0)
	v_mov_b32_e32 v2, v18
	s_andn2_b64 exec, exec, s[20:21]
	s_cbranch_execz .LBB65_34
.LBB65_32:                              ;   Parent Loop BB65_8 Depth=1
                                        ; =>  This Inner Loop Header: Depth=2
	v_add_u32_e32 v17, v17, v3
	v_cmp_gt_u32_e32 vcc, s60, v17
	v_mov_b32_e32 v18, 0
	s_and_saveexec_b64 s[22:23], vcc
	s_cbranch_execz .LBB65_31
; %bb.33:                               ;   in Loop: Header=BB65_32 Depth=2
	v_lshlrev_b64 v[18:19], 1, v[8:9]
	v_mov_b32_e32 v39, s82
	v_add_co_u32_e32 v18, vcc, s62, v18
	v_addc_co_u32_e32 v19, vcc, v39, v19, vcc
	global_load_ushort v18, v[18:19], off
	s_branch .LBB65_31
.LBB65_34:                              ;   in Loop: Header=BB65_8 Depth=1
	s_or_b64 exec, exec, s[18:19]
	s_waitcnt lgkmcnt(0)
	s_barrier
	s_mov_b64 s[18:19], exec
	v_readlane_b32 s10, v52, 12
	v_readlane_b32 s11, v52, 13
	s_and_b64 s[10:11], s[18:19], s[10:11]
	s_mov_b64 exec, s[10:11]
	s_cbranch_execz .LBB65_36
; %bb.35:                               ;   in Loop: Header=BB65_8 Depth=1
	s_waitcnt vmcnt(0)
	v_mov_b32_e32 v2, s60
	ds_write_b32 v9, v2 offset:4096
.LBB65_36:                              ;   in Loop: Header=BB65_8 Depth=1
	s_or_b64 exec, exec, s[18:19]
	s_mov_b64 s[18:19], -1
	s_waitcnt lgkmcnt(0)
	s_barrier
                                        ; implicit-def: $sgpr73
.LBB65_37:                              ;   in Loop: Header=BB65_8 Depth=1
	s_and_b64 vcc, exec, s[18:19]
	s_cbranch_vccz .LBB65_39
; %bb.38:                               ;   in Loop: Header=BB65_8 Depth=1
	s_waitcnt vmcnt(0)
	ds_read_b32 v2, v9 offset:4096
	s_waitcnt lgkmcnt(0)
	v_readfirstlane_b32 s73, v2
.LBB65_39:                              ;   in Loop: Header=BB65_8 Depth=1
	s_cmp_lt_i32 s73, 1
	s_cbranch_scc0 .LBB65_51
; %bb.40:                               ;   in Loop: Header=BB65_8 Depth=1
	s_waitcnt vmcnt(0)
	v_mov_b32_e32 v2, 0
	s_mov_b32 s88, 0
	v_mov_b32_e32 v3, 0
	v_mov_b32_e32 v4, v2
	;; [unrolled: 1-line block ×3, first 2 shown]
	s_mov_b64 s[84:85], exec
	v_readlane_b32 s10, v52, 44
	v_readlane_b32 s11, v52, 45
	s_and_b64 s[10:11], s[84:85], s[10:11]
	s_mov_b64 exec, s[10:11]
	s_cbranch_execz .LBB65_44
; %bb.41:                               ;   in Loop: Header=BB65_8 Depth=1
	s_and_b32 s89, s0, 0xfe
	s_mov_b64 s[86:87], 0
	s_mov_b32 s78, 0
	s_mov_b32 s79, 0
	;; [unrolled: 1-line block ×4, first 2 shown]
	v_mov_b32_e32 v8, v20
.LBB65_42:                              ;   Parent Loop BB65_8 Depth=1
                                        ; =>  This Inner Loop Header: Depth=2
	v_add_u32_e32 v2, s88, v29
	v_ashrrev_i32_e32 v3, 31, v2
	v_add_u32_e32 v4, s88, v26
	v_lshlrev_b64 v[2:3], 1, v[2:3]
	v_mov_b32_e32 v39, s82
	v_ashrrev_i32_e32 v5, 31, v4
	v_add_co_u32_e64 v2, s[18:19], s62, v2
	v_add_u32_e32 v16, s88, v27
	v_lshlrev_b64 v[4:5], 1, v[4:5]
	v_addc_co_u32_e64 v3, s[18:19], v39, v3, s[18:19]
	v_ashrrev_i32_e32 v17, 31, v16
	v_add_co_u32_e64 v4, s[18:19], s62, v4
	v_add_u32_e32 v18, s88, v28
	v_lshlrev_b64 v[16:17], 1, v[16:17]
	v_addc_co_u32_e64 v5, s[18:19], v39, v5, s[18:19]
	v_ashrrev_i32_e32 v19, 31, v18
	v_add_co_u32_e64 v16, s[18:19], s62, v16
	v_lshlrev_b64 v[18:19], 1, v[18:19]
	v_addc_co_u32_e64 v17, s[18:19], v39, v17, s[18:19]
	v_add_co_u32_e64 v18, s[18:19], s62, v18
	v_addc_co_u32_e64 v19, s[18:19], v39, v19, s[18:19]
	global_load_ushort v2, v[2:3], off
	s_nop 0
	global_load_ushort v3, v[4:5], off
	s_nop 0
	global_load_ushort v4, v[16:17], off
	global_load_ushort v5, v[18:19], off
	v_add_u32_e32 v8, s7, v8
	s_add_i32 s88, s88, s16
	v_cmp_le_i32_e32 vcc, s9, v8
	s_waitcnt vmcnt(3)
	v_cmp_lt_i16_e64 s[18:19], -1, v2
	v_cndmask_b32_e64 v39, v33, v34, s[18:19]
	s_waitcnt vmcnt(2)
	v_cmp_lt_i16_e64 s[18:19], -1, v3
	v_lshlrev_b32_e32 v16, 16, v2
	v_cndmask_b32_e64 v40, v33, v34, s[18:19]
	s_waitcnt vmcnt(1)
	v_cmp_lt_i16_e64 s[18:19], -1, v4
	v_lshlrev_b32_e32 v17, 16, v3
	v_cndmask_b32_e64 v41, v33, v34, s[18:19]
	s_waitcnt vmcnt(0)
	v_cmp_lt_i16_e64 s[18:19], -1, v5
	v_xor_b32_sdwa v2, v39, v2 dst_sel:DWORD dst_unused:UNUSED_PAD src0_sel:DWORD src1_sel:WORD_0
	v_cmp_o_f32_e64 s[24:25], v16, v16
	v_lshlrev_b32_e32 v18, 16, v4
	v_cndmask_b32_e64 v42, v33, v34, s[18:19]
	v_xor_b32_sdwa v3, v40, v3 dst_sel:DWORD dst_unused:UNUSED_PAD src0_sel:DWORD src1_sel:WORD_0
	v_cmp_o_f32_e64 s[18:19], v17, v17
	v_cndmask_b32_e64 v2, v33, v2, s[24:25]
	v_lshlrev_b32_e32 v19, 16, v5
	v_xor_b32_sdwa v4, v41, v4 dst_sel:DWORD dst_unused:UNUSED_PAD src0_sel:DWORD src1_sel:WORD_0
	v_cmp_o_f32_e64 s[20:21], v18, v18
	v_cndmask_b32_e64 v3, v33, v3, s[18:19]
	v_and_b32_e32 v16, s76, v2
	v_bfe_u32 v2, v2, s89, 2
	v_xor_b32_sdwa v5, v42, v5 dst_sel:DWORD dst_unused:UNUSED_PAD src0_sel:DWORD src1_sel:WORD_0
	v_cmp_o_f32_e64 s[22:23], v19, v19
	v_cndmask_b32_e64 v4, v33, v4, s[20:21]
	v_and_b32_e32 v17, s76, v3
	v_bfe_u32 v3, v3, s89, 2
	v_cmp_eq_u32_e64 s[18:19], s77, v16
	v_cmp_eq_u32_e64 s[26:27], 0, v2
	v_cndmask_b32_e64 v5, v33, v5, s[22:23]
	v_and_b32_e32 v18, s76, v4
	v_bfe_u32 v4, v4, s89, 2
	v_cmp_eq_u32_e64 s[20:21], s77, v17
	v_cmp_eq_u32_e64 s[28:29], 0, v3
	s_and_b64 s[12:13], s[18:19], s[26:27]
	v_and_b32_e32 v19, s76, v5
	v_bfe_u32 v5, v5, s89, 2
	v_cmp_eq_u32_e64 s[22:23], s77, v18
	v_cmp_eq_u32_e64 s[30:31], 0, v4
	;; [unrolled: 1-line block ×5, first 2 shown]
	v_cndmask_b32_e64 v2, 0, 1, s[12:13]
	s_and_b64 s[12:13], s[20:21], s[28:29]
	v_cmp_eq_u32_e64 s[24:25], s77, v19
	v_cmp_eq_u32_e64 s[34:35], 0, v5
	;; [unrolled: 1-line block ×5, first 2 shown]
	v_cndmask_b32_e64 v3, 0, 1, s[12:13]
	s_and_b64 s[12:13], s[22:23], s[30:31]
	v_cmp_eq_u32_e64 s[40:41], 1, v4
	v_cmp_eq_u32_e64 s[48:49], 2, v4
	;; [unrolled: 1-line block ×3, first 2 shown]
	v_cndmask_b32_e64 v4, 0, 1, s[12:13]
	s_and_b64 s[12:13], s[24:25], s[34:35]
	v_cmp_eq_u32_e64 s[42:43], 1, v5
	v_cmp_eq_u32_e64 s[50:51], 2, v5
	;; [unrolled: 1-line block ×3, first 2 shown]
	v_cndmask_b32_e64 v5, 0, 1, s[12:13]
	s_and_b64 s[12:13], s[18:19], s[36:37]
	v_cndmask_b32_e64 v16, 0, 1, s[12:13]
	s_and_b64 s[12:13], s[20:21], s[38:39]
	;; [unrolled: 2-line block ×12, first 2 shown]
	v_cmp_ne_u32_e64 s[18:19], 0, v2
	v_cmp_ne_u32_e64 s[20:21], 0, v3
	;; [unrolled: 1-line block ×7, first 2 shown]
	v_cndmask_b32_e64 v46, 0, 1, s[12:13]
	v_cmp_ne_u32_e64 s[38:39], 0, v40
	v_cmp_ne_u32_e64 s[46:47], 0, v44
	s_bcnt1_i32_b64 s12, s[18:19]
	s_bcnt1_i32_b64 s13, s[20:21]
	;; [unrolled: 1-line block ×7, first 2 shown]
	v_cmp_ne_u32_e64 s[22:23], 0, v4
	v_cmp_ne_u32_e64 s[30:31], 0, v18
	;; [unrolled: 1-line block ×4, first 2 shown]
	s_bcnt1_i32_b64 s25, s[38:39]
	s_bcnt1_i32_b64 s29, s[46:47]
	s_add_i32 s11, s11, s12
	s_add_i32 s10, s10, s20
	;; [unrolled: 1-line block ×4, first 2 shown]
	v_cmp_ne_u32_e64 s[34:35], 0, v19
	v_cmp_ne_u32_e64 s[42:43], 0, v42
	;; [unrolled: 1-line block ×3, first 2 shown]
	s_bcnt1_i32_b64 s18, s[22:23]
	s_bcnt1_i32_b64 s22, s[30:31]
	;; [unrolled: 1-line block ×4, first 2 shown]
	s_add_i32 s11, s11, s13
	s_add_i32 s10, s10, s21
	;; [unrolled: 1-line block ×4, first 2 shown]
	s_bcnt1_i32_b64 s23, s[34:35]
	s_bcnt1_i32_b64 s27, s[42:43]
	;; [unrolled: 1-line block ×3, first 2 shown]
	s_add_i32 s11, s11, s18
	s_add_i32 s10, s10, s22
	;; [unrolled: 1-line block ×8, first 2 shown]
	s_or_b64 s[86:87], vcc, s[86:87]
	v_mov_b32_e32 v2, s11
	v_mov_b32_e32 v3, s10
	;; [unrolled: 1-line block ×4, first 2 shown]
	s_andn2_b64 exec, exec, s[86:87]
	s_cbranch_execnz .LBB65_42
; %bb.43:                               ;   in Loop: Header=BB65_8 Depth=1
	s_or_b64 exec, exec, s[86:87]
.LBB65_44:                              ;   in Loop: Header=BB65_8 Depth=1
	s_or_b64 exec, exec, s[84:85]
	v_mov_b32_e32 v8, 0
	s_mov_b64 s[18:19], exec
	v_readlane_b32 s10, v52, 46
	v_readlane_b32 s11, v52, 47
	s_and_b64 s[10:11], s[18:19], s[10:11]
	s_mov_b64 exec, s[10:11]
	s_cbranch_execz .LBB65_46
; %bb.45:                               ;   in Loop: Header=BB65_8 Depth=1
	global_load_ushort v8, v[14:15], off
.LBB65_46:                              ;   in Loop: Header=BB65_8 Depth=1
	s_or_b64 exec, exec, s[18:19]
	s_mov_b64 s[20:21], 0
	s_mov_b64 s[84:85], 0
	s_and_saveexec_b64 s[22:23], s[14:15]
	s_cbranch_execz .LBB65_53
; %bb.47:                               ;   in Loop: Header=BB65_8 Depth=1
	s_and_b32 s10, s0, 0xfe
	s_mov_b64 s[24:25], 0
	v_mov_b32_e32 v16, v30
	v_mov_b32_e32 v18, v25
	s_branch .LBB65_49
.LBB65_48:                              ;   in Loop: Header=BB65_49 Depth=2
	s_or_b64 exec, exec, s[18:19]
	s_waitcnt vmcnt(0)
	v_cmp_lt_i16_e32 vcc, -1, v8
	v_cndmask_b32_e32 v19, v33, v34, vcc
	v_lshlrev_b32_e32 v39, 16, v8
	v_xor_b32_sdwa v8, v19, v8 dst_sel:DWORD dst_unused:UNUSED_PAD src0_sel:DWORD src1_sel:WORD_0
	v_cmp_o_f32_e32 vcc, v39, v39
	v_cndmask_b32_e32 v8, v33, v8, vcc
	v_and_b32_e32 v19, s76, v8
	v_bfe_u32 v8, v8, s10, 2
	v_cmp_eq_u32_e32 vcc, s77, v19
	v_cmp_eq_u32_e64 s[18:19], 0, v8
	s_and_b64 s[12:13], vcc, s[18:19]
	v_cndmask_b32_e64 v19, 0, 1, s[12:13]
	v_cmp_ne_u32_e64 s[18:19], 0, v19
	s_bcnt1_i32_b64 s11, s[18:19]
	v_cmp_eq_u32_e64 s[18:19], 1, v8
	s_and_b64 s[12:13], vcc, s[18:19]
	v_cndmask_b32_e64 v19, 0, 1, s[12:13]
	v_cmp_ne_u32_e64 s[18:19], 0, v19
	v_add_u32_e32 v2, s11, v2
	s_bcnt1_i32_b64 s11, s[18:19]
	v_cmp_eq_u32_e64 s[18:19], 2, v8
	s_and_b64 s[12:13], vcc, s[18:19]
	v_cndmask_b32_e64 v19, 0, 1, s[12:13]
	v_cmp_ne_u32_e64 s[18:19], 0, v19
	v_add_u32_e32 v3, s11, v3
	s_bcnt1_i32_b64 s11, s[18:19]
	v_cmp_eq_u32_e64 s[18:19], 3, v8
	s_and_b64 s[12:13], vcc, s[18:19]
	v_cndmask_b32_e64 v8, 0, 1, s[12:13]
	v_cmp_ne_u32_e32 vcc, 0, v8
	v_add_u32_e32 v4, s11, v4
	s_bcnt1_i32_b64 s11, vcc
	v_cmp_le_i32_e32 vcc, s60, v18
	v_add_u32_e32 v5, s11, v5
	v_add_u32_e32 v16, s83, v16
	s_or_b64 s[24:25], vcc, s[24:25]
	v_mov_b32_e32 v8, v17
	s_andn2_b64 exec, exec, s[24:25]
	s_cbranch_execz .LBB65_52
.LBB65_49:                              ;   Parent Loop BB65_8 Depth=1
                                        ; =>  This Inner Loop Header: Depth=2
	v_add_u32_e32 v18, s33, v18
	v_cmp_gt_u32_e32 vcc, s60, v18
	v_mov_b32_e32 v17, 0
	s_and_saveexec_b64 s[18:19], vcc
	s_cbranch_execz .LBB65_48
; %bb.50:                               ;   in Loop: Header=BB65_49 Depth=2
	v_ashrrev_i32_e32 v17, 31, v16
	v_lshlrev_b64 v[40:41], 1, v[16:17]
	v_mov_b32_e32 v17, s82
	v_add_co_u32_e32 v40, vcc, s62, v40
	v_addc_co_u32_e32 v41, vcc, v17, v41, vcc
	global_load_ushort v17, v[40:41], off
	s_branch .LBB65_48
.LBB65_51:                              ;   in Loop: Header=BB65_8 Depth=1
	s_mov_b64 s[84:85], 0
                                        ; implicit-def: $vgpr5
	s_cbranch_execnz .LBB65_54
	s_branch .LBB65_63
.LBB65_52:                              ;   in Loop: Header=BB65_8 Depth=1
	s_or_b64 exec, exec, s[24:25]
	s_mov_b64 s[84:85], exec
.LBB65_53:                              ;   in Loop: Header=BB65_8 Depth=1
	s_or_b64 exec, exec, s[22:23]
	s_and_b64 vcc, exec, s[20:21]
	s_cbranch_vccz .LBB65_63
.LBB65_54:                              ;   in Loop: Header=BB65_8 Depth=1
	s_mul_hi_u32 s10, s73, s6
	s_mul_i32 s10, s10, s7
	s_sub_i32 s10, s73, s10
	s_sub_i32 s11, s10, s7
	s_cmp_ge_u32 s10, s7
	s_cselect_b32 s10, s11, s10
	s_sub_i32 s11, s10, s7
	s_cmp_ge_u32 s10, s7
	s_cselect_b32 s10, s11, s10
	s_sub_i32 s10, s73, s10
	v_cmp_gt_u32_e32 vcc, s10, v20
	s_mov_b32 s78, 0
	s_waitcnt vmcnt(0)
	v_mov_b32_e32 v2, 0
	v_mov_b32_e32 v3, 0
	;; [unrolled: 1-line block ×4, first 2 shown]
	s_and_saveexec_b64 s[86:87], vcc
	s_cbranch_execz .LBB65_58
; %bb.55:                               ;   in Loop: Header=BB65_8 Depth=1
	s_and_b32 s11, s0, 0xfe
	s_mov_b64 s[88:89], 0
	v_mov_b32_e32 v8, v31
	s_mov_b32 s79, 0
	s_mov_b32 s12, 0
	;; [unrolled: 1-line block ×3, first 2 shown]
	v_mov_b32_e32 v16, v20
.LBB65_56:                              ;   Parent Loop BB65_8 Depth=1
                                        ; =>  This Inner Loop Header: Depth=2
	ds_read_b64 v[2:3], v8
	v_add_u32_e32 v16, s7, v16
	v_cmp_le_i32_e32 vcc, s10, v16
	v_add_u32_e32 v8, s17, v8
	s_waitcnt lgkmcnt(0)
	v_cmp_lt_i16_e64 s[18:19], -1, v2
	v_cndmask_b32_e64 v19, v33, v34, s[18:19]
	v_cmp_gt_i16_sdwa s[18:19], v2, v35 src0_sel:WORD_1 src1_sel:DWORD
	v_lshlrev_b32_e32 v4, 16, v2
	v_cndmask_b32_e64 v39, v33, v34, s[18:19]
	v_cmp_lt_i16_e64 s[18:19], -1, v3
	v_and_b32_e32 v5, 0xffff0000, v2
	v_cndmask_b32_e64 v40, v33, v34, s[18:19]
	v_cmp_gt_i16_sdwa s[18:19], v3, v35 src0_sel:WORD_1 src1_sel:DWORD
	v_xor_b32_sdwa v39, v39, v2 dst_sel:DWORD dst_unused:UNUSED_PAD src0_sel:DWORD src1_sel:WORD_1
	v_xor_b32_sdwa v2, v19, v2 dst_sel:DWORD dst_unused:UNUSED_PAD src0_sel:DWORD src1_sel:WORD_0
	v_cmp_o_f32_e64 s[24:25], v4, v4
	v_lshlrev_b32_e32 v17, 16, v3
	v_cndmask_b32_e64 v41, v33, v34, s[18:19]
	v_cmp_o_f32_e64 s[18:19], v5, v5
	v_cndmask_b32_e64 v2, v33, v2, s[24:25]
	v_and_b32_e32 v18, 0xffff0000, v3
	v_xor_b32_sdwa v5, v40, v3 dst_sel:DWORD dst_unused:UNUSED_PAD src0_sel:DWORD src1_sel:WORD_0
	v_cmp_o_f32_e64 s[20:21], v17, v17
	v_cndmask_b32_e64 v4, v33, v39, s[18:19]
	v_and_b32_e32 v17, s76, v2
	v_bfe_u32 v2, v2, s11, 2
	v_xor_b32_sdwa v3, v41, v3 dst_sel:DWORD dst_unused:UNUSED_PAD src0_sel:DWORD src1_sel:WORD_1
	v_cmp_o_f32_e64 s[22:23], v18, v18
	v_cndmask_b32_e64 v5, v33, v5, s[20:21]
	v_and_b32_e32 v18, s76, v4
	v_bfe_u32 v4, v4, s11, 2
	v_cmp_eq_u32_e64 s[18:19], s77, v17
	v_cmp_eq_u32_e64 s[26:27], 0, v2
	v_cndmask_b32_e64 v3, v33, v3, s[22:23]
	v_and_b32_e32 v19, s76, v5
	v_bfe_u32 v5, v5, s11, 2
	v_cmp_eq_u32_e64 s[20:21], s77, v18
	v_cmp_eq_u32_e64 s[28:29], 0, v4
	s_and_b64 s[26:27], s[18:19], s[26:27]
	v_and_b32_e32 v39, s76, v3
	v_bfe_u32 v3, v3, s11, 2
	v_cmp_eq_u32_e64 s[22:23], s77, v19
	v_cmp_eq_u32_e64 s[30:31], 0, v5
	;; [unrolled: 1-line block ×5, first 2 shown]
	v_cndmask_b32_e64 v2, 0, 1, s[26:27]
	s_and_b64 s[26:27], s[20:21], s[28:29]
	v_cmp_eq_u32_e64 s[24:25], s77, v39
	v_cmp_eq_u32_e64 s[34:35], 0, v3
	;; [unrolled: 1-line block ×5, first 2 shown]
	v_cndmask_b32_e64 v3, 0, 1, s[26:27]
	s_and_b64 s[26:27], s[22:23], s[30:31]
	v_cmp_eq_u32_e64 s[38:39], 1, v4
	v_cmp_eq_u32_e64 s[46:47], 2, v4
	;; [unrolled: 1-line block ×3, first 2 shown]
	v_cndmask_b32_e64 v4, 0, 1, s[26:27]
	s_and_b64 s[26:27], s[24:25], s[34:35]
	v_cmp_eq_u32_e64 s[40:41], 1, v5
	v_cmp_eq_u32_e64 s[48:49], 2, v5
	v_cmp_eq_u32_e64 s[56:57], 3, v5
	v_cndmask_b32_e64 v5, 0, 1, s[26:27]
	s_and_b64 s[26:27], s[18:19], s[36:37]
	v_cndmask_b32_e64 v17, 0, 1, s[26:27]
	s_and_b64 s[26:27], s[20:21], s[38:39]
	;; [unrolled: 2-line block ×5, first 2 shown]
	s_and_b64 s[18:19], s[18:19], s[52:53]
	v_cndmask_b32_e64 v40, 0, 1, s[26:27]
	s_and_b64 s[26:27], s[20:21], s[46:47]
	v_cndmask_b32_e64 v44, 0, 1, s[18:19]
	;; [unrolled: 2-line block ×7, first 2 shown]
	v_cndmask_b32_e64 v47, 0, 1, s[18:19]
	v_cmp_ne_u32_e64 s[18:19], 0, v2
	v_cmp_ne_u32_e64 s[20:21], 0, v3
	;; [unrolled: 1-line block ×11, first 2 shown]
	s_bcnt1_i32_b64 s18, s[18:19]
	s_bcnt1_i32_b64 s19, s[20:21]
	;; [unrolled: 1-line block ×8, first 2 shown]
	v_cmp_ne_u32_e64 s[34:35], 0, v39
	v_cmp_ne_u32_e64 s[40:41], 0, v42
	;; [unrolled: 1-line block ×3, first 2 shown]
	s_bcnt1_i32_b64 s23, s[28:29]
	s_bcnt1_i32_b64 s27, s[38:39]
	s_bcnt1_i32_b64 s31, s[46:47]
	s_add_i32 s13, s13, s18
	s_add_i32 s12, s12, s22
	;; [unrolled: 1-line block ×4, first 2 shown]
	v_cmp_ne_u32_e64 s[42:43], 0, v43
	v_cmp_ne_u32_e64 s[50:51], 0, v47
	s_bcnt1_i32_b64 s25, s[34:35]
	s_bcnt1_i32_b64 s28, s[40:41]
	;; [unrolled: 1-line block ×3, first 2 shown]
	s_add_i32 s13, s13, s19
	s_add_i32 s12, s12, s23
	;; [unrolled: 1-line block ×4, first 2 shown]
	s_bcnt1_i32_b64 s29, s[42:43]
	s_bcnt1_i32_b64 s35, s[50:51]
	s_add_i32 s13, s13, s20
	s_add_i32 s12, s12, s24
	;; [unrolled: 1-line block ×8, first 2 shown]
	s_or_b64 s[88:89], vcc, s[88:89]
	v_mov_b32_e32 v2, s13
	v_mov_b32_e32 v3, s12
	;; [unrolled: 1-line block ×4, first 2 shown]
	s_andn2_b64 exec, exec, s[88:89]
	s_cbranch_execnz .LBB65_56
; %bb.57:                               ;   in Loop: Header=BB65_8 Depth=1
	s_or_b64 exec, exec, s[88:89]
.LBB65_58:                              ;   in Loop: Header=BB65_8 Depth=1
	s_or_b64 exec, exec, s[86:87]
	v_add_u32_e32 v8, s10, v0
	v_cmp_gt_i32_e32 vcc, s73, v8
	s_and_saveexec_b64 s[28:29], vcc
	s_cbranch_execz .LBB65_62
; %bb.59:                               ;   in Loop: Header=BB65_8 Depth=1
	s_and_b32 s10, s0, 0xfe
	v_lshlrev_b32_e32 v16, 1, v8
	s_mov_b64 s[30:31], 0
.LBB65_60:                              ;   Parent Loop BB65_8 Depth=1
                                        ; =>  This Inner Loop Header: Depth=2
	ds_read_u16 v17, v16
	v_add_u32_e32 v8, s33, v8
	v_cmp_le_i32_e32 vcc, s73, v8
	v_add_u32_e32 v16, s8, v16
	s_waitcnt lgkmcnt(0)
	v_cmp_lt_i16_e64 s[18:19], -1, v17
	v_lshlrev_b32_e32 v18, 16, v17
	v_cndmask_b32_e64 v19, v33, v34, s[18:19]
	v_xor_b32_sdwa v17, v19, v17 dst_sel:DWORD dst_unused:UNUSED_PAD src0_sel:DWORD src1_sel:WORD_0
	v_cmp_o_f32_e64 s[18:19], v18, v18
	v_cndmask_b32_e64 v17, v33, v17, s[18:19]
	v_and_b32_e32 v18, s76, v17
	v_bfe_u32 v17, v17, s10, 2
	v_cmp_eq_u32_e64 s[18:19], s77, v18
	v_cmp_eq_u32_e64 s[20:21], 0, v17
	;; [unrolled: 1-line block ×3, first 2 shown]
	s_and_b64 s[12:13], s[18:19], s[20:21]
	v_cmp_eq_u32_e64 s[24:25], 2, v17
	v_cmp_eq_u32_e64 s[26:27], 3, v17
	v_cndmask_b32_e64 v17, 0, 1, s[12:13]
	s_and_b64 s[12:13], s[18:19], s[22:23]
	v_cndmask_b32_e64 v18, 0, 1, s[12:13]
	s_and_b64 s[12:13], s[18:19], s[24:25]
	v_cndmask_b32_e64 v19, 0, 1, s[12:13]
	s_and_b64 s[12:13], s[18:19], s[26:27]
	v_cndmask_b32_e64 v39, 0, 1, s[12:13]
	v_cmp_ne_u32_e64 s[18:19], 0, v17
	v_cmp_ne_u32_e64 s[20:21], 0, v18
	;; [unrolled: 1-line block ×4, first 2 shown]
	s_bcnt1_i32_b64 s11, s[18:19]
	s_bcnt1_i32_b64 s12, s[20:21]
	;; [unrolled: 1-line block ×4, first 2 shown]
	v_add_u32_e32 v2, s11, v2
	v_add_u32_e32 v3, s12, v3
	;; [unrolled: 1-line block ×3, first 2 shown]
	s_or_b64 s[30:31], vcc, s[30:31]
	v_add_u32_e32 v5, s18, v5
	s_andn2_b64 exec, exec, s[30:31]
	s_cbranch_execnz .LBB65_60
; %bb.61:                               ;   in Loop: Header=BB65_8 Depth=1
	s_or_b64 exec, exec, s[30:31]
	s_or_b64 s[84:85], s[84:85], exec
.LBB65_62:                              ;   in Loop: Header=BB65_8 Depth=1
	s_or_b64 exec, exec, s[28:29]
.LBB65_63:                              ;   in Loop: Header=BB65_8 Depth=1
	s_and_saveexec_b64 s[18:19], s[84:85]
	s_or_b64 exec, exec, s[18:19]
	s_lshl_b32 s10, s1, 6
	s_and_saveexec_b64 s[18:19], s[2:3]
	s_cbranch_execz .LBB65_65
; %bb.64:                               ;   in Loop: Header=BB65_8 Depth=1
	s_waitcnt vmcnt(0)
	v_or_b32_e32 v8, s10, v23
	v_lshlrev_b32_e32 v8, 2, v8
	ds_write_b128 v8, v[2:5] offset:3072
.LBB65_65:                              ;   in Loop: Header=BB65_8 Depth=1
	s_or_b64 exec, exec, s[18:19]
	s_waitcnt lgkmcnt(0)
	s_barrier
	s_and_saveexec_b64 s[18:19], s[74:75]
	s_cbranch_execz .LBB65_79
; %bb.66:                               ;   in Loop: Header=BB65_8 Depth=1
	v_readlane_b32 s12, v52, 24
	v_readlane_b32 s13, v52, 25
	v_add_u32_e32 v4, s10, v13
	s_andn2_b64 vcc, exec, s[12:13]
	s_waitcnt vmcnt(0)
	v_mov_b32_e32 v2, 0
	s_cbranch_vccnz .LBB65_78
; %bb.67:                               ;   in Loop: Header=BB65_8 Depth=1
	v_readlane_b32 s12, v52, 28
	v_readlane_b32 s13, v52, 29
	s_mov_b32 s11, 0
	s_and_b64 vcc, exec, s[12:13]
	v_mov_b32_e32 v2, 0
	s_cbranch_vccz .LBB65_71
; %bb.68:                               ;   in Loop: Header=BB65_8 Depth=1
	v_readlane_b32 s12, v52, 34
	v_readlane_b32 s13, v52, 35
	v_lshl_add_u32 v5, v4, 2, v36
	s_andn2_b64 vcc, exec, s[12:13]
	s_cbranch_vccnz .LBB65_72
; %bb.69:                               ;   in Loop: Header=BB65_8 Depth=1
	s_mov_b32 s21, 1
	s_mov_b32 s20, 0
	v_mov_b32_e32 v2, 0
	v_readlane_b32 s11, v52, 36
	v_mov_b32_e32 v3, 0
.LBB65_70:                              ;   Parent Loop BB65_8 Depth=1
                                        ; =>  This Inner Loop Header: Depth=2
	v_lshl_add_u32 v8, s20, 4, v5
	v_lshl_add_u32 v39, s21, 4, v5
	ds_read2_b32 v[16:17], v8 offset1:8
	ds_read2_b32 v[18:19], v39 offset1:8
	ds_read2_b32 v[40:41], v8 offset0:16 offset1:24
	ds_read2_b32 v[42:43], v39 offset0:16 offset1:24
	;; [unrolled: 1-line block ×6, first 2 shown]
	s_waitcnt lgkmcnt(7)
	v_add3_u32 v2, v16, v2, v17
	s_waitcnt lgkmcnt(6)
	v_add3_u32 v3, v18, v3, v19
	;; [unrolled: 2-line block ×3, first 2 shown]
	v_add3_u32 v2, v40, v2, v41
	s_add_i32 s21, s21, 16
	s_add_i32 s20, s20, 16
	s_add_i32 s11, s11, -8
	s_waitcnt lgkmcnt(3)
	v_add3_u32 v2, v44, v2, v45
	s_waitcnt lgkmcnt(2)
	v_add3_u32 v3, v46, v3, v47
	s_cmp_lg_u32 s11, 0
	s_waitcnt lgkmcnt(0)
	v_add3_u32 v3, v50, v3, v51
	v_add3_u32 v2, v48, v2, v49
	s_cbranch_scc1 .LBB65_70
	s_branch .LBB65_73
.LBB65_71:                              ;   in Loop: Header=BB65_8 Depth=1
	s_cbranch_execnz .LBB65_76
	s_branch .LBB65_78
.LBB65_72:                              ;   in Loop: Header=BB65_8 Depth=1
	s_mov_b32 s73, s72
	v_pk_mov_b32 v[2:3], s[72:73], s[72:73] op_sel:[0,1]
	s_mov_b32 s73, 1
	s_mov_b64 s[20:21], s[72:73]
.LBB65_73:                              ;   in Loop: Header=BB65_8 Depth=1
	v_readlane_b32 s12, v52, 38
	v_readlane_b32 s13, v52, 39
	s_andn2_b64 vcc, exec, s[12:13]
	v_readlane_b32 s11, v52, 37
	s_cbranch_vccnz .LBB65_75
.LBB65_74:                              ;   Parent Loop BB65_8 Depth=1
                                        ; =>  This Inner Loop Header: Depth=2
	v_lshl_add_u32 v8, s20, 4, v5
	v_lshl_add_u32 v16, s21, 4, v5
	ds_read_b32 v16, v16
	ds_read_b32 v8, v8
	s_add_i32 s21, s21, 2
	s_add_i32 s20, s20, 2
	s_add_i32 s11, s11, -1
	s_cmp_lg_u32 s11, 0
	s_waitcnt lgkmcnt(1)
	v_add_u32_e32 v3, v16, v3
	s_waitcnt lgkmcnt(0)
	v_add_u32_e32 v2, v8, v2
	s_cbranch_scc1 .LBB65_74
.LBB65_75:                              ;   in Loop: Header=BB65_8 Depth=1
	v_readlane_b32 s20, v52, 42
	v_add_u32_e32 v2, v2, v3
	v_readlane_b32 s11, v52, 41
	v_readlane_b32 s21, v52, 43
	s_and_b64 vcc, exec, s[20:21]
	s_cbranch_vccz .LBB65_78
.LBB65_76:                              ;   in Loop: Header=BB65_8 Depth=1
	s_lshl_b32 s12, s1, 8
	s_lshl_b32 s13, s11, 4
	s_add_i32 s12, s12, s13
	v_add_u32_e32 v3, s12, v32
	v_readlane_b32 s12, v52, 40
	s_sub_i32 s11, s12, s11
.LBB65_77:                              ;   Parent Loop BB65_8 Depth=1
                                        ; =>  This Inner Loop Header: Depth=2
	ds_read_b32 v5, v3
	s_add_i32 s11, s11, -1
	v_add_u32_e32 v3, 16, v3
	s_cmp_eq_u32 s11, 0
	s_waitcnt lgkmcnt(0)
	v_add_u32_e32 v2, v5, v2
	s_cbranch_scc0 .LBB65_77
.LBB65_78:                              ;   in Loop: Header=BB65_8 Depth=1
	v_lshlrev_b32_e32 v3, 2, v4
	ds_write_b32 v3, v2 offset:3072
.LBB65_79:                              ;   in Loop: Header=BB65_8 Depth=1
	s_or_b64 exec, exec, s[18:19]
	s_lshl_b32 s10, s10, 2
	s_waitcnt vmcnt(0)
	v_mov_b32_e32 v2, s10
	s_waitcnt lgkmcnt(0)
	s_barrier
	ds_read_b128 v[2:5], v2 offset:3072
	s_and_b32 s47, s0, 0xfe
	s_lshl_b32 s55, 3, s47
	s_not_b32 s48, s55
	s_mov_b64 s[22:23], -1
	s_waitcnt lgkmcnt(0)
	v_readfirstlane_b32 s34, v2
	s_cmp_eq_u32 s34, 1
	s_cselect_b64 s[10:11], -1, 0
	s_cmp_eq_u32 s61, 1
	s_cselect_b64 s[12:13], -1, 0
	s_and_b64 s[24:25], s[10:11], s[12:13]
	v_readfirstlane_b32 s38, v3
	v_readfirstlane_b32 s46, v4
	v_readfirstlane_b32 s54, v5
	s_and_b64 vcc, exec, s[24:25]
	s_cbranch_vccz .LBB65_91
; %bb.80:                               ;   in Loop: Header=BB65_8 Depth=1
	ds_read_b32 v2, v9 offset:4096
	s_waitcnt lgkmcnt(0)
	s_barrier
	v_readfirstlane_b32 s10, v2
	s_and_saveexec_b64 s[18:19], s[4:5]
	s_cbranch_execz .LBB65_82
; %bb.81:                               ;   in Loop: Header=BB65_8 Depth=1
	ds_write_b16 v22, v9
.LBB65_82:                              ;   in Loop: Header=BB65_8 Depth=1
	s_or_b64 exec, exec, s[18:19]
	s_and_b32 s77, s77, s48
	s_or_b32 s76, s76, s55
	s_cmp_lt_i32 s10, 1
	s_waitcnt lgkmcnt(0)
	s_barrier
	s_cbranch_scc0 .LBB65_92
; %bb.83:                               ;   in Loop: Header=BB65_8 Depth=1
	s_mov_b64 s[18:19], 0
                                        ; implicit-def: $vgpr38
	s_mov_b64 s[20:21], exec
	v_readlane_b32 s12, v52, 49
	v_readlane_b32 s13, v52, 50
	s_and_b64 s[12:13], s[20:21], s[12:13]
	s_mov_b64 exec, s[12:13]
	s_cbranch_execz .LBB65_94
; %bb.84:                               ;   in Loop: Header=BB65_8 Depth=1
	s_mov_b64 s[26:27], 0
	v_mov_b32_e32 v2, v6
	v_mov_b32_e32 v4, v0
                                        ; implicit-def: $sgpr28_sgpr29
	s_branch .LBB65_86
.LBB65_85:                              ;   in Loop: Header=BB65_86 Depth=2
	s_or_b64 exec, exec, s[18:19]
	s_waitcnt lgkmcnt(0)
	s_barrier
	s_waitcnt vmcnt(0)
	ds_read_b32 v3, v9 offset:3072
	v_add_u32_e32 v4, s33, v4
	v_cmp_le_i32_e64 s[18:19], s81, v4
	v_add_u32_e32 v2, s83, v2
	s_waitcnt lgkmcnt(0)
	v_and_b32_e32 v5, 0x7fff, v3
	v_cmp_ne_u16_e32 vcc, 0, v5
	s_or_b64 s[12:13], s[18:19], vcc
	s_and_b64 s[12:13], exec, s[12:13]
	s_or_b64 s[26:27], s[12:13], s[26:27]
	s_andn2_b64 s[12:13], s[28:29], exec
	s_and_b64 s[18:19], vcc, exec
	s_or_b64 s[28:29], s[12:13], s[18:19]
	s_barrier
	s_andn2_b64 exec, exec, s[26:27]
	s_cbranch_execz .LBB65_93
.LBB65_86:                              ;   Parent Loop BB65_8 Depth=1
                                        ; =>  This Inner Loop Header: Depth=2
	v_cmp_gt_i32_e32 vcc, s60, v4
	v_mov_b32_e32 v3, 0
	s_and_saveexec_b64 s[30:31], vcc
	s_cbranch_execz .LBB65_88
; %bb.87:                               ;   in Loop: Header=BB65_86 Depth=2
	v_ashrrev_i32_e32 v3, 31, v2
	v_lshlrev_b64 v[16:17], 1, v[2:3]
	v_mov_b32_e32 v3, s82
	v_add_co_u32_e64 v16, s[18:19], s62, v16
	v_addc_co_u32_e64 v17, s[18:19], v3, v17, s[18:19]
	global_load_ushort v3, v[16:17], off
.LBB65_88:                              ;   in Loop: Header=BB65_86 Depth=2
	s_or_b64 exec, exec, s[30:31]
	s_and_saveexec_b64 s[18:19], vcc
	s_cbranch_execz .LBB65_85
; %bb.89:                               ;   in Loop: Header=BB65_86 Depth=2
	s_waitcnt vmcnt(0)
	v_cmp_lt_i16_e32 vcc, -1, v3
	v_cndmask_b32_e32 v5, v33, v34, vcc
	v_lshlrev_b32_e32 v8, 16, v3
	v_xor_b32_sdwa v5, v5, v3 dst_sel:DWORD dst_unused:UNUSED_PAD src0_sel:DWORD src1_sel:WORD_0
	v_cmp_o_f32_e32 vcc, v8, v8
	v_cndmask_b32_e32 v5, v33, v5, vcc
	v_and_b32_e32 v5, s76, v5
	v_cmp_eq_u32_e32 vcc, s77, v5
	s_and_b64 exec, exec, vcc
	s_cbranch_execz .LBB65_85
; %bb.90:                               ;   in Loop: Header=BB65_86 Depth=2
	v_perm_b32 v3, v3, s80, v37
	ds_write_b32 v9, v3 offset:3072
	s_branch .LBB65_85
.LBB65_91:                              ;   in Loop: Header=BB65_8 Depth=1
	s_mov_b64 s[18:19], -1
                                        ; implicit-def: $sgpr20_sgpr21
                                        ; implicit-def: $sgpr28_sgpr29
                                        ; implicit-def: $sgpr26_sgpr27
	s_branch .LBB65_105
.LBB65_92:                              ;   in Loop: Header=BB65_8 Depth=1
	s_mov_b64 s[20:21], -1
	s_mov_b64 s[18:19], 0
                                        ; implicit-def: $sgpr26_sgpr27
                                        ; implicit-def: $vgpr38
	s_mov_b64 s[28:29], s[20:21]
	s_cbranch_execnz .LBB65_95
	s_branch .LBB65_105
.LBB65_93:                              ;   in Loop: Header=BB65_8 Depth=1
	s_or_b64 exec, exec, s[26:27]
	v_lshrrev_b32_e32 v38, 16, v3
	s_and_b64 s[18:19], s[28:29], exec
.LBB65_94:                              ;   in Loop: Header=BB65_8 Depth=1
	s_or_b64 exec, exec, s[20:21]
	s_mov_b64 s[26:27], -1
	s_mov_b64 s[20:21], 0
	s_mov_b64 s[28:29], s[20:21]
	s_branch .LBB65_105
.LBB65_95:                              ;   in Loop: Header=BB65_8 Depth=1
	v_readlane_b32 s11, v52, 21
	s_add_i32 s11, s10, s11
	s_abs_i32 s13, s11
	v_readlane_b32 s18, v52, 48
	s_mul_hi_u32 s18, s13, s18
	s_mul_i32 s18, s18, s33
	s_sub_i32 s13, s13, s18
	s_ashr_i32 s12, s11, 31
	s_sub_i32 s18, s13, s33
	s_cmp_ge_u32 s13, s33
	s_cselect_b32 s13, s18, s13
	s_sub_i32 s18, s13, s33
	s_cmp_ge_u32 s13, s33
	s_cselect_b32 s13, s18, s13
	s_xor_b32 s13, s13, s12
	s_sub_i32 s12, s12, s13
	s_add_i32 s11, s11, s12
	v_cmp_gt_i32_e32 vcc, s11, v0
	s_mov_b64 s[18:19], 0
                                        ; implicit-def: $vgpr38
	s_and_saveexec_b64 s[20:21], vcc
	s_cbranch_execz .LBB65_104
; %bb.96:                               ;   in Loop: Header=BB65_8 Depth=1
	s_mov_b64 s[26:27], 0
	v_mov_b32_e32 v2, v21
	v_mov_b32_e32 v3, v0
                                        ; implicit-def: $sgpr28_sgpr29
	s_branch .LBB65_98
.LBB65_97:                              ;   in Loop: Header=BB65_98 Depth=2
	s_or_b64 exec, exec, s[18:19]
	s_waitcnt lgkmcnt(0)
	s_barrier
	ds_read_b32 v4, v9 offset:3072
	v_add_u32_e32 v3, s33, v3
	v_cmp_le_i32_e64 s[18:19], s11, v3
	v_add_u32_e32 v2, s8, v2
	s_waitcnt lgkmcnt(0)
	v_and_b32_e32 v5, 0x7fff, v4
	v_cmp_ne_u16_e32 vcc, 0, v5
	s_or_b64 s[12:13], s[18:19], vcc
	s_and_b64 s[12:13], exec, s[12:13]
	s_or_b64 s[26:27], s[12:13], s[26:27]
	s_andn2_b64 s[12:13], s[28:29], exec
	s_and_b64 s[18:19], vcc, exec
	s_or_b64 s[28:29], s[12:13], s[18:19]
	s_barrier
	s_andn2_b64 exec, exec, s[26:27]
	s_cbranch_execz .LBB65_103
.LBB65_98:                              ;   Parent Loop BB65_8 Depth=1
                                        ; =>  This Inner Loop Header: Depth=2
	v_cmp_gt_i32_e32 vcc, s10, v3
	v_mov_b32_e32 v4, 0
	s_and_saveexec_b64 s[18:19], vcc
	s_cbranch_execz .LBB65_100
; %bb.99:                               ;   in Loop: Header=BB65_98 Depth=2
	ds_read_u16 v4, v2
.LBB65_100:                             ;   in Loop: Header=BB65_98 Depth=2
	s_or_b64 exec, exec, s[18:19]
	s_and_saveexec_b64 s[18:19], vcc
	s_cbranch_execz .LBB65_97
; %bb.101:                              ;   in Loop: Header=BB65_98 Depth=2
	s_waitcnt lgkmcnt(0)
	v_cmp_lt_i16_e32 vcc, -1, v4
	v_cndmask_b32_e32 v5, v33, v34, vcc
	v_lshlrev_b32_e32 v8, 16, v4
	v_xor_b32_sdwa v5, v5, v4 dst_sel:DWORD dst_unused:UNUSED_PAD src0_sel:DWORD src1_sel:WORD_0
	v_cmp_o_f32_e32 vcc, v8, v8
	v_cndmask_b32_e32 v5, v33, v5, vcc
	v_and_b32_e32 v5, s76, v5
	v_cmp_eq_u32_e32 vcc, s77, v5
	s_and_b64 exec, exec, vcc
	s_cbranch_execz .LBB65_97
; %bb.102:                              ;   in Loop: Header=BB65_98 Depth=2
	v_perm_b32 v4, v4, s80, v37
	ds_write_b32 v9, v4 offset:3072
	s_branch .LBB65_97
.LBB65_103:                             ;   in Loop: Header=BB65_8 Depth=1
	s_or_b64 exec, exec, s[26:27]
	v_lshrrev_b32_e32 v38, 16, v4
	s_and_b64 s[18:19], s[28:29], exec
.LBB65_104:                             ;   in Loop: Header=BB65_8 Depth=1
	s_or_b64 exec, exec, s[20:21]
	s_mov_b64 s[28:29], -1
	s_mov_b64 s[20:21], 0
	s_mov_b64 s[26:27], 0
.LBB65_105:                             ;   in Loop: Header=BB65_8 Depth=1
	s_andn2_b64 s[10:11], s[70:71], exec
	s_and_b64 s[12:13], s[20:21], exec
	s_or_b64 s[70:71], s[10:11], s[12:13]
	s_andn2_b64 s[10:11], s[68:69], exec
	s_and_b64 s[12:13], s[28:29], exec
	s_or_b64 s[68:69], s[10:11], s[12:13]
	;; [unrolled: 3-line block ×3, first 2 shown]
	s_and_saveexec_b64 s[20:21], s[18:19]
	s_cbranch_execz .LBB65_7
; %bb.106:                              ;   in Loop: Header=BB65_8 Depth=1
	s_xor_b64 s[10:11], s[24:25], -1
	s_mov_b64 s[18:19], 0
	s_andn2_b64 vcc, exec, s[10:11]
	s_mov_b32 s39, 1
	s_cbranch_vccnz .LBB65_117
; %bb.107:                              ;   in Loop: Header=BB65_8 Depth=1
	s_cmp_gt_i32 s61, s34
	s_mov_b64 s[18:19], -1
                                        ; implicit-def: $sgpr57
                                        ; implicit-def: $sgpr10
                                        ; implicit-def: $sgpr11
	s_cbranch_scc1 .LBB65_113
; %bb.108:                              ;   in Loop: Header=BB65_8 Depth=1
	ds_read_b32 v2, v9 offset:4096
	s_waitcnt lgkmcnt(0)
	v_cmp_ne_u32_e32 vcc, 0, v2
	s_cbranch_vccnz .LBB65_112
; %bb.109:                              ;   in Loop: Header=BB65_8 Depth=1
	s_mov_b64 s[18:19], exec
	v_readlane_b32 s10, v52, 12
	v_readlane_b32 s11, v52, 13
	s_and_b64 s[10:11], s[18:19], s[10:11]
	s_mov_b64 exec, s[10:11]
	s_cbranch_execz .LBB65_111
; %bb.110:                              ;   in Loop: Header=BB65_8 Depth=1
	v_mov_b32_e32 v2, s34
	ds_write_b32 v9, v2 offset:4100
.LBB65_111:                             ;   in Loop: Header=BB65_8 Depth=1
	s_or_b64 exec, exec, s[18:19]
	s_waitcnt lgkmcnt(0)
	s_barrier
.LBB65_112:                             ;   in Loop: Header=BB65_8 Depth=1
	s_and_b32 s10, s77, s48
	s_or_b32 s11, s76, s55
	s_mov_b64 s[18:19], 0
	s_mov_b32 s57, 8
.LBB65_113:                             ;   in Loop: Header=BB65_8 Depth=1
	s_andn2_b64 vcc, exec, s[18:19]
	s_cbranch_vccnz .LBB65_115
; %bb.114:                              ;   in Loop: Header=BB65_8 Depth=1
	s_sub_i32 s61, s61, s34
	s_mov_b64 s[18:19], -1
	s_mov_b32 s57, 0
	s_mov_b32 s10, s77
	;; [unrolled: 1-line block ×3, first 2 shown]
.LBB65_115:                             ;   in Loop: Header=BB65_8 Depth=1
	s_mov_b32 s76, s11
	s_mov_b32 s77, s10
	;; [unrolled: 1-line block ×3, first 2 shown]
	s_mov_b64 s[22:23], -1
	s_and_b64 vcc, exec, s[18:19]
	s_cbranch_vccnz .LBB65_118
.LBB65_116:                             ;   in Loop: Header=BB65_8 Depth=1
	s_mov_b64 s[36:37], -1
                                        ; implicit-def: $sgpr24_sgpr25
                                        ; implicit-def: $sgpr28_sgpr29
                                        ; implicit-def: $sgpr26_sgpr27
	s_and_saveexec_b64 s[10:11], s[36:37]
	s_xor_b64 s[18:19], exec, s[10:11]
	s_cbranch_execz .LBB65_6
	s_branch .LBB65_241
.LBB65_117:                             ;   in Loop: Header=BB65_8 Depth=1
	s_mov_b32 s57, 1
	s_mov_b64 s[22:23], -1
	s_and_b64 vcc, exec, s[18:19]
	s_cbranch_vccz .LBB65_116
.LBB65_118:                             ;   in Loop: Header=BB65_8 Depth=1
	s_cmp_eq_u32 s38, 1
	s_cselect_b64 s[10:11], -1, 0
	s_cmp_eq_u32 s39, 1
	s_cselect_b64 s[12:13], -1, 0
	s_and_b64 s[34:35], s[10:11], s[12:13]
	s_mov_b64 s[18:19], -1
	s_and_b64 vcc, exec, s[34:35]
	s_cbranch_vccz .LBB65_130
; %bb.119:                              ;   in Loop: Header=BB65_8 Depth=1
	ds_read_b32 v2, v9 offset:4096
	s_waitcnt lgkmcnt(0)
	s_barrier
	v_readfirstlane_b32 s10, v2
	s_and_saveexec_b64 s[18:19], s[4:5]
	s_cbranch_execz .LBB65_121
; %bb.120:                              ;   in Loop: Header=BB65_8 Depth=1
	ds_write_b16 v22, v9
.LBB65_121:                             ;   in Loop: Header=BB65_8 Depth=1
	s_or_b64 exec, exec, s[18:19]
	s_lshl_b32 s11, 1, s47
	s_and_b32 s12, s77, s48
	s_or_b32 s77, s12, s11
	s_or_b32 s76, s76, s55
	s_cmp_gt_i32 s10, 0
	s_waitcnt lgkmcnt(0)
	s_barrier
	s_cbranch_scc1 .LBB65_131
; %bb.122:                              ;   in Loop: Header=BB65_8 Depth=1
	s_mov_b64 s[18:19], 0
                                        ; implicit-def: $vgpr38
	s_mov_b64 s[24:25], exec
	v_readlane_b32 s12, v52, 49
	v_readlane_b32 s13, v52, 50
	s_and_b64 s[12:13], s[24:25], s[12:13]
	s_mov_b64 exec, s[12:13]
	s_cbranch_execz .LBB65_133
; %bb.123:                              ;   in Loop: Header=BB65_8 Depth=1
	s_mov_b64 s[26:27], 0
	v_mov_b32_e32 v2, v6
	v_mov_b32_e32 v4, v0
                                        ; implicit-def: $sgpr28_sgpr29
	s_branch .LBB65_125
.LBB65_124:                             ;   in Loop: Header=BB65_125 Depth=2
	s_or_b64 exec, exec, s[18:19]
	s_waitcnt lgkmcnt(0)
	s_barrier
	s_waitcnt vmcnt(0)
	ds_read_b32 v3, v9 offset:3072
	v_add_u32_e32 v4, s33, v4
	v_cmp_le_i32_e64 s[18:19], s81, v4
	v_add_u32_e32 v2, s83, v2
	s_waitcnt lgkmcnt(0)
	v_and_b32_e32 v5, 0x7fff, v3
	v_cmp_ne_u16_e32 vcc, 0, v5
	s_or_b64 s[12:13], s[18:19], vcc
	s_and_b64 s[12:13], exec, s[12:13]
	s_or_b64 s[26:27], s[12:13], s[26:27]
	s_andn2_b64 s[12:13], s[28:29], exec
	s_and_b64 s[18:19], vcc, exec
	s_or_b64 s[28:29], s[12:13], s[18:19]
	s_barrier
	s_andn2_b64 exec, exec, s[26:27]
	s_cbranch_execz .LBB65_132
.LBB65_125:                             ;   Parent Loop BB65_8 Depth=1
                                        ; =>  This Inner Loop Header: Depth=2
	v_cmp_gt_i32_e32 vcc, s60, v4
	v_mov_b32_e32 v3, 0
	s_and_saveexec_b64 s[30:31], vcc
	s_cbranch_execz .LBB65_127
; %bb.126:                              ;   in Loop: Header=BB65_125 Depth=2
	v_ashrrev_i32_e32 v3, 31, v2
	v_lshlrev_b64 v[16:17], 1, v[2:3]
	v_mov_b32_e32 v3, s82
	v_add_co_u32_e64 v16, s[18:19], s62, v16
	v_addc_co_u32_e64 v17, s[18:19], v3, v17, s[18:19]
	global_load_ushort v3, v[16:17], off
.LBB65_127:                             ;   in Loop: Header=BB65_125 Depth=2
	s_or_b64 exec, exec, s[30:31]
	s_and_saveexec_b64 s[18:19], vcc
	s_cbranch_execz .LBB65_124
; %bb.128:                              ;   in Loop: Header=BB65_125 Depth=2
	s_waitcnt vmcnt(0)
	v_cmp_lt_i16_e32 vcc, -1, v3
	v_cndmask_b32_e32 v5, v33, v34, vcc
	v_lshlrev_b32_e32 v8, 16, v3
	v_xor_b32_sdwa v5, v5, v3 dst_sel:DWORD dst_unused:UNUSED_PAD src0_sel:DWORD src1_sel:WORD_0
	v_cmp_o_f32_e32 vcc, v8, v8
	v_cndmask_b32_e32 v5, v33, v5, vcc
	v_and_b32_e32 v5, s76, v5
	v_cmp_eq_u32_e32 vcc, s77, v5
	s_and_b64 exec, exec, vcc
	s_cbranch_execz .LBB65_124
; %bb.129:                              ;   in Loop: Header=BB65_125 Depth=2
	v_perm_b32 v3, v3, s80, v37
	ds_write_b32 v9, v3 offset:3072
	s_branch .LBB65_124
.LBB65_130:                             ;   in Loop: Header=BB65_8 Depth=1
                                        ; implicit-def: $sgpr26_sgpr27
                                        ; implicit-def: $sgpr28_sgpr29
                                        ; implicit-def: $sgpr24_sgpr25
	s_branch .LBB65_144
.LBB65_131:                             ;   in Loop: Header=BB65_8 Depth=1
	s_mov_b64 s[26:27], -1
	s_mov_b64 s[18:19], 0
                                        ; implicit-def: $sgpr24_sgpr25
                                        ; implicit-def: $vgpr38
	s_mov_b64 s[28:29], s[26:27]
	s_cbranch_execnz .LBB65_134
	s_branch .LBB65_144
.LBB65_132:                             ;   in Loop: Header=BB65_8 Depth=1
	s_or_b64 exec, exec, s[26:27]
	v_lshrrev_b32_e32 v38, 16, v3
	s_and_b64 s[18:19], s[28:29], exec
.LBB65_133:                             ;   in Loop: Header=BB65_8 Depth=1
	s_or_b64 exec, exec, s[24:25]
	s_mov_b64 s[24:25], -1
	s_mov_b64 s[26:27], 0
	s_mov_b64 s[28:29], s[26:27]
	s_branch .LBB65_144
.LBB65_134:                             ;   in Loop: Header=BB65_8 Depth=1
	v_readlane_b32 s11, v52, 21
	s_add_i32 s11, s10, s11
	s_abs_i32 s13, s11
	v_readlane_b32 s18, v52, 48
	s_mul_hi_u32 s18, s13, s18
	s_mul_i32 s18, s18, s33
	s_sub_i32 s13, s13, s18
	s_ashr_i32 s12, s11, 31
	s_sub_i32 s18, s13, s33
	s_cmp_ge_u32 s13, s33
	s_cselect_b32 s13, s18, s13
	s_sub_i32 s18, s13, s33
	s_cmp_ge_u32 s13, s33
	s_cselect_b32 s13, s18, s13
	s_xor_b32 s13, s13, s12
	s_sub_i32 s12, s12, s13
	s_add_i32 s11, s11, s12
	v_cmp_gt_i32_e32 vcc, s11, v0
	s_mov_b64 s[18:19], 0
                                        ; implicit-def: $vgpr38
	s_and_saveexec_b64 s[24:25], vcc
	s_cbranch_execz .LBB65_143
; %bb.135:                              ;   in Loop: Header=BB65_8 Depth=1
	s_mov_b64 s[26:27], 0
	v_mov_b32_e32 v2, v21
	v_mov_b32_e32 v3, v0
                                        ; implicit-def: $sgpr28_sgpr29
	s_branch .LBB65_137
.LBB65_136:                             ;   in Loop: Header=BB65_137 Depth=2
	s_or_b64 exec, exec, s[18:19]
	s_waitcnt lgkmcnt(0)
	s_barrier
	ds_read_b32 v4, v9 offset:3072
	v_add_u32_e32 v3, s33, v3
	v_cmp_le_i32_e64 s[18:19], s11, v3
	v_add_u32_e32 v2, s8, v2
	s_waitcnt lgkmcnt(0)
	v_and_b32_e32 v5, 0x7fff, v4
	v_cmp_ne_u16_e32 vcc, 0, v5
	s_or_b64 s[12:13], s[18:19], vcc
	s_and_b64 s[12:13], exec, s[12:13]
	s_or_b64 s[26:27], s[12:13], s[26:27]
	s_andn2_b64 s[12:13], s[28:29], exec
	s_and_b64 s[18:19], vcc, exec
	s_or_b64 s[28:29], s[12:13], s[18:19]
	s_barrier
	s_andn2_b64 exec, exec, s[26:27]
	s_cbranch_execz .LBB65_142
.LBB65_137:                             ;   Parent Loop BB65_8 Depth=1
                                        ; =>  This Inner Loop Header: Depth=2
	v_cmp_gt_i32_e32 vcc, s10, v3
	v_mov_b32_e32 v4, 0
	s_and_saveexec_b64 s[18:19], vcc
	s_cbranch_execz .LBB65_139
; %bb.138:                              ;   in Loop: Header=BB65_137 Depth=2
	ds_read_u16 v4, v2
.LBB65_139:                             ;   in Loop: Header=BB65_137 Depth=2
	s_or_b64 exec, exec, s[18:19]
	s_and_saveexec_b64 s[18:19], vcc
	s_cbranch_execz .LBB65_136
; %bb.140:                              ;   in Loop: Header=BB65_137 Depth=2
	s_waitcnt lgkmcnt(0)
	v_cmp_lt_i16_e32 vcc, -1, v4
	v_cndmask_b32_e32 v5, v33, v34, vcc
	v_lshlrev_b32_e32 v8, 16, v4
	v_xor_b32_sdwa v5, v5, v4 dst_sel:DWORD dst_unused:UNUSED_PAD src0_sel:DWORD src1_sel:WORD_0
	v_cmp_o_f32_e32 vcc, v8, v8
	v_cndmask_b32_e32 v5, v33, v5, vcc
	v_and_b32_e32 v5, s76, v5
	v_cmp_eq_u32_e32 vcc, s77, v5
	s_and_b64 exec, exec, vcc
	s_cbranch_execz .LBB65_136
; %bb.141:                              ;   in Loop: Header=BB65_137 Depth=2
	v_perm_b32 v4, v4, s80, v37
	ds_write_b32 v9, v4 offset:3072
	s_branch .LBB65_136
.LBB65_142:                             ;   in Loop: Header=BB65_8 Depth=1
	s_or_b64 exec, exec, s[26:27]
	v_lshrrev_b32_e32 v38, 16, v4
	s_and_b64 s[18:19], s[28:29], exec
.LBB65_143:                             ;   in Loop: Header=BB65_8 Depth=1
	s_or_b64 exec, exec, s[24:25]
	s_mov_b64 s[28:29], -1
	s_mov_b64 s[26:27], 0
	s_mov_b64 s[24:25], 0
.LBB65_144:                             ;   in Loop: Header=BB65_8 Depth=1
	s_mov_b64 s[36:37], 0
                                        ; implicit-def: $sgpr57
	s_and_saveexec_b64 s[30:31], s[18:19]
	s_cbranch_execz .LBB65_240
; %bb.145:                              ;   in Loop: Header=BB65_8 Depth=1
	s_xor_b64 s[10:11], s[34:35], -1
	s_mov_b64 s[18:19], 0
	s_andn2_b64 vcc, exec, s[10:11]
	s_mov_b32 s49, 1
	s_cbranch_vccnz .LBB65_156
; %bb.146:                              ;   in Loop: Header=BB65_8 Depth=1
	s_cmp_gt_i32 s39, s38
	s_mov_b64 s[18:19], -1
                                        ; implicit-def: $sgpr57
                                        ; implicit-def: $sgpr10
                                        ; implicit-def: $sgpr11
	s_cbranch_scc1 .LBB65_152
; %bb.147:                              ;   in Loop: Header=BB65_8 Depth=1
	ds_read_b32 v2, v9 offset:4096
	s_waitcnt lgkmcnt(0)
	v_cmp_ne_u32_e32 vcc, 0, v2
	s_cbranch_vccnz .LBB65_151
; %bb.148:                              ;   in Loop: Header=BB65_8 Depth=1
	s_mov_b64 s[18:19], exec
	v_readlane_b32 s10, v52, 12
	v_readlane_b32 s11, v52, 13
	s_and_b64 s[10:11], s[18:19], s[10:11]
	s_mov_b64 exec, s[10:11]
	s_cbranch_execz .LBB65_150
; %bb.149:                              ;   in Loop: Header=BB65_8 Depth=1
	v_mov_b32_e32 v2, s38
	ds_write_b32 v9, v2 offset:4100
.LBB65_150:                             ;   in Loop: Header=BB65_8 Depth=1
	s_or_b64 exec, exec, s[18:19]
	s_waitcnt lgkmcnt(0)
	s_barrier
.LBB65_151:                             ;   in Loop: Header=BB65_8 Depth=1
	s_lshl_b32 s10, 1, s47
	s_and_b32 s11, s77, s48
	s_or_b32 s10, s11, s10
	s_or_b32 s11, s76, s55
	s_mov_b64 s[18:19], 0
	s_mov_b32 s57, 8
.LBB65_152:                             ;   in Loop: Header=BB65_8 Depth=1
	s_andn2_b64 vcc, exec, s[18:19]
	s_cbranch_vccnz .LBB65_154
; %bb.153:                              ;   in Loop: Header=BB65_8 Depth=1
	s_sub_i32 s39, s39, s38
	s_mov_b64 s[18:19], -1
	s_mov_b32 s57, 0
	s_mov_b32 s10, s77
	;; [unrolled: 1-line block ×3, first 2 shown]
.LBB65_154:                             ;   in Loop: Header=BB65_8 Depth=1
	s_mov_b32 s76, s11
	s_mov_b32 s77, s10
	;; [unrolled: 1-line block ×3, first 2 shown]
	s_andn2_b64 vcc, exec, s[18:19]
	s_mov_b64 s[44:45], -1
	s_cbranch_vccz .LBB65_157
.LBB65_155:                             ;   in Loop: Header=BB65_8 Depth=1
                                        ; implicit-def: $sgpr36_sgpr37
                                        ; implicit-def: $sgpr38_sgpr39
                                        ; implicit-def: $sgpr34_sgpr35
	s_branch .LBB65_239
.LBB65_156:                             ;   in Loop: Header=BB65_8 Depth=1
	s_mov_b32 s57, 1
	s_andn2_b64 vcc, exec, s[18:19]
	s_mov_b64 s[44:45], -1
	s_cbranch_vccnz .LBB65_155
.LBB65_157:                             ;   in Loop: Header=BB65_8 Depth=1
	s_cmp_eq_u32 s46, 1
	s_cselect_b64 s[10:11], -1, 0
	s_cmp_eq_u32 s49, 1
	s_cselect_b64 s[12:13], -1, 0
	s_and_b64 s[42:43], s[10:11], s[12:13]
	s_mov_b64 s[18:19], -1
	s_and_b64 vcc, exec, s[42:43]
	s_cbranch_vccz .LBB65_169
; %bb.158:                              ;   in Loop: Header=BB65_8 Depth=1
	ds_read_b32 v2, v9 offset:4096
	s_waitcnt lgkmcnt(0)
	s_barrier
	v_readfirstlane_b32 s10, v2
	s_and_saveexec_b64 s[18:19], s[4:5]
	s_cbranch_execz .LBB65_160
; %bb.159:                              ;   in Loop: Header=BB65_8 Depth=1
	ds_write_b16 v22, v9
.LBB65_160:                             ;   in Loop: Header=BB65_8 Depth=1
	s_or_b64 exec, exec, s[18:19]
	s_lshl_b32 s11, 2, s47
	s_and_b32 s12, s77, s48
	s_or_b32 s77, s12, s11
	s_or_b32 s76, s76, s55
	s_cmp_gt_i32 s10, 0
	s_waitcnt lgkmcnt(0)
	s_barrier
	s_cbranch_scc1 .LBB65_170
; %bb.161:                              ;   in Loop: Header=BB65_8 Depth=1
	s_mov_b64 s[18:19], 0
                                        ; implicit-def: $vgpr38
	s_mov_b64 s[34:35], exec
	v_readlane_b32 s12, v52, 49
	v_readlane_b32 s13, v52, 50
	s_and_b64 s[12:13], s[34:35], s[12:13]
	s_mov_b64 exec, s[12:13]
	s_cbranch_execz .LBB65_172
; %bb.162:                              ;   in Loop: Header=BB65_8 Depth=1
	v_mov_b32_e32 v2, v6
	v_mov_b32_e32 v4, v0
                                        ; implicit-def: $sgpr38_sgpr39
	s_branch .LBB65_164
.LBB65_163:                             ;   in Loop: Header=BB65_164 Depth=2
	s_or_b64 exec, exec, s[18:19]
	s_waitcnt lgkmcnt(0)
	s_barrier
	s_waitcnt vmcnt(0)
	ds_read_b32 v3, v9 offset:3072
	v_add_u32_e32 v4, s33, v4
	v_cmp_le_i32_e64 s[18:19], s81, v4
	v_add_u32_e32 v2, s83, v2
	s_waitcnt lgkmcnt(0)
	v_and_b32_e32 v5, 0x7fff, v3
	v_cmp_ne_u16_e32 vcc, 0, v5
	s_or_b64 s[12:13], s[18:19], vcc
	s_and_b64 s[12:13], exec, s[12:13]
	s_or_b64 s[36:37], s[12:13], s[36:37]
	s_andn2_b64 s[12:13], s[38:39], exec
	s_and_b64 s[18:19], vcc, exec
	s_or_b64 s[38:39], s[12:13], s[18:19]
	s_barrier
	s_andn2_b64 exec, exec, s[36:37]
	s_cbranch_execz .LBB65_171
.LBB65_164:                             ;   Parent Loop BB65_8 Depth=1
                                        ; =>  This Inner Loop Header: Depth=2
	v_cmp_gt_i32_e32 vcc, s60, v4
	v_mov_b32_e32 v3, 0
	s_and_saveexec_b64 s[40:41], vcc
	s_cbranch_execz .LBB65_166
; %bb.165:                              ;   in Loop: Header=BB65_164 Depth=2
	v_ashrrev_i32_e32 v3, 31, v2
	v_lshlrev_b64 v[16:17], 1, v[2:3]
	v_mov_b32_e32 v3, s82
	v_add_co_u32_e64 v16, s[18:19], s62, v16
	v_addc_co_u32_e64 v17, s[18:19], v3, v17, s[18:19]
	global_load_ushort v3, v[16:17], off
.LBB65_166:                             ;   in Loop: Header=BB65_164 Depth=2
	s_or_b64 exec, exec, s[40:41]
	s_and_saveexec_b64 s[18:19], vcc
	s_cbranch_execz .LBB65_163
; %bb.167:                              ;   in Loop: Header=BB65_164 Depth=2
	s_waitcnt vmcnt(0)
	v_cmp_lt_i16_e32 vcc, -1, v3
	v_cndmask_b32_e32 v5, v33, v34, vcc
	v_lshlrev_b32_e32 v8, 16, v3
	v_xor_b32_sdwa v5, v5, v3 dst_sel:DWORD dst_unused:UNUSED_PAD src0_sel:DWORD src1_sel:WORD_0
	v_cmp_o_f32_e32 vcc, v8, v8
	v_cndmask_b32_e32 v5, v33, v5, vcc
	v_and_b32_e32 v5, s76, v5
	v_cmp_eq_u32_e32 vcc, s77, v5
	s_and_b64 exec, exec, vcc
	s_cbranch_execz .LBB65_163
; %bb.168:                              ;   in Loop: Header=BB65_164 Depth=2
	v_perm_b32 v3, v3, s80, v37
	ds_write_b32 v9, v3 offset:3072
	s_branch .LBB65_163
.LBB65_169:                             ;   in Loop: Header=BB65_8 Depth=1
                                        ; implicit-def: $sgpr34_sgpr35
                                        ; implicit-def: $sgpr38_sgpr39
                                        ; implicit-def: $sgpr36_sgpr37
	s_branch .LBB65_183
.LBB65_170:                             ;   in Loop: Header=BB65_8 Depth=1
	s_mov_b64 s[34:35], -1
	s_mov_b64 s[18:19], 0
                                        ; implicit-def: $sgpr36_sgpr37
                                        ; implicit-def: $vgpr38
	s_mov_b64 s[38:39], s[34:35]
	s_cbranch_execnz .LBB65_173
	s_branch .LBB65_183
.LBB65_171:                             ;   in Loop: Header=BB65_8 Depth=1
	s_or_b64 exec, exec, s[36:37]
	v_lshrrev_b32_e32 v38, 16, v3
	s_and_b64 s[18:19], s[38:39], exec
.LBB65_172:                             ;   in Loop: Header=BB65_8 Depth=1
	s_or_b64 exec, exec, s[34:35]
	s_mov_b64 s[36:37], -1
	s_mov_b64 s[34:35], 0
	s_mov_b64 s[38:39], s[34:35]
	s_branch .LBB65_183
.LBB65_173:                             ;   in Loop: Header=BB65_8 Depth=1
	v_readlane_b32 s11, v52, 21
	s_add_i32 s11, s10, s11
	s_abs_i32 s13, s11
	v_readlane_b32 s18, v52, 48
	s_mul_hi_u32 s18, s13, s18
	s_mul_i32 s18, s18, s33
	s_sub_i32 s13, s13, s18
	s_ashr_i32 s12, s11, 31
	s_sub_i32 s18, s13, s33
	s_cmp_ge_u32 s13, s33
	s_cselect_b32 s13, s18, s13
	s_sub_i32 s18, s13, s33
	s_cmp_ge_u32 s13, s33
	s_cselect_b32 s13, s18, s13
	s_xor_b32 s13, s13, s12
	s_sub_i32 s12, s12, s13
	s_add_i32 s11, s11, s12
	v_cmp_gt_i32_e32 vcc, s11, v0
	s_mov_b64 s[18:19], 0
                                        ; implicit-def: $vgpr38
	s_and_saveexec_b64 s[34:35], vcc
	s_cbranch_execz .LBB65_182
; %bb.174:                              ;   in Loop: Header=BB65_8 Depth=1
	s_mov_b64 s[36:37], 0
	v_mov_b32_e32 v2, v21
	v_mov_b32_e32 v3, v0
                                        ; implicit-def: $sgpr38_sgpr39
	s_branch .LBB65_176
.LBB65_175:                             ;   in Loop: Header=BB65_176 Depth=2
	s_or_b64 exec, exec, s[18:19]
	s_waitcnt lgkmcnt(0)
	s_barrier
	ds_read_b32 v4, v9 offset:3072
	v_add_u32_e32 v3, s33, v3
	v_cmp_le_i32_e64 s[18:19], s11, v3
	v_add_u32_e32 v2, s8, v2
	s_waitcnt lgkmcnt(0)
	v_and_b32_e32 v5, 0x7fff, v4
	v_cmp_ne_u16_e32 vcc, 0, v5
	s_or_b64 s[12:13], s[18:19], vcc
	s_and_b64 s[12:13], exec, s[12:13]
	s_or_b64 s[36:37], s[12:13], s[36:37]
	s_andn2_b64 s[12:13], s[38:39], exec
	s_and_b64 s[18:19], vcc, exec
	s_or_b64 s[38:39], s[12:13], s[18:19]
	s_barrier
	s_andn2_b64 exec, exec, s[36:37]
	s_cbranch_execz .LBB65_181
.LBB65_176:                             ;   Parent Loop BB65_8 Depth=1
                                        ; =>  This Inner Loop Header: Depth=2
	v_cmp_gt_i32_e32 vcc, s10, v3
	v_mov_b32_e32 v4, 0
	s_and_saveexec_b64 s[18:19], vcc
	s_cbranch_execz .LBB65_178
; %bb.177:                              ;   in Loop: Header=BB65_176 Depth=2
	ds_read_u16 v4, v2
.LBB65_178:                             ;   in Loop: Header=BB65_176 Depth=2
	s_or_b64 exec, exec, s[18:19]
	s_and_saveexec_b64 s[18:19], vcc
	s_cbranch_execz .LBB65_175
; %bb.179:                              ;   in Loop: Header=BB65_176 Depth=2
	s_waitcnt lgkmcnt(0)
	v_cmp_lt_i16_e32 vcc, -1, v4
	v_cndmask_b32_e32 v5, v33, v34, vcc
	v_lshlrev_b32_e32 v8, 16, v4
	v_xor_b32_sdwa v5, v5, v4 dst_sel:DWORD dst_unused:UNUSED_PAD src0_sel:DWORD src1_sel:WORD_0
	v_cmp_o_f32_e32 vcc, v8, v8
	v_cndmask_b32_e32 v5, v33, v5, vcc
	v_and_b32_e32 v5, s76, v5
	v_cmp_eq_u32_e32 vcc, s77, v5
	s_and_b64 exec, exec, vcc
	s_cbranch_execz .LBB65_175
; %bb.180:                              ;   in Loop: Header=BB65_176 Depth=2
	v_perm_b32 v4, v4, s80, v37
	ds_write_b32 v9, v4 offset:3072
	s_branch .LBB65_175
.LBB65_181:                             ;   in Loop: Header=BB65_8 Depth=1
	s_or_b64 exec, exec, s[36:37]
	v_lshrrev_b32_e32 v38, 16, v4
	s_and_b64 s[18:19], s[38:39], exec
.LBB65_182:                             ;   in Loop: Header=BB65_8 Depth=1
	s_or_b64 exec, exec, s[34:35]
	s_mov_b64 s[38:39], -1
	s_mov_b64 s[34:35], 0
	s_mov_b64 s[36:37], 0
.LBB65_183:                             ;   in Loop: Header=BB65_8 Depth=1
	s_mov_b64 s[44:45], 0
                                        ; implicit-def: $sgpr57
	s_and_saveexec_b64 s[40:41], s[18:19]
	s_cbranch_execz .LBB65_238
; %bb.184:                              ;   in Loop: Header=BB65_8 Depth=1
	s_xor_b64 s[10:11], s[42:43], -1
	s_mov_b64 s[18:19], 0
	s_andn2_b64 vcc, exec, s[10:11]
	s_mov_b32 s56, 1
	s_cbranch_vccnz .LBB65_195
; %bb.185:                              ;   in Loop: Header=BB65_8 Depth=1
	s_cmp_gt_i32 s49, s46
	s_mov_b64 s[18:19], -1
                                        ; implicit-def: $sgpr57
                                        ; implicit-def: $sgpr10
                                        ; implicit-def: $sgpr11
	s_cbranch_scc1 .LBB65_191
; %bb.186:                              ;   in Loop: Header=BB65_8 Depth=1
	ds_read_b32 v2, v9 offset:4096
	s_waitcnt lgkmcnt(0)
	v_cmp_ne_u32_e32 vcc, 0, v2
	s_cbranch_vccnz .LBB65_190
; %bb.187:                              ;   in Loop: Header=BB65_8 Depth=1
	s_mov_b64 s[18:19], exec
	v_readlane_b32 s10, v52, 12
	v_readlane_b32 s11, v52, 13
	s_and_b64 s[10:11], s[18:19], s[10:11]
	s_mov_b64 exec, s[10:11]
	s_cbranch_execz .LBB65_189
; %bb.188:                              ;   in Loop: Header=BB65_8 Depth=1
	v_mov_b32_e32 v2, s46
	ds_write_b32 v9, v2 offset:4100
.LBB65_189:                             ;   in Loop: Header=BB65_8 Depth=1
	s_or_b64 exec, exec, s[18:19]
	s_waitcnt lgkmcnt(0)
	s_barrier
.LBB65_190:                             ;   in Loop: Header=BB65_8 Depth=1
	s_lshl_b32 s10, 2, s47
	s_and_b32 s11, s77, s48
	s_or_b32 s10, s11, s10
	s_or_b32 s11, s76, s55
	s_mov_b64 s[18:19], 0
	s_mov_b32 s57, 8
.LBB65_191:                             ;   in Loop: Header=BB65_8 Depth=1
	s_andn2_b64 vcc, exec, s[18:19]
	s_cbranch_vccnz .LBB65_193
; %bb.192:                              ;   in Loop: Header=BB65_8 Depth=1
	s_sub_i32 s49, s49, s46
	s_mov_b64 s[18:19], -1
	s_mov_b32 s57, 0
	s_mov_b32 s10, s77
	;; [unrolled: 1-line block ×3, first 2 shown]
.LBB65_193:                             ;   in Loop: Header=BB65_8 Depth=1
	s_mov_b32 s76, s11
	s_mov_b32 s77, s10
	;; [unrolled: 1-line block ×3, first 2 shown]
	s_andn2_b64 vcc, exec, s[18:19]
	s_mov_b64 s[52:53], -1
	s_cbranch_vccz .LBB65_196
.LBB65_194:                             ;   in Loop: Header=BB65_8 Depth=1
                                        ; implicit-def: $sgpr18_sgpr19
                                        ; implicit-def: $sgpr46_sgpr47
                                        ; implicit-def: $sgpr44_sgpr45
	s_branch .LBB65_237
.LBB65_195:                             ;   in Loop: Header=BB65_8 Depth=1
	s_mov_b32 s57, 1
	s_andn2_b64 vcc, exec, s[18:19]
	s_mov_b64 s[52:53], -1
	s_cbranch_vccnz .LBB65_194
.LBB65_196:                             ;   in Loop: Header=BB65_8 Depth=1
	s_cmp_eq_u32 s54, 1
	s_cselect_b64 s[10:11], -1, 0
	s_cmp_eq_u32 s56, 1
	s_cselect_b64 s[12:13], -1, 0
	s_and_b64 s[42:43], s[10:11], s[12:13]
	s_mov_b64 s[48:49], -1
	s_and_b64 vcc, exec, s[42:43]
	s_cbranch_vccz .LBB65_208
; %bb.197:                              ;   in Loop: Header=BB65_8 Depth=1
	ds_read_b32 v2, v9 offset:4096
	s_waitcnt lgkmcnt(0)
	s_barrier
	v_readfirstlane_b32 s10, v2
	s_and_saveexec_b64 s[18:19], s[4:5]
	s_cbranch_execz .LBB65_199
; %bb.198:                              ;   in Loop: Header=BB65_8 Depth=1
	ds_write_b16 v22, v9
.LBB65_199:                             ;   in Loop: Header=BB65_8 Depth=1
	s_or_b64 exec, exec, s[18:19]
	s_or_b32 s77, s77, s55
	s_or_b32 s76, s76, s55
	s_cmp_gt_i32 s10, 0
	s_waitcnt lgkmcnt(0)
	s_barrier
	s_cbranch_scc1 .LBB65_209
; %bb.200:                              ;   in Loop: Header=BB65_8 Depth=1
	s_mov_b64 s[48:49], 0
                                        ; implicit-def: $vgpr38
	s_mov_b64 s[44:45], exec
	v_readlane_b32 s12, v52, 49
	v_readlane_b32 s13, v52, 50
	s_and_b64 s[12:13], s[44:45], s[12:13]
	s_mov_b64 exec, s[12:13]
	s_cbranch_execz .LBB65_211
; %bb.201:                              ;   in Loop: Header=BB65_8 Depth=1
	s_mov_b64 s[46:47], 0
	v_mov_b32_e32 v2, v6
	v_mov_b32_e32 v4, v0
                                        ; implicit-def: $sgpr48_sgpr49
	s_branch .LBB65_203
.LBB65_202:                             ;   in Loop: Header=BB65_203 Depth=2
	s_or_b64 exec, exec, s[18:19]
	s_waitcnt lgkmcnt(0)
	s_barrier
	s_waitcnt vmcnt(0)
	ds_read_b32 v3, v9 offset:3072
	v_add_u32_e32 v4, s33, v4
	v_cmp_le_i32_e64 s[18:19], s81, v4
	v_add_u32_e32 v2, s83, v2
	s_waitcnt lgkmcnt(0)
	v_and_b32_e32 v5, 0x7fff, v3
	v_cmp_ne_u16_e32 vcc, 0, v5
	s_or_b64 s[12:13], s[18:19], vcc
	s_and_b64 s[12:13], exec, s[12:13]
	s_or_b64 s[46:47], s[12:13], s[46:47]
	s_andn2_b64 s[12:13], s[48:49], exec
	s_and_b64 s[18:19], vcc, exec
	s_or_b64 s[48:49], s[12:13], s[18:19]
	s_barrier
	s_andn2_b64 exec, exec, s[46:47]
	s_cbranch_execz .LBB65_210
.LBB65_203:                             ;   Parent Loop BB65_8 Depth=1
                                        ; =>  This Inner Loop Header: Depth=2
	v_cmp_gt_i32_e32 vcc, s60, v4
	v_mov_b32_e32 v3, 0
	s_and_saveexec_b64 s[50:51], vcc
	s_cbranch_execz .LBB65_205
; %bb.204:                              ;   in Loop: Header=BB65_203 Depth=2
	v_ashrrev_i32_e32 v3, 31, v2
	v_lshlrev_b64 v[16:17], 1, v[2:3]
	v_mov_b32_e32 v3, s82
	v_add_co_u32_e64 v16, s[18:19], s62, v16
	v_addc_co_u32_e64 v17, s[18:19], v3, v17, s[18:19]
	global_load_ushort v3, v[16:17], off
.LBB65_205:                             ;   in Loop: Header=BB65_203 Depth=2
	s_or_b64 exec, exec, s[50:51]
	s_and_saveexec_b64 s[18:19], vcc
	s_cbranch_execz .LBB65_202
; %bb.206:                              ;   in Loop: Header=BB65_203 Depth=2
	s_waitcnt vmcnt(0)
	v_cmp_lt_i16_e32 vcc, -1, v3
	v_cndmask_b32_e32 v5, v33, v34, vcc
	v_lshlrev_b32_e32 v8, 16, v3
	v_xor_b32_sdwa v5, v5, v3 dst_sel:DWORD dst_unused:UNUSED_PAD src0_sel:DWORD src1_sel:WORD_0
	v_cmp_o_f32_e32 vcc, v8, v8
	v_cndmask_b32_e32 v5, v33, v5, vcc
	v_and_b32_e32 v5, s76, v5
	v_cmp_eq_u32_e32 vcc, s77, v5
	s_and_b64 exec, exec, vcc
	s_cbranch_execz .LBB65_202
; %bb.207:                              ;   in Loop: Header=BB65_203 Depth=2
	v_perm_b32 v3, v3, s80, v37
	ds_write_b32 v9, v3 offset:3072
	s_branch .LBB65_202
.LBB65_208:                             ;   in Loop: Header=BB65_8 Depth=1
                                        ; implicit-def: $sgpr18_sgpr19
                                        ; implicit-def: $sgpr46_sgpr47
                                        ; implicit-def: $sgpr44_sgpr45
	s_branch .LBB65_222
.LBB65_209:                             ;   in Loop: Header=BB65_8 Depth=1
	s_mov_b64 s[18:19], -1
	s_mov_b64 s[48:49], 0
                                        ; implicit-def: $sgpr44_sgpr45
                                        ; implicit-def: $vgpr38
	s_mov_b64 s[46:47], s[18:19]
	s_cbranch_execnz .LBB65_212
	s_branch .LBB65_222
.LBB65_210:                             ;   in Loop: Header=BB65_8 Depth=1
	s_or_b64 exec, exec, s[46:47]
	v_lshrrev_b32_e32 v38, 16, v3
	s_and_b64 s[48:49], s[48:49], exec
.LBB65_211:                             ;   in Loop: Header=BB65_8 Depth=1
	s_or_b64 exec, exec, s[44:45]
	s_mov_b64 s[44:45], -1
	s_mov_b64 s[18:19], 0
	s_mov_b64 s[46:47], s[18:19]
	s_branch .LBB65_222
.LBB65_212:                             ;   in Loop: Header=BB65_8 Depth=1
	v_readlane_b32 s11, v52, 21
	s_add_i32 s11, s10, s11
	s_abs_i32 s13, s11
	v_readlane_b32 s18, v52, 48
	s_mul_hi_u32 s18, s13, s18
	s_mul_i32 s18, s18, s33
	s_sub_i32 s13, s13, s18
	s_ashr_i32 s12, s11, 31
	s_sub_i32 s18, s13, s33
	s_cmp_ge_u32 s13, s33
	s_cselect_b32 s13, s18, s13
	s_sub_i32 s18, s13, s33
	s_cmp_ge_u32 s13, s33
	s_cselect_b32 s13, s18, s13
	s_xor_b32 s13, s13, s12
	s_sub_i32 s12, s12, s13
	s_add_i32 s11, s11, s12
	v_cmp_gt_i32_e32 vcc, s11, v0
	s_mov_b64 s[48:49], 0
                                        ; implicit-def: $vgpr38
	s_and_saveexec_b64 s[44:45], vcc
	s_cbranch_execz .LBB65_221
; %bb.213:                              ;   in Loop: Header=BB65_8 Depth=1
	s_mov_b64 s[46:47], 0
	v_mov_b32_e32 v2, v21
	v_mov_b32_e32 v3, v0
                                        ; implicit-def: $sgpr48_sgpr49
	s_branch .LBB65_215
.LBB65_214:                             ;   in Loop: Header=BB65_215 Depth=2
	s_or_b64 exec, exec, s[18:19]
	s_waitcnt lgkmcnt(0)
	s_barrier
	ds_read_b32 v4, v9 offset:3072
	v_add_u32_e32 v3, s33, v3
	v_cmp_le_i32_e64 s[18:19], s11, v3
	v_add_u32_e32 v2, s8, v2
	s_waitcnt lgkmcnt(0)
	v_and_b32_e32 v5, 0x7fff, v4
	v_cmp_ne_u16_e32 vcc, 0, v5
	s_or_b64 s[12:13], s[18:19], vcc
	s_and_b64 s[12:13], exec, s[12:13]
	s_or_b64 s[46:47], s[12:13], s[46:47]
	s_andn2_b64 s[12:13], s[48:49], exec
	s_and_b64 s[18:19], vcc, exec
	s_or_b64 s[48:49], s[12:13], s[18:19]
	s_barrier
	s_andn2_b64 exec, exec, s[46:47]
	s_cbranch_execz .LBB65_220
.LBB65_215:                             ;   Parent Loop BB65_8 Depth=1
                                        ; =>  This Inner Loop Header: Depth=2
	v_cmp_gt_i32_e32 vcc, s10, v3
	v_mov_b32_e32 v4, 0
	s_and_saveexec_b64 s[18:19], vcc
	s_cbranch_execz .LBB65_217
; %bb.216:                              ;   in Loop: Header=BB65_215 Depth=2
	ds_read_u16 v4, v2
.LBB65_217:                             ;   in Loop: Header=BB65_215 Depth=2
	s_or_b64 exec, exec, s[18:19]
	s_and_saveexec_b64 s[18:19], vcc
	s_cbranch_execz .LBB65_214
; %bb.218:                              ;   in Loop: Header=BB65_215 Depth=2
	s_waitcnt lgkmcnt(0)
	v_cmp_lt_i16_e32 vcc, -1, v4
	v_cndmask_b32_e32 v5, v33, v34, vcc
	v_lshlrev_b32_e32 v8, 16, v4
	v_xor_b32_sdwa v5, v5, v4 dst_sel:DWORD dst_unused:UNUSED_PAD src0_sel:DWORD src1_sel:WORD_0
	v_cmp_o_f32_e32 vcc, v8, v8
	v_cndmask_b32_e32 v5, v33, v5, vcc
	v_and_b32_e32 v5, s76, v5
	v_cmp_eq_u32_e32 vcc, s77, v5
	s_and_b64 exec, exec, vcc
	s_cbranch_execz .LBB65_214
; %bb.219:                              ;   in Loop: Header=BB65_215 Depth=2
	v_perm_b32 v4, v4, s80, v37
	ds_write_b32 v9, v4 offset:3072
	s_branch .LBB65_214
.LBB65_220:                             ;   in Loop: Header=BB65_8 Depth=1
	s_or_b64 exec, exec, s[46:47]
	v_lshrrev_b32_e32 v38, 16, v4
	s_and_b64 s[48:49], s[48:49], exec
.LBB65_221:                             ;   in Loop: Header=BB65_8 Depth=1
	s_or_b64 exec, exec, s[44:45]
	s_mov_b64 s[46:47], -1
	s_mov_b64 s[18:19], 0
	s_mov_b64 s[44:45], 0
.LBB65_222:                             ;   in Loop: Header=BB65_8 Depth=1
	s_mov_b64 s[52:53], 0
                                        ; implicit-def: $sgpr57
	s_and_saveexec_b64 s[50:51], s[48:49]
	s_cbranch_execz .LBB65_236
; %bb.223:                              ;   in Loop: Header=BB65_8 Depth=1
	s_xor_b64 s[10:11], s[42:43], -1
	s_andn2_b64 vcc, exec, s[10:11]
	s_mov_b32 s57, 1
	s_cbranch_vccnz .LBB65_230
; %bb.224:                              ;   in Loop: Header=BB65_8 Depth=1
	s_cmp_gt_i32 s56, s54
	s_cbranch_scc1 .LBB65_231
; %bb.225:                              ;   in Loop: Header=BB65_8 Depth=1
	ds_read_b32 v2, v9 offset:4096
	s_waitcnt lgkmcnt(0)
	v_cmp_ne_u32_e32 vcc, 0, v2
	s_cbranch_vccnz .LBB65_229
; %bb.226:                              ;   in Loop: Header=BB65_8 Depth=1
	s_mov_b64 s[42:43], exec
	v_readlane_b32 s10, v52, 12
	v_readlane_b32 s11, v52, 13
	s_and_b64 s[10:11], s[42:43], s[10:11]
	s_mov_b64 exec, s[10:11]
	s_cbranch_execz .LBB65_228
; %bb.227:                              ;   in Loop: Header=BB65_8 Depth=1
	v_mov_b32_e32 v2, s54
	ds_write_b32 v9, v2 offset:4100
.LBB65_228:                             ;   in Loop: Header=BB65_8 Depth=1
	s_or_b64 exec, exec, s[42:43]
	s_waitcnt lgkmcnt(0)
	s_barrier
.LBB65_229:                             ;   in Loop: Header=BB65_8 Depth=1
	s_or_b32 s10, s77, s55
	s_or_b32 s11, s76, s55
	s_mov_b64 s[42:43], 0
	s_mov_b32 s57, 8
	s_branch .LBB65_232
.LBB65_230:                             ;   in Loop: Header=BB65_8 Depth=1
	s_mov_b32 s56, 1
	s_branch .LBB65_235
.LBB65_231:                             ;   in Loop: Header=BB65_8 Depth=1
	s_mov_b64 s[42:43], -1
                                        ; implicit-def: $sgpr57
                                        ; implicit-def: $sgpr10
                                        ; implicit-def: $sgpr11
.LBB65_232:                             ;   in Loop: Header=BB65_8 Depth=1
	s_andn2_b64 vcc, exec, s[42:43]
	s_cbranch_vccnz .LBB65_234
; %bb.233:                              ;   in Loop: Header=BB65_8 Depth=1
	s_sub_i32 s56, s56, s54
	s_mov_b32 s57, 8
	s_mov_b32 s10, s77
	;; [unrolled: 1-line block ×3, first 2 shown]
.LBB65_234:                             ;   in Loop: Header=BB65_8 Depth=1
	s_mov_b32 s77, s10
	s_mov_b32 s76, s11
.LBB65_235:                             ;   in Loop: Header=BB65_8 Depth=1
	s_mov_b64 s[52:53], exec
.LBB65_236:                             ;   in Loop: Header=BB65_8 Depth=1
	s_or_b64 exec, exec, s[50:51]
.LBB65_237:                             ;   in Loop: Header=BB65_8 Depth=1
	s_andn2_b64 s[10:11], s[34:35], exec
	s_and_b64 s[12:13], s[18:19], exec
	s_or_b64 s[34:35], s[10:11], s[12:13]
	s_andn2_b64 s[10:11], s[38:39], exec
	s_and_b64 s[12:13], s[46:47], exec
	s_or_b64 s[38:39], s[10:11], s[12:13]
	;; [unrolled: 3-line block ×3, first 2 shown]
	s_and_b64 s[44:45], s[52:53], exec
	s_mov_b32 s49, s56
.LBB65_238:                             ;   in Loop: Header=BB65_8 Depth=1
	s_or_b64 exec, exec, s[40:41]
.LBB65_239:                             ;   in Loop: Header=BB65_8 Depth=1
	s_andn2_b64 s[10:11], s[26:27], exec
	s_and_b64 s[12:13], s[34:35], exec
	s_or_b64 s[26:27], s[10:11], s[12:13]
	s_andn2_b64 s[10:11], s[28:29], exec
	s_and_b64 s[12:13], s[38:39], exec
	s_or_b64 s[28:29], s[10:11], s[12:13]
	;; [unrolled: 3-line block ×3, first 2 shown]
	s_and_b64 s[36:37], s[44:45], exec
	s_mov_b32 s39, s49
.LBB65_240:                             ;   in Loop: Header=BB65_8 Depth=1
	s_or_b64 exec, exec, s[30:31]
	s_and_saveexec_b64 s[10:11], s[36:37]
	s_xor_b64 s[18:19], exec, s[10:11]
	s_cbranch_execz .LBB65_6
.LBB65_241:                             ;   in Loop: Header=BB65_8 Depth=1
	s_and_b32 s10, s57, -9
	s_cmp_eq_u32 s10, 0
	s_cbranch_scc1 .LBB65_4
; %bb.242:                              ;   in Loop: Header=BB65_8 Depth=1
	s_mov_b64 s[22:23], -1
                                        ; implicit-def: $sgpr76
                                        ; implicit-def: $sgpr39
                                        ; implicit-def: $sgpr0
                                        ; implicit-def: $sgpr1
	s_mov_b64 s[30:31], -1
	s_branch .LBB65_5
.LBB65_243:
	s_or_b64 exec, exec, s[90:91]
	s_xor_b64 s[6:7], s[64:65], -1
	s_xor_b64 s[0:1], s[92:93], -1
	;; [unrolled: 1-line block ×3, first 2 shown]
	s_mov_b64 s[2:3], 0
	s_and_saveexec_b64 s[4:5], s[0:1]
	s_xor_b64 s[4:5], exec, s[4:5]
	s_cbranch_execnz .LBB65_248
; %bb.244:
	s_andn2_saveexec_b64 s[0:1], s[4:5]
	s_cbranch_execnz .LBB65_268
.LBB65_245:
	s_or_b64 exec, exec, s[0:1]
	s_and_saveexec_b64 s[0:1], s[2:3]
.LBB65_246:
	; divergent unreachable
.LBB65_247:
	s_endpgm
.LBB65_248:
	s_and_saveexec_b64 s[0:1], s[6:7]
	s_xor_b64 s[6:7], exec, s[0:1]
	s_cbranch_execz .LBB65_266
; %bb.249:
	s_and_saveexec_b64 s[0:1], s[8:9]
	s_xor_b64 s[2:3], exec, s[0:1]
; %bb.250:
	v_and_b32_e32 v1, 0x8000, v2
	v_mov_b32_e32 v3, 0x8000
	v_mov_b32_e32 v4, 0xffff
	v_cmp_eq_u32_e32 vcc, 0, v1
	v_cndmask_b32_e32 v1, v3, v4, vcc
	v_xor_b32_e32 v38, v1, v2
; %bb.251:
	s_or_b64 exec, exec, s[2:3]
	s_mov_b64 s[2:3], exec
	v_readlane_b32 s0, v52, 12
	v_readlane_b32 s1, v52, 13
	s_and_b64 s[0:1], s[2:3], s[0:1]
	v_readlane_b32 s20, v52, 20
	v_readlane_b32 s21, v52, 16
	;; [unrolled: 1-line block ×5, first 2 shown]
	s_mov_b64 exec, s[0:1]
	s_cbranch_execz .LBB65_253
; %bb.252:
	v_mov_b32_e32 v1, 0
	v_mov_b32_e32 v2, s60
	ds_write_b32 v1, v2 offset:4108
.LBB65_253:
	s_or_b64 exec, exec, s[2:3]
	v_mov_b32_e32 v1, 0
	s_waitcnt lgkmcnt(0)
	s_barrier
	ds_read_b32 v1, v1 offset:4108
	s_waitcnt lgkmcnt(0)
	v_min_i32_e32 v1, s60, v1
	v_cmp_lt_i32_e32 vcc, v0, v1
	s_and_saveexec_b64 s[8:9], vcc
	s_cbranch_execz .LBB65_263
; %bb.254:
	v_lshlrev_b32_e32 v3, 16, v38
	v_cmp_u_f32_e32 vcc, v3, v3
	s_mov_b64 s[10:11], 0
	v_mov_b32_e32 v4, s82
	s_xor_b64 s[14:15], vcc, -1
                                        ; implicit-def: $sgpr12_sgpr13
                                        ; implicit-def: $sgpr18_sgpr19
                                        ; implicit-def: $sgpr16_sgpr17
	s_branch .LBB65_256
.LBB65_255:                             ;   in Loop: Header=BB65_256 Depth=1
	s_or_b64 exec, exec, s[2:3]
	s_and_b64 s[0:1], exec, s[18:19]
	s_or_b64 s[10:11], s[0:1], s[10:11]
	s_andn2_b64 s[0:1], s[12:13], exec
	s_and_b64 s[2:3], s[16:17], exec
	s_or_b64 s[12:13], s[0:1], s[2:3]
	s_andn2_b64 exec, exec, s[10:11]
	s_cbranch_execz .LBB65_258
.LBB65_256:                             ; =>This Inner Loop Header: Depth=1
	v_ashrrev_i32_e32 v7, 31, v6
	v_lshlrev_b64 v[8:9], 1, v[6:7]
	v_add_co_u32_e32 v8, vcc, s62, v8
	v_addc_co_u32_e32 v9, vcc, v4, v9, vcc
	global_load_ushort v5, v[8:9], off
	v_mov_b32_e32 v2, v0
	s_or_b64 s[16:17], s[16:17], exec
	s_or_b64 s[18:19], s[18:19], exec
	s_waitcnt vmcnt(0)
	v_lshlrev_b32_e32 v0, 16, v5
	v_cmp_o_f32_e64 s[2:3], v0, v0
	v_cmp_neq_f32_e32 vcc, v0, v3
	s_or_b64 s[0:1], s[14:15], s[2:3]
	s_and_b64 s[0:1], vcc, s[0:1]
                                        ; implicit-def: $vgpr0
	s_and_saveexec_b64 s[2:3], s[0:1]
	s_cbranch_execz .LBB65_255
; %bb.257:                              ;   in Loop: Header=BB65_256 Depth=1
	v_add_u32_e32 v0, s33, v2
	v_cmp_ge_i32_e32 vcc, v0, v1
	s_andn2_b64 s[0:1], s[18:19], exec
	s_and_b64 s[18:19], vcc, exec
	v_add_u32_e32 v6, s83, v6
	s_andn2_b64 s[16:17], s[16:17], exec
	s_or_b64 s[18:19], s[0:1], s[18:19]
	s_branch .LBB65_255
.LBB65_258:
	s_or_b64 exec, exec, s[10:11]
	s_and_saveexec_b64 s[0:1], s[12:13]
	s_xor_b64 s[0:1], exec, s[0:1]
	s_cbranch_execz .LBB65_263
; %bb.259:
	s_mov_b64 s[2:3], exec
	s_brev_b32 s0, -2
.LBB65_260:                             ; =>This Inner Loop Header: Depth=1
	s_ff1_i32_b64 s1, s[2:3]
	v_readlane_b32 s12, v2, s1
	s_lshl_b64 s[10:11], 1, s1
	s_min_i32 s0, s0, s12
	s_andn2_b64 s[2:3], s[2:3], s[10:11]
	s_cmp_lg_u64 s[2:3], 0
	s_cbranch_scc1 .LBB65_260
; %bb.261:
	v_mbcnt_lo_u32_b32 v0, exec_lo, 0
	v_mbcnt_hi_u32_b32 v0, exec_hi, v0
	v_cmp_eq_u32_e32 vcc, 0, v0
	s_and_saveexec_b64 s[2:3], vcc
	s_xor_b64 s[2:3], exec, s[2:3]
	s_cbranch_execz .LBB65_263
; %bb.262:
	v_mov_b32_e32 v0, 0
	v_mov_b32_e32 v1, s0
	ds_min_i32 v0, v1 offset:4108
.LBB65_263:
	s_or_b64 exec, exec, s[8:9]
	s_waitcnt lgkmcnt(0)
	s_barrier
	s_mov_b64 s[2:3], exec
	v_readlane_b32 s0, v52, 12
	v_readlane_b32 s1, v52, 13
	s_and_b64 s[0:1], s[2:3], s[0:1]
	s_mov_b64 exec, s[0:1]
	s_cbranch_execz .LBB65_265
; %bb.264:
	v_readlane_b32 s10, v52, 8
	v_readlane_b32 s11, v52, 9
	s_mul_i32 s1, s11, s10
	v_readlane_b32 s0, v52, 15
	s_sub_i32 s1, s23, s1
	s_xor_b32 s0, s22, s0
	s_add_i32 s8, s11, 1
	s_sub_i32 s9, s1, s10
	s_cmp_ge_u32 s1, s10
	s_cselect_b32 s8, s8, s11
	s_cselect_b32 s1, s9, s1
	s_add_i32 s9, s8, 1
	s_cmp_ge_u32 s1, s10
	s_cselect_b32 s1, s9, s8
	s_xor_b32 s1, s1, s0
	s_sub_i32 s0, s1, s0
	s_mul_i32 s1, s0, s24
	v_readlane_b32 s8, v52, 6
	s_sub_i32 s1, s20, s1
	v_readlane_b32 s9, v52, 7
	v_readlane_b32 s11, v52, 10
	;; [unrolled: 1-line block ×3, first 2 shown]
	s_mul_i32 s1, s1, s9
	s_mul_i32 s0, s0, s8
	;; [unrolled: 1-line block ×3, first 2 shown]
	s_add_i32 s0, s0, s1
	v_readlane_b32 s1, v52, 17
	s_sub_i32 s8, s23, s8
	s_xor_b32 s1, s22, s1
	s_add_i32 s9, s12, 1
	s_sub_i32 s10, s8, s11
	s_cmp_ge_u32 s8, s11
	s_cselect_b32 s9, s9, s12
	s_cselect_b32 s8, s10, s8
	s_add_i32 s10, s9, 1
	s_cmp_ge_u32 s8, s11
	s_cselect_b32 s8, s10, s9
	s_xor_b32 s8, s8, s1
	s_sub_i32 s1, s8, s1
	s_mul_i32 s8, s1, s21
	v_readlane_b32 s10, v52, 2
	s_sub_i32 s8, s20, s8
	v_readlane_b32 s11, v52, 3
	s_mul_i32 s8, s8, s11
	s_mul_i32 s1, s1, s10
	s_add_i32 s8, s1, s8
	s_ashr_i32 s1, s0, 31
	v_mov_b32_e32 v2, 0
	s_lshl_b64 s[0:1], s[0:1], 1
	v_readlane_b32 s10, v52, 0
	ds_read_b32 v0, v2 offset:4108
	v_readlane_b32 s11, v52, 1
	s_add_u32 s0, s10, s0
	s_addc_u32 s1, s11, s1
	s_ashr_i32 s9, s8, 31
	s_lshl_b64 s[8:9], s[8:9], 3
	v_readlane_b32 s10, v52, 4
	v_readlane_b32 s11, v52, 5
	s_add_u32 s8, s10, s8
	s_addc_u32 s9, s11, s9
	s_waitcnt lgkmcnt(0)
	v_ashrrev_i32_e32 v1, 31, v0
	global_store_dwordx2 v2, v[0:1], s[8:9]
	global_store_short v2, v38, s[0:1]
.LBB65_265:
	s_or_b64 exec, exec, s[2:3]
.LBB65_266:
	s_or_saveexec_b64 s[0:1], s[6:7]
	s_mov_b64 s[2:3], 0
	s_xor_b64 exec, exec, s[0:1]
	s_cbranch_execnz .LBB65_269
.LBB65_267:
	s_or_b64 exec, exec, s[0:1]
	s_and_b64 s[2:3], s[2:3], exec
	s_andn2_saveexec_b64 s[0:1], s[4:5]
	s_cbranch_execz .LBB65_245
.LBB65_268:
	s_or_b64 s[2:3], s[2:3], exec
	s_trap 2
	s_or_b64 exec, exec, s[0:1]
	s_and_saveexec_b64 s[0:1], s[2:3]
	s_cbranch_execnz .LBB65_246
	s_branch .LBB65_247
.LBB65_269:
	s_mov_b64 s[2:3], exec
	s_trap 2
	s_branch .LBB65_267
	.section	.rodata,"a",@progbits
	.p2align	6, 0x0
	.amdhsa_kernel _ZN2at6native12_GLOBAL__N_114gatherKthValueIN3c108BFloat16EiLi2EEEvNS_4cuda6detail10TensorInfoIKT_T0_EESA_SA_SA_SA_NS7_IS8_SA_EENS7_IlSA_EE
		.amdhsa_group_segment_fixed_size 4112
		.amdhsa_private_segment_fixed_size 0
		.amdhsa_kernarg_size 920
		.amdhsa_user_sgpr_count 6
		.amdhsa_user_sgpr_private_segment_buffer 1
		.amdhsa_user_sgpr_dispatch_ptr 0
		.amdhsa_user_sgpr_queue_ptr 0
		.amdhsa_user_sgpr_kernarg_segment_ptr 1
		.amdhsa_user_sgpr_dispatch_id 0
		.amdhsa_user_sgpr_flat_scratch_init 0
		.amdhsa_user_sgpr_kernarg_preload_length 0
		.amdhsa_user_sgpr_kernarg_preload_offset 0
		.amdhsa_user_sgpr_private_segment_size 0
		.amdhsa_uses_dynamic_stack 0
		.amdhsa_system_sgpr_private_segment_wavefront_offset 0
		.amdhsa_system_sgpr_workgroup_id_x 1
		.amdhsa_system_sgpr_workgroup_id_y 1
		.amdhsa_system_sgpr_workgroup_id_z 1
		.amdhsa_system_sgpr_workgroup_info 0
		.amdhsa_system_vgpr_workitem_id 0
		.amdhsa_next_free_vgpr 53
		.amdhsa_next_free_sgpr 96
		.amdhsa_accum_offset 56
		.amdhsa_reserve_vcc 1
		.amdhsa_reserve_flat_scratch 0
		.amdhsa_float_round_mode_32 0
		.amdhsa_float_round_mode_16_64 0
		.amdhsa_float_denorm_mode_32 3
		.amdhsa_float_denorm_mode_16_64 3
		.amdhsa_dx10_clamp 1
		.amdhsa_ieee_mode 1
		.amdhsa_fp16_overflow 0
		.amdhsa_tg_split 0
		.amdhsa_exception_fp_ieee_invalid_op 0
		.amdhsa_exception_fp_denorm_src 0
		.amdhsa_exception_fp_ieee_div_zero 0
		.amdhsa_exception_fp_ieee_overflow 0
		.amdhsa_exception_fp_ieee_underflow 0
		.amdhsa_exception_fp_ieee_inexact 0
		.amdhsa_exception_int_div_zero 0
	.end_amdhsa_kernel
	.section	.text._ZN2at6native12_GLOBAL__N_114gatherKthValueIN3c108BFloat16EiLi2EEEvNS_4cuda6detail10TensorInfoIKT_T0_EESA_SA_SA_SA_NS7_IS8_SA_EENS7_IlSA_EE,"axG",@progbits,_ZN2at6native12_GLOBAL__N_114gatherKthValueIN3c108BFloat16EiLi2EEEvNS_4cuda6detail10TensorInfoIKT_T0_EESA_SA_SA_SA_NS7_IS8_SA_EENS7_IlSA_EE,comdat
.Lfunc_end65:
	.size	_ZN2at6native12_GLOBAL__N_114gatherKthValueIN3c108BFloat16EiLi2EEEvNS_4cuda6detail10TensorInfoIKT_T0_EESA_SA_SA_SA_NS7_IS8_SA_EENS7_IlSA_EE, .Lfunc_end65-_ZN2at6native12_GLOBAL__N_114gatherKthValueIN3c108BFloat16EiLi2EEEvNS_4cuda6detail10TensorInfoIKT_T0_EESA_SA_SA_SA_NS7_IS8_SA_EENS7_IlSA_EE
                                        ; -- End function
	.section	.AMDGPU.csdata,"",@progbits
; Kernel info:
; codeLenInByte = 11140
; NumSgprs: 100
; NumVgprs: 53
; NumAgprs: 0
; TotalNumVgprs: 53
; ScratchSize: 0
; MemoryBound: 0
; FloatMode: 240
; IeeeMode: 1
; LDSByteSize: 4112 bytes/workgroup (compile time only)
; SGPRBlocks: 12
; VGPRBlocks: 6
; NumSGPRsForWavesPerEU: 100
; NumVGPRsForWavesPerEU: 53
; AccumOffset: 56
; Occupancy: 8
; WaveLimiterHint : 1
; COMPUTE_PGM_RSRC2:SCRATCH_EN: 0
; COMPUTE_PGM_RSRC2:USER_SGPR: 6
; COMPUTE_PGM_RSRC2:TRAP_HANDLER: 0
; COMPUTE_PGM_RSRC2:TGID_X_EN: 1
; COMPUTE_PGM_RSRC2:TGID_Y_EN: 1
; COMPUTE_PGM_RSRC2:TGID_Z_EN: 1
; COMPUTE_PGM_RSRC2:TIDIG_COMP_CNT: 0
; COMPUTE_PGM_RSRC3_GFX90A:ACCUM_OFFSET: 13
; COMPUTE_PGM_RSRC3_GFX90A:TG_SPLIT: 0
	.section	.text._ZN2at6native12_GLOBAL__N_114gatherKthValueIN3c108BFloat16EiLi3EEEvNS_4cuda6detail10TensorInfoIKT_T0_EESA_SA_SA_SA_NS7_IS8_SA_EENS7_IlSA_EE,"axG",@progbits,_ZN2at6native12_GLOBAL__N_114gatherKthValueIN3c108BFloat16EiLi3EEEvNS_4cuda6detail10TensorInfoIKT_T0_EESA_SA_SA_SA_NS7_IS8_SA_EENS7_IlSA_EE,comdat
	.globl	_ZN2at6native12_GLOBAL__N_114gatherKthValueIN3c108BFloat16EiLi3EEEvNS_4cuda6detail10TensorInfoIKT_T0_EESA_SA_SA_SA_NS7_IS8_SA_EENS7_IlSA_EE ; -- Begin function _ZN2at6native12_GLOBAL__N_114gatherKthValueIN3c108BFloat16EiLi3EEEvNS_4cuda6detail10TensorInfoIKT_T0_EESA_SA_SA_SA_NS7_IS8_SA_EENS7_IlSA_EE
	.p2align	8
	.type	_ZN2at6native12_GLOBAL__N_114gatherKthValueIN3c108BFloat16EiLi3EEEvNS_4cuda6detail10TensorInfoIKT_T0_EESA_SA_SA_SA_NS7_IS8_SA_EENS7_IlSA_EE,@function
_ZN2at6native12_GLOBAL__N_114gatherKthValueIN3c108BFloat16EiLi3EEEvNS_4cuda6detail10TensorInfoIKT_T0_EESA_SA_SA_SA_NS7_IS8_SA_EENS7_IlSA_EE: ; @_ZN2at6native12_GLOBAL__N_114gatherKthValueIN3c108BFloat16EiLi3EEEvNS_4cuda6detail10TensorInfoIKT_T0_EESA_SA_SA_SA_NS7_IS8_SA_EENS7_IlSA_EE
; %bb.0:
	s_load_dwordx2 s[14:15], s[4:5], 0x298
	s_load_dwordx4 s[68:71], s[4:5], 0xd8
	s_add_u32 s12, s4, 0x298
	s_addc_u32 s13, s5, 0
	s_waitcnt lgkmcnt(0)
	s_mul_i32 s0, s15, s8
	s_add_i32 s0, s0, s7
	s_mul_i32 s0, s0, s14
	s_add_i32 s23, s0, s6
	s_cmp_ge_i32 s23, s70
	s_cbranch_scc1 .LBB66_247
; %bb.1:
	s_load_dwordx2 s[2:3], s[4:5], 0xc
	s_load_dwordx2 s[24:25], s[4:5], 0xf4
	s_ashr_i32 s8, s23, 31
	s_abs_i32 s9, s23
	s_load_dwordx4 s[28:31], s[4:5], 0x154
	s_waitcnt lgkmcnt(0)
	s_ashr_i32 s0, s3, 31
	s_add_i32 s1, s3, s0
	s_xor_b32 s1, s1, s0
	v_cvt_f32_u32_e32 v1, s1
	s_xor_b32 s7, s8, s0
	s_sub_i32 s0, 0, s1
                                        ; implicit-def: $vgpr52 : SGPR spill to VGPR lane
                                        ; kill: killed $sgpr4 killed $sgpr5
	s_mov_b32 s80, 0
	v_rcp_iflag_f32_e32 v1, v1
	v_writelane_b32 v52, s28, 0
	v_writelane_b32 v52, s29, 1
	;; [unrolled: 1-line block ×3, first 2 shown]
	v_mul_f32_e32 v1, 0x4f7ffffe, v1
	v_cvt_u32_f32_e32 v1, v1
	v_writelane_b32 v52, s31, 3
	v_readfirstlane_b32 s10, v1
	s_mul_i32 s0, s0, s10
	s_mul_hi_u32 s0, s10, s0
	s_add_i32 s10, s10, s0
	s_mul_hi_u32 s0, s9, s10
	s_mul_i32 s10, s0, s1
	s_sub_i32 s10, s9, s10
	s_add_i32 s11, s0, 1
	s_sub_i32 s15, s10, s1
	s_cmp_ge_u32 s10, s1
	s_cselect_b32 s0, s11, s0
	s_cselect_b32 s10, s15, s10
	s_add_i32 s11, s0, 1
	s_cmp_ge_u32 s10, s1
	s_cselect_b32 s10, s11, s0
	s_abs_i32 s0, s2
	s_ashr_i32 s11, s25, 31
	v_cvt_f32_u32_e32 v1, s0
	s_add_i32 s15, s25, s11
	s_xor_b32 s19, s8, s11
	s_xor_b32 s11, s15, s11
	v_cvt_f32_u32_e32 v2, s11
	v_rcp_iflag_f32_e32 v1, v1
	s_xor_b32 s10, s10, s7
	s_sub_i32 s16, 0, s0
	v_rcp_iflag_f32_e32 v2, v2
	v_mul_f32_e32 v1, 0x4f7ffffe, v1
	v_cvt_u32_f32_e32 v1, v1
	s_sub_i32 s7, s10, s7
	v_mul_f32_e32 v2, 0x4f7ffffe, v2
	v_cvt_u32_f32_e32 v2, v2
	v_readfirstlane_b32 s10, v1
	s_mul_i32 s16, s16, s10
	s_mul_hi_u32 s16, s10, s16
	s_add_i32 s20, s10, s16
	s_sub_i32 s10, 0, s11
	v_readfirstlane_b32 s16, v2
	s_mul_i32 s10, s10, s16
	s_mul_hi_u32 s10, s16, s10
	s_add_i32 s16, s16, s10
	s_mul_hi_u32 s10, s9, s16
	s_mul_i32 s16, s10, s11
	s_sub_i32 s16, s9, s16
	s_ashr_i32 s1, s2, 31
	s_ashr_i32 s15, s7, 31
	s_abs_i32 s18, s7
	s_add_i32 s17, s10, 1
	s_sub_i32 s21, s16, s11
	s_cmp_ge_u32 s16, s11
	s_cselect_b32 s10, s17, s10
	s_cselect_b32 s16, s21, s16
	s_add_i32 s17, s10, 1
	s_cmp_ge_u32 s16, s11
	s_cselect_b32 s10, s17, s10
	s_load_dwordx2 s[16:17], s[4:5], 0x0
	s_load_dwordx4 s[28:31], s[4:5], 0x22c
	s_abs_i32 s21, s24
	v_cvt_f32_u32_e32 v1, s21
	s_xor_b32 s10, s10, s19
	s_waitcnt lgkmcnt(0)
	v_writelane_b32 v52, s28, 4
	v_writelane_b32 v52, s29, 5
	;; [unrolled: 1-line block ×4, first 2 shown]
	s_load_dwordx2 s[28:29], s[4:5], 0x1cc
	s_load_dwordx2 s[26:27], s[4:5], 0x1c0
	v_rcp_iflag_f32_e32 v1, v1
	s_waitcnt lgkmcnt(0)
	v_writelane_b32 v52, s26, 8
	v_writelane_b32 v52, s27, 9
	s_sub_i32 s26, s10, s19
	s_ashr_i32 s10, s29, 31
	s_add_i32 s11, s29, s10
	s_xor_b32 s11, s11, s10
	v_cvt_f32_u32_e32 v2, s11
	v_mul_f32_e32 v1, 0x4f7ffffe, v1
	v_cvt_u32_f32_e32 v1, v1
	v_writelane_b32 v52, s21, 10
	v_rcp_iflag_f32_e32 v2, v2
	s_sub_i32 s19, 0, s21
	v_readfirstlane_b32 s21, v1
	s_mul_i32 s19, s19, s21
	v_mul_f32_e32 v1, 0x4f7ffffe, v2
	v_cvt_u32_f32_e32 v1, v1
	s_mul_hi_u32 s19, s21, s19
	s_add_i32 s21, s21, s19
	s_xor_b32 s19, s8, s10
	s_sub_i32 s8, 0, s11
	v_readfirstlane_b32 s10, v1
	s_mul_i32 s8, s8, s10
	s_mul_hi_u32 s8, s10, s8
	s_add_i32 s10, s10, s8
	s_mul_hi_u32 s8, s9, s10
	s_mul_i32 s10, s8, s11
	s_sub_i32 s9, s9, s10
	s_abs_i32 s27, s26
	s_add_i32 s10, s8, 1
	s_sub_i32 s22, s9, s11
	s_cmp_ge_u32 s9, s11
	s_cselect_b32 s8, s10, s8
	s_cselect_b32 s9, s22, s9
	s_add_i32 s10, s8, 1
	s_cmp_ge_u32 s9, s11
	s_cselect_b32 s22, s10, s8
	s_abs_i32 s30, s28
	v_cvt_f32_u32_e32 v1, s30
	s_load_dwordx2 s[8:9], s[4:5], 0xe8
	v_rcp_iflag_f32_e32 v1, v1
	s_waitcnt lgkmcnt(0)
	v_writelane_b32 v52, s8, 11
	v_writelane_b32 v52, s9, 12
	v_mul_f32_e32 v1, 0x4f7ffffe, v1
	v_cvt_u32_f32_e32 v1, v1
	s_load_dwordx4 s[8:11], s[4:5], 0x6c
	v_writelane_b32 v52, s27, 13
	s_mul_hi_u32 s4, s27, s21
	v_writelane_b32 v52, s4, 14
	s_xor_b32 s4, s22, s19
	s_sub_i32 s19, s4, s19
	s_sub_i32 s4, 0, s30
	v_readfirstlane_b32 s5, v1
	s_mul_i32 s4, s4, s5
	s_mul_hi_u32 s4, s5, s4
	s_waitcnt lgkmcnt(0)
	s_mul_hi_u32 s11, s18, s20
	s_abs_i32 s20, s19
	v_writelane_b32 v52, s30, 15
	s_add_i32 s5, s5, s4
	v_writelane_b32 v52, s20, 16
	s_mul_hi_u32 s4, s20, s5
	v_writelane_b32 v52, s4, 17
	v_cmp_eq_u32_e64 s[20:21], 0, v0
	s_mov_b64 s[4:5], exec
	v_writelane_b32 v52, s20, 18
	v_writelane_b32 v52, s21, 19
	s_and_b64 s[20:21], s[4:5], s[20:21]
	s_mov_b64 exec, s[20:21]
	s_cbranch_execz .LBB66_3
; %bb.2:
	v_mov_b32_e32 v2, 0
	v_mov_b32_e32 v3, s68
	v_mov_b32_e32 v4, v2
	ds_write_b96 v2, v[2:4] offset:4096
.LBB66_3:
	s_or_b64 exec, exec, s[4:5]
	v_writelane_b32 v52, s26, 20
	s_ashr_i32 s4, s26, 31
	v_writelane_b32 v52, s4, 21
	v_writelane_b32 v52, s24, 22
	;; [unrolled: 1-line block ×3, first 2 shown]
	s_ashr_i32 s4, s24, 31
	v_writelane_b32 v52, s4, 24
	v_writelane_b32 v52, s19, 25
	s_ashr_i32 s4, s19, 31
	v_writelane_b32 v52, s4, 26
	v_writelane_b32 v52, s28, 27
	;; [unrolled: 1-line block ×3, first 2 shown]
	s_ashr_i32 s4, s28, 31
	v_writelane_b32 v52, s4, 29
	s_mul_i32 s3, s7, s3
	s_mul_i32 s4, s11, s0
	s_sub_i32 s3, s23, s3
	s_sub_i32 s4, s18, s4
	s_mul_i32 s3, s3, s10
	s_xor_b32 s1, s15, s1
	s_add_i32 s5, s11, 1
	s_sub_i32 s10, s4, s0
	s_cmp_ge_u32 s4, s0
	s_cselect_b32 s5, s5, s11
	s_cselect_b32 s4, s10, s4
	s_add_i32 s10, s5, 1
	s_cmp_ge_u32 s4, s0
	s_cselect_b32 s0, s10, s5
	s_xor_b32 s0, s0, s1
	s_sub_i32 s0, s0, s1
	s_mul_i32 s1, s0, s2
	s_sub_i32 s1, s7, s1
	s_mul_i32 s1, s1, s9
	s_add_i32 s1, s1, s3
	s_mul_i32 s0, s0, s8
	s_waitcnt lgkmcnt(0)
	s_barrier
	s_load_dword s2, s[12:13], 0xc
	s_add_i32 s0, s1, s0
	s_ashr_i32 s1, s0, 31
	s_lshl_b64 s[0:1], s[0:1], 1
	s_add_u32 s70, s16, s0
	v_mbcnt_lo_u32_b32 v1, -1, 0
	s_addc_u32 s90, s17, s1
	s_waitcnt lgkmcnt(0)
	s_and_b32 s33, s2, 0xffff
	v_mbcnt_hi_u32_b32 v13, -1, v1
	s_bfe_u32 s8, s2, 0xa0006
	v_cmp_gt_u32_e32 vcc, 64, v0
	v_cmp_gt_i32_e64 s[2:3], 4, v13
	s_add_i32 s0, s33, -1
	s_lshl_b32 s7, s33, 2
	s_and_b64 s[82:83], vcc, s[2:3]
	s_add_i32 s89, s0, s68
	v_writelane_b32 v52, s23, 30
	s_cmpk_gt_i32 s68, 0x600
	v_writelane_b32 v52, s0, 31
	s_cselect_b64 s[0:1], -1, 0
	v_writelane_b32 v52, s0, 32
	s_cmp_gt_u32 s33, 63
	v_writelane_b32 v52, s1, 33
	s_cselect_b64 s[0:1], -1, 0
	v_writelane_b32 v52, s0, 34
	s_cmp_lt_u32 s6, s14
	v_writelane_b32 v52, s1, 35
	s_cselect_b32 s0, 12, 18
	s_add_u32 s0, s12, s0
	s_addc_u32 s1, s13, 0
	v_writelane_b32 v52, s0, 36
	v_writelane_b32 v52, s1, 37
	s_add_i32 s0, s8, -2
	s_lshr_b32 s1, s0, 1
	v_mov_b32_e32 v9, 0
	s_add_i32 s1, s1, 1
	s_cmpk_gt_u32 s33, 0x7f
	v_mul_lo_u32 v6, v0, s71
	v_mov_b32_e32 v7, v9
	s_cselect_b64 s[2:3], -1, 0
	v_lshlrev_b64 v[2:3], 1, v[6:7]
	v_writelane_b32 v52, s2, 38
	v_mov_b32_e32 v7, s90
	v_add_co_u32_e32 v10, vcc, s70, v2
	v_writelane_b32 v52, s3, 39
	v_addc_co_u32_e32 v11, vcc, v7, v3, vcc
	v_cmp_gt_u32_e64 s[10:11], s68, v0
	v_lshlrev_b64 v[2:3], v13, -1
	v_writelane_b32 v52, s10, 40
	v_not_b32_e32 v12, v2
	v_cvt_f32_u32_e32 v2, s7
	v_writelane_b32 v52, s11, 41
	v_cmp_gt_i32_e64 s[10:11], s68, v0
	s_and_b32 s6, s8, 0x3fe
	s_and_b32 s9, s1, 7
	v_writelane_b32 v52, s10, 42
	s_cmp_gt_u32 s0, 13
	v_writelane_b32 v52, s11, 43
	s_cselect_b64 s[10:11], -1, 0
	v_writelane_b32 v52, s10, 44
	v_rcp_iflag_f32_e32 v2, v2
	v_writelane_b32 v52, s11, 45
	s_and_b32 s0, s1, -8
	v_writelane_b32 v52, s0, 46
	s_cmp_lg_u32 s9, 0
	v_writelane_b32 v52, s9, 47
	s_cselect_b64 s[0:1], -1, 0
	v_writelane_b32 v52, s0, 48
	v_mul_f32_e32 v2, 0x4f7ffffe, v2
	v_writelane_b32 v52, s1, 49
	v_cvt_u32_f32_e32 v2, v2
	v_writelane_b32 v52, s8, 50
	s_cmp_lg_u32 s6, s8
	v_writelane_b32 v52, s6, 51
	s_cselect_b64 s[0:1], -1, 0
	v_writelane_b32 v52, s0, 52
	v_writelane_b32 v52, s1, 53
	s_sub_i32 s0, 0, s7
	v_readfirstlane_b32 s1, v2
	s_mul_i32 s0, s0, s1
	s_mul_hi_u32 s0, s1, s0
	s_add_i32 s6, s1, s0
	s_mul_hi_u32 s0, s68, s6
	s_mul_i32 s0, s0, s7
	s_sub_i32 s0, s68, s0
	s_sub_i32 s1, s0, s7
	s_cmp_ge_u32 s0, s7
	s_cselect_b32 s0, s1, s0
	s_sub_i32 s1, s0, s7
	v_cvt_f32_u32_e32 v5, s33
	s_cmp_ge_u32 s0, s7
	s_cselect_b32 s0, s1, s0
	s_sub_i32 s9, s68, s0
	v_add_u32_e32 v25, s9, v0
	v_rcp_iflag_f32_e32 v5, v5
	v_lshrrev_b32_e32 v1, 4, v0
	v_mul_lo_u32 v2, v25, s71
	v_and_b32_e32 v23, 60, v1
	v_not_b32_e32 v1, v3
	v_ashrrev_i32_e32 v3, 31, v2
	v_lshlrev_b64 v[2:3], 1, v[2:3]
	v_lshlrev_b32_e32 v20, 2, v0
	v_add_co_u32_e32 v14, vcc, s70, v2
	v_mul_f32_e32 v2, 0x4f7ffffe, v5
	v_cmp_gt_i32_e64 s[10:11], s9, v20
	v_cvt_u32_f32_e32 v2, v2
	v_writelane_b32 v52, s10, 54
	v_writelane_b32 v52, s11, 55
	v_cmp_gt_u32_e64 s[10:11], s68, v25
	v_writelane_b32 v52, s10, 56
	v_writelane_b32 v52, s11, 57
	s_sub_i32 s10, 0, s33
	v_readfirstlane_b32 s11, v2
	s_mul_i32 s10, s10, s11
	s_mul_hi_u32 s10, s11, s10
	s_abs_i32 s8, s89
	s_add_i32 s10, s11, s10
	v_writelane_b32 v52, s10, 58
	s_mul_hi_u32 s10, s8, s10
	s_mul_i32 s10, s10, s33
	s_sub_i32 s8, s8, s10
	s_ashr_i32 s1, s89, 31
	s_sub_i32 s10, s8, s33
	s_cmp_ge_u32 s8, s33
	s_cselect_b32 s8, s10, s8
	s_sub_i32 s10, s8, s33
	s_cmp_ge_u32 s8, s33
	s_cselect_b32 s8, s10, s8
	s_xor_b32 s8, s8, s1
	v_mul_lo_u32 v2, s71, v20
	s_sub_i32 s1, s1, s8
	v_add_u32_e32 v26, s71, v2
	v_or_b32_e32 v2, 2, v20
	s_add_i32 s89, s89, s1
	v_mul_lo_u32 v27, s71, v2
	v_or_b32_e32 v2, 3, v20
	s_add_i32 s1, s33, s68
	v_mul_lo_u32 v28, s71, v2
	v_add_u32_e32 v2, s1, v0
	v_lshlrev_b32_e32 v21, 1, v0
	v_lshlrev_b32_e32 v4, 2, v13
	v_mov_b32_e32 v8, s90
	v_cmp_gt_i32_e64 s[10:11], s89, v0
	s_mul_i32 s91, s71, s33
	v_subrev_u32_e32 v2, s0, v2
	v_cmp_eq_u32_e64 s[2:3], 0, v13
	v_cmp_gt_u32_e64 s[4:5], 2, v0
	v_add_u32_e32 v22, 0xc00, v21
	v_and_b32_e32 v24, 0x100, v4
	v_addc_co_u32_e32 v15, vcc, v8, v3, vcc
	v_cmp_gt_i32_e64 s[14:15], s68, v25
	v_writelane_b32 v52, s10, 59
	s_lshl_b32 s16, s91, 2
	v_lshlrev_b32_e32 v29, 2, v6
	v_mul_lo_u32 v30, s71, v2
	v_lshlrev_b32_e32 v31, 3, v0
	s_lshl_b32 s17, s33, 3
	s_lshl_b32 s8, s33, 1
	v_or_b32_e32 v32, 0xc00, v4
	s_mov_b32 s0, 14
	s_movk_i32 s88, 0x3f80
	v_mov_b32_e32 v33, 0xffff
	v_mov_b32_e32 v34, 0x8000
	v_mov_b32_e32 v35, -1
	v_mov_b32_e32 v36, 0xc00
	v_mov_b32_e32 v37, 0x5040100
	;; [unrolled: 1-line block ×3, first 2 shown]
	s_mov_b32 s1, 0
	s_mov_b32 s85, 0
	;; [unrolled: 1-line block ×3, first 2 shown]
	s_mov_b64 s[78:79], 0
	v_writelane_b32 v52, s11, 60
                                        ; implicit-def: $sgpr60_sgpr61
                                        ; implicit-def: $sgpr64_sgpr65
                                        ; implicit-def: $sgpr62_sgpr63
                                        ; implicit-def: $sgpr66_sgpr67
                                        ; implicit-def: $sgpr72_sgpr73
                                        ; implicit-def: $sgpr76_sgpr77
	s_branch .LBB66_8
.LBB66_4:                               ;   in Loop: Header=BB66_8 Depth=1
	s_xor_b32 s1, s1, 1
	s_add_i32 s10, s0, -2
	s_cmp_eq_u32 s0, 0
	s_mov_b64 s[22:23], 0
	s_cselect_b64 s[30:31], -1, 0
	s_mov_b32 s0, s10
.LBB66_5:                               ;   in Loop: Header=BB66_8 Depth=1
	s_andn2_b64 s[10:11], s[26:27], exec
	s_and_b64 s[12:13], s[22:23], exec
	s_or_b64 s[26:27], s[10:11], s[12:13]
	s_andn2_b64 s[28:29], s[28:29], exec
	s_andn2_b64 s[24:25], s[24:25], exec
	s_orn2_b64 s[22:23], s[30:31], exec
	s_mov_b32 s69, s39
.LBB66_6:                               ;   in Loop: Header=BB66_8 Depth=1
	s_or_b64 exec, exec, s[18:19]
	s_andn2_b64 s[10:11], s[76:77], exec
	s_and_b64 s[12:13], s[26:27], exec
	s_or_b64 s[76:77], s[10:11], s[12:13]
	s_andn2_b64 s[10:11], s[72:73], exec
	s_and_b64 s[12:13], s[28:29], exec
	s_or_b64 s[72:73], s[10:11], s[12:13]
	;; [unrolled: 3-line block ×3, first 2 shown]
	s_orn2_b64 s[22:23], s[22:23], exec
.LBB66_7:                               ;   in Loop: Header=BB66_8 Depth=1
	s_or_b64 exec, exec, s[20:21]
	s_and_b64 s[10:11], exec, s[22:23]
	s_or_b64 s[78:79], s[10:11], s[78:79]
	s_andn2_b64 s[10:11], s[62:63], exec
	s_and_b64 s[12:13], s[76:77], exec
	s_or_b64 s[62:63], s[10:11], s[12:13]
	s_andn2_b64 s[10:11], s[64:65], exec
	s_and_b64 s[12:13], s[72:73], exec
	;; [unrolled: 3-line block ×3, first 2 shown]
	v_mov_b32_e32 v2, s85
	s_or_b64 s[60:61], s[10:11], s[12:13]
	s_andn2_b64 exec, exec, s[78:79]
	s_cbranch_execz .LBB66_243
.LBB66_8:                               ; =>This Loop Header: Depth=1
                                        ;     Child Loop BB66_13 Depth 2
                                        ;     Child Loop BB66_32 Depth 2
	;; [unrolled: 1-line block ×17, first 2 shown]
	ds_read_b64 v[2:3], v9 offset:4096
	s_waitcnt lgkmcnt(0)
	v_readfirstlane_b32 s81, v2
	s_cmp_gt_i32 s81, 0
	s_cbranch_scc1 .LBB66_39
; %bb.9:                                ;   in Loop: Header=BB66_8 Depth=1
	v_readlane_b32 s10, v52, 32
	v_readlane_b32 s11, v52, 33
	s_and_b64 vcc, exec, s[10:11]
	s_cbranch_vccz .LBB66_21
; %bb.10:                               ;   in Loop: Header=BB66_8 Depth=1
	s_movk_i32 s10, 0x601
	v_cmp_gt_i32_e32 vcc, s10, v3
	s_mov_b64 s[20:21], 0
	s_mov_b64 s[18:19], 0
	s_cbranch_vccz .LBB66_26
; %bb.11:                               ;   in Loop: Header=BB66_8 Depth=1
	v_readlane_b32 s10, v52, 36
	v_readlane_b32 s11, v52, 37
	s_nop 4
	global_load_ushort v2, v9, s[10:11]
	global_load_ushort v4, v[10:11], off
	s_mov_b64 s[22:23], 0
	s_waitcnt vmcnt(1)
	v_add_u32_e32 v5, v0, v2
	v_mul_lo_u32 v3, s71, v2
	v_mul_lo_u32 v8, s71, v5
	v_mov_b32_e32 v5, v0
	s_branch .LBB66_13
.LBB66_12:                              ;   in Loop: Header=BB66_13 Depth=2
	s_or_b64 exec, exec, s[18:19]
	v_cmp_le_i32_e32 vcc, s68, v5
	v_add_u32_e32 v8, v8, v3
	s_or_b64 s[22:23], vcc, s[22:23]
	v_mov_b32_e32 v4, v16
	s_andn2_b64 exec, exec, s[22:23]
	s_cbranch_execz .LBB66_22
.LBB66_13:                              ;   Parent Loop BB66_8 Depth=1
                                        ; =>  This Inner Loop Header: Depth=2
	v_add_u32_e32 v5, v5, v2
	v_cmp_gt_u32_e32 vcc, s68, v5
	s_waitcnt lgkmcnt(0)
	v_mov_b32_e32 v17, 0
	v_mov_b32_e32 v16, 0
	s_and_saveexec_b64 s[18:19], vcc
	s_cbranch_execz .LBB66_15
; %bb.14:                               ;   in Loop: Header=BB66_13 Depth=2
	v_lshlrev_b64 v[18:19], 1, v[8:9]
	v_add_co_u32_e32 v18, vcc, s70, v18
	v_addc_co_u32_e32 v19, vcc, v7, v19, vcc
	global_load_ushort v16, v[18:19], off
.LBB66_15:                              ;   in Loop: Header=BB66_13 Depth=2
	s_or_b64 exec, exec, s[18:19]
	s_waitcnt vmcnt(0)
	v_cmp_lt_i16_e32 vcc, -1, v4
	v_cndmask_b32_e32 v18, v33, v34, vcc
	v_lshlrev_b32_e32 v19, 16, v4
	v_xor_b32_sdwa v18, v18, v4 dst_sel:DWORD dst_unused:UNUSED_PAD src0_sel:DWORD src1_sel:WORD_0
	v_cmp_o_f32_e32 vcc, v19, v19
	v_cndmask_b32_e32 v18, v33, v18, vcc
	v_and_b32_e32 v18, s84, v18
	v_cmp_eq_u32_e32 vcc, s85, v18
	s_cmp_lg_u64 vcc, 0
	s_cselect_b64 s[10:11], -1, 0
	s_and_b64 s[10:11], s[2:3], s[10:11]
	s_and_saveexec_b64 s[24:25], s[10:11]
	s_cbranch_execz .LBB66_19
; %bb.16:                               ;   in Loop: Header=BB66_13 Depth=2
	s_mov_b64 s[28:29], exec
	v_mbcnt_lo_u32_b32 v17, s28, 0
	v_mbcnt_hi_u32_b32 v17, s29, v17
	s_bcnt1_i32_b64 s10, vcc
	v_cmp_eq_u32_e64 s[18:19], 0, v17
                                        ; implicit-def: $vgpr18
	s_and_saveexec_b64 s[26:27], s[18:19]
	s_cbranch_execz .LBB66_18
; %bb.17:                               ;   in Loop: Header=BB66_13 Depth=2
	s_bcnt1_i32_b64 s11, s[28:29]
	s_mul_i32 s11, s10, s11
	v_mov_b32_e32 v18, s11
	ds_add_rtn_u32 v18, v9, v18 offset:4104
.LBB66_18:                              ;   in Loop: Header=BB66_13 Depth=2
	s_or_b64 exec, exec, s[26:27]
	s_waitcnt lgkmcnt(0)
	v_readfirstlane_b32 s11, v18
	v_mov_b32_e32 v18, s11
	v_mad_u32_u24 v17, s10, v17, v18
.LBB66_19:                              ;   in Loop: Header=BB66_13 Depth=2
	s_or_b64 exec, exec, s[24:25]
	ds_bpermute_b32 v17, v24, v17
	s_and_saveexec_b64 s[18:19], vcc
	s_cbranch_execz .LBB66_12
; %bb.20:                               ;   in Loop: Header=BB66_13 Depth=2
	v_and_b32_e32 v19, vcc_lo, v12
	v_and_b32_e32 v18, vcc_hi, v1
	v_bcnt_u32_b32 v19, v19, 0
	v_bcnt_u32_b32 v18, v18, v19
	v_lshlrev_b32_e32 v18, 1, v18
	s_waitcnt lgkmcnt(0)
	v_lshl_add_u32 v17, v17, 1, v18
	ds_write_b16 v17, v4
	s_branch .LBB66_12
.LBB66_21:                              ;   in Loop: Header=BB66_8 Depth=1
	s_mov_b64 s[20:21], -1
	s_mov_b64 s[18:19], 0
	s_branch .LBB66_25
.LBB66_22:                              ;   in Loop: Header=BB66_8 Depth=1
	s_or_b64 exec, exec, s[22:23]
	s_waitcnt lgkmcnt(0)
	s_barrier
	s_mov_b64 s[18:19], exec
	v_readlane_b32 s10, v52, 18
	v_readlane_b32 s11, v52, 19
	s_and_b64 s[10:11], s[18:19], s[10:11]
	s_mov_b64 exec, s[10:11]
	s_cbranch_execz .LBB66_24
; %bb.23:                               ;   in Loop: Header=BB66_8 Depth=1
	ds_read_b32 v2, v9 offset:4104
	s_waitcnt lgkmcnt(0)
	ds_write_b32 v9, v2 offset:4096
.LBB66_24:                              ;   in Loop: Header=BB66_8 Depth=1
	s_or_b64 exec, exec, s[18:19]
	s_waitcnt lgkmcnt(0)
	s_barrier
	s_mov_b64 s[18:19], -1
.LBB66_25:                              ;   in Loop: Header=BB66_8 Depth=1
                                        ; implicit-def: $sgpr81
.LBB66_26:                              ;   in Loop: Header=BB66_8 Depth=1
	s_and_b64 vcc, exec, s[20:21]
	s_cbranch_vccz .LBB66_37
; %bb.27:                               ;   in Loop: Header=BB66_8 Depth=1
	v_mov_b32_e32 v2, 0
	s_mov_b64 s[18:19], exec
	v_readlane_b32 s10, v52, 40
	v_readlane_b32 s11, v52, 41
	s_and_b64 s[10:11], s[18:19], s[10:11]
	s_mov_b64 exec, s[10:11]
	s_cbranch_execz .LBB66_29
; %bb.28:                               ;   in Loop: Header=BB66_8 Depth=1
	global_load_ushort v2, v[10:11], off
.LBB66_29:                              ;   in Loop: Header=BB66_8 Depth=1
	s_or_b64 exec, exec, s[18:19]
	s_mov_b64 s[18:19], exec
	v_readlane_b32 s10, v52, 42
	v_readlane_b32 s11, v52, 43
	s_and_b64 s[10:11], s[18:19], s[10:11]
	s_mov_b64 exec, s[10:11]
	s_cbranch_execz .LBB66_34
; %bb.30:                               ;   in Loop: Header=BB66_8 Depth=1
	v_readlane_b32 s10, v52, 36
	v_readlane_b32 s11, v52, 37
	s_mov_b64 s[20:21], 0
	v_mov_b32_e32 v4, v21
	v_mov_b32_e32 v17, v0
	s_nop 1
	global_load_ushort v3, v9, s[10:11]
	s_waitcnt vmcnt(0)
	v_add_u32_e32 v8, v0, v3
	v_lshlrev_b32_e32 v5, 1, v3
	v_mul_lo_u32 v16, s71, v3
	v_mul_lo_u32 v8, s71, v8
	s_branch .LBB66_32
.LBB66_31:                              ;   in Loop: Header=BB66_32 Depth=2
	s_or_b64 exec, exec, s[22:23]
	v_cmp_le_i32_e32 vcc, s68, v17
	ds_write_b16 v4, v2
	v_add_u32_e32 v4, v4, v5
	v_add_u32_e32 v8, v8, v16
	s_or_b64 s[20:21], vcc, s[20:21]
	s_waitcnt vmcnt(0)
	v_mov_b32_e32 v2, v18
	s_andn2_b64 exec, exec, s[20:21]
	s_cbranch_execz .LBB66_34
.LBB66_32:                              ;   Parent Loop BB66_8 Depth=1
                                        ; =>  This Inner Loop Header: Depth=2
	v_add_u32_e32 v17, v17, v3
	v_cmp_gt_u32_e32 vcc, s68, v17
	v_mov_b32_e32 v18, 0
	s_and_saveexec_b64 s[22:23], vcc
	s_cbranch_execz .LBB66_31
; %bb.33:                               ;   in Loop: Header=BB66_32 Depth=2
	v_lshlrev_b64 v[18:19], 1, v[8:9]
	v_mov_b32_e32 v39, s90
	v_add_co_u32_e32 v18, vcc, s70, v18
	v_addc_co_u32_e32 v19, vcc, v39, v19, vcc
	global_load_ushort v18, v[18:19], off
	s_branch .LBB66_31
.LBB66_34:                              ;   in Loop: Header=BB66_8 Depth=1
	s_or_b64 exec, exec, s[18:19]
	s_waitcnt lgkmcnt(0)
	s_barrier
	s_mov_b64 s[18:19], exec
	v_readlane_b32 s10, v52, 18
	v_readlane_b32 s11, v52, 19
	s_and_b64 s[10:11], s[18:19], s[10:11]
	s_mov_b64 exec, s[10:11]
	s_cbranch_execz .LBB66_36
; %bb.35:                               ;   in Loop: Header=BB66_8 Depth=1
	s_waitcnt vmcnt(0)
	v_mov_b32_e32 v2, s68
	ds_write_b32 v9, v2 offset:4096
.LBB66_36:                              ;   in Loop: Header=BB66_8 Depth=1
	s_or_b64 exec, exec, s[18:19]
	s_mov_b64 s[18:19], -1
	s_waitcnt lgkmcnt(0)
	s_barrier
                                        ; implicit-def: $sgpr81
.LBB66_37:                              ;   in Loop: Header=BB66_8 Depth=1
	s_and_b64 vcc, exec, s[18:19]
	s_cbranch_vccz .LBB66_39
; %bb.38:                               ;   in Loop: Header=BB66_8 Depth=1
	s_waitcnt vmcnt(0)
	ds_read_b32 v2, v9 offset:4096
	s_waitcnt lgkmcnt(0)
	v_readfirstlane_b32 s81, v2
.LBB66_39:                              ;   in Loop: Header=BB66_8 Depth=1
	s_cmp_lt_i32 s81, 1
	s_cbranch_scc0 .LBB66_51
; %bb.40:                               ;   in Loop: Header=BB66_8 Depth=1
	s_waitcnt vmcnt(0)
	v_mov_b32_e32 v2, 0
	s_mov_b32 s74, 0
	v_mov_b32_e32 v3, 0
	v_mov_b32_e32 v4, v2
	;; [unrolled: 1-line block ×3, first 2 shown]
	s_mov_b64 s[92:93], exec
	v_readlane_b32 s10, v52, 54
	v_readlane_b32 s11, v52, 55
	s_and_b64 s[10:11], s[92:93], s[10:11]
	s_mov_b64 exec, s[10:11]
	s_cbranch_execz .LBB66_44
; %bb.41:                               ;   in Loop: Header=BB66_8 Depth=1
	s_and_b32 s75, s0, 0xfe
	s_mov_b64 s[94:95], 0
	s_mov_b32 s86, 0
	s_mov_b32 s87, 0
	;; [unrolled: 1-line block ×4, first 2 shown]
	v_mov_b32_e32 v8, v20
.LBB66_42:                              ;   Parent Loop BB66_8 Depth=1
                                        ; =>  This Inner Loop Header: Depth=2
	v_add_u32_e32 v2, s74, v29
	v_ashrrev_i32_e32 v3, 31, v2
	v_add_u32_e32 v4, s74, v26
	v_lshlrev_b64 v[2:3], 1, v[2:3]
	v_mov_b32_e32 v39, s90
	v_ashrrev_i32_e32 v5, 31, v4
	v_add_co_u32_e64 v2, s[18:19], s70, v2
	v_add_u32_e32 v16, s74, v27
	v_lshlrev_b64 v[4:5], 1, v[4:5]
	v_addc_co_u32_e64 v3, s[18:19], v39, v3, s[18:19]
	v_ashrrev_i32_e32 v17, 31, v16
	v_add_co_u32_e64 v4, s[18:19], s70, v4
	v_add_u32_e32 v18, s74, v28
	v_lshlrev_b64 v[16:17], 1, v[16:17]
	v_addc_co_u32_e64 v5, s[18:19], v39, v5, s[18:19]
	v_ashrrev_i32_e32 v19, 31, v18
	v_add_co_u32_e64 v16, s[18:19], s70, v16
	v_lshlrev_b64 v[18:19], 1, v[18:19]
	v_addc_co_u32_e64 v17, s[18:19], v39, v17, s[18:19]
	v_add_co_u32_e64 v18, s[18:19], s70, v18
	v_addc_co_u32_e64 v19, s[18:19], v39, v19, s[18:19]
	global_load_ushort v2, v[2:3], off
	s_nop 0
	global_load_ushort v3, v[4:5], off
	s_nop 0
	global_load_ushort v4, v[16:17], off
	global_load_ushort v5, v[18:19], off
	v_add_u32_e32 v8, s7, v8
	s_add_i32 s74, s74, s16
	v_cmp_le_i32_e32 vcc, s9, v8
	s_waitcnt vmcnt(3)
	v_cmp_lt_i16_e64 s[18:19], -1, v2
	v_cndmask_b32_e64 v39, v33, v34, s[18:19]
	s_waitcnt vmcnt(2)
	v_cmp_lt_i16_e64 s[18:19], -1, v3
	v_lshlrev_b32_e32 v16, 16, v2
	v_cndmask_b32_e64 v40, v33, v34, s[18:19]
	s_waitcnt vmcnt(1)
	v_cmp_lt_i16_e64 s[18:19], -1, v4
	v_lshlrev_b32_e32 v17, 16, v3
	v_cndmask_b32_e64 v41, v33, v34, s[18:19]
	s_waitcnt vmcnt(0)
	v_cmp_lt_i16_e64 s[18:19], -1, v5
	v_xor_b32_sdwa v2, v39, v2 dst_sel:DWORD dst_unused:UNUSED_PAD src0_sel:DWORD src1_sel:WORD_0
	v_cmp_o_f32_e64 s[24:25], v16, v16
	v_lshlrev_b32_e32 v18, 16, v4
	v_cndmask_b32_e64 v42, v33, v34, s[18:19]
	v_xor_b32_sdwa v3, v40, v3 dst_sel:DWORD dst_unused:UNUSED_PAD src0_sel:DWORD src1_sel:WORD_0
	v_cmp_o_f32_e64 s[18:19], v17, v17
	v_cndmask_b32_e64 v2, v33, v2, s[24:25]
	v_lshlrev_b32_e32 v19, 16, v5
	v_xor_b32_sdwa v4, v41, v4 dst_sel:DWORD dst_unused:UNUSED_PAD src0_sel:DWORD src1_sel:WORD_0
	v_cmp_o_f32_e64 s[20:21], v18, v18
	v_cndmask_b32_e64 v3, v33, v3, s[18:19]
	v_and_b32_e32 v16, s84, v2
	v_bfe_u32 v2, v2, s75, 2
	v_xor_b32_sdwa v5, v42, v5 dst_sel:DWORD dst_unused:UNUSED_PAD src0_sel:DWORD src1_sel:WORD_0
	v_cmp_o_f32_e64 s[22:23], v19, v19
	v_cndmask_b32_e64 v4, v33, v4, s[20:21]
	v_and_b32_e32 v17, s84, v3
	v_bfe_u32 v3, v3, s75, 2
	v_cmp_eq_u32_e64 s[18:19], s85, v16
	v_cmp_eq_u32_e64 s[26:27], 0, v2
	v_cndmask_b32_e64 v5, v33, v5, s[22:23]
	v_and_b32_e32 v18, s84, v4
	v_bfe_u32 v4, v4, s75, 2
	v_cmp_eq_u32_e64 s[20:21], s85, v17
	v_cmp_eq_u32_e64 s[28:29], 0, v3
	s_and_b64 s[12:13], s[18:19], s[26:27]
	v_and_b32_e32 v19, s84, v5
	v_bfe_u32 v5, v5, s75, 2
	v_cmp_eq_u32_e64 s[22:23], s85, v18
	v_cmp_eq_u32_e64 s[30:31], 0, v4
	;; [unrolled: 1-line block ×5, first 2 shown]
	v_cndmask_b32_e64 v2, 0, 1, s[12:13]
	s_and_b64 s[12:13], s[20:21], s[28:29]
	v_cmp_eq_u32_e64 s[24:25], s85, v19
	v_cmp_eq_u32_e64 s[34:35], 0, v5
	;; [unrolled: 1-line block ×5, first 2 shown]
	v_cndmask_b32_e64 v3, 0, 1, s[12:13]
	s_and_b64 s[12:13], s[22:23], s[30:31]
	v_cmp_eq_u32_e64 s[40:41], 1, v4
	v_cmp_eq_u32_e64 s[48:49], 2, v4
	;; [unrolled: 1-line block ×3, first 2 shown]
	v_cndmask_b32_e64 v4, 0, 1, s[12:13]
	s_and_b64 s[12:13], s[24:25], s[34:35]
	v_cmp_eq_u32_e64 s[42:43], 1, v5
	v_cmp_eq_u32_e64 s[50:51], 2, v5
	;; [unrolled: 1-line block ×3, first 2 shown]
	v_cndmask_b32_e64 v5, 0, 1, s[12:13]
	s_and_b64 s[12:13], s[18:19], s[36:37]
	v_cndmask_b32_e64 v16, 0, 1, s[12:13]
	s_and_b64 s[12:13], s[20:21], s[38:39]
	;; [unrolled: 2-line block ×12, first 2 shown]
	v_cmp_ne_u32_e64 s[18:19], 0, v2
	v_cmp_ne_u32_e64 s[20:21], 0, v3
	;; [unrolled: 1-line block ×7, first 2 shown]
	v_cndmask_b32_e64 v46, 0, 1, s[12:13]
	v_cmp_ne_u32_e64 s[38:39], 0, v40
	v_cmp_ne_u32_e64 s[46:47], 0, v44
	s_bcnt1_i32_b64 s12, s[18:19]
	s_bcnt1_i32_b64 s13, s[20:21]
	;; [unrolled: 1-line block ×7, first 2 shown]
	v_cmp_ne_u32_e64 s[22:23], 0, v4
	v_cmp_ne_u32_e64 s[30:31], 0, v18
	;; [unrolled: 1-line block ×4, first 2 shown]
	s_bcnt1_i32_b64 s25, s[38:39]
	s_bcnt1_i32_b64 s29, s[46:47]
	s_add_i32 s11, s11, s12
	s_add_i32 s10, s10, s20
	;; [unrolled: 1-line block ×4, first 2 shown]
	v_cmp_ne_u32_e64 s[34:35], 0, v19
	v_cmp_ne_u32_e64 s[42:43], 0, v42
	;; [unrolled: 1-line block ×3, first 2 shown]
	s_bcnt1_i32_b64 s18, s[22:23]
	s_bcnt1_i32_b64 s22, s[30:31]
	;; [unrolled: 1-line block ×4, first 2 shown]
	s_add_i32 s11, s11, s13
	s_add_i32 s10, s10, s21
	;; [unrolled: 1-line block ×4, first 2 shown]
	s_bcnt1_i32_b64 s23, s[34:35]
	s_bcnt1_i32_b64 s27, s[42:43]
	s_bcnt1_i32_b64 s31, s[50:51]
	s_add_i32 s11, s11, s18
	s_add_i32 s10, s10, s22
	;; [unrolled: 1-line block ×8, first 2 shown]
	s_or_b64 s[94:95], vcc, s[94:95]
	v_mov_b32_e32 v2, s11
	v_mov_b32_e32 v3, s10
	;; [unrolled: 1-line block ×4, first 2 shown]
	s_andn2_b64 exec, exec, s[94:95]
	s_cbranch_execnz .LBB66_42
; %bb.43:                               ;   in Loop: Header=BB66_8 Depth=1
	s_or_b64 exec, exec, s[94:95]
.LBB66_44:                              ;   in Loop: Header=BB66_8 Depth=1
	s_or_b64 exec, exec, s[92:93]
	v_mov_b32_e32 v8, 0
	s_mov_b64 s[18:19], exec
	v_readlane_b32 s10, v52, 56
	v_readlane_b32 s11, v52, 57
	s_and_b64 s[10:11], s[18:19], s[10:11]
	s_mov_b64 exec, s[10:11]
	s_cbranch_execz .LBB66_46
; %bb.45:                               ;   in Loop: Header=BB66_8 Depth=1
	global_load_ushort v8, v[14:15], off
.LBB66_46:                              ;   in Loop: Header=BB66_8 Depth=1
	s_or_b64 exec, exec, s[18:19]
	s_mov_b64 s[20:21], 0
	s_mov_b64 s[92:93], 0
	s_and_saveexec_b64 s[22:23], s[14:15]
	s_cbranch_execz .LBB66_53
; %bb.47:                               ;   in Loop: Header=BB66_8 Depth=1
	s_and_b32 s10, s0, 0xfe
	s_mov_b64 s[24:25], 0
	v_mov_b32_e32 v16, v30
	v_mov_b32_e32 v18, v25
	s_branch .LBB66_49
.LBB66_48:                              ;   in Loop: Header=BB66_49 Depth=2
	s_or_b64 exec, exec, s[18:19]
	s_waitcnt vmcnt(0)
	v_cmp_lt_i16_e32 vcc, -1, v8
	v_cndmask_b32_e32 v19, v33, v34, vcc
	v_lshlrev_b32_e32 v39, 16, v8
	v_xor_b32_sdwa v8, v19, v8 dst_sel:DWORD dst_unused:UNUSED_PAD src0_sel:DWORD src1_sel:WORD_0
	v_cmp_o_f32_e32 vcc, v39, v39
	v_cndmask_b32_e32 v8, v33, v8, vcc
	v_and_b32_e32 v19, s84, v8
	v_bfe_u32 v8, v8, s10, 2
	v_cmp_eq_u32_e32 vcc, s85, v19
	v_cmp_eq_u32_e64 s[18:19], 0, v8
	s_and_b64 s[12:13], vcc, s[18:19]
	v_cndmask_b32_e64 v19, 0, 1, s[12:13]
	v_cmp_ne_u32_e64 s[18:19], 0, v19
	s_bcnt1_i32_b64 s11, s[18:19]
	v_cmp_eq_u32_e64 s[18:19], 1, v8
	s_and_b64 s[12:13], vcc, s[18:19]
	v_cndmask_b32_e64 v19, 0, 1, s[12:13]
	v_cmp_ne_u32_e64 s[18:19], 0, v19
	v_add_u32_e32 v2, s11, v2
	s_bcnt1_i32_b64 s11, s[18:19]
	v_cmp_eq_u32_e64 s[18:19], 2, v8
	s_and_b64 s[12:13], vcc, s[18:19]
	v_cndmask_b32_e64 v19, 0, 1, s[12:13]
	v_cmp_ne_u32_e64 s[18:19], 0, v19
	v_add_u32_e32 v3, s11, v3
	s_bcnt1_i32_b64 s11, s[18:19]
	v_cmp_eq_u32_e64 s[18:19], 3, v8
	s_and_b64 s[12:13], vcc, s[18:19]
	v_cndmask_b32_e64 v8, 0, 1, s[12:13]
	v_cmp_ne_u32_e32 vcc, 0, v8
	v_add_u32_e32 v4, s11, v4
	s_bcnt1_i32_b64 s11, vcc
	v_cmp_le_i32_e32 vcc, s68, v18
	v_add_u32_e32 v5, s11, v5
	v_add_u32_e32 v16, s91, v16
	s_or_b64 s[24:25], vcc, s[24:25]
	v_mov_b32_e32 v8, v17
	s_andn2_b64 exec, exec, s[24:25]
	s_cbranch_execz .LBB66_52
.LBB66_49:                              ;   Parent Loop BB66_8 Depth=1
                                        ; =>  This Inner Loop Header: Depth=2
	v_add_u32_e32 v18, s33, v18
	v_cmp_gt_u32_e32 vcc, s68, v18
	v_mov_b32_e32 v17, 0
	s_and_saveexec_b64 s[18:19], vcc
	s_cbranch_execz .LBB66_48
; %bb.50:                               ;   in Loop: Header=BB66_49 Depth=2
	v_ashrrev_i32_e32 v17, 31, v16
	v_lshlrev_b64 v[40:41], 1, v[16:17]
	v_mov_b32_e32 v17, s90
	v_add_co_u32_e32 v40, vcc, s70, v40
	v_addc_co_u32_e32 v41, vcc, v17, v41, vcc
	global_load_ushort v17, v[40:41], off
	s_branch .LBB66_48
.LBB66_51:                              ;   in Loop: Header=BB66_8 Depth=1
	s_mov_b64 s[92:93], 0
                                        ; implicit-def: $vgpr5
	s_cbranch_execnz .LBB66_54
	s_branch .LBB66_63
.LBB66_52:                              ;   in Loop: Header=BB66_8 Depth=1
	s_or_b64 exec, exec, s[24:25]
	s_mov_b64 s[92:93], exec
.LBB66_53:                              ;   in Loop: Header=BB66_8 Depth=1
	s_or_b64 exec, exec, s[22:23]
	s_and_b64 vcc, exec, s[20:21]
	s_cbranch_vccz .LBB66_63
.LBB66_54:                              ;   in Loop: Header=BB66_8 Depth=1
	s_mul_hi_u32 s10, s81, s6
	s_mul_i32 s10, s10, s7
	s_sub_i32 s10, s81, s10
	s_sub_i32 s11, s10, s7
	s_cmp_ge_u32 s10, s7
	s_cselect_b32 s10, s11, s10
	s_sub_i32 s11, s10, s7
	s_cmp_ge_u32 s10, s7
	s_cselect_b32 s10, s11, s10
	s_sub_i32 s10, s81, s10
	v_cmp_gt_u32_e32 vcc, s10, v20
	s_mov_b32 s86, 0
	s_waitcnt vmcnt(0)
	v_mov_b32_e32 v2, 0
	v_mov_b32_e32 v3, 0
	;; [unrolled: 1-line block ×4, first 2 shown]
	s_and_saveexec_b64 s[94:95], vcc
	s_cbranch_execz .LBB66_58
; %bb.55:                               ;   in Loop: Header=BB66_8 Depth=1
	s_and_b32 s11, s0, 0xfe
	s_mov_b64 s[74:75], 0
	v_mov_b32_e32 v8, v31
	s_mov_b32 s87, 0
	s_mov_b32 s12, 0
	;; [unrolled: 1-line block ×3, first 2 shown]
	v_mov_b32_e32 v16, v20
.LBB66_56:                              ;   Parent Loop BB66_8 Depth=1
                                        ; =>  This Inner Loop Header: Depth=2
	ds_read_b64 v[2:3], v8
	v_add_u32_e32 v16, s7, v16
	v_cmp_le_i32_e32 vcc, s10, v16
	v_add_u32_e32 v8, s17, v8
	s_waitcnt lgkmcnt(0)
	v_cmp_lt_i16_e64 s[18:19], -1, v2
	v_cndmask_b32_e64 v19, v33, v34, s[18:19]
	v_cmp_gt_i16_sdwa s[18:19], v2, v35 src0_sel:WORD_1 src1_sel:DWORD
	v_lshlrev_b32_e32 v4, 16, v2
	v_cndmask_b32_e64 v39, v33, v34, s[18:19]
	v_cmp_lt_i16_e64 s[18:19], -1, v3
	v_and_b32_e32 v5, 0xffff0000, v2
	v_cndmask_b32_e64 v40, v33, v34, s[18:19]
	v_cmp_gt_i16_sdwa s[18:19], v3, v35 src0_sel:WORD_1 src1_sel:DWORD
	v_xor_b32_sdwa v39, v39, v2 dst_sel:DWORD dst_unused:UNUSED_PAD src0_sel:DWORD src1_sel:WORD_1
	v_xor_b32_sdwa v2, v19, v2 dst_sel:DWORD dst_unused:UNUSED_PAD src0_sel:DWORD src1_sel:WORD_0
	v_cmp_o_f32_e64 s[24:25], v4, v4
	v_lshlrev_b32_e32 v17, 16, v3
	v_cndmask_b32_e64 v41, v33, v34, s[18:19]
	v_cmp_o_f32_e64 s[18:19], v5, v5
	v_cndmask_b32_e64 v2, v33, v2, s[24:25]
	v_and_b32_e32 v18, 0xffff0000, v3
	v_xor_b32_sdwa v5, v40, v3 dst_sel:DWORD dst_unused:UNUSED_PAD src0_sel:DWORD src1_sel:WORD_0
	v_cmp_o_f32_e64 s[20:21], v17, v17
	v_cndmask_b32_e64 v4, v33, v39, s[18:19]
	v_and_b32_e32 v17, s84, v2
	v_bfe_u32 v2, v2, s11, 2
	v_xor_b32_sdwa v3, v41, v3 dst_sel:DWORD dst_unused:UNUSED_PAD src0_sel:DWORD src1_sel:WORD_1
	v_cmp_o_f32_e64 s[22:23], v18, v18
	v_cndmask_b32_e64 v5, v33, v5, s[20:21]
	v_and_b32_e32 v18, s84, v4
	v_bfe_u32 v4, v4, s11, 2
	v_cmp_eq_u32_e64 s[18:19], s85, v17
	v_cmp_eq_u32_e64 s[26:27], 0, v2
	v_cndmask_b32_e64 v3, v33, v3, s[22:23]
	v_and_b32_e32 v19, s84, v5
	v_bfe_u32 v5, v5, s11, 2
	v_cmp_eq_u32_e64 s[20:21], s85, v18
	v_cmp_eq_u32_e64 s[28:29], 0, v4
	s_and_b64 s[26:27], s[18:19], s[26:27]
	v_and_b32_e32 v39, s84, v3
	v_bfe_u32 v3, v3, s11, 2
	v_cmp_eq_u32_e64 s[22:23], s85, v19
	v_cmp_eq_u32_e64 s[30:31], 0, v5
	;; [unrolled: 1-line block ×5, first 2 shown]
	v_cndmask_b32_e64 v2, 0, 1, s[26:27]
	s_and_b64 s[26:27], s[20:21], s[28:29]
	v_cmp_eq_u32_e64 s[24:25], s85, v39
	v_cmp_eq_u32_e64 s[34:35], 0, v3
	v_cmp_eq_u32_e64 s[42:43], 1, v3
	v_cmp_eq_u32_e64 s[50:51], 2, v3
	v_cmp_eq_u32_e64 s[58:59], 3, v3
	v_cndmask_b32_e64 v3, 0, 1, s[26:27]
	s_and_b64 s[26:27], s[22:23], s[30:31]
	v_cmp_eq_u32_e64 s[38:39], 1, v4
	v_cmp_eq_u32_e64 s[46:47], 2, v4
	;; [unrolled: 1-line block ×3, first 2 shown]
	v_cndmask_b32_e64 v4, 0, 1, s[26:27]
	s_and_b64 s[26:27], s[24:25], s[34:35]
	v_cmp_eq_u32_e64 s[40:41], 1, v5
	v_cmp_eq_u32_e64 s[48:49], 2, v5
	;; [unrolled: 1-line block ×3, first 2 shown]
	v_cndmask_b32_e64 v5, 0, 1, s[26:27]
	s_and_b64 s[26:27], s[18:19], s[36:37]
	v_cndmask_b32_e64 v17, 0, 1, s[26:27]
	s_and_b64 s[26:27], s[20:21], s[38:39]
	v_cndmask_b32_e64 v18, 0, 1, s[26:27]
	s_and_b64 s[26:27], s[22:23], s[40:41]
	v_cndmask_b32_e64 v19, 0, 1, s[26:27]
	s_and_b64 s[26:27], s[24:25], s[42:43]
	v_cndmask_b32_e64 v39, 0, 1, s[26:27]
	s_and_b64 s[26:27], s[18:19], s[44:45]
	s_and_b64 s[18:19], s[18:19], s[52:53]
	v_cndmask_b32_e64 v40, 0, 1, s[26:27]
	s_and_b64 s[26:27], s[20:21], s[46:47]
	v_cndmask_b32_e64 v44, 0, 1, s[18:19]
	;; [unrolled: 2-line block ×7, first 2 shown]
	v_cndmask_b32_e64 v47, 0, 1, s[18:19]
	v_cmp_ne_u32_e64 s[18:19], 0, v2
	v_cmp_ne_u32_e64 s[20:21], 0, v3
	;; [unrolled: 1-line block ×11, first 2 shown]
	s_bcnt1_i32_b64 s18, s[18:19]
	s_bcnt1_i32_b64 s19, s[20:21]
	;; [unrolled: 1-line block ×8, first 2 shown]
	v_cmp_ne_u32_e64 s[34:35], 0, v39
	v_cmp_ne_u32_e64 s[40:41], 0, v42
	;; [unrolled: 1-line block ×3, first 2 shown]
	s_bcnt1_i32_b64 s23, s[28:29]
	s_bcnt1_i32_b64 s27, s[38:39]
	;; [unrolled: 1-line block ×3, first 2 shown]
	s_add_i32 s13, s13, s18
	s_add_i32 s12, s12, s22
	;; [unrolled: 1-line block ×4, first 2 shown]
	v_cmp_ne_u32_e64 s[42:43], 0, v43
	v_cmp_ne_u32_e64 s[50:51], 0, v47
	s_bcnt1_i32_b64 s25, s[34:35]
	s_bcnt1_i32_b64 s28, s[40:41]
	;; [unrolled: 1-line block ×3, first 2 shown]
	s_add_i32 s13, s13, s19
	s_add_i32 s12, s12, s23
	;; [unrolled: 1-line block ×4, first 2 shown]
	s_bcnt1_i32_b64 s29, s[42:43]
	s_bcnt1_i32_b64 s35, s[50:51]
	s_add_i32 s13, s13, s20
	s_add_i32 s12, s12, s24
	;; [unrolled: 1-line block ×8, first 2 shown]
	s_or_b64 s[74:75], vcc, s[74:75]
	v_mov_b32_e32 v2, s13
	v_mov_b32_e32 v3, s12
	;; [unrolled: 1-line block ×4, first 2 shown]
	s_andn2_b64 exec, exec, s[74:75]
	s_cbranch_execnz .LBB66_56
; %bb.57:                               ;   in Loop: Header=BB66_8 Depth=1
	s_or_b64 exec, exec, s[74:75]
.LBB66_58:                              ;   in Loop: Header=BB66_8 Depth=1
	s_or_b64 exec, exec, s[94:95]
	v_add_u32_e32 v8, s10, v0
	v_cmp_gt_i32_e32 vcc, s81, v8
	s_and_saveexec_b64 s[28:29], vcc
	s_cbranch_execz .LBB66_62
; %bb.59:                               ;   in Loop: Header=BB66_8 Depth=1
	s_and_b32 s10, s0, 0xfe
	v_lshlrev_b32_e32 v16, 1, v8
	s_mov_b64 s[30:31], 0
.LBB66_60:                              ;   Parent Loop BB66_8 Depth=1
                                        ; =>  This Inner Loop Header: Depth=2
	ds_read_u16 v17, v16
	v_add_u32_e32 v8, s33, v8
	v_cmp_le_i32_e32 vcc, s81, v8
	v_add_u32_e32 v16, s8, v16
	s_waitcnt lgkmcnt(0)
	v_cmp_lt_i16_e64 s[18:19], -1, v17
	v_lshlrev_b32_e32 v18, 16, v17
	v_cndmask_b32_e64 v19, v33, v34, s[18:19]
	v_xor_b32_sdwa v17, v19, v17 dst_sel:DWORD dst_unused:UNUSED_PAD src0_sel:DWORD src1_sel:WORD_0
	v_cmp_o_f32_e64 s[18:19], v18, v18
	v_cndmask_b32_e64 v17, v33, v17, s[18:19]
	v_and_b32_e32 v18, s84, v17
	v_bfe_u32 v17, v17, s10, 2
	v_cmp_eq_u32_e64 s[18:19], s85, v18
	v_cmp_eq_u32_e64 s[20:21], 0, v17
	;; [unrolled: 1-line block ×3, first 2 shown]
	s_and_b64 s[12:13], s[18:19], s[20:21]
	v_cmp_eq_u32_e64 s[24:25], 2, v17
	v_cmp_eq_u32_e64 s[26:27], 3, v17
	v_cndmask_b32_e64 v17, 0, 1, s[12:13]
	s_and_b64 s[12:13], s[18:19], s[22:23]
	v_cndmask_b32_e64 v18, 0, 1, s[12:13]
	s_and_b64 s[12:13], s[18:19], s[24:25]
	;; [unrolled: 2-line block ×3, first 2 shown]
	v_cndmask_b32_e64 v39, 0, 1, s[12:13]
	v_cmp_ne_u32_e64 s[18:19], 0, v17
	v_cmp_ne_u32_e64 s[20:21], 0, v18
	;; [unrolled: 1-line block ×4, first 2 shown]
	s_bcnt1_i32_b64 s11, s[18:19]
	s_bcnt1_i32_b64 s12, s[20:21]
	;; [unrolled: 1-line block ×4, first 2 shown]
	v_add_u32_e32 v2, s11, v2
	v_add_u32_e32 v3, s12, v3
	;; [unrolled: 1-line block ×3, first 2 shown]
	s_or_b64 s[30:31], vcc, s[30:31]
	v_add_u32_e32 v5, s18, v5
	s_andn2_b64 exec, exec, s[30:31]
	s_cbranch_execnz .LBB66_60
; %bb.61:                               ;   in Loop: Header=BB66_8 Depth=1
	s_or_b64 exec, exec, s[30:31]
	s_or_b64 s[92:93], s[92:93], exec
.LBB66_62:                              ;   in Loop: Header=BB66_8 Depth=1
	s_or_b64 exec, exec, s[28:29]
.LBB66_63:                              ;   in Loop: Header=BB66_8 Depth=1
	s_and_saveexec_b64 s[18:19], s[92:93]
	s_or_b64 exec, exec, s[18:19]
	s_lshl_b32 s10, s1, 6
	s_and_saveexec_b64 s[18:19], s[2:3]
	s_cbranch_execz .LBB66_65
; %bb.64:                               ;   in Loop: Header=BB66_8 Depth=1
	s_waitcnt vmcnt(0)
	v_or_b32_e32 v8, s10, v23
	v_lshlrev_b32_e32 v8, 2, v8
	ds_write_b128 v8, v[2:5] offset:3072
.LBB66_65:                              ;   in Loop: Header=BB66_8 Depth=1
	s_or_b64 exec, exec, s[18:19]
	s_waitcnt lgkmcnt(0)
	s_barrier
	s_and_saveexec_b64 s[18:19], s[82:83]
	s_cbranch_execz .LBB66_79
; %bb.66:                               ;   in Loop: Header=BB66_8 Depth=1
	v_readlane_b32 s12, v52, 34
	v_readlane_b32 s13, v52, 35
	v_add_u32_e32 v4, s10, v13
	s_andn2_b64 vcc, exec, s[12:13]
	s_waitcnt vmcnt(0)
	v_mov_b32_e32 v2, 0
	s_cbranch_vccnz .LBB66_78
; %bb.67:                               ;   in Loop: Header=BB66_8 Depth=1
	v_readlane_b32 s12, v52, 38
	v_readlane_b32 s13, v52, 39
	s_mov_b32 s11, 0
	s_and_b64 vcc, exec, s[12:13]
	v_mov_b32_e32 v2, 0
	s_cbranch_vccz .LBB66_71
; %bb.68:                               ;   in Loop: Header=BB66_8 Depth=1
	v_readlane_b32 s12, v52, 44
	v_readlane_b32 s13, v52, 45
	v_lshl_add_u32 v5, v4, 2, v36
	s_andn2_b64 vcc, exec, s[12:13]
	s_cbranch_vccnz .LBB66_72
; %bb.69:                               ;   in Loop: Header=BB66_8 Depth=1
	s_mov_b32 s21, 1
	s_mov_b32 s20, 0
	v_mov_b32_e32 v2, 0
	v_readlane_b32 s11, v52, 46
	v_mov_b32_e32 v3, 0
.LBB66_70:                              ;   Parent Loop BB66_8 Depth=1
                                        ; =>  This Inner Loop Header: Depth=2
	v_lshl_add_u32 v8, s20, 4, v5
	v_lshl_add_u32 v39, s21, 4, v5
	ds_read2_b32 v[16:17], v8 offset1:8
	ds_read2_b32 v[18:19], v39 offset1:8
	ds_read2_b32 v[40:41], v8 offset0:16 offset1:24
	ds_read2_b32 v[42:43], v39 offset0:16 offset1:24
	;; [unrolled: 1-line block ×6, first 2 shown]
	s_waitcnt lgkmcnt(7)
	v_add3_u32 v2, v16, v2, v17
	s_waitcnt lgkmcnt(6)
	v_add3_u32 v3, v18, v3, v19
	;; [unrolled: 2-line block ×3, first 2 shown]
	v_add3_u32 v2, v40, v2, v41
	s_add_i32 s21, s21, 16
	s_add_i32 s20, s20, 16
	s_add_i32 s11, s11, -8
	s_waitcnt lgkmcnt(3)
	v_add3_u32 v2, v44, v2, v45
	s_waitcnt lgkmcnt(2)
	v_add3_u32 v3, v46, v3, v47
	s_cmp_lg_u32 s11, 0
	s_waitcnt lgkmcnt(0)
	v_add3_u32 v3, v50, v3, v51
	v_add3_u32 v2, v48, v2, v49
	s_cbranch_scc1 .LBB66_70
	s_branch .LBB66_73
.LBB66_71:                              ;   in Loop: Header=BB66_8 Depth=1
	s_cbranch_execnz .LBB66_76
	s_branch .LBB66_78
.LBB66_72:                              ;   in Loop: Header=BB66_8 Depth=1
	s_mov_b32 s81, s80
	v_pk_mov_b32 v[2:3], s[80:81], s[80:81] op_sel:[0,1]
	s_mov_b32 s81, 1
	s_mov_b64 s[20:21], s[80:81]
.LBB66_73:                              ;   in Loop: Header=BB66_8 Depth=1
	v_readlane_b32 s12, v52, 48
	v_readlane_b32 s13, v52, 49
	s_andn2_b64 vcc, exec, s[12:13]
	v_readlane_b32 s11, v52, 47
	s_cbranch_vccnz .LBB66_75
.LBB66_74:                              ;   Parent Loop BB66_8 Depth=1
                                        ; =>  This Inner Loop Header: Depth=2
	v_lshl_add_u32 v8, s20, 4, v5
	v_lshl_add_u32 v16, s21, 4, v5
	ds_read_b32 v16, v16
	ds_read_b32 v8, v8
	s_add_i32 s21, s21, 2
	s_add_i32 s20, s20, 2
	s_add_i32 s11, s11, -1
	s_cmp_lg_u32 s11, 0
	s_waitcnt lgkmcnt(1)
	v_add_u32_e32 v3, v16, v3
	s_waitcnt lgkmcnt(0)
	v_add_u32_e32 v2, v8, v2
	s_cbranch_scc1 .LBB66_74
.LBB66_75:                              ;   in Loop: Header=BB66_8 Depth=1
	v_readlane_b32 s20, v52, 52
	v_add_u32_e32 v2, v2, v3
	v_readlane_b32 s11, v52, 51
	v_readlane_b32 s21, v52, 53
	s_and_b64 vcc, exec, s[20:21]
	s_cbranch_vccz .LBB66_78
.LBB66_76:                              ;   in Loop: Header=BB66_8 Depth=1
	s_lshl_b32 s12, s1, 8
	s_lshl_b32 s13, s11, 4
	s_add_i32 s12, s12, s13
	v_add_u32_e32 v3, s12, v32
	v_readlane_b32 s12, v52, 50
	s_sub_i32 s11, s12, s11
.LBB66_77:                              ;   Parent Loop BB66_8 Depth=1
                                        ; =>  This Inner Loop Header: Depth=2
	ds_read_b32 v5, v3
	s_add_i32 s11, s11, -1
	v_add_u32_e32 v3, 16, v3
	s_cmp_eq_u32 s11, 0
	s_waitcnt lgkmcnt(0)
	v_add_u32_e32 v2, v5, v2
	s_cbranch_scc0 .LBB66_77
.LBB66_78:                              ;   in Loop: Header=BB66_8 Depth=1
	v_lshlrev_b32_e32 v3, 2, v4
	ds_write_b32 v3, v2 offset:3072
.LBB66_79:                              ;   in Loop: Header=BB66_8 Depth=1
	s_or_b64 exec, exec, s[18:19]
	s_lshl_b32 s10, s10, 2
	s_waitcnt vmcnt(0)
	v_mov_b32_e32 v2, s10
	s_waitcnt lgkmcnt(0)
	s_barrier
	ds_read_b128 v[2:5], v2 offset:3072
	s_and_b32 s47, s0, 0xfe
	s_lshl_b32 s55, 3, s47
	s_not_b32 s48, s55
	s_mov_b64 s[22:23], -1
	s_waitcnt lgkmcnt(0)
	v_readfirstlane_b32 s34, v2
	s_cmp_eq_u32 s34, 1
	s_cselect_b64 s[10:11], -1, 0
	s_cmp_eq_u32 s69, 1
	s_cselect_b64 s[12:13], -1, 0
	s_and_b64 s[24:25], s[10:11], s[12:13]
	v_readfirstlane_b32 s38, v3
	v_readfirstlane_b32 s46, v4
	;; [unrolled: 1-line block ×3, first 2 shown]
	s_and_b64 vcc, exec, s[24:25]
	s_cbranch_vccz .LBB66_91
; %bb.80:                               ;   in Loop: Header=BB66_8 Depth=1
	ds_read_b32 v2, v9 offset:4096
	s_waitcnt lgkmcnt(0)
	s_barrier
	v_readfirstlane_b32 s10, v2
	s_and_saveexec_b64 s[18:19], s[4:5]
	s_cbranch_execz .LBB66_82
; %bb.81:                               ;   in Loop: Header=BB66_8 Depth=1
	ds_write_b16 v22, v9
.LBB66_82:                              ;   in Loop: Header=BB66_8 Depth=1
	s_or_b64 exec, exec, s[18:19]
	s_and_b32 s85, s85, s48
	s_or_b32 s84, s84, s55
	s_cmp_lt_i32 s10, 1
	s_waitcnt lgkmcnt(0)
	s_barrier
	s_cbranch_scc0 .LBB66_92
; %bb.83:                               ;   in Loop: Header=BB66_8 Depth=1
	s_mov_b64 s[18:19], 0
                                        ; implicit-def: $vgpr38
	s_mov_b64 s[20:21], exec
	v_readlane_b32 s12, v52, 59
	v_readlane_b32 s13, v52, 60
	s_and_b64 s[12:13], s[20:21], s[12:13]
	s_mov_b64 exec, s[12:13]
	s_cbranch_execz .LBB66_94
; %bb.84:                               ;   in Loop: Header=BB66_8 Depth=1
	s_mov_b64 s[26:27], 0
	v_mov_b32_e32 v2, v6
	v_mov_b32_e32 v4, v0
                                        ; implicit-def: $sgpr28_sgpr29
	s_branch .LBB66_86
.LBB66_85:                              ;   in Loop: Header=BB66_86 Depth=2
	s_or_b64 exec, exec, s[18:19]
	s_waitcnt lgkmcnt(0)
	s_barrier
	s_waitcnt vmcnt(0)
	ds_read_b32 v3, v9 offset:3072
	v_add_u32_e32 v4, s33, v4
	v_cmp_le_i32_e64 s[18:19], s89, v4
	v_add_u32_e32 v2, s91, v2
	s_waitcnt lgkmcnt(0)
	v_and_b32_e32 v5, 0x7fff, v3
	v_cmp_ne_u16_e32 vcc, 0, v5
	s_or_b64 s[12:13], s[18:19], vcc
	s_and_b64 s[12:13], exec, s[12:13]
	s_or_b64 s[26:27], s[12:13], s[26:27]
	s_andn2_b64 s[12:13], s[28:29], exec
	s_and_b64 s[18:19], vcc, exec
	s_or_b64 s[28:29], s[12:13], s[18:19]
	s_barrier
	s_andn2_b64 exec, exec, s[26:27]
	s_cbranch_execz .LBB66_93
.LBB66_86:                              ;   Parent Loop BB66_8 Depth=1
                                        ; =>  This Inner Loop Header: Depth=2
	v_cmp_gt_i32_e32 vcc, s68, v4
	v_mov_b32_e32 v3, 0
	s_and_saveexec_b64 s[30:31], vcc
	s_cbranch_execz .LBB66_88
; %bb.87:                               ;   in Loop: Header=BB66_86 Depth=2
	v_ashrrev_i32_e32 v3, 31, v2
	v_lshlrev_b64 v[16:17], 1, v[2:3]
	v_mov_b32_e32 v3, s90
	v_add_co_u32_e64 v16, s[18:19], s70, v16
	v_addc_co_u32_e64 v17, s[18:19], v3, v17, s[18:19]
	global_load_ushort v3, v[16:17], off
.LBB66_88:                              ;   in Loop: Header=BB66_86 Depth=2
	s_or_b64 exec, exec, s[30:31]
	s_and_saveexec_b64 s[18:19], vcc
	s_cbranch_execz .LBB66_85
; %bb.89:                               ;   in Loop: Header=BB66_86 Depth=2
	s_waitcnt vmcnt(0)
	v_cmp_lt_i16_e32 vcc, -1, v3
	v_cndmask_b32_e32 v5, v33, v34, vcc
	v_lshlrev_b32_e32 v8, 16, v3
	v_xor_b32_sdwa v5, v5, v3 dst_sel:DWORD dst_unused:UNUSED_PAD src0_sel:DWORD src1_sel:WORD_0
	v_cmp_o_f32_e32 vcc, v8, v8
	v_cndmask_b32_e32 v5, v33, v5, vcc
	v_and_b32_e32 v5, s84, v5
	v_cmp_eq_u32_e32 vcc, s85, v5
	s_and_b64 exec, exec, vcc
	s_cbranch_execz .LBB66_85
; %bb.90:                               ;   in Loop: Header=BB66_86 Depth=2
	v_perm_b32 v3, v3, s88, v37
	ds_write_b32 v9, v3 offset:3072
	s_branch .LBB66_85
.LBB66_91:                              ;   in Loop: Header=BB66_8 Depth=1
	s_mov_b64 s[18:19], -1
                                        ; implicit-def: $sgpr20_sgpr21
                                        ; implicit-def: $sgpr28_sgpr29
                                        ; implicit-def: $sgpr26_sgpr27
	s_branch .LBB66_105
.LBB66_92:                              ;   in Loop: Header=BB66_8 Depth=1
	s_mov_b64 s[20:21], -1
	s_mov_b64 s[18:19], 0
                                        ; implicit-def: $sgpr26_sgpr27
                                        ; implicit-def: $vgpr38
	s_mov_b64 s[28:29], s[20:21]
	s_cbranch_execnz .LBB66_95
	s_branch .LBB66_105
.LBB66_93:                              ;   in Loop: Header=BB66_8 Depth=1
	s_or_b64 exec, exec, s[26:27]
	v_lshrrev_b32_e32 v38, 16, v3
	s_and_b64 s[18:19], s[28:29], exec
.LBB66_94:                              ;   in Loop: Header=BB66_8 Depth=1
	s_or_b64 exec, exec, s[20:21]
	s_mov_b64 s[26:27], -1
	s_mov_b64 s[20:21], 0
	s_mov_b64 s[28:29], s[20:21]
	s_branch .LBB66_105
.LBB66_95:                              ;   in Loop: Header=BB66_8 Depth=1
	v_readlane_b32 s11, v52, 31
	s_add_i32 s11, s10, s11
	s_abs_i32 s13, s11
	v_readlane_b32 s18, v52, 58
	s_mul_hi_u32 s18, s13, s18
	s_mul_i32 s18, s18, s33
	s_sub_i32 s13, s13, s18
	s_ashr_i32 s12, s11, 31
	s_sub_i32 s18, s13, s33
	s_cmp_ge_u32 s13, s33
	s_cselect_b32 s13, s18, s13
	s_sub_i32 s18, s13, s33
	s_cmp_ge_u32 s13, s33
	s_cselect_b32 s13, s18, s13
	s_xor_b32 s13, s13, s12
	s_sub_i32 s12, s12, s13
	s_add_i32 s11, s11, s12
	v_cmp_gt_i32_e32 vcc, s11, v0
	s_mov_b64 s[18:19], 0
                                        ; implicit-def: $vgpr38
	s_and_saveexec_b64 s[20:21], vcc
	s_cbranch_execz .LBB66_104
; %bb.96:                               ;   in Loop: Header=BB66_8 Depth=1
	s_mov_b64 s[26:27], 0
	v_mov_b32_e32 v2, v21
	v_mov_b32_e32 v3, v0
                                        ; implicit-def: $sgpr28_sgpr29
	s_branch .LBB66_98
.LBB66_97:                              ;   in Loop: Header=BB66_98 Depth=2
	s_or_b64 exec, exec, s[18:19]
	s_waitcnt lgkmcnt(0)
	s_barrier
	ds_read_b32 v4, v9 offset:3072
	v_add_u32_e32 v3, s33, v3
	v_cmp_le_i32_e64 s[18:19], s11, v3
	v_add_u32_e32 v2, s8, v2
	s_waitcnt lgkmcnt(0)
	v_and_b32_e32 v5, 0x7fff, v4
	v_cmp_ne_u16_e32 vcc, 0, v5
	s_or_b64 s[12:13], s[18:19], vcc
	s_and_b64 s[12:13], exec, s[12:13]
	s_or_b64 s[26:27], s[12:13], s[26:27]
	s_andn2_b64 s[12:13], s[28:29], exec
	s_and_b64 s[18:19], vcc, exec
	s_or_b64 s[28:29], s[12:13], s[18:19]
	s_barrier
	s_andn2_b64 exec, exec, s[26:27]
	s_cbranch_execz .LBB66_103
.LBB66_98:                              ;   Parent Loop BB66_8 Depth=1
                                        ; =>  This Inner Loop Header: Depth=2
	v_cmp_gt_i32_e32 vcc, s10, v3
	v_mov_b32_e32 v4, 0
	s_and_saveexec_b64 s[18:19], vcc
	s_cbranch_execz .LBB66_100
; %bb.99:                               ;   in Loop: Header=BB66_98 Depth=2
	ds_read_u16 v4, v2
.LBB66_100:                             ;   in Loop: Header=BB66_98 Depth=2
	s_or_b64 exec, exec, s[18:19]
	s_and_saveexec_b64 s[18:19], vcc
	s_cbranch_execz .LBB66_97
; %bb.101:                              ;   in Loop: Header=BB66_98 Depth=2
	s_waitcnt lgkmcnt(0)
	v_cmp_lt_i16_e32 vcc, -1, v4
	v_cndmask_b32_e32 v5, v33, v34, vcc
	v_lshlrev_b32_e32 v8, 16, v4
	v_xor_b32_sdwa v5, v5, v4 dst_sel:DWORD dst_unused:UNUSED_PAD src0_sel:DWORD src1_sel:WORD_0
	v_cmp_o_f32_e32 vcc, v8, v8
	v_cndmask_b32_e32 v5, v33, v5, vcc
	v_and_b32_e32 v5, s84, v5
	v_cmp_eq_u32_e32 vcc, s85, v5
	s_and_b64 exec, exec, vcc
	s_cbranch_execz .LBB66_97
; %bb.102:                              ;   in Loop: Header=BB66_98 Depth=2
	v_perm_b32 v4, v4, s88, v37
	ds_write_b32 v9, v4 offset:3072
	s_branch .LBB66_97
.LBB66_103:                             ;   in Loop: Header=BB66_8 Depth=1
	s_or_b64 exec, exec, s[26:27]
	v_lshrrev_b32_e32 v38, 16, v4
	s_and_b64 s[18:19], s[28:29], exec
.LBB66_104:                             ;   in Loop: Header=BB66_8 Depth=1
	s_or_b64 exec, exec, s[20:21]
	s_mov_b64 s[28:29], -1
	s_mov_b64 s[20:21], 0
	s_mov_b64 s[26:27], 0
.LBB66_105:                             ;   in Loop: Header=BB66_8 Depth=1
	s_andn2_b64 s[10:11], s[76:77], exec
	s_and_b64 s[12:13], s[20:21], exec
	s_or_b64 s[76:77], s[10:11], s[12:13]
	s_andn2_b64 s[10:11], s[72:73], exec
	s_and_b64 s[12:13], s[28:29], exec
	s_or_b64 s[72:73], s[10:11], s[12:13]
	;; [unrolled: 3-line block ×3, first 2 shown]
	s_and_saveexec_b64 s[20:21], s[18:19]
	s_cbranch_execz .LBB66_7
; %bb.106:                              ;   in Loop: Header=BB66_8 Depth=1
	s_xor_b64 s[10:11], s[24:25], -1
	s_mov_b64 s[18:19], 0
	s_andn2_b64 vcc, exec, s[10:11]
	s_mov_b32 s39, 1
	s_cbranch_vccnz .LBB66_117
; %bb.107:                              ;   in Loop: Header=BB66_8 Depth=1
	s_cmp_gt_i32 s69, s34
	s_mov_b64 s[18:19], -1
                                        ; implicit-def: $sgpr57
                                        ; implicit-def: $sgpr10
                                        ; implicit-def: $sgpr11
	s_cbranch_scc1 .LBB66_113
; %bb.108:                              ;   in Loop: Header=BB66_8 Depth=1
	ds_read_b32 v2, v9 offset:4096
	s_waitcnt lgkmcnt(0)
	v_cmp_ne_u32_e32 vcc, 0, v2
	s_cbranch_vccnz .LBB66_112
; %bb.109:                              ;   in Loop: Header=BB66_8 Depth=1
	s_mov_b64 s[18:19], exec
	v_readlane_b32 s10, v52, 18
	v_readlane_b32 s11, v52, 19
	s_and_b64 s[10:11], s[18:19], s[10:11]
	s_mov_b64 exec, s[10:11]
	s_cbranch_execz .LBB66_111
; %bb.110:                              ;   in Loop: Header=BB66_8 Depth=1
	v_mov_b32_e32 v2, s34
	ds_write_b32 v9, v2 offset:4100
.LBB66_111:                             ;   in Loop: Header=BB66_8 Depth=1
	s_or_b64 exec, exec, s[18:19]
	s_waitcnt lgkmcnt(0)
	s_barrier
.LBB66_112:                             ;   in Loop: Header=BB66_8 Depth=1
	s_and_b32 s10, s85, s48
	s_or_b32 s11, s84, s55
	s_mov_b64 s[18:19], 0
	s_mov_b32 s57, 8
.LBB66_113:                             ;   in Loop: Header=BB66_8 Depth=1
	s_andn2_b64 vcc, exec, s[18:19]
	s_cbranch_vccnz .LBB66_115
; %bb.114:                              ;   in Loop: Header=BB66_8 Depth=1
	s_sub_i32 s69, s69, s34
	s_mov_b64 s[18:19], -1
	s_mov_b32 s57, 0
	s_mov_b32 s10, s85
	;; [unrolled: 1-line block ×3, first 2 shown]
.LBB66_115:                             ;   in Loop: Header=BB66_8 Depth=1
	s_mov_b32 s84, s11
	s_mov_b32 s85, s10
	;; [unrolled: 1-line block ×3, first 2 shown]
	s_mov_b64 s[22:23], -1
	s_and_b64 vcc, exec, s[18:19]
	s_cbranch_vccnz .LBB66_118
.LBB66_116:                             ;   in Loop: Header=BB66_8 Depth=1
	s_mov_b64 s[36:37], -1
                                        ; implicit-def: $sgpr24_sgpr25
                                        ; implicit-def: $sgpr28_sgpr29
                                        ; implicit-def: $sgpr26_sgpr27
	s_and_saveexec_b64 s[10:11], s[36:37]
	s_xor_b64 s[18:19], exec, s[10:11]
	s_cbranch_execz .LBB66_6
	s_branch .LBB66_241
.LBB66_117:                             ;   in Loop: Header=BB66_8 Depth=1
	s_mov_b32 s57, 1
	s_mov_b64 s[22:23], -1
	s_and_b64 vcc, exec, s[18:19]
	s_cbranch_vccz .LBB66_116
.LBB66_118:                             ;   in Loop: Header=BB66_8 Depth=1
	s_cmp_eq_u32 s38, 1
	s_cselect_b64 s[10:11], -1, 0
	s_cmp_eq_u32 s39, 1
	s_cselect_b64 s[12:13], -1, 0
	s_and_b64 s[34:35], s[10:11], s[12:13]
	s_mov_b64 s[18:19], -1
	s_and_b64 vcc, exec, s[34:35]
	s_cbranch_vccz .LBB66_130
; %bb.119:                              ;   in Loop: Header=BB66_8 Depth=1
	ds_read_b32 v2, v9 offset:4096
	s_waitcnt lgkmcnt(0)
	s_barrier
	v_readfirstlane_b32 s10, v2
	s_and_saveexec_b64 s[18:19], s[4:5]
	s_cbranch_execz .LBB66_121
; %bb.120:                              ;   in Loop: Header=BB66_8 Depth=1
	ds_write_b16 v22, v9
.LBB66_121:                             ;   in Loop: Header=BB66_8 Depth=1
	s_or_b64 exec, exec, s[18:19]
	s_lshl_b32 s11, 1, s47
	s_and_b32 s12, s85, s48
	s_or_b32 s85, s12, s11
	s_or_b32 s84, s84, s55
	s_cmp_gt_i32 s10, 0
	s_waitcnt lgkmcnt(0)
	s_barrier
	s_cbranch_scc1 .LBB66_131
; %bb.122:                              ;   in Loop: Header=BB66_8 Depth=1
	s_mov_b64 s[18:19], 0
                                        ; implicit-def: $vgpr38
	s_mov_b64 s[24:25], exec
	v_readlane_b32 s12, v52, 59
	v_readlane_b32 s13, v52, 60
	s_and_b64 s[12:13], s[24:25], s[12:13]
	s_mov_b64 exec, s[12:13]
	s_cbranch_execz .LBB66_133
; %bb.123:                              ;   in Loop: Header=BB66_8 Depth=1
	s_mov_b64 s[26:27], 0
	v_mov_b32_e32 v2, v6
	v_mov_b32_e32 v4, v0
                                        ; implicit-def: $sgpr28_sgpr29
	s_branch .LBB66_125
.LBB66_124:                             ;   in Loop: Header=BB66_125 Depth=2
	s_or_b64 exec, exec, s[18:19]
	s_waitcnt lgkmcnt(0)
	s_barrier
	s_waitcnt vmcnt(0)
	ds_read_b32 v3, v9 offset:3072
	v_add_u32_e32 v4, s33, v4
	v_cmp_le_i32_e64 s[18:19], s89, v4
	v_add_u32_e32 v2, s91, v2
	s_waitcnt lgkmcnt(0)
	v_and_b32_e32 v5, 0x7fff, v3
	v_cmp_ne_u16_e32 vcc, 0, v5
	s_or_b64 s[12:13], s[18:19], vcc
	s_and_b64 s[12:13], exec, s[12:13]
	s_or_b64 s[26:27], s[12:13], s[26:27]
	s_andn2_b64 s[12:13], s[28:29], exec
	s_and_b64 s[18:19], vcc, exec
	s_or_b64 s[28:29], s[12:13], s[18:19]
	s_barrier
	s_andn2_b64 exec, exec, s[26:27]
	s_cbranch_execz .LBB66_132
.LBB66_125:                             ;   Parent Loop BB66_8 Depth=1
                                        ; =>  This Inner Loop Header: Depth=2
	v_cmp_gt_i32_e32 vcc, s68, v4
	v_mov_b32_e32 v3, 0
	s_and_saveexec_b64 s[30:31], vcc
	s_cbranch_execz .LBB66_127
; %bb.126:                              ;   in Loop: Header=BB66_125 Depth=2
	v_ashrrev_i32_e32 v3, 31, v2
	v_lshlrev_b64 v[16:17], 1, v[2:3]
	v_mov_b32_e32 v3, s90
	v_add_co_u32_e64 v16, s[18:19], s70, v16
	v_addc_co_u32_e64 v17, s[18:19], v3, v17, s[18:19]
	global_load_ushort v3, v[16:17], off
.LBB66_127:                             ;   in Loop: Header=BB66_125 Depth=2
	s_or_b64 exec, exec, s[30:31]
	s_and_saveexec_b64 s[18:19], vcc
	s_cbranch_execz .LBB66_124
; %bb.128:                              ;   in Loop: Header=BB66_125 Depth=2
	s_waitcnt vmcnt(0)
	v_cmp_lt_i16_e32 vcc, -1, v3
	v_cndmask_b32_e32 v5, v33, v34, vcc
	v_lshlrev_b32_e32 v8, 16, v3
	v_xor_b32_sdwa v5, v5, v3 dst_sel:DWORD dst_unused:UNUSED_PAD src0_sel:DWORD src1_sel:WORD_0
	v_cmp_o_f32_e32 vcc, v8, v8
	v_cndmask_b32_e32 v5, v33, v5, vcc
	v_and_b32_e32 v5, s84, v5
	v_cmp_eq_u32_e32 vcc, s85, v5
	s_and_b64 exec, exec, vcc
	s_cbranch_execz .LBB66_124
; %bb.129:                              ;   in Loop: Header=BB66_125 Depth=2
	v_perm_b32 v3, v3, s88, v37
	ds_write_b32 v9, v3 offset:3072
	s_branch .LBB66_124
.LBB66_130:                             ;   in Loop: Header=BB66_8 Depth=1
                                        ; implicit-def: $sgpr26_sgpr27
                                        ; implicit-def: $sgpr28_sgpr29
                                        ; implicit-def: $sgpr24_sgpr25
	s_branch .LBB66_144
.LBB66_131:                             ;   in Loop: Header=BB66_8 Depth=1
	s_mov_b64 s[26:27], -1
	s_mov_b64 s[18:19], 0
                                        ; implicit-def: $sgpr24_sgpr25
                                        ; implicit-def: $vgpr38
	s_mov_b64 s[28:29], s[26:27]
	s_cbranch_execnz .LBB66_134
	s_branch .LBB66_144
.LBB66_132:                             ;   in Loop: Header=BB66_8 Depth=1
	s_or_b64 exec, exec, s[26:27]
	v_lshrrev_b32_e32 v38, 16, v3
	s_and_b64 s[18:19], s[28:29], exec
.LBB66_133:                             ;   in Loop: Header=BB66_8 Depth=1
	s_or_b64 exec, exec, s[24:25]
	s_mov_b64 s[24:25], -1
	s_mov_b64 s[26:27], 0
	s_mov_b64 s[28:29], s[26:27]
	s_branch .LBB66_144
.LBB66_134:                             ;   in Loop: Header=BB66_8 Depth=1
	v_readlane_b32 s11, v52, 31
	s_add_i32 s11, s10, s11
	s_abs_i32 s13, s11
	v_readlane_b32 s18, v52, 58
	s_mul_hi_u32 s18, s13, s18
	s_mul_i32 s18, s18, s33
	s_sub_i32 s13, s13, s18
	s_ashr_i32 s12, s11, 31
	s_sub_i32 s18, s13, s33
	s_cmp_ge_u32 s13, s33
	s_cselect_b32 s13, s18, s13
	s_sub_i32 s18, s13, s33
	s_cmp_ge_u32 s13, s33
	s_cselect_b32 s13, s18, s13
	s_xor_b32 s13, s13, s12
	s_sub_i32 s12, s12, s13
	s_add_i32 s11, s11, s12
	v_cmp_gt_i32_e32 vcc, s11, v0
	s_mov_b64 s[18:19], 0
                                        ; implicit-def: $vgpr38
	s_and_saveexec_b64 s[24:25], vcc
	s_cbranch_execz .LBB66_143
; %bb.135:                              ;   in Loop: Header=BB66_8 Depth=1
	s_mov_b64 s[26:27], 0
	v_mov_b32_e32 v2, v21
	v_mov_b32_e32 v3, v0
                                        ; implicit-def: $sgpr28_sgpr29
	s_branch .LBB66_137
.LBB66_136:                             ;   in Loop: Header=BB66_137 Depth=2
	s_or_b64 exec, exec, s[18:19]
	s_waitcnt lgkmcnt(0)
	s_barrier
	ds_read_b32 v4, v9 offset:3072
	v_add_u32_e32 v3, s33, v3
	v_cmp_le_i32_e64 s[18:19], s11, v3
	v_add_u32_e32 v2, s8, v2
	s_waitcnt lgkmcnt(0)
	v_and_b32_e32 v5, 0x7fff, v4
	v_cmp_ne_u16_e32 vcc, 0, v5
	s_or_b64 s[12:13], s[18:19], vcc
	s_and_b64 s[12:13], exec, s[12:13]
	s_or_b64 s[26:27], s[12:13], s[26:27]
	s_andn2_b64 s[12:13], s[28:29], exec
	s_and_b64 s[18:19], vcc, exec
	s_or_b64 s[28:29], s[12:13], s[18:19]
	s_barrier
	s_andn2_b64 exec, exec, s[26:27]
	s_cbranch_execz .LBB66_142
.LBB66_137:                             ;   Parent Loop BB66_8 Depth=1
                                        ; =>  This Inner Loop Header: Depth=2
	v_cmp_gt_i32_e32 vcc, s10, v3
	v_mov_b32_e32 v4, 0
	s_and_saveexec_b64 s[18:19], vcc
	s_cbranch_execz .LBB66_139
; %bb.138:                              ;   in Loop: Header=BB66_137 Depth=2
	ds_read_u16 v4, v2
.LBB66_139:                             ;   in Loop: Header=BB66_137 Depth=2
	s_or_b64 exec, exec, s[18:19]
	s_and_saveexec_b64 s[18:19], vcc
	s_cbranch_execz .LBB66_136
; %bb.140:                              ;   in Loop: Header=BB66_137 Depth=2
	s_waitcnt lgkmcnt(0)
	v_cmp_lt_i16_e32 vcc, -1, v4
	v_cndmask_b32_e32 v5, v33, v34, vcc
	v_lshlrev_b32_e32 v8, 16, v4
	v_xor_b32_sdwa v5, v5, v4 dst_sel:DWORD dst_unused:UNUSED_PAD src0_sel:DWORD src1_sel:WORD_0
	v_cmp_o_f32_e32 vcc, v8, v8
	v_cndmask_b32_e32 v5, v33, v5, vcc
	v_and_b32_e32 v5, s84, v5
	v_cmp_eq_u32_e32 vcc, s85, v5
	s_and_b64 exec, exec, vcc
	s_cbranch_execz .LBB66_136
; %bb.141:                              ;   in Loop: Header=BB66_137 Depth=2
	v_perm_b32 v4, v4, s88, v37
	ds_write_b32 v9, v4 offset:3072
	s_branch .LBB66_136
.LBB66_142:                             ;   in Loop: Header=BB66_8 Depth=1
	s_or_b64 exec, exec, s[26:27]
	v_lshrrev_b32_e32 v38, 16, v4
	s_and_b64 s[18:19], s[28:29], exec
.LBB66_143:                             ;   in Loop: Header=BB66_8 Depth=1
	s_or_b64 exec, exec, s[24:25]
	s_mov_b64 s[28:29], -1
	s_mov_b64 s[26:27], 0
	s_mov_b64 s[24:25], 0
.LBB66_144:                             ;   in Loop: Header=BB66_8 Depth=1
	s_mov_b64 s[36:37], 0
                                        ; implicit-def: $sgpr57
	s_and_saveexec_b64 s[30:31], s[18:19]
	s_cbranch_execz .LBB66_240
; %bb.145:                              ;   in Loop: Header=BB66_8 Depth=1
	s_xor_b64 s[10:11], s[34:35], -1
	s_mov_b64 s[18:19], 0
	s_andn2_b64 vcc, exec, s[10:11]
	s_mov_b32 s49, 1
	s_cbranch_vccnz .LBB66_156
; %bb.146:                              ;   in Loop: Header=BB66_8 Depth=1
	s_cmp_gt_i32 s39, s38
	s_mov_b64 s[18:19], -1
                                        ; implicit-def: $sgpr57
                                        ; implicit-def: $sgpr10
                                        ; implicit-def: $sgpr11
	s_cbranch_scc1 .LBB66_152
; %bb.147:                              ;   in Loop: Header=BB66_8 Depth=1
	ds_read_b32 v2, v9 offset:4096
	s_waitcnt lgkmcnt(0)
	v_cmp_ne_u32_e32 vcc, 0, v2
	s_cbranch_vccnz .LBB66_151
; %bb.148:                              ;   in Loop: Header=BB66_8 Depth=1
	s_mov_b64 s[18:19], exec
	v_readlane_b32 s10, v52, 18
	v_readlane_b32 s11, v52, 19
	s_and_b64 s[10:11], s[18:19], s[10:11]
	s_mov_b64 exec, s[10:11]
	s_cbranch_execz .LBB66_150
; %bb.149:                              ;   in Loop: Header=BB66_8 Depth=1
	v_mov_b32_e32 v2, s38
	ds_write_b32 v9, v2 offset:4100
.LBB66_150:                             ;   in Loop: Header=BB66_8 Depth=1
	s_or_b64 exec, exec, s[18:19]
	s_waitcnt lgkmcnt(0)
	s_barrier
.LBB66_151:                             ;   in Loop: Header=BB66_8 Depth=1
	s_lshl_b32 s10, 1, s47
	s_and_b32 s11, s85, s48
	s_or_b32 s10, s11, s10
	s_or_b32 s11, s84, s55
	s_mov_b64 s[18:19], 0
	s_mov_b32 s57, 8
.LBB66_152:                             ;   in Loop: Header=BB66_8 Depth=1
	s_andn2_b64 vcc, exec, s[18:19]
	s_cbranch_vccnz .LBB66_154
; %bb.153:                              ;   in Loop: Header=BB66_8 Depth=1
	s_sub_i32 s39, s39, s38
	s_mov_b64 s[18:19], -1
	s_mov_b32 s57, 0
	s_mov_b32 s10, s85
	;; [unrolled: 1-line block ×3, first 2 shown]
.LBB66_154:                             ;   in Loop: Header=BB66_8 Depth=1
	s_mov_b32 s84, s11
	s_mov_b32 s85, s10
	;; [unrolled: 1-line block ×3, first 2 shown]
	s_andn2_b64 vcc, exec, s[18:19]
	s_mov_b64 s[44:45], -1
	s_cbranch_vccz .LBB66_157
.LBB66_155:                             ;   in Loop: Header=BB66_8 Depth=1
                                        ; implicit-def: $sgpr36_sgpr37
                                        ; implicit-def: $sgpr38_sgpr39
                                        ; implicit-def: $sgpr34_sgpr35
	s_branch .LBB66_239
.LBB66_156:                             ;   in Loop: Header=BB66_8 Depth=1
	s_mov_b32 s57, 1
	s_andn2_b64 vcc, exec, s[18:19]
	s_mov_b64 s[44:45], -1
	s_cbranch_vccnz .LBB66_155
.LBB66_157:                             ;   in Loop: Header=BB66_8 Depth=1
	s_cmp_eq_u32 s46, 1
	s_cselect_b64 s[10:11], -1, 0
	s_cmp_eq_u32 s49, 1
	s_cselect_b64 s[12:13], -1, 0
	s_and_b64 s[42:43], s[10:11], s[12:13]
	s_mov_b64 s[18:19], -1
	s_and_b64 vcc, exec, s[42:43]
	s_cbranch_vccz .LBB66_169
; %bb.158:                              ;   in Loop: Header=BB66_8 Depth=1
	ds_read_b32 v2, v9 offset:4096
	s_waitcnt lgkmcnt(0)
	s_barrier
	v_readfirstlane_b32 s10, v2
	s_and_saveexec_b64 s[18:19], s[4:5]
	s_cbranch_execz .LBB66_160
; %bb.159:                              ;   in Loop: Header=BB66_8 Depth=1
	ds_write_b16 v22, v9
.LBB66_160:                             ;   in Loop: Header=BB66_8 Depth=1
	s_or_b64 exec, exec, s[18:19]
	s_lshl_b32 s11, 2, s47
	s_and_b32 s12, s85, s48
	s_or_b32 s85, s12, s11
	s_or_b32 s84, s84, s55
	s_cmp_gt_i32 s10, 0
	s_waitcnt lgkmcnt(0)
	s_barrier
	s_cbranch_scc1 .LBB66_170
; %bb.161:                              ;   in Loop: Header=BB66_8 Depth=1
	s_mov_b64 s[18:19], 0
                                        ; implicit-def: $vgpr38
	s_mov_b64 s[34:35], exec
	v_readlane_b32 s12, v52, 59
	v_readlane_b32 s13, v52, 60
	s_and_b64 s[12:13], s[34:35], s[12:13]
	s_mov_b64 exec, s[12:13]
	s_cbranch_execz .LBB66_172
; %bb.162:                              ;   in Loop: Header=BB66_8 Depth=1
	v_mov_b32_e32 v2, v6
	v_mov_b32_e32 v4, v0
                                        ; implicit-def: $sgpr38_sgpr39
	s_branch .LBB66_164
.LBB66_163:                             ;   in Loop: Header=BB66_164 Depth=2
	s_or_b64 exec, exec, s[18:19]
	s_waitcnt lgkmcnt(0)
	s_barrier
	s_waitcnt vmcnt(0)
	ds_read_b32 v3, v9 offset:3072
	v_add_u32_e32 v4, s33, v4
	v_cmp_le_i32_e64 s[18:19], s89, v4
	v_add_u32_e32 v2, s91, v2
	s_waitcnt lgkmcnt(0)
	v_and_b32_e32 v5, 0x7fff, v3
	v_cmp_ne_u16_e32 vcc, 0, v5
	s_or_b64 s[12:13], s[18:19], vcc
	s_and_b64 s[12:13], exec, s[12:13]
	s_or_b64 s[36:37], s[12:13], s[36:37]
	s_andn2_b64 s[12:13], s[38:39], exec
	s_and_b64 s[18:19], vcc, exec
	s_or_b64 s[38:39], s[12:13], s[18:19]
	s_barrier
	s_andn2_b64 exec, exec, s[36:37]
	s_cbranch_execz .LBB66_171
.LBB66_164:                             ;   Parent Loop BB66_8 Depth=1
                                        ; =>  This Inner Loop Header: Depth=2
	v_cmp_gt_i32_e32 vcc, s68, v4
	v_mov_b32_e32 v3, 0
	s_and_saveexec_b64 s[40:41], vcc
	s_cbranch_execz .LBB66_166
; %bb.165:                              ;   in Loop: Header=BB66_164 Depth=2
	v_ashrrev_i32_e32 v3, 31, v2
	v_lshlrev_b64 v[16:17], 1, v[2:3]
	v_mov_b32_e32 v3, s90
	v_add_co_u32_e64 v16, s[18:19], s70, v16
	v_addc_co_u32_e64 v17, s[18:19], v3, v17, s[18:19]
	global_load_ushort v3, v[16:17], off
.LBB66_166:                             ;   in Loop: Header=BB66_164 Depth=2
	s_or_b64 exec, exec, s[40:41]
	s_and_saveexec_b64 s[18:19], vcc
	s_cbranch_execz .LBB66_163
; %bb.167:                              ;   in Loop: Header=BB66_164 Depth=2
	s_waitcnt vmcnt(0)
	v_cmp_lt_i16_e32 vcc, -1, v3
	v_cndmask_b32_e32 v5, v33, v34, vcc
	v_lshlrev_b32_e32 v8, 16, v3
	v_xor_b32_sdwa v5, v5, v3 dst_sel:DWORD dst_unused:UNUSED_PAD src0_sel:DWORD src1_sel:WORD_0
	v_cmp_o_f32_e32 vcc, v8, v8
	v_cndmask_b32_e32 v5, v33, v5, vcc
	v_and_b32_e32 v5, s84, v5
	v_cmp_eq_u32_e32 vcc, s85, v5
	s_and_b64 exec, exec, vcc
	s_cbranch_execz .LBB66_163
; %bb.168:                              ;   in Loop: Header=BB66_164 Depth=2
	v_perm_b32 v3, v3, s88, v37
	ds_write_b32 v9, v3 offset:3072
	s_branch .LBB66_163
.LBB66_169:                             ;   in Loop: Header=BB66_8 Depth=1
                                        ; implicit-def: $sgpr34_sgpr35
                                        ; implicit-def: $sgpr38_sgpr39
                                        ; implicit-def: $sgpr36_sgpr37
	s_branch .LBB66_183
.LBB66_170:                             ;   in Loop: Header=BB66_8 Depth=1
	s_mov_b64 s[34:35], -1
	s_mov_b64 s[18:19], 0
                                        ; implicit-def: $sgpr36_sgpr37
                                        ; implicit-def: $vgpr38
	s_mov_b64 s[38:39], s[34:35]
	s_cbranch_execnz .LBB66_173
	s_branch .LBB66_183
.LBB66_171:                             ;   in Loop: Header=BB66_8 Depth=1
	s_or_b64 exec, exec, s[36:37]
	v_lshrrev_b32_e32 v38, 16, v3
	s_and_b64 s[18:19], s[38:39], exec
.LBB66_172:                             ;   in Loop: Header=BB66_8 Depth=1
	s_or_b64 exec, exec, s[34:35]
	s_mov_b64 s[36:37], -1
	s_mov_b64 s[34:35], 0
	s_mov_b64 s[38:39], s[34:35]
	s_branch .LBB66_183
.LBB66_173:                             ;   in Loop: Header=BB66_8 Depth=1
	v_readlane_b32 s11, v52, 31
	s_add_i32 s11, s10, s11
	s_abs_i32 s13, s11
	v_readlane_b32 s18, v52, 58
	s_mul_hi_u32 s18, s13, s18
	s_mul_i32 s18, s18, s33
	s_sub_i32 s13, s13, s18
	s_ashr_i32 s12, s11, 31
	s_sub_i32 s18, s13, s33
	s_cmp_ge_u32 s13, s33
	s_cselect_b32 s13, s18, s13
	s_sub_i32 s18, s13, s33
	s_cmp_ge_u32 s13, s33
	s_cselect_b32 s13, s18, s13
	s_xor_b32 s13, s13, s12
	s_sub_i32 s12, s12, s13
	s_add_i32 s11, s11, s12
	v_cmp_gt_i32_e32 vcc, s11, v0
	s_mov_b64 s[18:19], 0
                                        ; implicit-def: $vgpr38
	s_and_saveexec_b64 s[34:35], vcc
	s_cbranch_execz .LBB66_182
; %bb.174:                              ;   in Loop: Header=BB66_8 Depth=1
	s_mov_b64 s[36:37], 0
	v_mov_b32_e32 v2, v21
	v_mov_b32_e32 v3, v0
                                        ; implicit-def: $sgpr38_sgpr39
	s_branch .LBB66_176
.LBB66_175:                             ;   in Loop: Header=BB66_176 Depth=2
	s_or_b64 exec, exec, s[18:19]
	s_waitcnt lgkmcnt(0)
	s_barrier
	ds_read_b32 v4, v9 offset:3072
	v_add_u32_e32 v3, s33, v3
	v_cmp_le_i32_e64 s[18:19], s11, v3
	v_add_u32_e32 v2, s8, v2
	s_waitcnt lgkmcnt(0)
	v_and_b32_e32 v5, 0x7fff, v4
	v_cmp_ne_u16_e32 vcc, 0, v5
	s_or_b64 s[12:13], s[18:19], vcc
	s_and_b64 s[12:13], exec, s[12:13]
	s_or_b64 s[36:37], s[12:13], s[36:37]
	s_andn2_b64 s[12:13], s[38:39], exec
	s_and_b64 s[18:19], vcc, exec
	s_or_b64 s[38:39], s[12:13], s[18:19]
	s_barrier
	s_andn2_b64 exec, exec, s[36:37]
	s_cbranch_execz .LBB66_181
.LBB66_176:                             ;   Parent Loop BB66_8 Depth=1
                                        ; =>  This Inner Loop Header: Depth=2
	v_cmp_gt_i32_e32 vcc, s10, v3
	v_mov_b32_e32 v4, 0
	s_and_saveexec_b64 s[18:19], vcc
	s_cbranch_execz .LBB66_178
; %bb.177:                              ;   in Loop: Header=BB66_176 Depth=2
	ds_read_u16 v4, v2
.LBB66_178:                             ;   in Loop: Header=BB66_176 Depth=2
	s_or_b64 exec, exec, s[18:19]
	s_and_saveexec_b64 s[18:19], vcc
	s_cbranch_execz .LBB66_175
; %bb.179:                              ;   in Loop: Header=BB66_176 Depth=2
	s_waitcnt lgkmcnt(0)
	v_cmp_lt_i16_e32 vcc, -1, v4
	v_cndmask_b32_e32 v5, v33, v34, vcc
	v_lshlrev_b32_e32 v8, 16, v4
	v_xor_b32_sdwa v5, v5, v4 dst_sel:DWORD dst_unused:UNUSED_PAD src0_sel:DWORD src1_sel:WORD_0
	v_cmp_o_f32_e32 vcc, v8, v8
	v_cndmask_b32_e32 v5, v33, v5, vcc
	v_and_b32_e32 v5, s84, v5
	v_cmp_eq_u32_e32 vcc, s85, v5
	s_and_b64 exec, exec, vcc
	s_cbranch_execz .LBB66_175
; %bb.180:                              ;   in Loop: Header=BB66_176 Depth=2
	v_perm_b32 v4, v4, s88, v37
	ds_write_b32 v9, v4 offset:3072
	s_branch .LBB66_175
.LBB66_181:                             ;   in Loop: Header=BB66_8 Depth=1
	s_or_b64 exec, exec, s[36:37]
	v_lshrrev_b32_e32 v38, 16, v4
	s_and_b64 s[18:19], s[38:39], exec
.LBB66_182:                             ;   in Loop: Header=BB66_8 Depth=1
	s_or_b64 exec, exec, s[34:35]
	s_mov_b64 s[38:39], -1
	s_mov_b64 s[34:35], 0
	s_mov_b64 s[36:37], 0
.LBB66_183:                             ;   in Loop: Header=BB66_8 Depth=1
	s_mov_b64 s[44:45], 0
                                        ; implicit-def: $sgpr57
	s_and_saveexec_b64 s[40:41], s[18:19]
	s_cbranch_execz .LBB66_238
; %bb.184:                              ;   in Loop: Header=BB66_8 Depth=1
	s_xor_b64 s[10:11], s[42:43], -1
	s_mov_b64 s[18:19], 0
	s_andn2_b64 vcc, exec, s[10:11]
	s_mov_b32 s56, 1
	s_cbranch_vccnz .LBB66_195
; %bb.185:                              ;   in Loop: Header=BB66_8 Depth=1
	s_cmp_gt_i32 s49, s46
	s_mov_b64 s[18:19], -1
                                        ; implicit-def: $sgpr57
                                        ; implicit-def: $sgpr10
                                        ; implicit-def: $sgpr11
	s_cbranch_scc1 .LBB66_191
; %bb.186:                              ;   in Loop: Header=BB66_8 Depth=1
	ds_read_b32 v2, v9 offset:4096
	s_waitcnt lgkmcnt(0)
	v_cmp_ne_u32_e32 vcc, 0, v2
	s_cbranch_vccnz .LBB66_190
; %bb.187:                              ;   in Loop: Header=BB66_8 Depth=1
	s_mov_b64 s[18:19], exec
	v_readlane_b32 s10, v52, 18
	v_readlane_b32 s11, v52, 19
	s_and_b64 s[10:11], s[18:19], s[10:11]
	s_mov_b64 exec, s[10:11]
	s_cbranch_execz .LBB66_189
; %bb.188:                              ;   in Loop: Header=BB66_8 Depth=1
	v_mov_b32_e32 v2, s46
	ds_write_b32 v9, v2 offset:4100
.LBB66_189:                             ;   in Loop: Header=BB66_8 Depth=1
	s_or_b64 exec, exec, s[18:19]
	s_waitcnt lgkmcnt(0)
	s_barrier
.LBB66_190:                             ;   in Loop: Header=BB66_8 Depth=1
	s_lshl_b32 s10, 2, s47
	s_and_b32 s11, s85, s48
	s_or_b32 s10, s11, s10
	s_or_b32 s11, s84, s55
	s_mov_b64 s[18:19], 0
	s_mov_b32 s57, 8
.LBB66_191:                             ;   in Loop: Header=BB66_8 Depth=1
	s_andn2_b64 vcc, exec, s[18:19]
	s_cbranch_vccnz .LBB66_193
; %bb.192:                              ;   in Loop: Header=BB66_8 Depth=1
	s_sub_i32 s49, s49, s46
	s_mov_b64 s[18:19], -1
	s_mov_b32 s57, 0
	s_mov_b32 s10, s85
	;; [unrolled: 1-line block ×3, first 2 shown]
.LBB66_193:                             ;   in Loop: Header=BB66_8 Depth=1
	s_mov_b32 s84, s11
	s_mov_b32 s85, s10
	;; [unrolled: 1-line block ×3, first 2 shown]
	s_andn2_b64 vcc, exec, s[18:19]
	s_mov_b64 s[52:53], -1
	s_cbranch_vccz .LBB66_196
.LBB66_194:                             ;   in Loop: Header=BB66_8 Depth=1
                                        ; implicit-def: $sgpr18_sgpr19
                                        ; implicit-def: $sgpr46_sgpr47
                                        ; implicit-def: $sgpr44_sgpr45
	s_branch .LBB66_237
.LBB66_195:                             ;   in Loop: Header=BB66_8 Depth=1
	s_mov_b32 s57, 1
	s_andn2_b64 vcc, exec, s[18:19]
	s_mov_b64 s[52:53], -1
	s_cbranch_vccnz .LBB66_194
.LBB66_196:                             ;   in Loop: Header=BB66_8 Depth=1
	s_cmp_eq_u32 s54, 1
	s_cselect_b64 s[10:11], -1, 0
	s_cmp_eq_u32 s56, 1
	s_cselect_b64 s[12:13], -1, 0
	s_and_b64 s[42:43], s[10:11], s[12:13]
	s_mov_b64 s[48:49], -1
	s_and_b64 vcc, exec, s[42:43]
	s_cbranch_vccz .LBB66_208
; %bb.197:                              ;   in Loop: Header=BB66_8 Depth=1
	ds_read_b32 v2, v9 offset:4096
	s_waitcnt lgkmcnt(0)
	s_barrier
	v_readfirstlane_b32 s10, v2
	s_and_saveexec_b64 s[18:19], s[4:5]
	s_cbranch_execz .LBB66_199
; %bb.198:                              ;   in Loop: Header=BB66_8 Depth=1
	ds_write_b16 v22, v9
.LBB66_199:                             ;   in Loop: Header=BB66_8 Depth=1
	s_or_b64 exec, exec, s[18:19]
	s_or_b32 s85, s85, s55
	s_or_b32 s84, s84, s55
	s_cmp_gt_i32 s10, 0
	s_waitcnt lgkmcnt(0)
	s_barrier
	s_cbranch_scc1 .LBB66_209
; %bb.200:                              ;   in Loop: Header=BB66_8 Depth=1
	s_mov_b64 s[48:49], 0
                                        ; implicit-def: $vgpr38
	s_mov_b64 s[44:45], exec
	v_readlane_b32 s12, v52, 59
	v_readlane_b32 s13, v52, 60
	s_and_b64 s[12:13], s[44:45], s[12:13]
	s_mov_b64 exec, s[12:13]
	s_cbranch_execz .LBB66_211
; %bb.201:                              ;   in Loop: Header=BB66_8 Depth=1
	s_mov_b64 s[46:47], 0
	v_mov_b32_e32 v2, v6
	v_mov_b32_e32 v4, v0
                                        ; implicit-def: $sgpr48_sgpr49
	s_branch .LBB66_203
.LBB66_202:                             ;   in Loop: Header=BB66_203 Depth=2
	s_or_b64 exec, exec, s[18:19]
	s_waitcnt lgkmcnt(0)
	s_barrier
	s_waitcnt vmcnt(0)
	ds_read_b32 v3, v9 offset:3072
	v_add_u32_e32 v4, s33, v4
	v_cmp_le_i32_e64 s[18:19], s89, v4
	v_add_u32_e32 v2, s91, v2
	s_waitcnt lgkmcnt(0)
	v_and_b32_e32 v5, 0x7fff, v3
	v_cmp_ne_u16_e32 vcc, 0, v5
	s_or_b64 s[12:13], s[18:19], vcc
	s_and_b64 s[12:13], exec, s[12:13]
	s_or_b64 s[46:47], s[12:13], s[46:47]
	s_andn2_b64 s[12:13], s[48:49], exec
	s_and_b64 s[18:19], vcc, exec
	s_or_b64 s[48:49], s[12:13], s[18:19]
	s_barrier
	s_andn2_b64 exec, exec, s[46:47]
	s_cbranch_execz .LBB66_210
.LBB66_203:                             ;   Parent Loop BB66_8 Depth=1
                                        ; =>  This Inner Loop Header: Depth=2
	v_cmp_gt_i32_e32 vcc, s68, v4
	v_mov_b32_e32 v3, 0
	s_and_saveexec_b64 s[50:51], vcc
	s_cbranch_execz .LBB66_205
; %bb.204:                              ;   in Loop: Header=BB66_203 Depth=2
	v_ashrrev_i32_e32 v3, 31, v2
	v_lshlrev_b64 v[16:17], 1, v[2:3]
	v_mov_b32_e32 v3, s90
	v_add_co_u32_e64 v16, s[18:19], s70, v16
	v_addc_co_u32_e64 v17, s[18:19], v3, v17, s[18:19]
	global_load_ushort v3, v[16:17], off
.LBB66_205:                             ;   in Loop: Header=BB66_203 Depth=2
	s_or_b64 exec, exec, s[50:51]
	s_and_saveexec_b64 s[18:19], vcc
	s_cbranch_execz .LBB66_202
; %bb.206:                              ;   in Loop: Header=BB66_203 Depth=2
	s_waitcnt vmcnt(0)
	v_cmp_lt_i16_e32 vcc, -1, v3
	v_cndmask_b32_e32 v5, v33, v34, vcc
	v_lshlrev_b32_e32 v8, 16, v3
	v_xor_b32_sdwa v5, v5, v3 dst_sel:DWORD dst_unused:UNUSED_PAD src0_sel:DWORD src1_sel:WORD_0
	v_cmp_o_f32_e32 vcc, v8, v8
	v_cndmask_b32_e32 v5, v33, v5, vcc
	v_and_b32_e32 v5, s84, v5
	v_cmp_eq_u32_e32 vcc, s85, v5
	s_and_b64 exec, exec, vcc
	s_cbranch_execz .LBB66_202
; %bb.207:                              ;   in Loop: Header=BB66_203 Depth=2
	v_perm_b32 v3, v3, s88, v37
	ds_write_b32 v9, v3 offset:3072
	s_branch .LBB66_202
.LBB66_208:                             ;   in Loop: Header=BB66_8 Depth=1
                                        ; implicit-def: $sgpr18_sgpr19
                                        ; implicit-def: $sgpr46_sgpr47
                                        ; implicit-def: $sgpr44_sgpr45
	s_branch .LBB66_222
.LBB66_209:                             ;   in Loop: Header=BB66_8 Depth=1
	s_mov_b64 s[18:19], -1
	s_mov_b64 s[48:49], 0
                                        ; implicit-def: $sgpr44_sgpr45
                                        ; implicit-def: $vgpr38
	s_mov_b64 s[46:47], s[18:19]
	s_cbranch_execnz .LBB66_212
	s_branch .LBB66_222
.LBB66_210:                             ;   in Loop: Header=BB66_8 Depth=1
	s_or_b64 exec, exec, s[46:47]
	v_lshrrev_b32_e32 v38, 16, v3
	s_and_b64 s[48:49], s[48:49], exec
.LBB66_211:                             ;   in Loop: Header=BB66_8 Depth=1
	s_or_b64 exec, exec, s[44:45]
	s_mov_b64 s[44:45], -1
	s_mov_b64 s[18:19], 0
	s_mov_b64 s[46:47], s[18:19]
	s_branch .LBB66_222
.LBB66_212:                             ;   in Loop: Header=BB66_8 Depth=1
	v_readlane_b32 s11, v52, 31
	s_add_i32 s11, s10, s11
	s_abs_i32 s13, s11
	v_readlane_b32 s18, v52, 58
	s_mul_hi_u32 s18, s13, s18
	s_mul_i32 s18, s18, s33
	s_sub_i32 s13, s13, s18
	s_ashr_i32 s12, s11, 31
	s_sub_i32 s18, s13, s33
	s_cmp_ge_u32 s13, s33
	s_cselect_b32 s13, s18, s13
	s_sub_i32 s18, s13, s33
	s_cmp_ge_u32 s13, s33
	s_cselect_b32 s13, s18, s13
	s_xor_b32 s13, s13, s12
	s_sub_i32 s12, s12, s13
	s_add_i32 s11, s11, s12
	v_cmp_gt_i32_e32 vcc, s11, v0
	s_mov_b64 s[48:49], 0
                                        ; implicit-def: $vgpr38
	s_and_saveexec_b64 s[44:45], vcc
	s_cbranch_execz .LBB66_221
; %bb.213:                              ;   in Loop: Header=BB66_8 Depth=1
	s_mov_b64 s[46:47], 0
	v_mov_b32_e32 v2, v21
	v_mov_b32_e32 v3, v0
                                        ; implicit-def: $sgpr48_sgpr49
	s_branch .LBB66_215
.LBB66_214:                             ;   in Loop: Header=BB66_215 Depth=2
	s_or_b64 exec, exec, s[18:19]
	s_waitcnt lgkmcnt(0)
	s_barrier
	ds_read_b32 v4, v9 offset:3072
	v_add_u32_e32 v3, s33, v3
	v_cmp_le_i32_e64 s[18:19], s11, v3
	v_add_u32_e32 v2, s8, v2
	s_waitcnt lgkmcnt(0)
	v_and_b32_e32 v5, 0x7fff, v4
	v_cmp_ne_u16_e32 vcc, 0, v5
	s_or_b64 s[12:13], s[18:19], vcc
	s_and_b64 s[12:13], exec, s[12:13]
	s_or_b64 s[46:47], s[12:13], s[46:47]
	s_andn2_b64 s[12:13], s[48:49], exec
	s_and_b64 s[18:19], vcc, exec
	s_or_b64 s[48:49], s[12:13], s[18:19]
	s_barrier
	s_andn2_b64 exec, exec, s[46:47]
	s_cbranch_execz .LBB66_220
.LBB66_215:                             ;   Parent Loop BB66_8 Depth=1
                                        ; =>  This Inner Loop Header: Depth=2
	v_cmp_gt_i32_e32 vcc, s10, v3
	v_mov_b32_e32 v4, 0
	s_and_saveexec_b64 s[18:19], vcc
	s_cbranch_execz .LBB66_217
; %bb.216:                              ;   in Loop: Header=BB66_215 Depth=2
	ds_read_u16 v4, v2
.LBB66_217:                             ;   in Loop: Header=BB66_215 Depth=2
	s_or_b64 exec, exec, s[18:19]
	s_and_saveexec_b64 s[18:19], vcc
	s_cbranch_execz .LBB66_214
; %bb.218:                              ;   in Loop: Header=BB66_215 Depth=2
	s_waitcnt lgkmcnt(0)
	v_cmp_lt_i16_e32 vcc, -1, v4
	v_cndmask_b32_e32 v5, v33, v34, vcc
	v_lshlrev_b32_e32 v8, 16, v4
	v_xor_b32_sdwa v5, v5, v4 dst_sel:DWORD dst_unused:UNUSED_PAD src0_sel:DWORD src1_sel:WORD_0
	v_cmp_o_f32_e32 vcc, v8, v8
	v_cndmask_b32_e32 v5, v33, v5, vcc
	v_and_b32_e32 v5, s84, v5
	v_cmp_eq_u32_e32 vcc, s85, v5
	s_and_b64 exec, exec, vcc
	s_cbranch_execz .LBB66_214
; %bb.219:                              ;   in Loop: Header=BB66_215 Depth=2
	v_perm_b32 v4, v4, s88, v37
	ds_write_b32 v9, v4 offset:3072
	s_branch .LBB66_214
.LBB66_220:                             ;   in Loop: Header=BB66_8 Depth=1
	s_or_b64 exec, exec, s[46:47]
	v_lshrrev_b32_e32 v38, 16, v4
	s_and_b64 s[48:49], s[48:49], exec
.LBB66_221:                             ;   in Loop: Header=BB66_8 Depth=1
	s_or_b64 exec, exec, s[44:45]
	s_mov_b64 s[46:47], -1
	s_mov_b64 s[18:19], 0
	s_mov_b64 s[44:45], 0
.LBB66_222:                             ;   in Loop: Header=BB66_8 Depth=1
	s_mov_b64 s[52:53], 0
                                        ; implicit-def: $sgpr57
	s_and_saveexec_b64 s[50:51], s[48:49]
	s_cbranch_execz .LBB66_236
; %bb.223:                              ;   in Loop: Header=BB66_8 Depth=1
	s_xor_b64 s[10:11], s[42:43], -1
	s_andn2_b64 vcc, exec, s[10:11]
	s_mov_b32 s57, 1
	s_cbranch_vccnz .LBB66_230
; %bb.224:                              ;   in Loop: Header=BB66_8 Depth=1
	s_cmp_gt_i32 s56, s54
	s_cbranch_scc1 .LBB66_231
; %bb.225:                              ;   in Loop: Header=BB66_8 Depth=1
	ds_read_b32 v2, v9 offset:4096
	s_waitcnt lgkmcnt(0)
	v_cmp_ne_u32_e32 vcc, 0, v2
	s_cbranch_vccnz .LBB66_229
; %bb.226:                              ;   in Loop: Header=BB66_8 Depth=1
	s_mov_b64 s[42:43], exec
	v_readlane_b32 s10, v52, 18
	v_readlane_b32 s11, v52, 19
	s_and_b64 s[10:11], s[42:43], s[10:11]
	s_mov_b64 exec, s[10:11]
	s_cbranch_execz .LBB66_228
; %bb.227:                              ;   in Loop: Header=BB66_8 Depth=1
	v_mov_b32_e32 v2, s54
	ds_write_b32 v9, v2 offset:4100
.LBB66_228:                             ;   in Loop: Header=BB66_8 Depth=1
	s_or_b64 exec, exec, s[42:43]
	s_waitcnt lgkmcnt(0)
	s_barrier
.LBB66_229:                             ;   in Loop: Header=BB66_8 Depth=1
	s_or_b32 s10, s85, s55
	s_or_b32 s11, s84, s55
	s_mov_b64 s[42:43], 0
	s_mov_b32 s57, 8
	s_branch .LBB66_232
.LBB66_230:                             ;   in Loop: Header=BB66_8 Depth=1
	s_mov_b32 s56, 1
	s_branch .LBB66_235
.LBB66_231:                             ;   in Loop: Header=BB66_8 Depth=1
	s_mov_b64 s[42:43], -1
                                        ; implicit-def: $sgpr57
                                        ; implicit-def: $sgpr10
                                        ; implicit-def: $sgpr11
.LBB66_232:                             ;   in Loop: Header=BB66_8 Depth=1
	s_andn2_b64 vcc, exec, s[42:43]
	s_cbranch_vccnz .LBB66_234
; %bb.233:                              ;   in Loop: Header=BB66_8 Depth=1
	s_sub_i32 s56, s56, s54
	s_mov_b32 s57, 8
	s_mov_b32 s10, s85
	;; [unrolled: 1-line block ×3, first 2 shown]
.LBB66_234:                             ;   in Loop: Header=BB66_8 Depth=1
	s_mov_b32 s85, s10
	s_mov_b32 s84, s11
.LBB66_235:                             ;   in Loop: Header=BB66_8 Depth=1
	s_mov_b64 s[52:53], exec
.LBB66_236:                             ;   in Loop: Header=BB66_8 Depth=1
	s_or_b64 exec, exec, s[50:51]
.LBB66_237:                             ;   in Loop: Header=BB66_8 Depth=1
	s_andn2_b64 s[10:11], s[34:35], exec
	s_and_b64 s[12:13], s[18:19], exec
	s_or_b64 s[34:35], s[10:11], s[12:13]
	s_andn2_b64 s[10:11], s[38:39], exec
	s_and_b64 s[12:13], s[46:47], exec
	s_or_b64 s[38:39], s[10:11], s[12:13]
	;; [unrolled: 3-line block ×3, first 2 shown]
	s_and_b64 s[44:45], s[52:53], exec
	s_mov_b32 s49, s56
.LBB66_238:                             ;   in Loop: Header=BB66_8 Depth=1
	s_or_b64 exec, exec, s[40:41]
.LBB66_239:                             ;   in Loop: Header=BB66_8 Depth=1
	s_andn2_b64 s[10:11], s[26:27], exec
	s_and_b64 s[12:13], s[34:35], exec
	s_or_b64 s[26:27], s[10:11], s[12:13]
	s_andn2_b64 s[10:11], s[28:29], exec
	s_and_b64 s[12:13], s[38:39], exec
	s_or_b64 s[28:29], s[10:11], s[12:13]
	;; [unrolled: 3-line block ×3, first 2 shown]
	s_and_b64 s[36:37], s[44:45], exec
	s_mov_b32 s39, s49
.LBB66_240:                             ;   in Loop: Header=BB66_8 Depth=1
	s_or_b64 exec, exec, s[30:31]
	s_and_saveexec_b64 s[10:11], s[36:37]
	s_xor_b64 s[18:19], exec, s[10:11]
	s_cbranch_execz .LBB66_6
.LBB66_241:                             ;   in Loop: Header=BB66_8 Depth=1
	s_and_b32 s10, s57, -9
	s_cmp_eq_u32 s10, 0
	s_cbranch_scc1 .LBB66_4
; %bb.242:                              ;   in Loop: Header=BB66_8 Depth=1
	s_mov_b64 s[22:23], -1
                                        ; implicit-def: $sgpr84
                                        ; implicit-def: $sgpr39
                                        ; implicit-def: $sgpr0
                                        ; implicit-def: $sgpr1
	s_mov_b64 s[30:31], -1
	s_branch .LBB66_5
.LBB66_243:
	s_or_b64 exec, exec, s[78:79]
	s_xor_b64 s[6:7], s[64:65], -1
	s_xor_b64 s[0:1], s[60:61], -1
	;; [unrolled: 1-line block ×3, first 2 shown]
	s_mov_b64 s[2:3], 0
	s_and_saveexec_b64 s[4:5], s[0:1]
	s_xor_b64 s[4:5], exec, s[4:5]
	s_cbranch_execnz .LBB66_248
; %bb.244:
	s_andn2_saveexec_b64 s[0:1], s[4:5]
	s_cbranch_execnz .LBB66_268
.LBB66_245:
	s_or_b64 exec, exec, s[0:1]
	s_and_saveexec_b64 s[0:1], s[2:3]
.LBB66_246:
	; divergent unreachable
.LBB66_247:
	s_endpgm
.LBB66_248:
	s_and_saveexec_b64 s[0:1], s[6:7]
	s_xor_b64 s[6:7], exec, s[0:1]
	s_cbranch_execz .LBB66_266
; %bb.249:
	s_and_saveexec_b64 s[0:1], s[8:9]
	s_xor_b64 s[2:3], exec, s[0:1]
; %bb.250:
	v_and_b32_e32 v1, 0x8000, v2
	v_mov_b32_e32 v3, 0x8000
	v_mov_b32_e32 v4, 0xffff
	v_cmp_eq_u32_e32 vcc, 0, v1
	v_cndmask_b32_e32 v1, v3, v4, vcc
	v_xor_b32_e32 v38, v1, v2
; %bb.251:
	s_or_b64 exec, exec, s[2:3]
	s_mov_b64 s[2:3], exec
	v_readlane_b32 s0, v52, 18
	v_readlane_b32 s1, v52, 19
	;; [unrolled: 1-line block ×4, first 2 shown]
	s_and_b64 s[0:1], s[2:3], s[0:1]
	v_readlane_b32 s20, v52, 30
	v_readlane_b32 s23, v52, 23
	;; [unrolled: 1-line block ×5, first 2 shown]
	s_mov_b64 exec, s[0:1]
	s_cbranch_execz .LBB66_253
; %bb.252:
	v_mov_b32_e32 v1, 0
	v_mov_b32_e32 v2, s68
	ds_write_b32 v1, v2 offset:4108
.LBB66_253:
	s_or_b64 exec, exec, s[2:3]
	v_mov_b32_e32 v1, 0
	s_waitcnt lgkmcnt(0)
	s_barrier
	ds_read_b32 v1, v1 offset:4108
	s_waitcnt lgkmcnt(0)
	v_min_i32_e32 v1, s68, v1
	v_cmp_lt_i32_e32 vcc, v0, v1
	s_and_saveexec_b64 s[8:9], vcc
	s_cbranch_execz .LBB66_263
; %bb.254:
	v_lshlrev_b32_e32 v3, 16, v38
	v_cmp_u_f32_e32 vcc, v3, v3
	s_mov_b64 s[10:11], 0
	v_mov_b32_e32 v4, s90
	s_xor_b64 s[14:15], vcc, -1
                                        ; implicit-def: $sgpr12_sgpr13
                                        ; implicit-def: $sgpr18_sgpr19
                                        ; implicit-def: $sgpr16_sgpr17
	s_branch .LBB66_256
.LBB66_255:                             ;   in Loop: Header=BB66_256 Depth=1
	s_or_b64 exec, exec, s[2:3]
	s_and_b64 s[0:1], exec, s[18:19]
	s_or_b64 s[10:11], s[0:1], s[10:11]
	s_andn2_b64 s[0:1], s[12:13], exec
	s_and_b64 s[2:3], s[16:17], exec
	s_or_b64 s[12:13], s[0:1], s[2:3]
	s_andn2_b64 exec, exec, s[10:11]
	s_cbranch_execz .LBB66_258
.LBB66_256:                             ; =>This Inner Loop Header: Depth=1
	v_ashrrev_i32_e32 v7, 31, v6
	v_lshlrev_b64 v[8:9], 1, v[6:7]
	v_add_co_u32_e32 v8, vcc, s70, v8
	v_addc_co_u32_e32 v9, vcc, v4, v9, vcc
	global_load_ushort v5, v[8:9], off
	v_mov_b32_e32 v2, v0
	s_or_b64 s[16:17], s[16:17], exec
	s_or_b64 s[18:19], s[18:19], exec
	s_waitcnt vmcnt(0)
	v_lshlrev_b32_e32 v0, 16, v5
	v_cmp_o_f32_e64 s[2:3], v0, v0
	v_cmp_neq_f32_e32 vcc, v0, v3
	s_or_b64 s[0:1], s[14:15], s[2:3]
	s_and_b64 s[0:1], vcc, s[0:1]
                                        ; implicit-def: $vgpr0
	s_and_saveexec_b64 s[2:3], s[0:1]
	s_cbranch_execz .LBB66_255
; %bb.257:                              ;   in Loop: Header=BB66_256 Depth=1
	v_add_u32_e32 v0, s33, v2
	v_cmp_ge_i32_e32 vcc, v0, v1
	s_andn2_b64 s[0:1], s[18:19], exec
	s_and_b64 s[18:19], vcc, exec
	v_add_u32_e32 v6, s91, v6
	s_andn2_b64 s[16:17], s[16:17], exec
	s_or_b64 s[18:19], s[0:1], s[18:19]
	s_branch .LBB66_255
.LBB66_258:
	s_or_b64 exec, exec, s[10:11]
	s_and_saveexec_b64 s[0:1], s[12:13]
	s_xor_b64 s[0:1], exec, s[0:1]
	s_cbranch_execz .LBB66_263
; %bb.259:
	s_mov_b64 s[2:3], exec
	s_brev_b32 s0, -2
.LBB66_260:                             ; =>This Inner Loop Header: Depth=1
	s_ff1_i32_b64 s1, s[2:3]
	v_readlane_b32 s12, v2, s1
	s_lshl_b64 s[10:11], 1, s1
	s_min_i32 s0, s0, s12
	s_andn2_b64 s[2:3], s[2:3], s[10:11]
	s_cmp_lg_u64 s[2:3], 0
	s_cbranch_scc1 .LBB66_260
; %bb.261:
	v_mbcnt_lo_u32_b32 v0, exec_lo, 0
	v_mbcnt_hi_u32_b32 v0, exec_hi, v0
	v_cmp_eq_u32_e32 vcc, 0, v0
	s_and_saveexec_b64 s[2:3], vcc
	s_xor_b64 s[2:3], exec, s[2:3]
	s_cbranch_execz .LBB66_263
; %bb.262:
	v_mov_b32_e32 v0, 0
	v_mov_b32_e32 v1, s0
	ds_min_i32 v0, v1 offset:4108
.LBB66_263:
	s_or_b64 exec, exec, s[8:9]
	s_waitcnt lgkmcnt(0)
	s_barrier
	s_mov_b64 s[2:3], exec
	v_readlane_b32 s0, v52, 18
	v_readlane_b32 s1, v52, 19
	s_and_b64 s[0:1], s[2:3], s[0:1]
	s_mov_b64 exec, s[0:1]
	s_cbranch_execz .LBB66_265
; %bb.264:
	v_readlane_b32 s8, v52, 0
	s_mul_i32 s0, s21, s23
	v_readlane_b32 s10, v52, 2
	s_sub_i32 s0, s20, s0
	v_readlane_b32 s9, v52, 1
	v_readlane_b32 s11, v52, 3
	s_mov_b32 s14, s10
	s_mov_b64 s[12:13], s[8:9]
	s_mul_i32 s0, s0, s14
	v_readlane_b32 s1, v52, 21
	v_readlane_b32 s8, v52, 24
	;; [unrolled: 1-line block ×4, first 2 shown]
	s_xor_b32 s1, s1, s8
	s_mul_i32 s8, s14, s11
	v_readlane_b32 s9, v52, 13
	s_sub_i32 s8, s9, s8
	s_add_i32 s9, s14, 1
	s_sub_i32 s10, s8, s11
	s_cmp_ge_u32 s8, s11
	s_cselect_b32 s9, s9, s14
	s_cselect_b32 s8, s10, s8
	s_add_i32 s10, s9, 1
	s_cmp_ge_u32 s8, s11
	s_cselect_b32 s8, s10, s9
	s_xor_b32 s8, s8, s1
	s_sub_i32 s1, s8, s1
	s_mul_i32 s8, s1, s22
	s_sub_i32 s8, s21, s8
	s_mul_i32 s8, s8, s13
	s_add_i32 s0, s8, s0
	s_mul_i32 s1, s1, s12
	v_readlane_b32 s8, v52, 4
	s_add_i32 s0, s0, s1
	s_mul_i32 s1, s26, s25
	v_readlane_b32 s10, v52, 6
	s_sub_i32 s1, s20, s1
	v_readlane_b32 s9, v52, 5
	s_mov_b32 s14, s10
	s_mov_b64 s[12:13], s[8:9]
	s_mul_i32 s1, s1, s14
	v_readlane_b32 s8, v52, 26
	v_readlane_b32 s9, v52, 29
	;; [unrolled: 1-line block ×4, first 2 shown]
	s_xor_b32 s8, s8, s9
	s_mul_i32 s9, s15, s14
	v_readlane_b32 s10, v52, 16
	v_readlane_b32 s11, v52, 7
	s_sub_i32 s9, s10, s9
	s_add_i32 s10, s15, 1
	s_sub_i32 s11, s9, s14
	s_cmp_ge_u32 s9, s14
	s_cselect_b32 s10, s10, s15
	s_cselect_b32 s9, s11, s9
	s_add_i32 s11, s10, 1
	s_cmp_ge_u32 s9, s14
	s_cselect_b32 s9, s11, s10
	s_xor_b32 s9, s9, s8
	s_sub_i32 s8, s9, s8
	s_mul_i32 s9, s8, s24
	s_sub_i32 s9, s26, s9
	s_mul_i32 s9, s9, s13
	s_add_i32 s1, s9, s1
	s_mul_i32 s8, s8, s12
	s_add_i32 s8, s1, s8
	s_ashr_i32 s1, s0, 31
	v_mov_b32_e32 v2, 0
	s_lshl_b64 s[0:1], s[0:1], 1
	v_readlane_b32 s10, v52, 11
	ds_read_b32 v0, v2 offset:4108
	v_readlane_b32 s11, v52, 12
	s_add_u32 s0, s10, s0
	s_addc_u32 s1, s11, s1
	s_ashr_i32 s9, s8, 31
	s_lshl_b64 s[8:9], s[8:9], 3
	v_readlane_b32 s10, v52, 8
	v_readlane_b32 s11, v52, 9
	s_add_u32 s8, s10, s8
	s_addc_u32 s9, s11, s9
	s_waitcnt lgkmcnt(0)
	v_ashrrev_i32_e32 v1, 31, v0
	global_store_dwordx2 v2, v[0:1], s[8:9]
	global_store_short v2, v38, s[0:1]
.LBB66_265:
	s_or_b64 exec, exec, s[2:3]
.LBB66_266:
	s_or_saveexec_b64 s[0:1], s[6:7]
	s_mov_b64 s[2:3], 0
	s_xor_b64 exec, exec, s[0:1]
	s_cbranch_execnz .LBB66_269
.LBB66_267:
	s_or_b64 exec, exec, s[0:1]
	s_and_b64 s[2:3], s[2:3], exec
	s_andn2_saveexec_b64 s[0:1], s[4:5]
	s_cbranch_execz .LBB66_245
.LBB66_268:
	s_or_b64 s[2:3], s[2:3], exec
	s_trap 2
	s_or_b64 exec, exec, s[0:1]
	s_and_saveexec_b64 s[0:1], s[2:3]
	s_cbranch_execnz .LBB66_246
	s_branch .LBB66_247
.LBB66_269:
	s_mov_b64 s[2:3], exec
	s_trap 2
	s_branch .LBB66_267
	.section	.rodata,"a",@progbits
	.p2align	6, 0x0
	.amdhsa_kernel _ZN2at6native12_GLOBAL__N_114gatherKthValueIN3c108BFloat16EiLi3EEEvNS_4cuda6detail10TensorInfoIKT_T0_EESA_SA_SA_SA_NS7_IS8_SA_EENS7_IlSA_EE
		.amdhsa_group_segment_fixed_size 4112
		.amdhsa_private_segment_fixed_size 0
		.amdhsa_kernarg_size 920
		.amdhsa_user_sgpr_count 6
		.amdhsa_user_sgpr_private_segment_buffer 1
		.amdhsa_user_sgpr_dispatch_ptr 0
		.amdhsa_user_sgpr_queue_ptr 0
		.amdhsa_user_sgpr_kernarg_segment_ptr 1
		.amdhsa_user_sgpr_dispatch_id 0
		.amdhsa_user_sgpr_flat_scratch_init 0
		.amdhsa_user_sgpr_kernarg_preload_length 0
		.amdhsa_user_sgpr_kernarg_preload_offset 0
		.amdhsa_user_sgpr_private_segment_size 0
		.amdhsa_uses_dynamic_stack 0
		.amdhsa_system_sgpr_private_segment_wavefront_offset 0
		.amdhsa_system_sgpr_workgroup_id_x 1
		.amdhsa_system_sgpr_workgroup_id_y 1
		.amdhsa_system_sgpr_workgroup_id_z 1
		.amdhsa_system_sgpr_workgroup_info 0
		.amdhsa_system_vgpr_workitem_id 0
		.amdhsa_next_free_vgpr 53
		.amdhsa_next_free_sgpr 96
		.amdhsa_accum_offset 56
		.amdhsa_reserve_vcc 1
		.amdhsa_reserve_flat_scratch 0
		.amdhsa_float_round_mode_32 0
		.amdhsa_float_round_mode_16_64 0
		.amdhsa_float_denorm_mode_32 3
		.amdhsa_float_denorm_mode_16_64 3
		.amdhsa_dx10_clamp 1
		.amdhsa_ieee_mode 1
		.amdhsa_fp16_overflow 0
		.amdhsa_tg_split 0
		.amdhsa_exception_fp_ieee_invalid_op 0
		.amdhsa_exception_fp_denorm_src 0
		.amdhsa_exception_fp_ieee_div_zero 0
		.amdhsa_exception_fp_ieee_overflow 0
		.amdhsa_exception_fp_ieee_underflow 0
		.amdhsa_exception_fp_ieee_inexact 0
		.amdhsa_exception_int_div_zero 0
	.end_amdhsa_kernel
	.section	.text._ZN2at6native12_GLOBAL__N_114gatherKthValueIN3c108BFloat16EiLi3EEEvNS_4cuda6detail10TensorInfoIKT_T0_EESA_SA_SA_SA_NS7_IS8_SA_EENS7_IlSA_EE,"axG",@progbits,_ZN2at6native12_GLOBAL__N_114gatherKthValueIN3c108BFloat16EiLi3EEEvNS_4cuda6detail10TensorInfoIKT_T0_EESA_SA_SA_SA_NS7_IS8_SA_EENS7_IlSA_EE,comdat
.Lfunc_end66:
	.size	_ZN2at6native12_GLOBAL__N_114gatherKthValueIN3c108BFloat16EiLi3EEEvNS_4cuda6detail10TensorInfoIKT_T0_EESA_SA_SA_SA_NS7_IS8_SA_EENS7_IlSA_EE, .Lfunc_end66-_ZN2at6native12_GLOBAL__N_114gatherKthValueIN3c108BFloat16EiLi3EEEvNS_4cuda6detail10TensorInfoIKT_T0_EESA_SA_SA_SA_NS7_IS8_SA_EENS7_IlSA_EE
                                        ; -- End function
	.section	.AMDGPU.csdata,"",@progbits
; Kernel info:
; codeLenInByte = 11716
; NumSgprs: 100
; NumVgprs: 53
; NumAgprs: 0
; TotalNumVgprs: 53
; ScratchSize: 0
; MemoryBound: 0
; FloatMode: 240
; IeeeMode: 1
; LDSByteSize: 4112 bytes/workgroup (compile time only)
; SGPRBlocks: 12
; VGPRBlocks: 6
; NumSGPRsForWavesPerEU: 100
; NumVGPRsForWavesPerEU: 53
; AccumOffset: 56
; Occupancy: 8
; WaveLimiterHint : 1
; COMPUTE_PGM_RSRC2:SCRATCH_EN: 0
; COMPUTE_PGM_RSRC2:USER_SGPR: 6
; COMPUTE_PGM_RSRC2:TRAP_HANDLER: 0
; COMPUTE_PGM_RSRC2:TGID_X_EN: 1
; COMPUTE_PGM_RSRC2:TGID_Y_EN: 1
; COMPUTE_PGM_RSRC2:TGID_Z_EN: 1
; COMPUTE_PGM_RSRC2:TIDIG_COMP_CNT: 0
; COMPUTE_PGM_RSRC3_GFX90A:ACCUM_OFFSET: 13
; COMPUTE_PGM_RSRC3_GFX90A:TG_SPLIT: 0
	.section	.text._ZN2at6native12_GLOBAL__N_114gatherKthValueIN3c108BFloat16EiLin1EEEvNS_4cuda6detail10TensorInfoIKT_T0_EESA_SA_SA_SA_NS7_IS8_SA_EENS7_IlSA_EE,"axG",@progbits,_ZN2at6native12_GLOBAL__N_114gatherKthValueIN3c108BFloat16EiLin1EEEvNS_4cuda6detail10TensorInfoIKT_T0_EESA_SA_SA_SA_NS7_IS8_SA_EENS7_IlSA_EE,comdat
	.globl	_ZN2at6native12_GLOBAL__N_114gatherKthValueIN3c108BFloat16EiLin1EEEvNS_4cuda6detail10TensorInfoIKT_T0_EESA_SA_SA_SA_NS7_IS8_SA_EENS7_IlSA_EE ; -- Begin function _ZN2at6native12_GLOBAL__N_114gatherKthValueIN3c108BFloat16EiLin1EEEvNS_4cuda6detail10TensorInfoIKT_T0_EESA_SA_SA_SA_NS7_IS8_SA_EENS7_IlSA_EE
	.p2align	8
	.type	_ZN2at6native12_GLOBAL__N_114gatherKthValueIN3c108BFloat16EiLin1EEEvNS_4cuda6detail10TensorInfoIKT_T0_EESA_SA_SA_SA_NS7_IS8_SA_EENS7_IlSA_EE,@function
_ZN2at6native12_GLOBAL__N_114gatherKthValueIN3c108BFloat16EiLin1EEEvNS_4cuda6detail10TensorInfoIKT_T0_EESA_SA_SA_SA_NS7_IS8_SA_EENS7_IlSA_EE: ; @_ZN2at6native12_GLOBAL__N_114gatherKthValueIN3c108BFloat16EiLin1EEEvNS_4cuda6detail10TensorInfoIKT_T0_EESA_SA_SA_SA_NS7_IS8_SA_EENS7_IlSA_EE
; %bb.0:
	s_load_dwordx2 s[12:13], s[4:5], 0x298
	s_load_dwordx4 s[60:63], s[4:5], 0xd8
	s_add_u32 s10, s4, 0x298
	s_addc_u32 s11, s5, 0
	s_waitcnt lgkmcnt(0)
	s_mul_i32 s0, s13, s8
	s_add_i32 s0, s0, s7
	s_mul_i32 s0, s0, s12
	s_add_i32 s33, s0, s6
	s_cmp_ge_i32 s33, s62
	s_cbranch_scc1 .LBB67_256
; %bb.1:
	s_load_dword s0, s[4:5], 0xd0
	s_mov_b32 s3, 0
	s_mov_b32 s2, s33
	s_waitcnt lgkmcnt(0)
	s_cmp_lt_i32 s0, 2
	s_cbranch_scc1 .LBB67_4
; %bb.2:
	s_add_i32 s2, s0, -1
	s_add_i32 s7, s0, 1
	s_lshl_b64 s[0:1], s[2:3], 2
	s_add_u32 s0, s0, s4
	s_addc_u32 s1, s1, s5
	s_add_u32 s0, s0, 8
	s_addc_u32 s1, s1, 0
	s_mov_b32 s2, s33
.LBB67_3:                               ; =>This Inner Loop Header: Depth=1
	s_load_dword s8, s[0:1], 0x0
	s_load_dword s13, s[0:1], 0x64
	s_mov_b32 s9, s2
	s_abs_i32 s2, s2
	s_waitcnt lgkmcnt(0)
	s_abs_i32 s15, s8
	v_cvt_f32_u32_e32 v1, s15
	s_sub_i32 s16, 0, s15
	s_xor_b32 s14, s9, s8
	s_ashr_i32 s14, s14, 31
	v_rcp_iflag_f32_e32 v1, v1
	v_mul_f32_e32 v1, 0x4f7ffffe, v1
	v_cvt_u32_f32_e32 v1, v1
	v_readfirstlane_b32 s17, v1
	s_mul_i32 s16, s16, s17
	s_mul_hi_u32 s16, s17, s16
	s_add_i32 s17, s17, s16
	s_mul_hi_u32 s16, s2, s17
	s_mul_i32 s17, s16, s15
	s_sub_i32 s2, s2, s17
	s_add_i32 s18, s16, 1
	s_sub_i32 s17, s2, s15
	s_cmp_ge_u32 s2, s15
	s_cselect_b32 s16, s18, s16
	s_cselect_b32 s2, s17, s2
	s_add_i32 s17, s16, 1
	s_cmp_ge_u32 s2, s15
	s_cselect_b32 s2, s17, s16
	s_xor_b32 s2, s2, s14
	s_sub_i32 s2, s2, s14
	s_mul_i32 s8, s2, s8
	s_sub_i32 s8, s9, s8
	s_mul_i32 s8, s13, s8
	s_add_i32 s7, s7, -1
	s_add_i32 s3, s8, s3
	s_add_u32 s0, s0, -4
	s_addc_u32 s1, s1, -1
	s_cmp_gt_u32 s7, 2
	s_cbranch_scc1 .LBB67_3
.LBB67_4:
	s_load_dword s8, s[4:5], 0x1b8
	s_add_u32 s0, s4, 0xe8
	s_addc_u32 s1, s5, 0
	s_mov_b32 s65, 0
	s_mov_b32 s62, s33
	s_waitcnt lgkmcnt(0)
	s_cmp_lt_i32 s8, 2
	s_cbranch_scc1 .LBB67_7
; %bb.5:
	s_add_i32 s64, s8, -1
	s_add_i32 s7, s8, 1
	s_lshl_b64 s[8:9], s[64:65], 2
	s_add_u32 s8, s8, s0
	s_addc_u32 s9, s9, s1
	s_add_u32 s8, s8, 8
	s_addc_u32 s9, s9, 0
	s_mov_b32 s62, s33
.LBB67_6:                               ; =>This Inner Loop Header: Depth=1
	s_load_dword s13, s[8:9], 0x0
	s_load_dword s15, s[8:9], 0x64
	s_abs_i32 s16, s62
	s_mov_b32 s14, s62
	s_waitcnt lgkmcnt(0)
	s_abs_i32 s18, s13
	v_cvt_f32_u32_e32 v1, s18
	s_sub_i32 s19, 0, s18
	s_xor_b32 s17, s62, s13
	s_ashr_i32 s17, s17, 31
	v_rcp_iflag_f32_e32 v1, v1
	v_mul_f32_e32 v1, 0x4f7ffffe, v1
	v_cvt_u32_f32_e32 v1, v1
	v_readfirstlane_b32 s20, v1
	s_mul_i32 s19, s19, s20
	s_mul_hi_u32 s19, s20, s19
	s_add_i32 s20, s20, s19
	s_mul_hi_u32 s19, s16, s20
	s_mul_i32 s20, s19, s18
	s_sub_i32 s16, s16, s20
	s_add_i32 s21, s19, 1
	s_sub_i32 s20, s16, s18
	s_cmp_ge_u32 s16, s18
	s_cselect_b32 s19, s21, s19
	s_cselect_b32 s16, s20, s16
	s_add_i32 s20, s19, 1
	s_cmp_ge_u32 s16, s18
	s_cselect_b32 s16, s20, s19
	s_xor_b32 s16, s16, s17
	s_sub_i32 s62, s16, s17
	s_mul_i32 s13, s62, s13
	s_sub_i32 s13, s14, s13
	s_mul_i32 s13, s15, s13
	s_add_i32 s7, s7, -1
	s_add_i32 s65, s13, s65
	s_add_u32 s8, s8, -4
	s_addc_u32 s9, s9, -1
	s_cmp_gt_u32 s7, 2
	s_cbranch_scc1 .LBB67_6
.LBB67_7:
	s_load_dword s7, s[4:5], 0x6c
	s_load_dword s14, s[4:5], 0x290
	s_add_u32 s8, s4, 0x1c0
	s_addc_u32 s9, s5, 0
	s_mov_b32 s67, 0
	s_waitcnt lgkmcnt(0)
	s_cmp_lt_i32 s14, 2
	s_cbranch_scc1 .LBB67_10
; %bb.8:
	s_add_i32 s66, s14, -1
	s_add_i32 s13, s14, 1
	s_lshl_b64 s[14:15], s[66:67], 2
	s_add_u32 s8, s14, s8
	s_addc_u32 s9, s15, s9
	s_add_u32 s8, s8, 8
	s_addc_u32 s9, s9, 0
.LBB67_9:                               ; =>This Inner Loop Header: Depth=1
	s_load_dword s14, s[8:9], 0x0
	s_load_dword s16, s[8:9], 0x64
	s_abs_i32 s17, s33
	s_mov_b32 s15, s33
	s_waitcnt lgkmcnt(0)
	s_abs_i32 s19, s14
	v_cvt_f32_u32_e32 v1, s19
	s_sub_i32 s20, 0, s19
	s_xor_b32 s18, s33, s14
	s_ashr_i32 s18, s18, 31
	v_rcp_iflag_f32_e32 v1, v1
	v_mul_f32_e32 v1, 0x4f7ffffe, v1
	v_cvt_u32_f32_e32 v1, v1
	v_readfirstlane_b32 s21, v1
	s_mul_i32 s20, s20, s21
	s_mul_hi_u32 s20, s21, s20
	s_add_i32 s21, s21, s20
	s_mul_hi_u32 s20, s17, s21
	s_mul_i32 s21, s20, s19
	s_sub_i32 s17, s17, s21
	s_add_i32 s22, s20, 1
	s_sub_i32 s21, s17, s19
	s_cmp_ge_u32 s17, s19
	s_cselect_b32 s20, s22, s20
	s_cselect_b32 s17, s21, s17
	s_add_i32 s21, s20, 1
	s_cmp_ge_u32 s17, s19
	s_cselect_b32 s17, s21, s20
	s_xor_b32 s17, s17, s18
	s_sub_i32 s33, s17, s18
	s_mul_i32 s14, s33, s14
	s_sub_i32 s14, s15, s14
	s_mul_i32 s14, s16, s14
	s_add_i32 s13, s13, -1
	s_add_i32 s67, s14, s67
	s_add_u32 s8, s8, -4
	s_addc_u32 s9, s9, -1
	s_cmp_gt_u32 s13, 2
	s_cbranch_scc1 .LBB67_9
.LBB67_10:
	s_load_dword s0, s[0:1], 0x6c
                                        ; implicit-def: $vgpr52 : SGPR spill to VGPR lane
	s_mov_b32 s56, 0
	s_waitcnt lgkmcnt(0)
	v_writelane_b32 v52, s0, 0
	s_load_dwordx2 s[8:9], s[4:5], 0x0
	s_load_dwordx2 s[0:1], s[4:5], 0xe8
	s_waitcnt lgkmcnt(0)
	v_writelane_b32 v52, s0, 1
	v_writelane_b32 v52, s1, 2
	s_load_dwordx2 s[0:1], s[4:5], 0x1c0
	s_waitcnt lgkmcnt(0)
	v_writelane_b32 v52, s0, 3
	v_writelane_b32 v52, s1, 4
	v_cmp_eq_u32_e64 s[0:1], 0, v0
	s_mov_b64 s[14:15], exec
	v_writelane_b32 v52, s0, 5
	v_writelane_b32 v52, s1, 6
	s_and_b64 s[0:1], s[14:15], s[0:1]
	s_mov_b64 exec, s[0:1]
	s_cbranch_execz .LBB67_12
; %bb.11:
	v_mov_b32_e32 v2, 0
	v_mov_b32_e32 v3, s60
	;; [unrolled: 1-line block ×3, first 2 shown]
	ds_write_b96 v2, v[2:4] offset:4096
.LBB67_12:
	s_or_b64 exec, exec, s[14:15]
	s_load_dword s0, s[4:5], 0x22c
	s_waitcnt lgkmcnt(0)
	s_barrier
	v_mbcnt_lo_u32_b32 v1, -1, 0
	v_writelane_b32 v52, s0, 7
	s_mul_i32 s0, s7, s2
	s_load_dword s2, s[10:11], 0xc
	s_add_i32 s0, s0, s3
	s_ashr_i32 s1, s0, 31
	s_lshl_b64 s[0:1], s[0:1], 1
	s_add_u32 s64, s8, s0
	s_addc_u32 s80, s9, s1
	s_waitcnt lgkmcnt(0)
	s_and_b32 s66, s2, 0xffff
	v_mbcnt_hi_u32_b32 v13, -1, v1
	s_bfe_u32 s4, s2, 0xa0006
	v_cmp_gt_u32_e32 vcc, 64, v0
	v_cmp_gt_i32_e64 s[2:3], 4, v13
	s_add_i32 s0, s66, -1
	s_lshl_b32 s8, s66, 2
	s_and_b64 s[74:75], vcc, s[2:3]
	s_add_i32 s9, s0, s60
	s_cmpk_gt_i32 s60, 0x600
	v_writelane_b32 v52, s0, 8
	s_cselect_b64 s[0:1], -1, 0
	v_writelane_b32 v52, s0, 9
	s_cmp_gt_u32 s66, 63
	v_writelane_b32 v52, s1, 10
	s_cselect_b64 s[0:1], -1, 0
	v_writelane_b32 v52, s0, 11
	s_cmp_lt_u32 s6, s12
	v_writelane_b32 v52, s1, 12
	s_cselect_b32 s0, 12, 18
	s_add_u32 s0, s10, s0
	s_addc_u32 s1, s11, 0
	v_writelane_b32 v52, s0, 13
	v_writelane_b32 v52, s1, 14
	s_add_i32 s0, s4, -2
	s_lshr_b32 s1, s0, 1
	s_add_i32 s1, s1, 1
	s_cmpk_gt_u32 s66, 0x7f
	s_cselect_b64 s[2:3], -1, 0
	v_writelane_b32 v52, s2, 15
	v_mov_b32_e32 v9, 0
	v_writelane_b32 v52, s3, 16
	v_cmp_gt_u32_e64 s[6:7], 2, v0
	v_writelane_b32 v52, s6, 17
	v_mul_lo_u32 v6, v0, s63
	v_mov_b32_e32 v7, v9
	v_writelane_b32 v52, s7, 18
	v_lshlrev_b64 v[2:3], 1, v[6:7]
	v_cmp_gt_u32_e64 s[6:7], s60, v0
	v_mov_b32_e32 v7, s80
	v_add_co_u32_e32 v10, vcc, s64, v2
	v_writelane_b32 v52, s6, 19
	v_addc_co_u32_e32 v11, vcc, v7, v3, vcc
	v_writelane_b32 v52, s7, 20
	v_cmp_gt_i32_e64 s[6:7], s60, v0
	v_lshlrev_b64 v[2:3], v13, -1
	v_writelane_b32 v52, s6, 21
	v_not_b32_e32 v12, v2
	v_cvt_f32_u32_e32 v2, s8
	v_writelane_b32 v52, s7, 22
	s_and_b32 s6, s4, 0x3fe
	s_and_b32 s7, s1, 7
	s_cmp_gt_u32 s0, 13
	s_cselect_b64 s[10:11], -1, 0
	v_writelane_b32 v52, s10, 23
	v_rcp_iflag_f32_e32 v2, v2
	v_writelane_b32 v52, s11, 24
	s_and_b32 s0, s1, -8
	v_writelane_b32 v52, s0, 25
	s_cmp_lg_u32 s7, 0
	v_writelane_b32 v52, s7, 26
	s_cselect_b64 s[0:1], -1, 0
	v_writelane_b32 v52, s0, 27
	v_mul_f32_e32 v2, 0x4f7ffffe, v2
	v_writelane_b32 v52, s1, 28
	v_cvt_u32_f32_e32 v2, v2
	v_writelane_b32 v52, s4, 29
	s_cmp_lg_u32 s6, s4
	v_writelane_b32 v52, s6, 30
	s_cselect_b64 s[0:1], -1, 0
	v_writelane_b32 v52, s0, 31
	v_writelane_b32 v52, s1, 32
	s_sub_i32 s0, 0, s8
	v_readfirstlane_b32 s1, v2
	s_mul_i32 s0, s0, s1
	s_mul_hi_u32 s0, s1, s0
	s_add_i32 s0, s1, s0
	s_mov_b32 s5, s0
	s_mul_hi_u32 s0, s60, s0
	s_mul_i32 s0, s0, s8
	s_sub_i32 s0, s60, s0
	s_sub_i32 s1, s0, s8
	s_cmp_ge_u32 s0, s8
	s_cselect_b32 s0, s1, s0
	s_sub_i32 s1, s0, s8
	v_cvt_f32_u32_e32 v5, s66
	s_cmp_ge_u32 s0, s8
	s_cselect_b32 s1, s1, s0
	s_sub_i32 s17, s60, s1
	v_add_u32_e32 v25, s17, v0
	v_rcp_iflag_f32_e32 v5, v5
	v_lshrrev_b32_e32 v1, 4, v0
	v_mul_lo_u32 v2, v25, s63
	v_lshlrev_b32_e32 v20, 2, v0
	v_and_b32_e32 v23, 60, v1
	v_not_b32_e32 v1, v3
	v_ashrrev_i32_e32 v3, 31, v2
	v_cmp_gt_i32_e64 s[6:7], s17, v20
	v_lshlrev_b64 v[2:3], 1, v[2:3]
	v_writelane_b32 v52, s6, 33
	v_add_co_u32_e32 v14, vcc, s64, v2
	v_mul_f32_e32 v2, 0x4f7ffffe, v5
	v_writelane_b32 v52, s7, 34
	v_cmp_gt_u32_e64 s[6:7], s60, v25
	v_cvt_u32_f32_e32 v2, v2
	v_writelane_b32 v52, s6, 35
	v_writelane_b32 v52, s7, 36
	v_cmp_gt_i32_e64 s[6:7], s60, v25
	v_writelane_b32 v52, s6, 37
	v_writelane_b32 v52, s7, 38
	s_sub_i32 s7, 0, s66
	v_readfirstlane_b32 s10, v2
	s_mul_i32 s7, s7, s10
	s_mul_hi_u32 s7, s10, s7
	s_abs_i32 s6, s9
	s_add_i32 s4, s10, s7
	s_mul_hi_u32 s7, s6, s4
	s_mul_i32 s7, s7, s66
	s_sub_i32 s6, s6, s7
	s_ashr_i32 s0, s9, 31
	s_sub_i32 s7, s6, s66
	s_cmp_ge_u32 s6, s66
	s_cselect_b32 s6, s7, s6
	s_sub_i32 s7, s6, s66
	s_cmp_ge_u32 s6, s66
	s_cselect_b32 s6, s7, s6
	s_xor_b32 s6, s6, s0
	s_sub_i32 s0, s0, s6
	s_add_i32 s9, s9, s0
	v_writelane_b32 v52, s4, 39
	v_cmp_gt_i32_e64 s[6:7], s9, v0
	v_mul_lo_u32 v2, s63, v20
	v_writelane_b32 v52, s6, 40
	v_add_u32_e32 v26, s63, v2
	v_or_b32_e32 v2, 2, v20
	v_writelane_b32 v52, s7, 41
	v_mul_lo_u32 v27, s63, v2
	v_or_b32_e32 v2, 3, v20
	s_add_i32 s6, s66, s60
	v_mul_lo_u32 v28, s63, v2
	v_add_u32_e32 v2, s6, v0
	v_lshlrev_b32_e32 v21, 1, v0
	v_lshlrev_b32_e32 v4, 2, v13
	v_mov_b32_e32 v8, s80
	s_mul_i32 s81, s63, s66
	v_subrev_u32_e32 v2, s1, v2
	v_cmp_eq_u32_e64 s[2:3], 0, v13
	v_add_u32_e32 v22, 0xc00, v21
	v_and_b32_e32 v24, 0x100, v4
	v_addc_co_u32_e32 v15, vcc, v8, v3, vcc
	s_lshl_b32 s0, s81, 2
	v_lshlrev_b32_e32 v29, 2, v6
	v_mul_lo_u32 v30, s63, v2
	v_lshlrev_b32_e32 v31, 3, v0
	s_lshl_b32 s1, s66, 3
	s_lshl_b32 s76, s66, 1
	v_or_b32_e32 v32, 0xc00, v4
	s_mov_b32 s78, 14
	s_mov_b64 s[90:91], 0
	s_movk_i32 s77, 0x3f80
	v_mov_b32_e32 v33, 0xffff
	v_mov_b32_e32 v34, 0x8000
	v_mov_b32_e32 v35, -1
	v_mov_b32_e32 v36, 0xc00
	v_mov_b32_e32 v37, 0x5040100
	;; [unrolled: 1-line block ×3, first 2 shown]
	s_mov_b32 s79, 0
	s_mov_b32 s11, 0
	;; [unrolled: 1-line block ×3, first 2 shown]
                                        ; implicit-def: $sgpr92_sgpr93
                                        ; implicit-def: $sgpr68_sgpr69
                                        ; implicit-def: $sgpr94_sgpr95
                                        ; implicit-def: $sgpr70_sgpr71
                                        ; implicit-def: $sgpr84_sgpr85
                                        ; implicit-def: $sgpr86_sgpr87
	s_branch .LBB67_17
.LBB67_13:                              ;   in Loop: Header=BB67_17 Depth=1
	s_xor_b32 s79, s79, 1
	s_add_i32 s12, s78, -2
	s_cmp_eq_u32 s78, 0
	s_mov_b64 s[18:19], 0
	s_cselect_b64 s[22:23], -1, 0
	s_mov_b32 s78, s12
.LBB67_14:                              ;   in Loop: Header=BB67_17 Depth=1
	s_andn2_b64 s[12:13], s[26:27], exec
	s_and_b64 s[14:15], s[18:19], exec
	s_or_b64 s[26:27], s[12:13], s[14:15]
	s_andn2_b64 s[28:29], s[28:29], exec
	s_andn2_b64 s[24:25], s[24:25], exec
	s_orn2_b64 s[22:23], s[22:23], exec
	s_mov_b32 s61, s37
.LBB67_15:                              ;   in Loop: Header=BB67_17 Depth=1
	s_or_b64 exec, exec, s[6:7]
	s_andn2_b64 s[6:7], s[86:87], exec
	s_and_b64 s[12:13], s[26:27], exec
	s_or_b64 s[86:87], s[6:7], s[12:13]
	s_andn2_b64 s[6:7], s[84:85], exec
	s_and_b64 s[12:13], s[28:29], exec
	s_or_b64 s[84:85], s[6:7], s[12:13]
	;; [unrolled: 3-line block ×3, first 2 shown]
	s_orn2_b64 s[22:23], s[22:23], exec
.LBB67_16:                              ;   in Loop: Header=BB67_17 Depth=1
	s_or_b64 exec, exec, s[20:21]
	s_and_b64 s[6:7], exec, s[22:23]
	s_or_b64 s[90:91], s[6:7], s[90:91]
	s_andn2_b64 s[6:7], s[94:95], exec
	s_and_b64 s[12:13], s[86:87], exec
	s_or_b64 s[94:95], s[6:7], s[12:13]
	s_andn2_b64 s[6:7], s[68:69], exec
	s_and_b64 s[12:13], s[84:85], exec
	;; [unrolled: 3-line block ×3, first 2 shown]
	v_mov_b32_e32 v2, s11
	s_or_b64 s[92:93], s[6:7], s[12:13]
	s_andn2_b64 exec, exec, s[90:91]
	s_cbranch_execz .LBB67_252
.LBB67_17:                              ; =>This Loop Header: Depth=1
                                        ;     Child Loop BB67_22 Depth 2
                                        ;     Child Loop BB67_41 Depth 2
	;; [unrolled: 1-line block ×17, first 2 shown]
	ds_read_b64 v[2:3], v9 offset:4096
	s_waitcnt lgkmcnt(0)
	v_readfirstlane_b32 s73, v2
	s_cmp_gt_i32 s73, 0
	s_cbranch_scc1 .LBB67_48
; %bb.18:                               ;   in Loop: Header=BB67_17 Depth=1
	v_readlane_b32 s6, v52, 9
	v_readlane_b32 s7, v52, 10
	s_and_b64 vcc, exec, s[6:7]
	s_cbranch_vccz .LBB67_30
; %bb.19:                               ;   in Loop: Header=BB67_17 Depth=1
	s_movk_i32 s4, 0x601
	v_cmp_gt_i32_e32 vcc, s4, v3
	s_mov_b64 s[6:7], 0
	s_mov_b64 s[18:19], 0
	s_cbranch_vccz .LBB67_35
; %bb.20:                               ;   in Loop: Header=BB67_17 Depth=1
	v_readlane_b32 s12, v52, 13
	v_readlane_b32 s13, v52, 14
	s_nop 4
	global_load_ushort v2, v9, s[12:13]
	global_load_ushort v4, v[10:11], off
	s_mov_b64 s[20:21], 0
	s_waitcnt vmcnt(1)
	v_add_u32_e32 v5, v0, v2
	v_mul_lo_u32 v3, s63, v2
	v_mul_lo_u32 v8, s63, v5
	v_mov_b32_e32 v5, v0
	s_branch .LBB67_22
.LBB67_21:                              ;   in Loop: Header=BB67_22 Depth=2
	s_or_b64 exec, exec, s[18:19]
	v_cmp_le_i32_e32 vcc, s60, v5
	v_add_u32_e32 v8, v8, v3
	s_or_b64 s[20:21], vcc, s[20:21]
	v_mov_b32_e32 v4, v16
	s_andn2_b64 exec, exec, s[20:21]
	s_cbranch_execz .LBB67_31
.LBB67_22:                              ;   Parent Loop BB67_17 Depth=1
                                        ; =>  This Inner Loop Header: Depth=2
	v_add_u32_e32 v5, v5, v2
	v_cmp_gt_u32_e32 vcc, s60, v5
	s_waitcnt lgkmcnt(0)
	v_mov_b32_e32 v17, 0
	v_mov_b32_e32 v16, 0
	s_and_saveexec_b64 s[18:19], vcc
	s_cbranch_execz .LBB67_24
; %bb.23:                               ;   in Loop: Header=BB67_22 Depth=2
	v_lshlrev_b64 v[18:19], 1, v[8:9]
	v_add_co_u32_e32 v18, vcc, s64, v18
	v_addc_co_u32_e32 v19, vcc, v7, v19, vcc
	global_load_ushort v16, v[18:19], off
.LBB67_24:                              ;   in Loop: Header=BB67_22 Depth=2
	s_or_b64 exec, exec, s[18:19]
	s_waitcnt vmcnt(0)
	v_cmp_lt_i16_e32 vcc, -1, v4
	v_cndmask_b32_e32 v18, v33, v34, vcc
	v_lshlrev_b32_e32 v19, 16, v4
	v_xor_b32_sdwa v18, v18, v4 dst_sel:DWORD dst_unused:UNUSED_PAD src0_sel:DWORD src1_sel:WORD_0
	v_cmp_o_f32_e32 vcc, v19, v19
	v_cndmask_b32_e32 v18, v33, v18, vcc
	v_and_b32_e32 v18, s10, v18
	v_cmp_eq_u32_e32 vcc, s11, v18
	s_cmp_lg_u64 vcc, 0
	s_cselect_b64 s[12:13], -1, 0
	s_and_b64 s[12:13], s[2:3], s[12:13]
	s_and_saveexec_b64 s[22:23], s[12:13]
	s_cbranch_execz .LBB67_28
; %bb.25:                               ;   in Loop: Header=BB67_22 Depth=2
	s_mov_b64 s[26:27], exec
	v_mbcnt_lo_u32_b32 v17, s26, 0
	v_mbcnt_hi_u32_b32 v17, s27, v17
	s_bcnt1_i32_b64 s12, vcc
	v_cmp_eq_u32_e64 s[18:19], 0, v17
                                        ; implicit-def: $vgpr18
	s_and_saveexec_b64 s[24:25], s[18:19]
	s_cbranch_execz .LBB67_27
; %bb.26:                               ;   in Loop: Header=BB67_22 Depth=2
	s_bcnt1_i32_b64 s13, s[26:27]
	s_mul_i32 s13, s12, s13
	v_mov_b32_e32 v18, s13
	ds_add_rtn_u32 v18, v9, v18 offset:4104
.LBB67_27:                              ;   in Loop: Header=BB67_22 Depth=2
	s_or_b64 exec, exec, s[24:25]
	s_waitcnt lgkmcnt(0)
	v_readfirstlane_b32 s13, v18
	v_mov_b32_e32 v18, s13
	v_mad_u32_u24 v17, s12, v17, v18
.LBB67_28:                              ;   in Loop: Header=BB67_22 Depth=2
	s_or_b64 exec, exec, s[22:23]
	ds_bpermute_b32 v17, v24, v17
	s_and_saveexec_b64 s[18:19], vcc
	s_cbranch_execz .LBB67_21
; %bb.29:                               ;   in Loop: Header=BB67_22 Depth=2
	v_and_b32_e32 v19, vcc_lo, v12
	v_and_b32_e32 v18, vcc_hi, v1
	v_bcnt_u32_b32 v19, v19, 0
	v_bcnt_u32_b32 v18, v18, v19
	v_lshlrev_b32_e32 v18, 1, v18
	s_waitcnt lgkmcnt(0)
	v_lshl_add_u32 v17, v17, 1, v18
	ds_write_b16 v17, v4
	s_branch .LBB67_21
.LBB67_30:                              ;   in Loop: Header=BB67_17 Depth=1
	s_mov_b64 s[6:7], -1
	s_mov_b64 s[18:19], 0
	s_branch .LBB67_34
.LBB67_31:                              ;   in Loop: Header=BB67_17 Depth=1
	s_or_b64 exec, exec, s[20:21]
	s_waitcnt lgkmcnt(0)
	s_barrier
	s_mov_b64 s[18:19], exec
	v_readlane_b32 s12, v52, 5
	v_readlane_b32 s13, v52, 6
	s_and_b64 s[12:13], s[18:19], s[12:13]
	s_mov_b64 exec, s[12:13]
	s_cbranch_execz .LBB67_33
; %bb.32:                               ;   in Loop: Header=BB67_17 Depth=1
	ds_read_b32 v2, v9 offset:4104
	s_waitcnt lgkmcnt(0)
	ds_write_b32 v9, v2 offset:4096
.LBB67_33:                              ;   in Loop: Header=BB67_17 Depth=1
	s_or_b64 exec, exec, s[18:19]
	s_waitcnt lgkmcnt(0)
	s_barrier
	s_mov_b64 s[18:19], -1
.LBB67_34:                              ;   in Loop: Header=BB67_17 Depth=1
                                        ; implicit-def: $sgpr73
.LBB67_35:                              ;   in Loop: Header=BB67_17 Depth=1
	s_and_b64 vcc, exec, s[6:7]
	s_cbranch_vccz .LBB67_46
; %bb.36:                               ;   in Loop: Header=BB67_17 Depth=1
	v_mov_b32_e32 v2, 0
	s_mov_b64 s[6:7], exec
	v_readlane_b32 s12, v52, 19
	v_readlane_b32 s13, v52, 20
	s_and_b64 s[12:13], s[6:7], s[12:13]
	s_mov_b64 exec, s[12:13]
	s_cbranch_execz .LBB67_38
; %bb.37:                               ;   in Loop: Header=BB67_17 Depth=1
	global_load_ushort v2, v[10:11], off
.LBB67_38:                              ;   in Loop: Header=BB67_17 Depth=1
	s_or_b64 exec, exec, s[6:7]
	s_mov_b64 s[6:7], exec
	v_readlane_b32 s12, v52, 21
	v_readlane_b32 s13, v52, 22
	s_and_b64 s[12:13], s[6:7], s[12:13]
	s_mov_b64 exec, s[12:13]
	s_cbranch_execz .LBB67_43
; %bb.39:                               ;   in Loop: Header=BB67_17 Depth=1
	v_readlane_b32 s12, v52, 13
	v_readlane_b32 s13, v52, 14
	s_mov_b64 s[18:19], 0
	v_mov_b32_e32 v4, v21
	v_mov_b32_e32 v17, v0
	s_nop 1
	global_load_ushort v3, v9, s[12:13]
	s_waitcnt vmcnt(0)
	v_add_u32_e32 v8, v0, v3
	v_lshlrev_b32_e32 v5, 1, v3
	v_mul_lo_u32 v16, s63, v3
	v_mul_lo_u32 v8, s63, v8
	s_branch .LBB67_41
.LBB67_40:                              ;   in Loop: Header=BB67_41 Depth=2
	s_or_b64 exec, exec, s[20:21]
	v_cmp_le_i32_e32 vcc, s60, v17
	ds_write_b16 v4, v2
	v_add_u32_e32 v4, v4, v5
	v_add_u32_e32 v8, v8, v16
	s_or_b64 s[18:19], vcc, s[18:19]
	s_waitcnt vmcnt(0)
	v_mov_b32_e32 v2, v18
	s_andn2_b64 exec, exec, s[18:19]
	s_cbranch_execz .LBB67_43
.LBB67_41:                              ;   Parent Loop BB67_17 Depth=1
                                        ; =>  This Inner Loop Header: Depth=2
	v_add_u32_e32 v17, v17, v3
	v_cmp_gt_u32_e32 vcc, s60, v17
	v_mov_b32_e32 v18, 0
	s_and_saveexec_b64 s[20:21], vcc
	s_cbranch_execz .LBB67_40
; %bb.42:                               ;   in Loop: Header=BB67_41 Depth=2
	v_lshlrev_b64 v[18:19], 1, v[8:9]
	v_mov_b32_e32 v39, s80
	v_add_co_u32_e32 v18, vcc, s64, v18
	v_addc_co_u32_e32 v19, vcc, v39, v19, vcc
	global_load_ushort v18, v[18:19], off
	s_branch .LBB67_40
.LBB67_43:                              ;   in Loop: Header=BB67_17 Depth=1
	s_or_b64 exec, exec, s[6:7]
	s_waitcnt lgkmcnt(0)
	s_barrier
	s_mov_b64 s[6:7], exec
	v_readlane_b32 s12, v52, 5
	v_readlane_b32 s13, v52, 6
	s_and_b64 s[12:13], s[6:7], s[12:13]
	s_mov_b64 exec, s[12:13]
	s_cbranch_execz .LBB67_45
; %bb.44:                               ;   in Loop: Header=BB67_17 Depth=1
	s_waitcnt vmcnt(0)
	v_mov_b32_e32 v2, s60
	ds_write_b32 v9, v2 offset:4096
.LBB67_45:                              ;   in Loop: Header=BB67_17 Depth=1
	s_or_b64 exec, exec, s[6:7]
	s_mov_b64 s[18:19], -1
	s_waitcnt lgkmcnt(0)
	s_barrier
                                        ; implicit-def: $sgpr73
.LBB67_46:                              ;   in Loop: Header=BB67_17 Depth=1
	s_and_b64 vcc, exec, s[18:19]
	s_cbranch_vccz .LBB67_48
; %bb.47:                               ;   in Loop: Header=BB67_17 Depth=1
	s_waitcnt vmcnt(0)
	ds_read_b32 v2, v9 offset:4096
	s_waitcnt lgkmcnt(0)
	v_readfirstlane_b32 s73, v2
.LBB67_48:                              ;   in Loop: Header=BB67_17 Depth=1
	s_cmp_lt_i32 s73, 1
	s_cbranch_scc0 .LBB67_60
; %bb.49:                               ;   in Loop: Header=BB67_17 Depth=1
	s_waitcnt vmcnt(0)
	v_mov_b32_e32 v2, 0
	s_mov_b32 s6, 0
	v_mov_b32_e32 v3, 0
	v_mov_b32_e32 v4, v2
	;; [unrolled: 1-line block ×3, first 2 shown]
	s_mov_b64 s[88:89], exec
	v_readlane_b32 s12, v52, 33
	v_readlane_b32 s13, v52, 34
	s_and_b64 s[12:13], s[88:89], s[12:13]
	s_mov_b64 exec, s[12:13]
	s_cbranch_execz .LBB67_53
; %bb.50:                               ;   in Loop: Header=BB67_17 Depth=1
	s_mov_b32 s72, s56
	s_and_b32 s7, s78, 0xfe
	s_mov_b64 s[82:83], 0
	s_mov_b32 s12, 0
	s_mov_b32 s13, 0
	;; [unrolled: 1-line block ×4, first 2 shown]
	v_mov_b32_e32 v8, v20
.LBB67_51:                              ;   Parent Loop BB67_17 Depth=1
                                        ; =>  This Inner Loop Header: Depth=2
	v_add_u32_e32 v2, s6, v29
	v_ashrrev_i32_e32 v3, 31, v2
	v_add_u32_e32 v4, s6, v26
	v_lshlrev_b64 v[2:3], 1, v[2:3]
	v_mov_b32_e32 v39, s80
	v_ashrrev_i32_e32 v5, 31, v4
	v_add_co_u32_e64 v2, s[18:19], s64, v2
	v_add_u32_e32 v16, s6, v27
	v_lshlrev_b64 v[4:5], 1, v[4:5]
	v_addc_co_u32_e64 v3, s[18:19], v39, v3, s[18:19]
	v_ashrrev_i32_e32 v17, 31, v16
	v_add_co_u32_e64 v4, s[18:19], s64, v4
	v_add_u32_e32 v18, s6, v28
	v_lshlrev_b64 v[16:17], 1, v[16:17]
	v_addc_co_u32_e64 v5, s[18:19], v39, v5, s[18:19]
	v_ashrrev_i32_e32 v19, 31, v18
	v_add_co_u32_e64 v16, s[18:19], s64, v16
	v_lshlrev_b64 v[18:19], 1, v[18:19]
	v_addc_co_u32_e64 v17, s[18:19], v39, v17, s[18:19]
	v_add_co_u32_e64 v18, s[18:19], s64, v18
	v_addc_co_u32_e64 v19, s[18:19], v39, v19, s[18:19]
	global_load_ushort v2, v[2:3], off
	s_nop 0
	global_load_ushort v3, v[4:5], off
	s_nop 0
	global_load_ushort v4, v[16:17], off
	global_load_ushort v5, v[18:19], off
	v_add_u32_e32 v8, s8, v8
	s_add_i32 s6, s6, s0
	v_cmp_le_i32_e32 vcc, s17, v8
	s_waitcnt vmcnt(3)
	v_cmp_lt_i16_e64 s[18:19], -1, v2
	v_cndmask_b32_e64 v39, v33, v34, s[18:19]
	s_waitcnt vmcnt(2)
	v_cmp_lt_i16_e64 s[18:19], -1, v3
	v_lshlrev_b32_e32 v16, 16, v2
	v_cndmask_b32_e64 v40, v33, v34, s[18:19]
	s_waitcnt vmcnt(1)
	v_cmp_lt_i16_e64 s[18:19], -1, v4
	v_lshlrev_b32_e32 v17, 16, v3
	v_cndmask_b32_e64 v41, v33, v34, s[18:19]
	s_waitcnt vmcnt(0)
	v_cmp_lt_i16_e64 s[18:19], -1, v5
	v_xor_b32_sdwa v2, v39, v2 dst_sel:DWORD dst_unused:UNUSED_PAD src0_sel:DWORD src1_sel:WORD_0
	v_cmp_o_f32_e64 s[24:25], v16, v16
	v_lshlrev_b32_e32 v18, 16, v4
	v_cndmask_b32_e64 v42, v33, v34, s[18:19]
	v_xor_b32_sdwa v3, v40, v3 dst_sel:DWORD dst_unused:UNUSED_PAD src0_sel:DWORD src1_sel:WORD_0
	v_cmp_o_f32_e64 s[18:19], v17, v17
	v_cndmask_b32_e64 v2, v33, v2, s[24:25]
	v_lshlrev_b32_e32 v19, 16, v5
	v_xor_b32_sdwa v4, v41, v4 dst_sel:DWORD dst_unused:UNUSED_PAD src0_sel:DWORD src1_sel:WORD_0
	v_cmp_o_f32_e64 s[20:21], v18, v18
	v_cndmask_b32_e64 v3, v33, v3, s[18:19]
	v_and_b32_e32 v16, s10, v2
	v_bfe_u32 v2, v2, s7, 2
	v_xor_b32_sdwa v5, v42, v5 dst_sel:DWORD dst_unused:UNUSED_PAD src0_sel:DWORD src1_sel:WORD_0
	v_cmp_o_f32_e64 s[22:23], v19, v19
	v_cndmask_b32_e64 v4, v33, v4, s[20:21]
	v_and_b32_e32 v17, s10, v3
	v_bfe_u32 v3, v3, s7, 2
	v_cmp_eq_u32_e64 s[18:19], s11, v16
	v_cmp_eq_u32_e64 s[26:27], 0, v2
	v_cndmask_b32_e64 v5, v33, v5, s[22:23]
	v_and_b32_e32 v18, s10, v4
	v_bfe_u32 v4, v4, s7, 2
	v_cmp_eq_u32_e64 s[20:21], s11, v17
	v_cmp_eq_u32_e64 s[28:29], 0, v3
	s_and_b64 s[26:27], s[18:19], s[26:27]
	v_and_b32_e32 v19, s10, v5
	v_bfe_u32 v5, v5, s7, 2
	v_cmp_eq_u32_e64 s[22:23], s11, v18
	v_cmp_eq_u32_e64 s[30:31], 0, v4
	;; [unrolled: 1-line block ×5, first 2 shown]
	v_cndmask_b32_e64 v2, 0, 1, s[26:27]
	s_and_b64 s[26:27], s[20:21], s[28:29]
	v_cmp_eq_u32_e64 s[24:25], s11, v19
	v_cmp_eq_u32_e64 s[34:35], 0, v5
	;; [unrolled: 1-line block ×5, first 2 shown]
	v_cndmask_b32_e64 v3, 0, 1, s[26:27]
	s_and_b64 s[26:27], s[22:23], s[30:31]
	v_cmp_eq_u32_e64 s[40:41], 1, v4
	v_cmp_eq_u32_e64 s[48:49], 2, v4
	;; [unrolled: 1-line block ×3, first 2 shown]
	v_cndmask_b32_e64 v4, 0, 1, s[26:27]
	s_and_b64 s[26:27], s[24:25], s[34:35]
	v_cmp_eq_u32_e64 s[42:43], 1, v5
	v_cmp_eq_u32_e64 s[50:51], 2, v5
	;; [unrolled: 1-line block ×3, first 2 shown]
	v_cndmask_b32_e64 v5, 0, 1, s[26:27]
	s_and_b64 s[26:27], s[18:19], s[36:37]
	v_cndmask_b32_e64 v16, 0, 1, s[26:27]
	s_and_b64 s[26:27], s[20:21], s[38:39]
	;; [unrolled: 2-line block ×5, first 2 shown]
	s_and_b64 s[18:19], s[18:19], s[52:53]
	v_cndmask_b32_e64 v39, 0, 1, s[26:27]
	s_and_b64 s[26:27], s[20:21], s[46:47]
	v_cndmask_b32_e64 v43, 0, 1, s[18:19]
	;; [unrolled: 2-line block ×7, first 2 shown]
	v_cndmask_b32_e64 v46, 0, 1, s[18:19]
	v_cmp_ne_u32_e64 s[18:19], 0, v2
	v_cmp_ne_u32_e64 s[20:21], 0, v3
	;; [unrolled: 1-line block ×11, first 2 shown]
	s_bcnt1_i32_b64 s16, s[18:19]
	s_bcnt1_i32_b64 s18, s[20:21]
	;; [unrolled: 1-line block ×8, first 2 shown]
	v_cmp_ne_u32_e64 s[40:41], 0, v41
	v_cmp_ne_u32_e64 s[48:49], 0, v45
	s_bcnt1_i32_b64 s23, s[30:31]
	s_bcnt1_i32_b64 s26, s[38:39]
	;; [unrolled: 1-line block ×3, first 2 shown]
	s_add_i32 s15, s15, s16
	s_add_i32 s14, s14, s21
	s_add_i32 s13, s13, s25
	s_add_i32 s12, s12, s29
	v_cmp_ne_u32_e64 s[34:35], 0, v19
	v_cmp_ne_u32_e64 s[42:43], 0, v42
	;; [unrolled: 1-line block ×3, first 2 shown]
	s_bcnt1_i32_b64 s27, s[40:41]
	s_bcnt1_i32_b64 s31, s[48:49]
	s_add_i32 s15, s15, s18
	s_add_i32 s14, s14, s22
	s_add_i32 s13, s13, s26
	s_add_i32 s12, s12, s30
	s_bcnt1_i32_b64 s24, s[34:35]
	s_bcnt1_i32_b64 s28, s[42:43]
	;; [unrolled: 1-line block ×3, first 2 shown]
	s_add_i32 s15, s15, s19
	s_add_i32 s14, s14, s23
	;; [unrolled: 1-line block ×8, first 2 shown]
	s_or_b64 s[82:83], vcc, s[82:83]
	v_mov_b32_e32 v2, s15
	v_mov_b32_e32 v3, s14
	;; [unrolled: 1-line block ×4, first 2 shown]
	s_andn2_b64 exec, exec, s[82:83]
	s_cbranch_execnz .LBB67_51
; %bb.52:                               ;   in Loop: Header=BB67_17 Depth=1
	s_or_b64 exec, exec, s[82:83]
	s_mov_b32 s56, s72
.LBB67_53:                              ;   in Loop: Header=BB67_17 Depth=1
	s_or_b64 exec, exec, s[88:89]
	v_mov_b32_e32 v8, 0
	s_mov_b64 s[6:7], exec
	v_readlane_b32 s12, v52, 35
	v_readlane_b32 s13, v52, 36
	s_and_b64 s[12:13], s[6:7], s[12:13]
	s_mov_b64 exec, s[12:13]
	s_cbranch_execz .LBB67_55
; %bb.54:                               ;   in Loop: Header=BB67_17 Depth=1
	global_load_ushort v8, v[14:15], off
.LBB67_55:                              ;   in Loop: Header=BB67_17 Depth=1
	s_or_b64 exec, exec, s[6:7]
	s_mov_b64 s[6:7], 0
	s_mov_b64 s[88:89], 0
	s_mov_b64 s[20:21], exec
	v_readlane_b32 s12, v52, 37
	v_readlane_b32 s13, v52, 38
	s_and_b64 s[12:13], s[20:21], s[12:13]
	s_mov_b64 exec, s[12:13]
	s_cbranch_execz .LBB67_62
; %bb.56:                               ;   in Loop: Header=BB67_17 Depth=1
	s_and_b32 s12, s78, 0xfe
	s_mov_b64 s[22:23], 0
	v_mov_b32_e32 v16, v30
	v_mov_b32_e32 v18, v25
	s_branch .LBB67_58
.LBB67_57:                              ;   in Loop: Header=BB67_58 Depth=2
	s_or_b64 exec, exec, s[18:19]
	s_waitcnt vmcnt(0)
	v_cmp_lt_i16_e32 vcc, -1, v8
	v_cndmask_b32_e32 v19, v33, v34, vcc
	v_lshlrev_b32_e32 v39, 16, v8
	v_xor_b32_sdwa v8, v19, v8 dst_sel:DWORD dst_unused:UNUSED_PAD src0_sel:DWORD src1_sel:WORD_0
	v_cmp_o_f32_e32 vcc, v39, v39
	v_cndmask_b32_e32 v8, v33, v8, vcc
	v_and_b32_e32 v19, s10, v8
	v_bfe_u32 v8, v8, s12, 2
	v_cmp_eq_u32_e32 vcc, s11, v19
	v_cmp_eq_u32_e64 s[18:19], 0, v8
	s_and_b64 s[14:15], vcc, s[18:19]
	v_cndmask_b32_e64 v19, 0, 1, s[14:15]
	v_cmp_ne_u32_e64 s[18:19], 0, v19
	s_bcnt1_i32_b64 s13, s[18:19]
	v_cmp_eq_u32_e64 s[18:19], 1, v8
	s_and_b64 s[14:15], vcc, s[18:19]
	v_cndmask_b32_e64 v19, 0, 1, s[14:15]
	v_cmp_ne_u32_e64 s[18:19], 0, v19
	v_add_u32_e32 v2, s13, v2
	s_bcnt1_i32_b64 s13, s[18:19]
	v_cmp_eq_u32_e64 s[18:19], 2, v8
	s_and_b64 s[14:15], vcc, s[18:19]
	v_cndmask_b32_e64 v19, 0, 1, s[14:15]
	v_cmp_ne_u32_e64 s[18:19], 0, v19
	v_add_u32_e32 v3, s13, v3
	s_bcnt1_i32_b64 s13, s[18:19]
	v_cmp_eq_u32_e64 s[18:19], 3, v8
	s_and_b64 s[14:15], vcc, s[18:19]
	v_cndmask_b32_e64 v8, 0, 1, s[14:15]
	v_cmp_ne_u32_e32 vcc, 0, v8
	v_add_u32_e32 v4, s13, v4
	s_bcnt1_i32_b64 s13, vcc
	v_cmp_le_i32_e32 vcc, s60, v18
	v_add_u32_e32 v5, s13, v5
	v_add_u32_e32 v16, s81, v16
	s_or_b64 s[22:23], vcc, s[22:23]
	v_mov_b32_e32 v8, v17
	s_andn2_b64 exec, exec, s[22:23]
	s_cbranch_execz .LBB67_61
.LBB67_58:                              ;   Parent Loop BB67_17 Depth=1
                                        ; =>  This Inner Loop Header: Depth=2
	v_add_u32_e32 v18, s66, v18
	v_cmp_gt_u32_e32 vcc, s60, v18
	v_mov_b32_e32 v17, 0
	s_and_saveexec_b64 s[18:19], vcc
	s_cbranch_execz .LBB67_57
; %bb.59:                               ;   in Loop: Header=BB67_58 Depth=2
	v_ashrrev_i32_e32 v17, 31, v16
	v_lshlrev_b64 v[40:41], 1, v[16:17]
	v_mov_b32_e32 v17, s80
	v_add_co_u32_e32 v40, vcc, s64, v40
	v_addc_co_u32_e32 v41, vcc, v17, v41, vcc
	global_load_ushort v17, v[40:41], off
	s_branch .LBB67_57
.LBB67_60:                              ;   in Loop: Header=BB67_17 Depth=1
	s_mov_b64 s[88:89], 0
                                        ; implicit-def: $vgpr5
	s_cbranch_execnz .LBB67_63
	s_branch .LBB67_72
.LBB67_61:                              ;   in Loop: Header=BB67_17 Depth=1
	s_or_b64 exec, exec, s[22:23]
	s_mov_b64 s[88:89], exec
.LBB67_62:                              ;   in Loop: Header=BB67_17 Depth=1
	s_or_b64 exec, exec, s[20:21]
	s_and_b64 vcc, exec, s[6:7]
	s_cbranch_vccz .LBB67_72
.LBB67_63:                              ;   in Loop: Header=BB67_17 Depth=1
	s_mul_hi_u32 s6, s73, s5
	s_mul_i32 s6, s6, s8
	s_sub_i32 s6, s73, s6
	s_sub_i32 s7, s6, s8
	s_cmp_ge_u32 s6, s8
	s_cselect_b32 s6, s7, s6
	s_sub_i32 s7, s6, s8
	s_cmp_ge_u32 s6, s8
	s_cselect_b32 s6, s7, s6
	s_sub_i32 s12, s73, s6
	v_cmp_gt_u32_e32 vcc, s12, v20
	s_mov_b32 s14, 0
	s_waitcnt vmcnt(0)
	v_mov_b32_e32 v2, 0
	v_mov_b32_e32 v3, 0
	;; [unrolled: 1-line block ×4, first 2 shown]
	s_and_saveexec_b64 s[82:83], vcc
	s_cbranch_execz .LBB67_67
; %bb.64:                               ;   in Loop: Header=BB67_17 Depth=1
	s_mov_b32 s4, s56
	s_and_b32 s13, s78, 0xfe
	s_mov_b64 s[6:7], 0
	v_mov_b32_e32 v8, v31
	s_mov_b32 s15, 0
	s_mov_b32 s16, 0
	;; [unrolled: 1-line block ×3, first 2 shown]
	v_mov_b32_e32 v16, v20
.LBB67_65:                              ;   Parent Loop BB67_17 Depth=1
                                        ; =>  This Inner Loop Header: Depth=2
	ds_read_b64 v[2:3], v8
	v_add_u32_e32 v16, s8, v16
	v_cmp_le_i32_e32 vcc, s12, v16
	v_add_u32_e32 v8, s1, v8
	s_waitcnt lgkmcnt(0)
	v_cmp_lt_i16_e64 s[18:19], -1, v2
	v_cndmask_b32_e64 v19, v33, v34, s[18:19]
	v_cmp_gt_i16_sdwa s[18:19], v2, v35 src0_sel:WORD_1 src1_sel:DWORD
	v_lshlrev_b32_e32 v4, 16, v2
	v_cndmask_b32_e64 v39, v33, v34, s[18:19]
	v_cmp_lt_i16_e64 s[18:19], -1, v3
	v_and_b32_e32 v5, 0xffff0000, v2
	v_cndmask_b32_e64 v40, v33, v34, s[18:19]
	v_cmp_gt_i16_sdwa s[18:19], v3, v35 src0_sel:WORD_1 src1_sel:DWORD
	v_xor_b32_sdwa v39, v39, v2 dst_sel:DWORD dst_unused:UNUSED_PAD src0_sel:DWORD src1_sel:WORD_1
	v_xor_b32_sdwa v2, v19, v2 dst_sel:DWORD dst_unused:UNUSED_PAD src0_sel:DWORD src1_sel:WORD_0
	v_cmp_o_f32_e64 s[24:25], v4, v4
	v_lshlrev_b32_e32 v17, 16, v3
	v_cndmask_b32_e64 v41, v33, v34, s[18:19]
	v_cmp_o_f32_e64 s[18:19], v5, v5
	v_cndmask_b32_e64 v2, v33, v2, s[24:25]
	v_and_b32_e32 v18, 0xffff0000, v3
	v_xor_b32_sdwa v5, v40, v3 dst_sel:DWORD dst_unused:UNUSED_PAD src0_sel:DWORD src1_sel:WORD_0
	v_cmp_o_f32_e64 s[20:21], v17, v17
	v_cndmask_b32_e64 v4, v33, v39, s[18:19]
	v_and_b32_e32 v17, s10, v2
	v_bfe_u32 v2, v2, s13, 2
	v_xor_b32_sdwa v3, v41, v3 dst_sel:DWORD dst_unused:UNUSED_PAD src0_sel:DWORD src1_sel:WORD_1
	v_cmp_o_f32_e64 s[22:23], v18, v18
	v_cndmask_b32_e64 v5, v33, v5, s[20:21]
	v_and_b32_e32 v18, s10, v4
	v_bfe_u32 v4, v4, s13, 2
	v_cmp_eq_u32_e64 s[18:19], s11, v17
	v_cmp_eq_u32_e64 s[26:27], 0, v2
	v_cndmask_b32_e64 v3, v33, v3, s[22:23]
	v_and_b32_e32 v19, s10, v5
	v_bfe_u32 v5, v5, s13, 2
	v_cmp_eq_u32_e64 s[20:21], s11, v18
	v_cmp_eq_u32_e64 s[28:29], 0, v4
	s_and_b64 s[26:27], s[18:19], s[26:27]
	v_and_b32_e32 v39, s10, v3
	v_bfe_u32 v3, v3, s13, 2
	v_cmp_eq_u32_e64 s[22:23], s11, v19
	v_cmp_eq_u32_e64 s[30:31], 0, v5
	;; [unrolled: 1-line block ×5, first 2 shown]
	v_cndmask_b32_e64 v2, 0, 1, s[26:27]
	s_and_b64 s[26:27], s[20:21], s[28:29]
	v_cmp_eq_u32_e64 s[24:25], s11, v39
	v_cmp_eq_u32_e64 s[34:35], 0, v3
	;; [unrolled: 1-line block ×5, first 2 shown]
	v_cndmask_b32_e64 v3, 0, 1, s[26:27]
	s_and_b64 s[26:27], s[22:23], s[30:31]
	v_cmp_eq_u32_e64 s[38:39], 1, v4
	v_cmp_eq_u32_e64 s[46:47], 2, v4
	;; [unrolled: 1-line block ×3, first 2 shown]
	v_cndmask_b32_e64 v4, 0, 1, s[26:27]
	s_and_b64 s[26:27], s[24:25], s[34:35]
	v_cmp_eq_u32_e64 s[40:41], 1, v5
	v_cmp_eq_u32_e64 s[48:49], 2, v5
	;; [unrolled: 1-line block ×3, first 2 shown]
	v_cndmask_b32_e64 v5, 0, 1, s[26:27]
	s_and_b64 s[26:27], s[18:19], s[36:37]
	v_cndmask_b32_e64 v17, 0, 1, s[26:27]
	s_and_b64 s[26:27], s[20:21], s[38:39]
	;; [unrolled: 2-line block ×5, first 2 shown]
	s_and_b64 s[18:19], s[18:19], s[52:53]
	v_cndmask_b32_e64 v40, 0, 1, s[26:27]
	s_and_b64 s[26:27], s[20:21], s[46:47]
	v_cndmask_b32_e64 v44, 0, 1, s[18:19]
	;; [unrolled: 2-line block ×7, first 2 shown]
	v_cndmask_b32_e64 v47, 0, 1, s[18:19]
	v_cmp_ne_u32_e64 s[18:19], 0, v2
	v_cmp_ne_u32_e64 s[20:21], 0, v3
	v_cmp_ne_u32_e64 s[22:23], 0, v4
	v_cmp_ne_u32_e64 s[24:25], 0, v5
	v_cmp_ne_u32_e64 s[26:27], 0, v17
	v_cmp_ne_u32_e64 s[30:31], 0, v19
	v_cmp_ne_u32_e64 s[36:37], 0, v40
	v_cmp_ne_u32_e64 s[44:45], 0, v44
	v_cmp_ne_u32_e64 s[28:29], 0, v18
	v_cmp_ne_u32_e64 s[38:39], 0, v41
	v_cmp_ne_u32_e64 s[46:47], 0, v45
	s_bcnt1_i32_b64 s18, s[18:19]
	s_bcnt1_i32_b64 s19, s[20:21]
	;; [unrolled: 1-line block ×8, first 2 shown]
	v_cmp_ne_u32_e64 s[34:35], 0, v39
	v_cmp_ne_u32_e64 s[40:41], 0, v42
	;; [unrolled: 1-line block ×3, first 2 shown]
	s_bcnt1_i32_b64 s23, s[28:29]
	s_bcnt1_i32_b64 s27, s[38:39]
	;; [unrolled: 1-line block ×3, first 2 shown]
	s_add_i32 s18, s72, s18
	s_add_i32 s16, s16, s22
	;; [unrolled: 1-line block ×4, first 2 shown]
	v_cmp_ne_u32_e64 s[42:43], 0, v43
	v_cmp_ne_u32_e64 s[50:51], 0, v47
	s_bcnt1_i32_b64 s25, s[34:35]
	s_bcnt1_i32_b64 s28, s[40:41]
	;; [unrolled: 1-line block ×3, first 2 shown]
	s_add_i32 s18, s18, s19
	s_add_i32 s16, s16, s23
	s_add_i32 s15, s15, s27
	s_add_i32 s14, s14, s31
	s_bcnt1_i32_b64 s29, s[42:43]
	s_bcnt1_i32_b64 s35, s[50:51]
	s_add_i32 s18, s18, s20
	s_add_i32 s16, s16, s24
	;; [unrolled: 1-line block ×8, first 2 shown]
	s_or_b64 s[6:7], vcc, s[6:7]
	v_mov_b32_e32 v2, s72
	v_mov_b32_e32 v3, s16
	;; [unrolled: 1-line block ×4, first 2 shown]
	s_andn2_b64 exec, exec, s[6:7]
	s_cbranch_execnz .LBB67_65
; %bb.66:                               ;   in Loop: Header=BB67_17 Depth=1
	s_or_b64 exec, exec, s[6:7]
	s_mov_b32 s56, s4
.LBB67_67:                              ;   in Loop: Header=BB67_17 Depth=1
	s_or_b64 exec, exec, s[82:83]
	v_add_u32_e32 v8, s12, v0
	v_cmp_gt_i32_e32 vcc, s73, v8
	s_and_saveexec_b64 s[6:7], vcc
	s_cbranch_execz .LBB67_71
; %bb.68:                               ;   in Loop: Header=BB67_17 Depth=1
	s_and_b32 s12, s78, 0xfe
	v_lshlrev_b32_e32 v16, 1, v8
	s_mov_b64 s[28:29], 0
.LBB67_69:                              ;   Parent Loop BB67_17 Depth=1
                                        ; =>  This Inner Loop Header: Depth=2
	ds_read_u16 v17, v16
	v_add_u32_e32 v8, s66, v8
	v_cmp_le_i32_e32 vcc, s73, v8
	v_add_u32_e32 v16, s76, v16
	s_waitcnt lgkmcnt(0)
	v_cmp_lt_i16_e64 s[18:19], -1, v17
	v_lshlrev_b32_e32 v18, 16, v17
	v_cndmask_b32_e64 v19, v33, v34, s[18:19]
	v_xor_b32_sdwa v17, v19, v17 dst_sel:DWORD dst_unused:UNUSED_PAD src0_sel:DWORD src1_sel:WORD_0
	v_cmp_o_f32_e64 s[18:19], v18, v18
	v_cndmask_b32_e64 v17, v33, v17, s[18:19]
	v_and_b32_e32 v18, s10, v17
	v_bfe_u32 v17, v17, s12, 2
	v_cmp_eq_u32_e64 s[18:19], s11, v18
	v_cmp_eq_u32_e64 s[20:21], 0, v17
	;; [unrolled: 1-line block ×3, first 2 shown]
	s_and_b64 s[14:15], s[18:19], s[20:21]
	v_cmp_eq_u32_e64 s[24:25], 2, v17
	v_cmp_eq_u32_e64 s[26:27], 3, v17
	v_cndmask_b32_e64 v17, 0, 1, s[14:15]
	s_and_b64 s[14:15], s[18:19], s[22:23]
	v_cndmask_b32_e64 v18, 0, 1, s[14:15]
	s_and_b64 s[14:15], s[18:19], s[24:25]
	;; [unrolled: 2-line block ×3, first 2 shown]
	v_cndmask_b32_e64 v39, 0, 1, s[14:15]
	v_cmp_ne_u32_e64 s[18:19], 0, v17
	v_cmp_ne_u32_e64 s[20:21], 0, v18
	;; [unrolled: 1-line block ×4, first 2 shown]
	s_bcnt1_i32_b64 s13, s[18:19]
	s_bcnt1_i32_b64 s14, s[20:21]
	s_bcnt1_i32_b64 s15, s[22:23]
	s_bcnt1_i32_b64 s16, s[24:25]
	v_add_u32_e32 v2, s13, v2
	v_add_u32_e32 v3, s14, v3
	;; [unrolled: 1-line block ×3, first 2 shown]
	s_or_b64 s[28:29], vcc, s[28:29]
	v_add_u32_e32 v5, s16, v5
	s_andn2_b64 exec, exec, s[28:29]
	s_cbranch_execnz .LBB67_69
; %bb.70:                               ;   in Loop: Header=BB67_17 Depth=1
	s_or_b64 exec, exec, s[28:29]
	s_or_b64 s[88:89], s[88:89], exec
.LBB67_71:                              ;   in Loop: Header=BB67_17 Depth=1
	s_or_b64 exec, exec, s[6:7]
.LBB67_72:                              ;   in Loop: Header=BB67_17 Depth=1
	s_and_saveexec_b64 s[6:7], s[88:89]
	s_or_b64 exec, exec, s[6:7]
	s_lshl_b32 s12, s79, 6
	s_and_saveexec_b64 s[6:7], s[2:3]
	s_cbranch_execz .LBB67_74
; %bb.73:                               ;   in Loop: Header=BB67_17 Depth=1
	s_waitcnt vmcnt(0)
	v_or_b32_e32 v8, s12, v23
	v_lshlrev_b32_e32 v8, 2, v8
	ds_write_b128 v8, v[2:5] offset:3072
.LBB67_74:                              ;   in Loop: Header=BB67_17 Depth=1
	s_or_b64 exec, exec, s[6:7]
	s_waitcnt lgkmcnt(0)
	s_barrier
	s_and_saveexec_b64 s[6:7], s[74:75]
	s_cbranch_execz .LBB67_88
; %bb.75:                               ;   in Loop: Header=BB67_17 Depth=1
	v_readlane_b32 s14, v52, 11
	v_readlane_b32 s15, v52, 12
	v_add_u32_e32 v4, s12, v13
	s_andn2_b64 vcc, exec, s[14:15]
	s_waitcnt vmcnt(0)
	v_mov_b32_e32 v2, 0
	s_cbranch_vccnz .LBB67_87
; %bb.76:                               ;   in Loop: Header=BB67_17 Depth=1
	v_readlane_b32 s14, v52, 15
	v_readlane_b32 s15, v52, 16
	s_mov_b32 s13, 0
	s_and_b64 vcc, exec, s[14:15]
	v_mov_b32_e32 v2, 0
	s_cbranch_vccz .LBB67_80
; %bb.77:                               ;   in Loop: Header=BB67_17 Depth=1
	v_readlane_b32 s14, v52, 23
	v_readlane_b32 s15, v52, 24
	v_lshl_add_u32 v5, v4, 2, v36
	s_andn2_b64 vcc, exec, s[14:15]
	s_cbranch_vccnz .LBB67_81
; %bb.78:                               ;   in Loop: Header=BB67_17 Depth=1
	s_mov_b32 s19, 1
	s_mov_b32 s18, 0
	v_mov_b32_e32 v2, 0
	v_readlane_b32 s13, v52, 25
	v_mov_b32_e32 v3, 0
.LBB67_79:                              ;   Parent Loop BB67_17 Depth=1
                                        ; =>  This Inner Loop Header: Depth=2
	v_lshl_add_u32 v8, s18, 4, v5
	v_lshl_add_u32 v39, s19, 4, v5
	ds_read2_b32 v[16:17], v8 offset1:8
	ds_read2_b32 v[18:19], v39 offset1:8
	ds_read2_b32 v[40:41], v8 offset0:16 offset1:24
	ds_read2_b32 v[42:43], v39 offset0:16 offset1:24
	;; [unrolled: 1-line block ×6, first 2 shown]
	s_waitcnt lgkmcnt(7)
	v_add3_u32 v2, v16, v2, v17
	s_waitcnt lgkmcnt(6)
	v_add3_u32 v3, v18, v3, v19
	;; [unrolled: 2-line block ×3, first 2 shown]
	v_add3_u32 v2, v40, v2, v41
	s_add_i32 s19, s19, 16
	s_add_i32 s18, s18, 16
	s_add_i32 s13, s13, -8
	s_waitcnt lgkmcnt(3)
	v_add3_u32 v2, v44, v2, v45
	s_waitcnt lgkmcnt(2)
	v_add3_u32 v3, v46, v3, v47
	s_cmp_lg_u32 s13, 0
	s_waitcnt lgkmcnt(0)
	v_add3_u32 v3, v50, v3, v51
	v_add3_u32 v2, v48, v2, v49
	s_cbranch_scc1 .LBB67_79
	s_branch .LBB67_82
.LBB67_80:                              ;   in Loop: Header=BB67_17 Depth=1
	s_cbranch_execnz .LBB67_85
	s_branch .LBB67_87
.LBB67_81:                              ;   in Loop: Header=BB67_17 Depth=1
	s_mov_b32 s57, s56
	v_pk_mov_b32 v[2:3], s[56:57], s[56:57] op_sel:[0,1]
	s_mov_b32 s57, 1
	s_mov_b64 s[18:19], s[56:57]
.LBB67_82:                              ;   in Loop: Header=BB67_17 Depth=1
	v_readlane_b32 s14, v52, 27
	v_readlane_b32 s15, v52, 28
	s_andn2_b64 vcc, exec, s[14:15]
	v_readlane_b32 s13, v52, 26
	s_cbranch_vccnz .LBB67_84
.LBB67_83:                              ;   Parent Loop BB67_17 Depth=1
                                        ; =>  This Inner Loop Header: Depth=2
	v_lshl_add_u32 v8, s18, 4, v5
	v_lshl_add_u32 v16, s19, 4, v5
	ds_read_b32 v16, v16
	ds_read_b32 v8, v8
	s_add_i32 s19, s19, 2
	s_add_i32 s18, s18, 2
	s_add_i32 s13, s13, -1
	s_cmp_lg_u32 s13, 0
	s_waitcnt lgkmcnt(1)
	v_add_u32_e32 v3, v16, v3
	s_waitcnt lgkmcnt(0)
	v_add_u32_e32 v2, v8, v2
	s_cbranch_scc1 .LBB67_83
.LBB67_84:                              ;   in Loop: Header=BB67_17 Depth=1
	v_readlane_b32 s18, v52, 31
	v_add_u32_e32 v2, v2, v3
	v_readlane_b32 s13, v52, 30
	v_readlane_b32 s19, v52, 32
	s_and_b64 vcc, exec, s[18:19]
	s_cbranch_vccz .LBB67_87
.LBB67_85:                              ;   in Loop: Header=BB67_17 Depth=1
	s_lshl_b32 s14, s79, 8
	s_lshl_b32 s15, s13, 4
	s_add_i32 s14, s14, s15
	v_readlane_b32 s4, v52, 29
	v_add_u32_e32 v3, s14, v32
	s_sub_i32 s13, s4, s13
.LBB67_86:                              ;   Parent Loop BB67_17 Depth=1
                                        ; =>  This Inner Loop Header: Depth=2
	ds_read_b32 v5, v3
	s_add_i32 s13, s13, -1
	v_add_u32_e32 v3, 16, v3
	s_cmp_eq_u32 s13, 0
	s_waitcnt lgkmcnt(0)
	v_add_u32_e32 v2, v5, v2
	s_cbranch_scc0 .LBB67_86
.LBB67_87:                              ;   in Loop: Header=BB67_17 Depth=1
	v_lshlrev_b32_e32 v3, 2, v4
	ds_write_b32 v3, v2 offset:3072
.LBB67_88:                              ;   in Loop: Header=BB67_17 Depth=1
	s_or_b64 exec, exec, s[6:7]
	s_lshl_b32 s6, s12, 2
	s_waitcnt vmcnt(0)
	v_mov_b32_e32 v2, s6
	s_waitcnt lgkmcnt(0)
	s_barrier
	ds_read_b128 v[2:5], v2 offset:3072
	s_and_b32 s45, s78, 0xfe
	s_lshl_b32 s53, 3, s45
	s_not_b32 s46, s53
	s_mov_b64 s[22:23], -1
	s_waitcnt lgkmcnt(0)
	v_readfirstlane_b32 s30, v2
	s_cmp_eq_u32 s30, 1
	s_cselect_b64 s[6:7], -1, 0
	s_cmp_eq_u32 s61, 1
	s_cselect_b64 s[12:13], -1, 0
	s_and_b64 s[24:25], s[6:7], s[12:13]
	v_readfirstlane_b32 s36, v3
	v_readfirstlane_b32 s44, v4
	;; [unrolled: 1-line block ×3, first 2 shown]
	s_and_b64 vcc, exec, s[24:25]
	s_cbranch_vccz .LBB67_100
; %bb.89:                               ;   in Loop: Header=BB67_17 Depth=1
	ds_read_b32 v2, v9 offset:4096
	s_waitcnt lgkmcnt(0)
	s_barrier
	v_readfirstlane_b32 s12, v2
	s_mov_b64 s[6:7], exec
	v_readlane_b32 s14, v52, 17
	v_readlane_b32 s15, v52, 18
	s_and_b64 s[14:15], s[6:7], s[14:15]
	s_mov_b64 exec, s[14:15]
	s_cbranch_execz .LBB67_91
; %bb.90:                               ;   in Loop: Header=BB67_17 Depth=1
	ds_write_b16 v22, v9
.LBB67_91:                              ;   in Loop: Header=BB67_17 Depth=1
	s_or_b64 exec, exec, s[6:7]
	s_and_b32 s11, s11, s46
	s_or_b32 s10, s10, s53
	s_cmp_lt_i32 s12, 1
	s_waitcnt lgkmcnt(0)
	s_barrier
	s_cbranch_scc0 .LBB67_101
; %bb.92:                               ;   in Loop: Header=BB67_17 Depth=1
	s_mov_b64 s[6:7], 0
                                        ; implicit-def: $vgpr38
	s_mov_b64 s[20:21], exec
	v_readlane_b32 s14, v52, 40
	v_readlane_b32 s15, v52, 41
	s_and_b64 s[14:15], s[20:21], s[14:15]
	s_mov_b64 exec, s[14:15]
	s_cbranch_execz .LBB67_103
; %bb.93:                               ;   in Loop: Header=BB67_17 Depth=1
	v_mov_b32_e32 v2, v6
	v_mov_b32_e32 v4, v0
                                        ; implicit-def: $sgpr26_sgpr27
	s_branch .LBB67_95
.LBB67_94:                              ;   in Loop: Header=BB67_95 Depth=2
	s_or_b64 exec, exec, s[18:19]
	s_waitcnt lgkmcnt(0)
	s_barrier
	s_waitcnt vmcnt(0)
	ds_read_b32 v3, v9 offset:3072
	v_add_u32_e32 v4, s66, v4
	v_cmp_le_i32_e64 s[18:19], s9, v4
	v_add_u32_e32 v2, s81, v2
	s_waitcnt lgkmcnt(0)
	v_and_b32_e32 v5, 0x7fff, v3
	v_cmp_ne_u16_e32 vcc, 0, v5
	s_or_b64 s[14:15], s[18:19], vcc
	s_and_b64 s[14:15], exec, s[14:15]
	s_or_b64 s[6:7], s[14:15], s[6:7]
	s_andn2_b64 s[14:15], s[26:27], exec
	s_and_b64 s[18:19], vcc, exec
	s_or_b64 s[26:27], s[14:15], s[18:19]
	s_barrier
	s_andn2_b64 exec, exec, s[6:7]
	s_cbranch_execz .LBB67_102
.LBB67_95:                              ;   Parent Loop BB67_17 Depth=1
                                        ; =>  This Inner Loop Header: Depth=2
	v_cmp_gt_i32_e32 vcc, s60, v4
	v_mov_b32_e32 v3, 0
	s_and_saveexec_b64 s[28:29], vcc
	s_cbranch_execz .LBB67_97
; %bb.96:                               ;   in Loop: Header=BB67_95 Depth=2
	v_ashrrev_i32_e32 v3, 31, v2
	v_lshlrev_b64 v[16:17], 1, v[2:3]
	v_mov_b32_e32 v3, s80
	v_add_co_u32_e64 v16, s[18:19], s64, v16
	v_addc_co_u32_e64 v17, s[18:19], v3, v17, s[18:19]
	global_load_ushort v3, v[16:17], off
.LBB67_97:                              ;   in Loop: Header=BB67_95 Depth=2
	s_or_b64 exec, exec, s[28:29]
	s_and_saveexec_b64 s[18:19], vcc
	s_cbranch_execz .LBB67_94
; %bb.98:                               ;   in Loop: Header=BB67_95 Depth=2
	s_waitcnt vmcnt(0)
	v_cmp_lt_i16_e32 vcc, -1, v3
	v_cndmask_b32_e32 v5, v33, v34, vcc
	v_lshlrev_b32_e32 v8, 16, v3
	v_xor_b32_sdwa v5, v5, v3 dst_sel:DWORD dst_unused:UNUSED_PAD src0_sel:DWORD src1_sel:WORD_0
	v_cmp_o_f32_e32 vcc, v8, v8
	v_cndmask_b32_e32 v5, v33, v5, vcc
	v_and_b32_e32 v5, s10, v5
	v_cmp_eq_u32_e32 vcc, s11, v5
	s_and_b64 exec, exec, vcc
	s_cbranch_execz .LBB67_94
; %bb.99:                               ;   in Loop: Header=BB67_95 Depth=2
	v_perm_b32 v3, v3, s77, v37
	ds_write_b32 v9, v3 offset:3072
	s_branch .LBB67_94
.LBB67_100:                             ;   in Loop: Header=BB67_17 Depth=1
	s_mov_b64 s[6:7], -1
                                        ; implicit-def: $sgpr18_sgpr19
                                        ; implicit-def: $sgpr26_sgpr27
                                        ; implicit-def: $sgpr20_sgpr21
	s_branch .LBB67_114
.LBB67_101:                             ;   in Loop: Header=BB67_17 Depth=1
	s_mov_b64 s[18:19], -1
	s_mov_b64 s[6:7], 0
                                        ; implicit-def: $sgpr20_sgpr21
                                        ; implicit-def: $vgpr38
	s_mov_b64 s[26:27], s[18:19]
	s_cbranch_execnz .LBB67_104
	s_branch .LBB67_114
.LBB67_102:                             ;   in Loop: Header=BB67_17 Depth=1
	s_or_b64 exec, exec, s[6:7]
	v_lshrrev_b32_e32 v38, 16, v3
	s_and_b64 s[6:7], s[26:27], exec
.LBB67_103:                             ;   in Loop: Header=BB67_17 Depth=1
	s_or_b64 exec, exec, s[20:21]
	s_mov_b64 s[20:21], -1
	s_mov_b64 s[18:19], 0
	s_mov_b64 s[26:27], s[18:19]
	s_branch .LBB67_114
.LBB67_104:                             ;   in Loop: Header=BB67_17 Depth=1
	v_readlane_b32 s4, v52, 8
	s_add_i32 s13, s12, s4
	s_abs_i32 s7, s13
	v_readlane_b32 s4, v52, 39
	s_mul_hi_u32 s14, s7, s4
	s_mul_i32 s14, s14, s66
	s_sub_i32 s7, s7, s14
	s_ashr_i32 s6, s13, 31
	s_sub_i32 s14, s7, s66
	s_cmp_ge_u32 s7, s66
	s_cselect_b32 s7, s14, s7
	s_sub_i32 s14, s7, s66
	s_cmp_ge_u32 s7, s66
	s_cselect_b32 s7, s14, s7
	s_xor_b32 s7, s7, s6
	s_sub_i32 s6, s6, s7
	s_add_i32 s13, s13, s6
	v_cmp_gt_i32_e32 vcc, s13, v0
	s_mov_b64 s[6:7], 0
                                        ; implicit-def: $vgpr38
	s_and_saveexec_b64 s[20:21], vcc
	s_cbranch_execz .LBB67_113
; %bb.105:                              ;   in Loop: Header=BB67_17 Depth=1
	v_mov_b32_e32 v2, v21
	v_mov_b32_e32 v3, v0
                                        ; implicit-def: $sgpr26_sgpr27
	s_branch .LBB67_107
.LBB67_106:                             ;   in Loop: Header=BB67_107 Depth=2
	s_or_b64 exec, exec, s[18:19]
	s_waitcnt lgkmcnt(0)
	s_barrier
	ds_read_b32 v4, v9 offset:3072
	v_add_u32_e32 v3, s66, v3
	v_cmp_le_i32_e64 s[18:19], s13, v3
	v_add_u32_e32 v2, s76, v2
	s_waitcnt lgkmcnt(0)
	v_and_b32_e32 v5, 0x7fff, v4
	v_cmp_ne_u16_e32 vcc, 0, v5
	s_or_b64 s[14:15], s[18:19], vcc
	s_and_b64 s[14:15], exec, s[14:15]
	s_or_b64 s[6:7], s[14:15], s[6:7]
	s_andn2_b64 s[14:15], s[26:27], exec
	s_and_b64 s[18:19], vcc, exec
	s_or_b64 s[26:27], s[14:15], s[18:19]
	s_barrier
	s_andn2_b64 exec, exec, s[6:7]
	s_cbranch_execz .LBB67_112
.LBB67_107:                             ;   Parent Loop BB67_17 Depth=1
                                        ; =>  This Inner Loop Header: Depth=2
	v_cmp_gt_i32_e32 vcc, s12, v3
	v_mov_b32_e32 v4, 0
	s_and_saveexec_b64 s[18:19], vcc
	s_cbranch_execz .LBB67_109
; %bb.108:                              ;   in Loop: Header=BB67_107 Depth=2
	ds_read_u16 v4, v2
.LBB67_109:                             ;   in Loop: Header=BB67_107 Depth=2
	s_or_b64 exec, exec, s[18:19]
	s_and_saveexec_b64 s[18:19], vcc
	s_cbranch_execz .LBB67_106
; %bb.110:                              ;   in Loop: Header=BB67_107 Depth=2
	s_waitcnt lgkmcnt(0)
	v_cmp_lt_i16_e32 vcc, -1, v4
	v_cndmask_b32_e32 v5, v33, v34, vcc
	v_lshlrev_b32_e32 v8, 16, v4
	v_xor_b32_sdwa v5, v5, v4 dst_sel:DWORD dst_unused:UNUSED_PAD src0_sel:DWORD src1_sel:WORD_0
	v_cmp_o_f32_e32 vcc, v8, v8
	v_cndmask_b32_e32 v5, v33, v5, vcc
	v_and_b32_e32 v5, s10, v5
	v_cmp_eq_u32_e32 vcc, s11, v5
	s_and_b64 exec, exec, vcc
	s_cbranch_execz .LBB67_106
; %bb.111:                              ;   in Loop: Header=BB67_107 Depth=2
	v_perm_b32 v4, v4, s77, v37
	ds_write_b32 v9, v4 offset:3072
	s_branch .LBB67_106
.LBB67_112:                             ;   in Loop: Header=BB67_17 Depth=1
	s_or_b64 exec, exec, s[6:7]
	v_lshrrev_b32_e32 v38, 16, v4
	s_and_b64 s[6:7], s[26:27], exec
.LBB67_113:                             ;   in Loop: Header=BB67_17 Depth=1
	s_or_b64 exec, exec, s[20:21]
	s_mov_b64 s[26:27], -1
	s_mov_b64 s[18:19], 0
	s_mov_b64 s[20:21], 0
.LBB67_114:                             ;   in Loop: Header=BB67_17 Depth=1
	s_andn2_b64 s[12:13], s[86:87], exec
	s_and_b64 s[14:15], s[18:19], exec
	s_or_b64 s[86:87], s[12:13], s[14:15]
	s_andn2_b64 s[12:13], s[84:85], exec
	s_and_b64 s[14:15], s[26:27], exec
	s_or_b64 s[84:85], s[12:13], s[14:15]
	;; [unrolled: 3-line block ×3, first 2 shown]
	s_and_saveexec_b64 s[20:21], s[6:7]
	s_cbranch_execz .LBB67_16
; %bb.115:                              ;   in Loop: Header=BB67_17 Depth=1
	s_xor_b64 s[12:13], s[24:25], -1
	s_mov_b64 s[6:7], 0
	s_andn2_b64 vcc, exec, s[12:13]
	s_mov_b32 s37, 1
	s_cbranch_vccnz .LBB67_126
; %bb.116:                              ;   in Loop: Header=BB67_17 Depth=1
	s_cmp_gt_i32 s61, s30
	s_mov_b64 s[6:7], -1
                                        ; implicit-def: $sgpr55
                                        ; implicit-def: $sgpr12
                                        ; implicit-def: $sgpr13
	s_cbranch_scc1 .LBB67_122
; %bb.117:                              ;   in Loop: Header=BB67_17 Depth=1
	ds_read_b32 v2, v9 offset:4096
	s_waitcnt lgkmcnt(0)
	v_cmp_ne_u32_e32 vcc, 0, v2
	s_cbranch_vccnz .LBB67_121
; %bb.118:                              ;   in Loop: Header=BB67_17 Depth=1
	s_mov_b64 s[6:7], exec
	v_readlane_b32 s12, v52, 5
	v_readlane_b32 s13, v52, 6
	s_and_b64 s[12:13], s[6:7], s[12:13]
	s_mov_b64 exec, s[12:13]
	s_cbranch_execz .LBB67_120
; %bb.119:                              ;   in Loop: Header=BB67_17 Depth=1
	v_mov_b32_e32 v2, s30
	ds_write_b32 v9, v2 offset:4100
.LBB67_120:                             ;   in Loop: Header=BB67_17 Depth=1
	s_or_b64 exec, exec, s[6:7]
	s_waitcnt lgkmcnt(0)
	s_barrier
.LBB67_121:                             ;   in Loop: Header=BB67_17 Depth=1
	s_and_b32 s12, s11, s46
	s_or_b32 s13, s10, s53
	s_mov_b64 s[6:7], 0
	s_mov_b32 s55, 8
.LBB67_122:                             ;   in Loop: Header=BB67_17 Depth=1
	s_andn2_b64 vcc, exec, s[6:7]
	s_cbranch_vccnz .LBB67_124
; %bb.123:                              ;   in Loop: Header=BB67_17 Depth=1
	s_sub_i32 s61, s61, s30
	s_mov_b64 s[6:7], -1
	s_mov_b32 s55, 0
	s_mov_b32 s12, s11
	;; [unrolled: 1-line block ×3, first 2 shown]
.LBB67_124:                             ;   in Loop: Header=BB67_17 Depth=1
	s_mov_b32 s10, s13
	s_mov_b32 s11, s12
	;; [unrolled: 1-line block ×3, first 2 shown]
	s_mov_b64 s[22:23], -1
	s_and_b64 vcc, exec, s[6:7]
	s_cbranch_vccnz .LBB67_127
.LBB67_125:                             ;   in Loop: Header=BB67_17 Depth=1
	s_mov_b64 s[18:19], -1
                                        ; implicit-def: $sgpr24_sgpr25
                                        ; implicit-def: $sgpr28_sgpr29
                                        ; implicit-def: $sgpr26_sgpr27
	s_and_saveexec_b64 s[6:7], s[18:19]
	s_xor_b64 s[6:7], exec, s[6:7]
	s_cbranch_execz .LBB67_15
	s_branch .LBB67_250
.LBB67_126:                             ;   in Loop: Header=BB67_17 Depth=1
	s_mov_b32 s55, 1
	s_mov_b64 s[22:23], -1
	s_and_b64 vcc, exec, s[6:7]
	s_cbranch_vccz .LBB67_125
.LBB67_127:                             ;   in Loop: Header=BB67_17 Depth=1
	s_cmp_eq_u32 s36, 1
	s_cselect_b64 s[6:7], -1, 0
	s_cmp_eq_u32 s37, 1
	s_cselect_b64 s[12:13], -1, 0
	s_and_b64 s[34:35], s[6:7], s[12:13]
	s_mov_b64 s[6:7], -1
	s_and_b64 vcc, exec, s[34:35]
	s_cbranch_vccz .LBB67_139
; %bb.128:                              ;   in Loop: Header=BB67_17 Depth=1
	ds_read_b32 v2, v9 offset:4096
	s_waitcnt lgkmcnt(0)
	s_barrier
	v_readfirstlane_b32 s12, v2
	s_mov_b64 s[6:7], exec
	v_readlane_b32 s14, v52, 17
	v_readlane_b32 s15, v52, 18
	s_and_b64 s[14:15], s[6:7], s[14:15]
	s_mov_b64 exec, s[14:15]
	s_cbranch_execz .LBB67_130
; %bb.129:                              ;   in Loop: Header=BB67_17 Depth=1
	ds_write_b16 v22, v9
.LBB67_130:                             ;   in Loop: Header=BB67_17 Depth=1
	s_or_b64 exec, exec, s[6:7]
	s_lshl_b32 s6, 1, s45
	s_and_b32 s7, s11, s46
	s_or_b32 s11, s7, s6
	s_or_b32 s10, s10, s53
	s_cmp_gt_i32 s12, 0
	s_waitcnt lgkmcnt(0)
	s_barrier
	s_cbranch_scc1 .LBB67_140
; %bb.131:                              ;   in Loop: Header=BB67_17 Depth=1
	s_mov_b64 s[6:7], 0
                                        ; implicit-def: $vgpr38
	s_mov_b64 s[24:25], exec
	v_readlane_b32 s14, v52, 40
	v_readlane_b32 s15, v52, 41
	s_and_b64 s[14:15], s[24:25], s[14:15]
	s_mov_b64 exec, s[14:15]
	s_cbranch_execz .LBB67_142
; %bb.132:                              ;   in Loop: Header=BB67_17 Depth=1
	v_mov_b32_e32 v2, v6
	v_mov_b32_e32 v4, v0
                                        ; implicit-def: $sgpr26_sgpr27
	s_branch .LBB67_134
.LBB67_133:                             ;   in Loop: Header=BB67_134 Depth=2
	s_or_b64 exec, exec, s[18:19]
	s_waitcnt lgkmcnt(0)
	s_barrier
	s_waitcnt vmcnt(0)
	ds_read_b32 v3, v9 offset:3072
	v_add_u32_e32 v4, s66, v4
	v_cmp_le_i32_e64 s[18:19], s9, v4
	v_add_u32_e32 v2, s81, v2
	s_waitcnt lgkmcnt(0)
	v_and_b32_e32 v5, 0x7fff, v3
	v_cmp_ne_u16_e32 vcc, 0, v5
	s_or_b64 s[14:15], s[18:19], vcc
	s_and_b64 s[14:15], exec, s[14:15]
	s_or_b64 s[6:7], s[14:15], s[6:7]
	s_andn2_b64 s[14:15], s[26:27], exec
	s_and_b64 s[18:19], vcc, exec
	s_or_b64 s[26:27], s[14:15], s[18:19]
	s_barrier
	s_andn2_b64 exec, exec, s[6:7]
	s_cbranch_execz .LBB67_141
.LBB67_134:                             ;   Parent Loop BB67_17 Depth=1
                                        ; =>  This Inner Loop Header: Depth=2
	v_cmp_gt_i32_e32 vcc, s60, v4
	v_mov_b32_e32 v3, 0
	s_and_saveexec_b64 s[28:29], vcc
	s_cbranch_execz .LBB67_136
; %bb.135:                              ;   in Loop: Header=BB67_134 Depth=2
	v_ashrrev_i32_e32 v3, 31, v2
	v_lshlrev_b64 v[16:17], 1, v[2:3]
	v_mov_b32_e32 v3, s80
	v_add_co_u32_e64 v16, s[18:19], s64, v16
	v_addc_co_u32_e64 v17, s[18:19], v3, v17, s[18:19]
	global_load_ushort v3, v[16:17], off
.LBB67_136:                             ;   in Loop: Header=BB67_134 Depth=2
	s_or_b64 exec, exec, s[28:29]
	s_and_saveexec_b64 s[18:19], vcc
	s_cbranch_execz .LBB67_133
; %bb.137:                              ;   in Loop: Header=BB67_134 Depth=2
	s_waitcnt vmcnt(0)
	v_cmp_lt_i16_e32 vcc, -1, v3
	v_cndmask_b32_e32 v5, v33, v34, vcc
	v_lshlrev_b32_e32 v8, 16, v3
	v_xor_b32_sdwa v5, v5, v3 dst_sel:DWORD dst_unused:UNUSED_PAD src0_sel:DWORD src1_sel:WORD_0
	v_cmp_o_f32_e32 vcc, v8, v8
	v_cndmask_b32_e32 v5, v33, v5, vcc
	v_and_b32_e32 v5, s10, v5
	v_cmp_eq_u32_e32 vcc, s11, v5
	s_and_b64 exec, exec, vcc
	s_cbranch_execz .LBB67_133
; %bb.138:                              ;   in Loop: Header=BB67_134 Depth=2
	v_perm_b32 v3, v3, s77, v37
	ds_write_b32 v9, v3 offset:3072
	s_branch .LBB67_133
.LBB67_139:                             ;   in Loop: Header=BB67_17 Depth=1
                                        ; implicit-def: $sgpr26_sgpr27
                                        ; implicit-def: $sgpr28_sgpr29
                                        ; implicit-def: $sgpr24_sgpr25
	s_branch .LBB67_153
.LBB67_140:                             ;   in Loop: Header=BB67_17 Depth=1
	s_mov_b64 s[26:27], -1
	s_mov_b64 s[6:7], 0
                                        ; implicit-def: $sgpr24_sgpr25
                                        ; implicit-def: $vgpr38
	s_mov_b64 s[28:29], s[26:27]
	s_cbranch_execnz .LBB67_143
	s_branch .LBB67_153
.LBB67_141:                             ;   in Loop: Header=BB67_17 Depth=1
	s_or_b64 exec, exec, s[6:7]
	v_lshrrev_b32_e32 v38, 16, v3
	s_and_b64 s[6:7], s[26:27], exec
.LBB67_142:                             ;   in Loop: Header=BB67_17 Depth=1
	s_or_b64 exec, exec, s[24:25]
	s_mov_b64 s[24:25], -1
	s_mov_b64 s[26:27], 0
	s_mov_b64 s[28:29], s[26:27]
	s_branch .LBB67_153
.LBB67_143:                             ;   in Loop: Header=BB67_17 Depth=1
	v_readlane_b32 s4, v52, 8
	s_add_i32 s13, s12, s4
	s_abs_i32 s7, s13
	v_readlane_b32 s4, v52, 39
	s_mul_hi_u32 s14, s7, s4
	s_mul_i32 s14, s14, s66
	s_sub_i32 s7, s7, s14
	s_ashr_i32 s6, s13, 31
	s_sub_i32 s14, s7, s66
	s_cmp_ge_u32 s7, s66
	s_cselect_b32 s7, s14, s7
	s_sub_i32 s14, s7, s66
	s_cmp_ge_u32 s7, s66
	s_cselect_b32 s7, s14, s7
	s_xor_b32 s7, s7, s6
	s_sub_i32 s6, s6, s7
	s_add_i32 s13, s13, s6
	v_cmp_gt_i32_e32 vcc, s13, v0
	s_mov_b64 s[6:7], 0
                                        ; implicit-def: $vgpr38
	s_and_saveexec_b64 s[24:25], vcc
	s_cbranch_execz .LBB67_152
; %bb.144:                              ;   in Loop: Header=BB67_17 Depth=1
	v_mov_b32_e32 v2, v21
	v_mov_b32_e32 v3, v0
                                        ; implicit-def: $sgpr26_sgpr27
	s_branch .LBB67_146
.LBB67_145:                             ;   in Loop: Header=BB67_146 Depth=2
	s_or_b64 exec, exec, s[18:19]
	s_waitcnt lgkmcnt(0)
	s_barrier
	ds_read_b32 v4, v9 offset:3072
	v_add_u32_e32 v3, s66, v3
	v_cmp_le_i32_e64 s[18:19], s13, v3
	v_add_u32_e32 v2, s76, v2
	s_waitcnt lgkmcnt(0)
	v_and_b32_e32 v5, 0x7fff, v4
	v_cmp_ne_u16_e32 vcc, 0, v5
	s_or_b64 s[14:15], s[18:19], vcc
	s_and_b64 s[14:15], exec, s[14:15]
	s_or_b64 s[6:7], s[14:15], s[6:7]
	s_andn2_b64 s[14:15], s[26:27], exec
	s_and_b64 s[18:19], vcc, exec
	s_or_b64 s[26:27], s[14:15], s[18:19]
	s_barrier
	s_andn2_b64 exec, exec, s[6:7]
	s_cbranch_execz .LBB67_151
.LBB67_146:                             ;   Parent Loop BB67_17 Depth=1
                                        ; =>  This Inner Loop Header: Depth=2
	v_cmp_gt_i32_e32 vcc, s12, v3
	v_mov_b32_e32 v4, 0
	s_and_saveexec_b64 s[18:19], vcc
	s_cbranch_execz .LBB67_148
; %bb.147:                              ;   in Loop: Header=BB67_146 Depth=2
	ds_read_u16 v4, v2
.LBB67_148:                             ;   in Loop: Header=BB67_146 Depth=2
	s_or_b64 exec, exec, s[18:19]
	s_and_saveexec_b64 s[18:19], vcc
	s_cbranch_execz .LBB67_145
; %bb.149:                              ;   in Loop: Header=BB67_146 Depth=2
	s_waitcnt lgkmcnt(0)
	v_cmp_lt_i16_e32 vcc, -1, v4
	v_cndmask_b32_e32 v5, v33, v34, vcc
	v_lshlrev_b32_e32 v8, 16, v4
	v_xor_b32_sdwa v5, v5, v4 dst_sel:DWORD dst_unused:UNUSED_PAD src0_sel:DWORD src1_sel:WORD_0
	v_cmp_o_f32_e32 vcc, v8, v8
	v_cndmask_b32_e32 v5, v33, v5, vcc
	v_and_b32_e32 v5, s10, v5
	v_cmp_eq_u32_e32 vcc, s11, v5
	s_and_b64 exec, exec, vcc
	s_cbranch_execz .LBB67_145
; %bb.150:                              ;   in Loop: Header=BB67_146 Depth=2
	v_perm_b32 v4, v4, s77, v37
	ds_write_b32 v9, v4 offset:3072
	s_branch .LBB67_145
.LBB67_151:                             ;   in Loop: Header=BB67_17 Depth=1
	s_or_b64 exec, exec, s[6:7]
	v_lshrrev_b32_e32 v38, 16, v4
	s_and_b64 s[6:7], s[26:27], exec
.LBB67_152:                             ;   in Loop: Header=BB67_17 Depth=1
	s_or_b64 exec, exec, s[24:25]
	s_mov_b64 s[28:29], -1
	s_mov_b64 s[26:27], 0
	s_mov_b64 s[24:25], 0
.LBB67_153:                             ;   in Loop: Header=BB67_17 Depth=1
	s_mov_b64 s[18:19], 0
                                        ; implicit-def: $sgpr55
	s_and_saveexec_b64 s[30:31], s[6:7]
	s_cbranch_execz .LBB67_249
; %bb.154:                              ;   in Loop: Header=BB67_17 Depth=1
	s_xor_b64 s[12:13], s[34:35], -1
	s_mov_b64 s[6:7], 0
	s_andn2_b64 vcc, exec, s[12:13]
	s_mov_b32 s47, 1
	s_cbranch_vccnz .LBB67_165
; %bb.155:                              ;   in Loop: Header=BB67_17 Depth=1
	s_cmp_gt_i32 s37, s36
	s_mov_b64 s[6:7], -1
                                        ; implicit-def: $sgpr55
                                        ; implicit-def: $sgpr12
                                        ; implicit-def: $sgpr13
	s_cbranch_scc1 .LBB67_161
; %bb.156:                              ;   in Loop: Header=BB67_17 Depth=1
	ds_read_b32 v2, v9 offset:4096
	s_waitcnt lgkmcnt(0)
	v_cmp_ne_u32_e32 vcc, 0, v2
	s_cbranch_vccnz .LBB67_160
; %bb.157:                              ;   in Loop: Header=BB67_17 Depth=1
	s_mov_b64 s[6:7], exec
	v_readlane_b32 s12, v52, 5
	v_readlane_b32 s13, v52, 6
	s_and_b64 s[12:13], s[6:7], s[12:13]
	s_mov_b64 exec, s[12:13]
	s_cbranch_execz .LBB67_159
; %bb.158:                              ;   in Loop: Header=BB67_17 Depth=1
	v_mov_b32_e32 v2, s36
	ds_write_b32 v9, v2 offset:4100
.LBB67_159:                             ;   in Loop: Header=BB67_17 Depth=1
	s_or_b64 exec, exec, s[6:7]
	s_waitcnt lgkmcnt(0)
	s_barrier
.LBB67_160:                             ;   in Loop: Header=BB67_17 Depth=1
	s_lshl_b32 s6, 1, s45
	s_and_b32 s7, s11, s46
	s_or_b32 s12, s7, s6
	s_or_b32 s13, s10, s53
	s_mov_b64 s[6:7], 0
	s_mov_b32 s55, 8
.LBB67_161:                             ;   in Loop: Header=BB67_17 Depth=1
	s_andn2_b64 vcc, exec, s[6:7]
	s_cbranch_vccnz .LBB67_163
; %bb.162:                              ;   in Loop: Header=BB67_17 Depth=1
	s_sub_i32 s37, s37, s36
	s_mov_b64 s[6:7], -1
	s_mov_b32 s55, 0
	s_mov_b32 s12, s11
	;; [unrolled: 1-line block ×3, first 2 shown]
.LBB67_163:                             ;   in Loop: Header=BB67_17 Depth=1
	s_mov_b32 s10, s13
	s_mov_b32 s11, s12
	;; [unrolled: 1-line block ×3, first 2 shown]
	s_andn2_b64 vcc, exec, s[6:7]
	s_mov_b64 s[18:19], -1
	s_cbranch_vccz .LBB67_166
.LBB67_164:                             ;   in Loop: Header=BB67_17 Depth=1
                                        ; implicit-def: $sgpr36_sgpr37
                                        ; implicit-def: $sgpr38_sgpr39
                                        ; implicit-def: $sgpr34_sgpr35
	s_branch .LBB67_248
.LBB67_165:                             ;   in Loop: Header=BB67_17 Depth=1
	s_mov_b32 s55, 1
	s_andn2_b64 vcc, exec, s[6:7]
	s_mov_b64 s[18:19], -1
	s_cbranch_vccnz .LBB67_164
.LBB67_166:                             ;   in Loop: Header=BB67_17 Depth=1
	s_cmp_eq_u32 s44, 1
	s_cselect_b64 s[6:7], -1, 0
	s_cmp_eq_u32 s47, 1
	s_cselect_b64 s[12:13], -1, 0
	s_and_b64 s[42:43], s[6:7], s[12:13]
	s_mov_b64 s[6:7], -1
	s_and_b64 vcc, exec, s[42:43]
	s_cbranch_vccz .LBB67_178
; %bb.167:                              ;   in Loop: Header=BB67_17 Depth=1
	ds_read_b32 v2, v9 offset:4096
	s_waitcnt lgkmcnt(0)
	s_barrier
	v_readfirstlane_b32 s12, v2
	s_mov_b64 s[6:7], exec
	v_readlane_b32 s14, v52, 17
	v_readlane_b32 s15, v52, 18
	s_and_b64 s[14:15], s[6:7], s[14:15]
	s_mov_b64 exec, s[14:15]
	s_cbranch_execz .LBB67_169
; %bb.168:                              ;   in Loop: Header=BB67_17 Depth=1
	ds_write_b16 v22, v9
.LBB67_169:                             ;   in Loop: Header=BB67_17 Depth=1
	s_or_b64 exec, exec, s[6:7]
	s_lshl_b32 s6, 2, s45
	s_and_b32 s7, s11, s46
	s_or_b32 s11, s7, s6
	s_or_b32 s10, s10, s53
	s_cmp_gt_i32 s12, 0
	s_waitcnt lgkmcnt(0)
	s_barrier
	s_cbranch_scc1 .LBB67_179
; %bb.170:                              ;   in Loop: Header=BB67_17 Depth=1
	s_mov_b64 s[6:7], 0
                                        ; implicit-def: $vgpr38
	s_mov_b64 s[34:35], exec
	v_readlane_b32 s14, v52, 40
	v_readlane_b32 s15, v52, 41
	s_and_b64 s[14:15], s[34:35], s[14:15]
	s_mov_b64 exec, s[14:15]
	s_cbranch_execz .LBB67_181
; %bb.171:                              ;   in Loop: Header=BB67_17 Depth=1
	v_mov_b32_e32 v2, v6
	v_mov_b32_e32 v4, v0
                                        ; implicit-def: $sgpr36_sgpr37
	s_branch .LBB67_173
.LBB67_172:                             ;   in Loop: Header=BB67_173 Depth=2
	s_or_b64 exec, exec, s[18:19]
	s_waitcnt lgkmcnt(0)
	s_barrier
	s_waitcnt vmcnt(0)
	ds_read_b32 v3, v9 offset:3072
	v_add_u32_e32 v4, s66, v4
	v_cmp_le_i32_e64 s[18:19], s9, v4
	v_add_u32_e32 v2, s81, v2
	s_waitcnt lgkmcnt(0)
	v_and_b32_e32 v5, 0x7fff, v3
	v_cmp_ne_u16_e32 vcc, 0, v5
	s_or_b64 s[14:15], s[18:19], vcc
	s_and_b64 s[14:15], exec, s[14:15]
	s_or_b64 s[6:7], s[14:15], s[6:7]
	s_andn2_b64 s[14:15], s[36:37], exec
	s_and_b64 s[18:19], vcc, exec
	s_or_b64 s[36:37], s[14:15], s[18:19]
	s_barrier
	s_andn2_b64 exec, exec, s[6:7]
	s_cbranch_execz .LBB67_180
.LBB67_173:                             ;   Parent Loop BB67_17 Depth=1
                                        ; =>  This Inner Loop Header: Depth=2
	v_cmp_gt_i32_e32 vcc, s60, v4
	v_mov_b32_e32 v3, 0
	s_and_saveexec_b64 s[38:39], vcc
	s_cbranch_execz .LBB67_175
; %bb.174:                              ;   in Loop: Header=BB67_173 Depth=2
	v_ashrrev_i32_e32 v3, 31, v2
	v_lshlrev_b64 v[16:17], 1, v[2:3]
	v_mov_b32_e32 v3, s80
	v_add_co_u32_e64 v16, s[18:19], s64, v16
	v_addc_co_u32_e64 v17, s[18:19], v3, v17, s[18:19]
	global_load_ushort v3, v[16:17], off
.LBB67_175:                             ;   in Loop: Header=BB67_173 Depth=2
	s_or_b64 exec, exec, s[38:39]
	s_and_saveexec_b64 s[18:19], vcc
	s_cbranch_execz .LBB67_172
; %bb.176:                              ;   in Loop: Header=BB67_173 Depth=2
	s_waitcnt vmcnt(0)
	v_cmp_lt_i16_e32 vcc, -1, v3
	v_cndmask_b32_e32 v5, v33, v34, vcc
	v_lshlrev_b32_e32 v8, 16, v3
	v_xor_b32_sdwa v5, v5, v3 dst_sel:DWORD dst_unused:UNUSED_PAD src0_sel:DWORD src1_sel:WORD_0
	v_cmp_o_f32_e32 vcc, v8, v8
	v_cndmask_b32_e32 v5, v33, v5, vcc
	v_and_b32_e32 v5, s10, v5
	v_cmp_eq_u32_e32 vcc, s11, v5
	s_and_b64 exec, exec, vcc
	s_cbranch_execz .LBB67_172
; %bb.177:                              ;   in Loop: Header=BB67_173 Depth=2
	v_perm_b32 v3, v3, s77, v37
	ds_write_b32 v9, v3 offset:3072
	s_branch .LBB67_172
.LBB67_178:                             ;   in Loop: Header=BB67_17 Depth=1
                                        ; implicit-def: $sgpr34_sgpr35
                                        ; implicit-def: $sgpr38_sgpr39
                                        ; implicit-def: $sgpr36_sgpr37
	s_branch .LBB67_192
.LBB67_179:                             ;   in Loop: Header=BB67_17 Depth=1
	s_mov_b64 s[34:35], -1
	s_mov_b64 s[6:7], 0
                                        ; implicit-def: $sgpr36_sgpr37
                                        ; implicit-def: $vgpr38
	s_mov_b64 s[38:39], s[34:35]
	s_cbranch_execnz .LBB67_182
	s_branch .LBB67_192
.LBB67_180:                             ;   in Loop: Header=BB67_17 Depth=1
	s_or_b64 exec, exec, s[6:7]
	v_lshrrev_b32_e32 v38, 16, v3
	s_and_b64 s[6:7], s[36:37], exec
.LBB67_181:                             ;   in Loop: Header=BB67_17 Depth=1
	s_or_b64 exec, exec, s[34:35]
	s_mov_b64 s[36:37], -1
	s_mov_b64 s[34:35], 0
	s_mov_b64 s[38:39], s[34:35]
	s_branch .LBB67_192
.LBB67_182:                             ;   in Loop: Header=BB67_17 Depth=1
	v_readlane_b32 s4, v52, 8
	s_add_i32 s13, s12, s4
	s_abs_i32 s7, s13
	v_readlane_b32 s4, v52, 39
	s_mul_hi_u32 s14, s7, s4
	s_mul_i32 s14, s14, s66
	s_sub_i32 s7, s7, s14
	s_ashr_i32 s6, s13, 31
	s_sub_i32 s14, s7, s66
	s_cmp_ge_u32 s7, s66
	s_cselect_b32 s7, s14, s7
	s_sub_i32 s14, s7, s66
	s_cmp_ge_u32 s7, s66
	s_cselect_b32 s7, s14, s7
	s_xor_b32 s7, s7, s6
	s_sub_i32 s6, s6, s7
	s_add_i32 s13, s13, s6
	v_cmp_gt_i32_e32 vcc, s13, v0
	s_mov_b64 s[6:7], 0
                                        ; implicit-def: $vgpr38
	s_and_saveexec_b64 s[34:35], vcc
	s_cbranch_execz .LBB67_191
; %bb.183:                              ;   in Loop: Header=BB67_17 Depth=1
	v_mov_b32_e32 v2, v21
	v_mov_b32_e32 v3, v0
                                        ; implicit-def: $sgpr36_sgpr37
	s_branch .LBB67_185
.LBB67_184:                             ;   in Loop: Header=BB67_185 Depth=2
	s_or_b64 exec, exec, s[18:19]
	s_waitcnt lgkmcnt(0)
	s_barrier
	ds_read_b32 v4, v9 offset:3072
	v_add_u32_e32 v3, s66, v3
	v_cmp_le_i32_e64 s[18:19], s13, v3
	v_add_u32_e32 v2, s76, v2
	s_waitcnt lgkmcnt(0)
	v_and_b32_e32 v5, 0x7fff, v4
	v_cmp_ne_u16_e32 vcc, 0, v5
	s_or_b64 s[14:15], s[18:19], vcc
	s_and_b64 s[14:15], exec, s[14:15]
	s_or_b64 s[6:7], s[14:15], s[6:7]
	s_andn2_b64 s[14:15], s[36:37], exec
	s_and_b64 s[18:19], vcc, exec
	s_or_b64 s[36:37], s[14:15], s[18:19]
	s_barrier
	s_andn2_b64 exec, exec, s[6:7]
	s_cbranch_execz .LBB67_190
.LBB67_185:                             ;   Parent Loop BB67_17 Depth=1
                                        ; =>  This Inner Loop Header: Depth=2
	v_cmp_gt_i32_e32 vcc, s12, v3
	v_mov_b32_e32 v4, 0
	s_and_saveexec_b64 s[18:19], vcc
	s_cbranch_execz .LBB67_187
; %bb.186:                              ;   in Loop: Header=BB67_185 Depth=2
	ds_read_u16 v4, v2
.LBB67_187:                             ;   in Loop: Header=BB67_185 Depth=2
	s_or_b64 exec, exec, s[18:19]
	s_and_saveexec_b64 s[18:19], vcc
	s_cbranch_execz .LBB67_184
; %bb.188:                              ;   in Loop: Header=BB67_185 Depth=2
	s_waitcnt lgkmcnt(0)
	v_cmp_lt_i16_e32 vcc, -1, v4
	v_cndmask_b32_e32 v5, v33, v34, vcc
	v_lshlrev_b32_e32 v8, 16, v4
	v_xor_b32_sdwa v5, v5, v4 dst_sel:DWORD dst_unused:UNUSED_PAD src0_sel:DWORD src1_sel:WORD_0
	v_cmp_o_f32_e32 vcc, v8, v8
	v_cndmask_b32_e32 v5, v33, v5, vcc
	v_and_b32_e32 v5, s10, v5
	v_cmp_eq_u32_e32 vcc, s11, v5
	s_and_b64 exec, exec, vcc
	s_cbranch_execz .LBB67_184
; %bb.189:                              ;   in Loop: Header=BB67_185 Depth=2
	v_perm_b32 v4, v4, s77, v37
	ds_write_b32 v9, v4 offset:3072
	s_branch .LBB67_184
.LBB67_190:                             ;   in Loop: Header=BB67_17 Depth=1
	s_or_b64 exec, exec, s[6:7]
	v_lshrrev_b32_e32 v38, 16, v4
	s_and_b64 s[6:7], s[36:37], exec
.LBB67_191:                             ;   in Loop: Header=BB67_17 Depth=1
	s_or_b64 exec, exec, s[34:35]
	s_mov_b64 s[38:39], -1
	s_mov_b64 s[34:35], 0
	s_mov_b64 s[36:37], 0
.LBB67_192:                             ;   in Loop: Header=BB67_17 Depth=1
	s_mov_b64 s[18:19], 0
                                        ; implicit-def: $sgpr55
	s_and_saveexec_b64 s[40:41], s[6:7]
	s_cbranch_execz .LBB67_247
; %bb.193:                              ;   in Loop: Header=BB67_17 Depth=1
	s_xor_b64 s[12:13], s[42:43], -1
	s_mov_b64 s[6:7], 0
	s_andn2_b64 vcc, exec, s[12:13]
	s_mov_b32 s54, 1
	s_cbranch_vccnz .LBB67_204
; %bb.194:                              ;   in Loop: Header=BB67_17 Depth=1
	s_cmp_gt_i32 s47, s44
	s_mov_b64 s[6:7], -1
                                        ; implicit-def: $sgpr55
                                        ; implicit-def: $sgpr12
                                        ; implicit-def: $sgpr13
	s_cbranch_scc1 .LBB67_200
; %bb.195:                              ;   in Loop: Header=BB67_17 Depth=1
	ds_read_b32 v2, v9 offset:4096
	s_waitcnt lgkmcnt(0)
	v_cmp_ne_u32_e32 vcc, 0, v2
	s_cbranch_vccnz .LBB67_199
; %bb.196:                              ;   in Loop: Header=BB67_17 Depth=1
	s_mov_b64 s[6:7], exec
	v_readlane_b32 s12, v52, 5
	v_readlane_b32 s13, v52, 6
	s_and_b64 s[12:13], s[6:7], s[12:13]
	s_mov_b64 exec, s[12:13]
	s_cbranch_execz .LBB67_198
; %bb.197:                              ;   in Loop: Header=BB67_17 Depth=1
	v_mov_b32_e32 v2, s44
	ds_write_b32 v9, v2 offset:4100
.LBB67_198:                             ;   in Loop: Header=BB67_17 Depth=1
	s_or_b64 exec, exec, s[6:7]
	s_waitcnt lgkmcnt(0)
	s_barrier
.LBB67_199:                             ;   in Loop: Header=BB67_17 Depth=1
	s_lshl_b32 s6, 2, s45
	s_and_b32 s7, s11, s46
	s_or_b32 s12, s7, s6
	s_or_b32 s13, s10, s53
	s_mov_b64 s[6:7], 0
	s_mov_b32 s55, 8
.LBB67_200:                             ;   in Loop: Header=BB67_17 Depth=1
	s_andn2_b64 vcc, exec, s[6:7]
	s_cbranch_vccnz .LBB67_202
; %bb.201:                              ;   in Loop: Header=BB67_17 Depth=1
	s_sub_i32 s47, s47, s44
	s_mov_b64 s[6:7], -1
	s_mov_b32 s55, 0
	s_mov_b32 s12, s11
	;; [unrolled: 1-line block ×3, first 2 shown]
.LBB67_202:                             ;   in Loop: Header=BB67_17 Depth=1
	s_mov_b32 s10, s13
	s_mov_b32 s11, s12
	;; [unrolled: 1-line block ×3, first 2 shown]
	s_andn2_b64 vcc, exec, s[6:7]
	s_mov_b64 s[50:51], -1
	s_cbranch_vccz .LBB67_205
.LBB67_203:                             ;   in Loop: Header=BB67_17 Depth=1
                                        ; implicit-def: $sgpr6_sgpr7
                                        ; implicit-def: $sgpr44_sgpr45
                                        ; implicit-def: $sgpr18_sgpr19
	s_branch .LBB67_246
.LBB67_204:                             ;   in Loop: Header=BB67_17 Depth=1
	s_mov_b32 s55, 1
	s_andn2_b64 vcc, exec, s[6:7]
	s_mov_b64 s[50:51], -1
	s_cbranch_vccnz .LBB67_203
.LBB67_205:                             ;   in Loop: Header=BB67_17 Depth=1
	s_cmp_eq_u32 s52, 1
	s_cselect_b64 s[6:7], -1, 0
	s_cmp_eq_u32 s54, 1
	s_cselect_b64 s[12:13], -1, 0
	s_and_b64 s[42:43], s[6:7], s[12:13]
	s_mov_b64 s[46:47], -1
	s_and_b64 vcc, exec, s[42:43]
	s_cbranch_vccz .LBB67_217
; %bb.206:                              ;   in Loop: Header=BB67_17 Depth=1
	ds_read_b32 v2, v9 offset:4096
	s_waitcnt lgkmcnt(0)
	s_barrier
	v_readfirstlane_b32 s12, v2
	s_mov_b64 s[6:7], exec
	v_readlane_b32 s14, v52, 17
	v_readlane_b32 s15, v52, 18
	s_and_b64 s[14:15], s[6:7], s[14:15]
	s_mov_b64 exec, s[14:15]
	s_cbranch_execz .LBB67_208
; %bb.207:                              ;   in Loop: Header=BB67_17 Depth=1
	ds_write_b16 v22, v9
.LBB67_208:                             ;   in Loop: Header=BB67_17 Depth=1
	s_or_b64 exec, exec, s[6:7]
	s_or_b32 s11, s11, s53
	s_or_b32 s10, s10, s53
	s_cmp_gt_i32 s12, 0
	s_waitcnt lgkmcnt(0)
	s_barrier
	s_cbranch_scc1 .LBB67_218
; %bb.209:                              ;   in Loop: Header=BB67_17 Depth=1
	s_mov_b64 s[46:47], 0
                                        ; implicit-def: $vgpr38
	s_mov_b64 s[6:7], exec
	v_readlane_b32 s14, v52, 40
	v_readlane_b32 s15, v52, 41
	s_and_b64 s[14:15], s[6:7], s[14:15]
	s_mov_b64 exec, s[14:15]
	s_cbranch_execz .LBB67_220
; %bb.210:                              ;   in Loop: Header=BB67_17 Depth=1
	s_mov_b64 s[44:45], 0
	v_mov_b32_e32 v2, v6
	v_mov_b32_e32 v4, v0
                                        ; implicit-def: $sgpr46_sgpr47
	s_branch .LBB67_212
.LBB67_211:                             ;   in Loop: Header=BB67_212 Depth=2
	s_or_b64 exec, exec, s[18:19]
	s_waitcnt lgkmcnt(0)
	s_barrier
	s_waitcnt vmcnt(0)
	ds_read_b32 v3, v9 offset:3072
	v_add_u32_e32 v4, s66, v4
	v_cmp_le_i32_e64 s[18:19], s9, v4
	v_add_u32_e32 v2, s81, v2
	s_waitcnt lgkmcnt(0)
	v_and_b32_e32 v5, 0x7fff, v3
	v_cmp_ne_u16_e32 vcc, 0, v5
	s_or_b64 s[14:15], s[18:19], vcc
	s_and_b64 s[14:15], exec, s[14:15]
	s_or_b64 s[44:45], s[14:15], s[44:45]
	s_andn2_b64 s[14:15], s[46:47], exec
	s_and_b64 s[18:19], vcc, exec
	s_or_b64 s[46:47], s[14:15], s[18:19]
	s_barrier
	s_andn2_b64 exec, exec, s[44:45]
	s_cbranch_execz .LBB67_219
.LBB67_212:                             ;   Parent Loop BB67_17 Depth=1
                                        ; =>  This Inner Loop Header: Depth=2
	v_cmp_gt_i32_e32 vcc, s60, v4
	v_mov_b32_e32 v3, 0
	s_and_saveexec_b64 s[48:49], vcc
	s_cbranch_execz .LBB67_214
; %bb.213:                              ;   in Loop: Header=BB67_212 Depth=2
	v_ashrrev_i32_e32 v3, 31, v2
	v_lshlrev_b64 v[16:17], 1, v[2:3]
	v_mov_b32_e32 v3, s80
	v_add_co_u32_e64 v16, s[18:19], s64, v16
	v_addc_co_u32_e64 v17, s[18:19], v3, v17, s[18:19]
	global_load_ushort v3, v[16:17], off
.LBB67_214:                             ;   in Loop: Header=BB67_212 Depth=2
	s_or_b64 exec, exec, s[48:49]
	s_and_saveexec_b64 s[18:19], vcc
	s_cbranch_execz .LBB67_211
; %bb.215:                              ;   in Loop: Header=BB67_212 Depth=2
	s_waitcnt vmcnt(0)
	v_cmp_lt_i16_e32 vcc, -1, v3
	v_cndmask_b32_e32 v5, v33, v34, vcc
	v_lshlrev_b32_e32 v8, 16, v3
	v_xor_b32_sdwa v5, v5, v3 dst_sel:DWORD dst_unused:UNUSED_PAD src0_sel:DWORD src1_sel:WORD_0
	v_cmp_o_f32_e32 vcc, v8, v8
	v_cndmask_b32_e32 v5, v33, v5, vcc
	v_and_b32_e32 v5, s10, v5
	v_cmp_eq_u32_e32 vcc, s11, v5
	s_and_b64 exec, exec, vcc
	s_cbranch_execz .LBB67_211
; %bb.216:                              ;   in Loop: Header=BB67_212 Depth=2
	v_perm_b32 v3, v3, s77, v37
	ds_write_b32 v9, v3 offset:3072
	s_branch .LBB67_211
.LBB67_217:                             ;   in Loop: Header=BB67_17 Depth=1
                                        ; implicit-def: $sgpr6_sgpr7
                                        ; implicit-def: $sgpr44_sgpr45
                                        ; implicit-def: $sgpr18_sgpr19
	s_branch .LBB67_231
.LBB67_218:                             ;   in Loop: Header=BB67_17 Depth=1
	s_mov_b64 s[6:7], -1
	s_mov_b64 s[46:47], 0
                                        ; implicit-def: $sgpr18_sgpr19
                                        ; implicit-def: $vgpr38
	s_mov_b64 s[44:45], s[6:7]
	s_cbranch_execnz .LBB67_221
	s_branch .LBB67_231
.LBB67_219:                             ;   in Loop: Header=BB67_17 Depth=1
	s_or_b64 exec, exec, s[44:45]
	v_lshrrev_b32_e32 v38, 16, v3
	s_and_b64 s[46:47], s[46:47], exec
.LBB67_220:                             ;   in Loop: Header=BB67_17 Depth=1
	s_or_b64 exec, exec, s[6:7]
	s_mov_b64 s[18:19], -1
	s_mov_b64 s[6:7], 0
	s_mov_b64 s[44:45], s[6:7]
	s_branch .LBB67_231
.LBB67_221:                             ;   in Loop: Header=BB67_17 Depth=1
	v_readlane_b32 s4, v52, 8
	s_add_i32 s13, s12, s4
	s_abs_i32 s7, s13
	v_readlane_b32 s4, v52, 39
	s_mul_hi_u32 s14, s7, s4
	s_mul_i32 s14, s14, s66
	s_sub_i32 s7, s7, s14
	s_ashr_i32 s6, s13, 31
	s_sub_i32 s14, s7, s66
	s_cmp_ge_u32 s7, s66
	s_cselect_b32 s7, s14, s7
	s_sub_i32 s14, s7, s66
	s_cmp_ge_u32 s7, s66
	s_cselect_b32 s7, s14, s7
	s_xor_b32 s7, s7, s6
	s_sub_i32 s6, s6, s7
	s_add_i32 s13, s13, s6
	v_cmp_gt_i32_e32 vcc, s13, v0
	s_mov_b64 s[46:47], 0
                                        ; implicit-def: $vgpr38
	s_and_saveexec_b64 s[6:7], vcc
	s_cbranch_execz .LBB67_230
; %bb.222:                              ;   in Loop: Header=BB67_17 Depth=1
	s_mov_b64 s[44:45], 0
	v_mov_b32_e32 v2, v21
	v_mov_b32_e32 v3, v0
                                        ; implicit-def: $sgpr46_sgpr47
	s_branch .LBB67_224
.LBB67_223:                             ;   in Loop: Header=BB67_224 Depth=2
	s_or_b64 exec, exec, s[18:19]
	s_waitcnt lgkmcnt(0)
	s_barrier
	ds_read_b32 v4, v9 offset:3072
	v_add_u32_e32 v3, s66, v3
	v_cmp_le_i32_e64 s[18:19], s13, v3
	v_add_u32_e32 v2, s76, v2
	s_waitcnt lgkmcnt(0)
	v_and_b32_e32 v5, 0x7fff, v4
	v_cmp_ne_u16_e32 vcc, 0, v5
	s_or_b64 s[14:15], s[18:19], vcc
	s_and_b64 s[14:15], exec, s[14:15]
	s_or_b64 s[44:45], s[14:15], s[44:45]
	s_andn2_b64 s[14:15], s[46:47], exec
	s_and_b64 s[18:19], vcc, exec
	s_or_b64 s[46:47], s[14:15], s[18:19]
	s_barrier
	s_andn2_b64 exec, exec, s[44:45]
	s_cbranch_execz .LBB67_229
.LBB67_224:                             ;   Parent Loop BB67_17 Depth=1
                                        ; =>  This Inner Loop Header: Depth=2
	v_cmp_gt_i32_e32 vcc, s12, v3
	v_mov_b32_e32 v4, 0
	s_and_saveexec_b64 s[18:19], vcc
	s_cbranch_execz .LBB67_226
; %bb.225:                              ;   in Loop: Header=BB67_224 Depth=2
	ds_read_u16 v4, v2
.LBB67_226:                             ;   in Loop: Header=BB67_224 Depth=2
	s_or_b64 exec, exec, s[18:19]
	s_and_saveexec_b64 s[18:19], vcc
	s_cbranch_execz .LBB67_223
; %bb.227:                              ;   in Loop: Header=BB67_224 Depth=2
	s_waitcnt lgkmcnt(0)
	v_cmp_lt_i16_e32 vcc, -1, v4
	v_cndmask_b32_e32 v5, v33, v34, vcc
	v_lshlrev_b32_e32 v8, 16, v4
	v_xor_b32_sdwa v5, v5, v4 dst_sel:DWORD dst_unused:UNUSED_PAD src0_sel:DWORD src1_sel:WORD_0
	v_cmp_o_f32_e32 vcc, v8, v8
	v_cndmask_b32_e32 v5, v33, v5, vcc
	v_and_b32_e32 v5, s10, v5
	v_cmp_eq_u32_e32 vcc, s11, v5
	s_and_b64 exec, exec, vcc
	s_cbranch_execz .LBB67_223
; %bb.228:                              ;   in Loop: Header=BB67_224 Depth=2
	v_perm_b32 v4, v4, s77, v37
	ds_write_b32 v9, v4 offset:3072
	s_branch .LBB67_223
.LBB67_229:                             ;   in Loop: Header=BB67_17 Depth=1
	s_or_b64 exec, exec, s[44:45]
	v_lshrrev_b32_e32 v38, 16, v4
	s_and_b64 s[46:47], s[46:47], exec
.LBB67_230:                             ;   in Loop: Header=BB67_17 Depth=1
	s_or_b64 exec, exec, s[6:7]
	s_mov_b64 s[44:45], -1
	s_mov_b64 s[6:7], 0
	s_mov_b64 s[18:19], 0
.LBB67_231:                             ;   in Loop: Header=BB67_17 Depth=1
	s_mov_b64 s[50:51], 0
                                        ; implicit-def: $sgpr55
	s_and_saveexec_b64 s[48:49], s[46:47]
	s_cbranch_execz .LBB67_245
; %bb.232:                              ;   in Loop: Header=BB67_17 Depth=1
	s_xor_b64 s[12:13], s[42:43], -1
	s_andn2_b64 vcc, exec, s[12:13]
	s_mov_b32 s55, 1
	s_cbranch_vccnz .LBB67_239
; %bb.233:                              ;   in Loop: Header=BB67_17 Depth=1
	s_cmp_gt_i32 s54, s52
	s_cbranch_scc1 .LBB67_240
; %bb.234:                              ;   in Loop: Header=BB67_17 Depth=1
	ds_read_b32 v2, v9 offset:4096
	s_waitcnt lgkmcnt(0)
	v_cmp_ne_u32_e32 vcc, 0, v2
	s_cbranch_vccnz .LBB67_238
; %bb.235:                              ;   in Loop: Header=BB67_17 Depth=1
	s_mov_b64 s[42:43], exec
	v_readlane_b32 s12, v52, 5
	v_readlane_b32 s13, v52, 6
	s_and_b64 s[12:13], s[42:43], s[12:13]
	s_mov_b64 exec, s[12:13]
	s_cbranch_execz .LBB67_237
; %bb.236:                              ;   in Loop: Header=BB67_17 Depth=1
	v_mov_b32_e32 v2, s52
	ds_write_b32 v9, v2 offset:4100
.LBB67_237:                             ;   in Loop: Header=BB67_17 Depth=1
	s_or_b64 exec, exec, s[42:43]
	s_waitcnt lgkmcnt(0)
	s_barrier
.LBB67_238:                             ;   in Loop: Header=BB67_17 Depth=1
	s_or_b32 s12, s11, s53
	s_or_b32 s13, s10, s53
	s_mov_b64 s[42:43], 0
	s_mov_b32 s55, 8
	s_branch .LBB67_241
.LBB67_239:                             ;   in Loop: Header=BB67_17 Depth=1
	s_mov_b32 s54, 1
	s_branch .LBB67_244
.LBB67_240:                             ;   in Loop: Header=BB67_17 Depth=1
	s_mov_b64 s[42:43], -1
                                        ; implicit-def: $sgpr55
                                        ; implicit-def: $sgpr12
                                        ; implicit-def: $sgpr13
.LBB67_241:                             ;   in Loop: Header=BB67_17 Depth=1
	s_andn2_b64 vcc, exec, s[42:43]
	s_cbranch_vccnz .LBB67_243
; %bb.242:                              ;   in Loop: Header=BB67_17 Depth=1
	s_sub_i32 s54, s54, s52
	s_mov_b32 s55, 8
	s_mov_b32 s12, s11
	s_mov_b32 s13, s10
.LBB67_243:                             ;   in Loop: Header=BB67_17 Depth=1
	s_mov_b32 s11, s12
	s_mov_b32 s10, s13
.LBB67_244:                             ;   in Loop: Header=BB67_17 Depth=1
	s_mov_b64 s[50:51], exec
.LBB67_245:                             ;   in Loop: Header=BB67_17 Depth=1
	s_or_b64 exec, exec, s[48:49]
.LBB67_246:                             ;   in Loop: Header=BB67_17 Depth=1
	s_andn2_b64 s[12:13], s[34:35], exec
	s_and_b64 s[6:7], s[6:7], exec
	s_or_b64 s[34:35], s[12:13], s[6:7]
	s_andn2_b64 s[6:7], s[38:39], exec
	s_and_b64 s[12:13], s[44:45], exec
	s_or_b64 s[38:39], s[6:7], s[12:13]
	;; [unrolled: 3-line block ×3, first 2 shown]
	s_and_b64 s[18:19], s[50:51], exec
	s_mov_b32 s47, s54
.LBB67_247:                             ;   in Loop: Header=BB67_17 Depth=1
	s_or_b64 exec, exec, s[40:41]
.LBB67_248:                             ;   in Loop: Header=BB67_17 Depth=1
	s_andn2_b64 s[6:7], s[26:27], exec
	s_and_b64 s[12:13], s[34:35], exec
	s_or_b64 s[26:27], s[6:7], s[12:13]
	s_andn2_b64 s[6:7], s[28:29], exec
	s_and_b64 s[12:13], s[38:39], exec
	s_or_b64 s[28:29], s[6:7], s[12:13]
	;; [unrolled: 3-line block ×3, first 2 shown]
	s_and_b64 s[18:19], s[18:19], exec
	s_mov_b32 s37, s47
.LBB67_249:                             ;   in Loop: Header=BB67_17 Depth=1
	s_or_b64 exec, exec, s[30:31]
	s_and_saveexec_b64 s[6:7], s[18:19]
	s_xor_b64 s[6:7], exec, s[6:7]
	s_cbranch_execz .LBB67_15
.LBB67_250:                             ;   in Loop: Header=BB67_17 Depth=1
	s_and_b32 s12, s55, -9
	s_cmp_eq_u32 s12, 0
	s_cbranch_scc1 .LBB67_13
; %bb.251:                              ;   in Loop: Header=BB67_17 Depth=1
	s_mov_b64 s[18:19], -1
                                        ; implicit-def: $sgpr10
                                        ; implicit-def: $sgpr37
                                        ; implicit-def: $sgpr78
                                        ; implicit-def: $sgpr79
	s_mov_b64 s[22:23], -1
	s_branch .LBB67_14
.LBB67_252:
	s_or_b64 exec, exec, s[90:91]
	s_xor_b64 s[6:7], s[68:69], -1
	s_xor_b64 s[0:1], s[92:93], -1
	;; [unrolled: 1-line block ×3, first 2 shown]
	s_mov_b64 s[2:3], 0
	s_and_saveexec_b64 s[4:5], s[0:1]
	s_xor_b64 s[4:5], exec, s[4:5]
	s_cbranch_execnz .LBB67_257
; %bb.253:
	s_andn2_saveexec_b64 s[0:1], s[4:5]
	s_cbranch_execnz .LBB67_277
.LBB67_254:
	s_or_b64 exec, exec, s[0:1]
	s_and_saveexec_b64 s[0:1], s[2:3]
.LBB67_255:
	; divergent unreachable
.LBB67_256:
	s_endpgm
.LBB67_257:
	s_and_saveexec_b64 s[0:1], s[6:7]
	s_xor_b64 s[6:7], exec, s[0:1]
	s_cbranch_execz .LBB67_275
; %bb.258:
	s_and_saveexec_b64 s[0:1], s[8:9]
	s_xor_b64 s[2:3], exec, s[0:1]
; %bb.259:
	v_and_b32_e32 v1, 0x8000, v2
	v_mov_b32_e32 v3, 0x8000
	v_mov_b32_e32 v4, 0xffff
	v_cmp_eq_u32_e32 vcc, 0, v1
	v_cndmask_b32_e32 v1, v3, v4, vcc
	v_xor_b32_e32 v38, v1, v2
; %bb.260:
	s_or_b64 exec, exec, s[2:3]
	s_mov_b64 s[2:3], exec
	v_readlane_b32 s0, v52, 5
	v_readlane_b32 s1, v52, 6
	s_and_b64 s[0:1], s[2:3], s[0:1]
	s_mov_b64 exec, s[0:1]
	s_cbranch_execz .LBB67_262
; %bb.261:
	v_mov_b32_e32 v1, 0
	v_mov_b32_e32 v2, s60
	ds_write_b32 v1, v2 offset:4108
.LBB67_262:
	s_or_b64 exec, exec, s[2:3]
	v_mov_b32_e32 v1, 0
	s_waitcnt lgkmcnt(0)
	s_barrier
	ds_read_b32 v1, v1 offset:4108
	s_waitcnt lgkmcnt(0)
	v_min_i32_e32 v1, s60, v1
	v_cmp_lt_i32_e32 vcc, v0, v1
	s_and_saveexec_b64 s[8:9], vcc
	s_cbranch_execz .LBB67_272
; %bb.263:
	v_lshlrev_b32_e32 v3, 16, v38
	v_cmp_u_f32_e32 vcc, v3, v3
	s_mov_b64 s[10:11], 0
	v_mov_b32_e32 v4, s80
	s_xor_b64 s[14:15], vcc, -1
                                        ; implicit-def: $sgpr12_sgpr13
                                        ; implicit-def: $sgpr18_sgpr19
                                        ; implicit-def: $sgpr16_sgpr17
	s_branch .LBB67_265
.LBB67_264:                             ;   in Loop: Header=BB67_265 Depth=1
	s_or_b64 exec, exec, s[2:3]
	s_and_b64 s[0:1], exec, s[18:19]
	s_or_b64 s[10:11], s[0:1], s[10:11]
	s_andn2_b64 s[0:1], s[12:13], exec
	s_and_b64 s[2:3], s[16:17], exec
	s_or_b64 s[12:13], s[0:1], s[2:3]
	s_andn2_b64 exec, exec, s[10:11]
	s_cbranch_execz .LBB67_267
.LBB67_265:                             ; =>This Inner Loop Header: Depth=1
	v_ashrrev_i32_e32 v7, 31, v6
	v_lshlrev_b64 v[8:9], 1, v[6:7]
	v_add_co_u32_e32 v8, vcc, s64, v8
	v_addc_co_u32_e32 v9, vcc, v4, v9, vcc
	global_load_ushort v5, v[8:9], off
	v_mov_b32_e32 v2, v0
	s_or_b64 s[16:17], s[16:17], exec
	s_or_b64 s[18:19], s[18:19], exec
	s_waitcnt vmcnt(0)
	v_lshlrev_b32_e32 v0, 16, v5
	v_cmp_o_f32_e64 s[2:3], v0, v0
	v_cmp_neq_f32_e32 vcc, v0, v3
	s_or_b64 s[0:1], s[14:15], s[2:3]
	s_and_b64 s[0:1], vcc, s[0:1]
                                        ; implicit-def: $vgpr0
	s_and_saveexec_b64 s[2:3], s[0:1]
	s_cbranch_execz .LBB67_264
; %bb.266:                              ;   in Loop: Header=BB67_265 Depth=1
	v_add_u32_e32 v0, s66, v2
	v_cmp_ge_i32_e32 vcc, v0, v1
	s_andn2_b64 s[0:1], s[18:19], exec
	s_and_b64 s[18:19], vcc, exec
	v_add_u32_e32 v6, s81, v6
	s_andn2_b64 s[16:17], s[16:17], exec
	s_or_b64 s[18:19], s[0:1], s[18:19]
	s_branch .LBB67_264
.LBB67_267:
	s_or_b64 exec, exec, s[10:11]
	s_and_saveexec_b64 s[0:1], s[12:13]
	s_xor_b64 s[0:1], exec, s[0:1]
	s_cbranch_execz .LBB67_272
; %bb.268:
	s_mov_b64 s[2:3], exec
	s_brev_b32 s0, -2
.LBB67_269:                             ; =>This Inner Loop Header: Depth=1
	s_ff1_i32_b64 s1, s[2:3]
	v_readlane_b32 s12, v2, s1
	s_lshl_b64 s[10:11], 1, s1
	s_min_i32 s0, s0, s12
	s_andn2_b64 s[2:3], s[2:3], s[10:11]
	s_cmp_lg_u64 s[2:3], 0
	s_cbranch_scc1 .LBB67_269
; %bb.270:
	v_mbcnt_lo_u32_b32 v0, exec_lo, 0
	v_mbcnt_hi_u32_b32 v0, exec_hi, v0
	v_cmp_eq_u32_e32 vcc, 0, v0
	s_and_saveexec_b64 s[2:3], vcc
	s_xor_b64 s[2:3], exec, s[2:3]
	s_cbranch_execz .LBB67_272
; %bb.271:
	v_mov_b32_e32 v0, 0
	v_mov_b32_e32 v1, s0
	ds_min_i32 v0, v1 offset:4108
.LBB67_272:
	s_or_b64 exec, exec, s[8:9]
	s_waitcnt lgkmcnt(0)
	s_barrier
	s_mov_b64 s[2:3], exec
	v_readlane_b32 s0, v52, 5
	v_readlane_b32 s1, v52, 6
	s_and_b64 s[0:1], s[2:3], s[0:1]
	s_mov_b64 exec, s[0:1]
	s_cbranch_execz .LBB67_274
; %bb.273:
	v_readlane_b32 s0, v52, 0
	s_mul_i32 s0, s0, s62
	v_readlane_b32 s1, v52, 7
	s_add_i32 s0, s0, s65
	s_mul_i32 s1, s1, s33
	s_add_i32 s8, s1, s67
	s_ashr_i32 s1, s0, 31
	v_mov_b32_e32 v2, 0
	s_lshl_b64 s[0:1], s[0:1], 1
	v_readlane_b32 s10, v52, 1
	ds_read_b32 v0, v2 offset:4108
	v_readlane_b32 s11, v52, 2
	s_add_u32 s0, s10, s0
	s_addc_u32 s1, s11, s1
	s_ashr_i32 s9, s8, 31
	s_lshl_b64 s[8:9], s[8:9], 3
	v_readlane_b32 s10, v52, 3
	v_readlane_b32 s11, v52, 4
	s_add_u32 s8, s10, s8
	s_addc_u32 s9, s11, s9
	s_waitcnt lgkmcnt(0)
	v_ashrrev_i32_e32 v1, 31, v0
	global_store_dwordx2 v2, v[0:1], s[8:9]
	global_store_short v2, v38, s[0:1]
.LBB67_274:
	s_or_b64 exec, exec, s[2:3]
.LBB67_275:
	s_or_saveexec_b64 s[0:1], s[6:7]
	s_mov_b64 s[2:3], 0
	s_xor_b64 exec, exec, s[0:1]
	s_cbranch_execnz .LBB67_278
.LBB67_276:
	s_or_b64 exec, exec, s[0:1]
	s_and_b64 s[2:3], s[2:3], exec
	s_andn2_saveexec_b64 s[0:1], s[4:5]
	s_cbranch_execz .LBB67_254
.LBB67_277:
	s_or_b64 s[2:3], s[2:3], exec
	s_trap 2
	s_or_b64 exec, exec, s[0:1]
	s_and_saveexec_b64 s[0:1], s[2:3]
	s_cbranch_execnz .LBB67_255
	s_branch .LBB67_256
.LBB67_278:
	s_mov_b64 s[2:3], exec
	s_trap 2
	s_branch .LBB67_276
	.section	.rodata,"a",@progbits
	.p2align	6, 0x0
	.amdhsa_kernel _ZN2at6native12_GLOBAL__N_114gatherKthValueIN3c108BFloat16EiLin1EEEvNS_4cuda6detail10TensorInfoIKT_T0_EESA_SA_SA_SA_NS7_IS8_SA_EENS7_IlSA_EE
		.amdhsa_group_segment_fixed_size 4112
		.amdhsa_private_segment_fixed_size 0
		.amdhsa_kernarg_size 920
		.amdhsa_user_sgpr_count 6
		.amdhsa_user_sgpr_private_segment_buffer 1
		.amdhsa_user_sgpr_dispatch_ptr 0
		.amdhsa_user_sgpr_queue_ptr 0
		.amdhsa_user_sgpr_kernarg_segment_ptr 1
		.amdhsa_user_sgpr_dispatch_id 0
		.amdhsa_user_sgpr_flat_scratch_init 0
		.amdhsa_user_sgpr_kernarg_preload_length 0
		.amdhsa_user_sgpr_kernarg_preload_offset 0
		.amdhsa_user_sgpr_private_segment_size 0
		.amdhsa_uses_dynamic_stack 0
		.amdhsa_system_sgpr_private_segment_wavefront_offset 0
		.amdhsa_system_sgpr_workgroup_id_x 1
		.amdhsa_system_sgpr_workgroup_id_y 1
		.amdhsa_system_sgpr_workgroup_id_z 1
		.amdhsa_system_sgpr_workgroup_info 0
		.amdhsa_system_vgpr_workitem_id 0
		.amdhsa_next_free_vgpr 53
		.amdhsa_next_free_sgpr 96
		.amdhsa_accum_offset 56
		.amdhsa_reserve_vcc 1
		.amdhsa_reserve_flat_scratch 0
		.amdhsa_float_round_mode_32 0
		.amdhsa_float_round_mode_16_64 0
		.amdhsa_float_denorm_mode_32 3
		.amdhsa_float_denorm_mode_16_64 3
		.amdhsa_dx10_clamp 1
		.amdhsa_ieee_mode 1
		.amdhsa_fp16_overflow 0
		.amdhsa_tg_split 0
		.amdhsa_exception_fp_ieee_invalid_op 0
		.amdhsa_exception_fp_denorm_src 0
		.amdhsa_exception_fp_ieee_div_zero 0
		.amdhsa_exception_fp_ieee_overflow 0
		.amdhsa_exception_fp_ieee_underflow 0
		.amdhsa_exception_fp_ieee_inexact 0
		.amdhsa_exception_int_div_zero 0
	.end_amdhsa_kernel
	.section	.text._ZN2at6native12_GLOBAL__N_114gatherKthValueIN3c108BFloat16EiLin1EEEvNS_4cuda6detail10TensorInfoIKT_T0_EESA_SA_SA_SA_NS7_IS8_SA_EENS7_IlSA_EE,"axG",@progbits,_ZN2at6native12_GLOBAL__N_114gatherKthValueIN3c108BFloat16EiLin1EEEvNS_4cuda6detail10TensorInfoIKT_T0_EESA_SA_SA_SA_NS7_IS8_SA_EENS7_IlSA_EE,comdat
.Lfunc_end67:
	.size	_ZN2at6native12_GLOBAL__N_114gatherKthValueIN3c108BFloat16EiLin1EEEvNS_4cuda6detail10TensorInfoIKT_T0_EESA_SA_SA_SA_NS7_IS8_SA_EENS7_IlSA_EE, .Lfunc_end67-_ZN2at6native12_GLOBAL__N_114gatherKthValueIN3c108BFloat16EiLin1EEEvNS_4cuda6detail10TensorInfoIKT_T0_EESA_SA_SA_SA_NS7_IS8_SA_EENS7_IlSA_EE
                                        ; -- End function
	.section	.AMDGPU.csdata,"",@progbits
; Kernel info:
; codeLenInByte = 11400
; NumSgprs: 100
; NumVgprs: 53
; NumAgprs: 0
; TotalNumVgprs: 53
; ScratchSize: 0
; MemoryBound: 0
; FloatMode: 240
; IeeeMode: 1
; LDSByteSize: 4112 bytes/workgroup (compile time only)
; SGPRBlocks: 12
; VGPRBlocks: 6
; NumSGPRsForWavesPerEU: 100
; NumVGPRsForWavesPerEU: 53
; AccumOffset: 56
; Occupancy: 8
; WaveLimiterHint : 1
; COMPUTE_PGM_RSRC2:SCRATCH_EN: 0
; COMPUTE_PGM_RSRC2:USER_SGPR: 6
; COMPUTE_PGM_RSRC2:TRAP_HANDLER: 0
; COMPUTE_PGM_RSRC2:TGID_X_EN: 1
; COMPUTE_PGM_RSRC2:TGID_Y_EN: 1
; COMPUTE_PGM_RSRC2:TGID_Z_EN: 1
; COMPUTE_PGM_RSRC2:TIDIG_COMP_CNT: 0
; COMPUTE_PGM_RSRC3_GFX90A:ACCUM_OFFSET: 13
; COMPUTE_PGM_RSRC3_GFX90A:TG_SPLIT: 0
	.section	.text._ZN2at6native12_GLOBAL__N_114gatherKthValueIN3c108BFloat16ElLi1EEEvNS_4cuda6detail10TensorInfoIKT_T0_EESA_SA_SA_SA_NS7_IS8_SA_EENS7_IlSA_EE,"axG",@progbits,_ZN2at6native12_GLOBAL__N_114gatherKthValueIN3c108BFloat16ElLi1EEEvNS_4cuda6detail10TensorInfoIKT_T0_EESA_SA_SA_SA_NS7_IS8_SA_EENS7_IlSA_EE,comdat
	.globl	_ZN2at6native12_GLOBAL__N_114gatherKthValueIN3c108BFloat16ElLi1EEEvNS_4cuda6detail10TensorInfoIKT_T0_EESA_SA_SA_SA_NS7_IS8_SA_EENS7_IlSA_EE ; -- Begin function _ZN2at6native12_GLOBAL__N_114gatherKthValueIN3c108BFloat16ElLi1EEEvNS_4cuda6detail10TensorInfoIKT_T0_EESA_SA_SA_SA_NS7_IS8_SA_EENS7_IlSA_EE
	.p2align	8
	.type	_ZN2at6native12_GLOBAL__N_114gatherKthValueIN3c108BFloat16ElLi1EEEvNS_4cuda6detail10TensorInfoIKT_T0_EESA_SA_SA_SA_NS7_IS8_SA_EENS7_IlSA_EE,@function
_ZN2at6native12_GLOBAL__N_114gatherKthValueIN3c108BFloat16ElLi1EEEvNS_4cuda6detail10TensorInfoIKT_T0_EESA_SA_SA_SA_NS7_IS8_SA_EENS7_IlSA_EE: ; @_ZN2at6native12_GLOBAL__N_114gatherKthValueIN3c108BFloat16ElLi1EEEvNS_4cuda6detail10TensorInfoIKT_T0_EESA_SA_SA_SA_NS7_IS8_SA_EENS7_IlSA_EE
; %bb.0:
	s_load_dwordx8 s[52:59], s[4:5], 0x1a0
	s_load_dwordx2 s[12:13], s[4:5], 0x500
	s_add_u32 s10, s4, 0x500
	s_addc_u32 s11, s5, 0
	s_mov_b32 s15, 0
	s_waitcnt lgkmcnt(0)
	v_mov_b32_e32 v2, s56
	s_mul_i32 s0, s13, s8
	s_add_i32 s0, s0, s7
	s_mul_i32 s0, s0, s12
	v_mov_b32_e32 v3, s57
	s_add_i32 s14, s0, s6
	v_cmp_ge_i64_e32 vcc, s[14:15], v[2:3]
	s_cbranch_vccnz .LBB68_279
; %bb.1:
	s_load_dwordx2 s[0:1], s[4:5], 0x430
                                        ; implicit-def: $vgpr56 : SGPR spill to VGPR lane
	v_cmp_eq_u32_e64 s[8:9], 0, v0
	s_waitcnt lgkmcnt(0)
	v_writelane_b32 v56, s0, 0
	v_writelane_b32 v56, s1, 1
	s_load_dwordx2 s[0:1], s[4:5], 0x360
	s_waitcnt lgkmcnt(0)
	v_writelane_b32 v56, s0, 2
	v_writelane_b32 v56, s1, 3
	s_load_dwordx2 s[0:1], s[4:5], 0x290
	;; [unrolled: 4-line block ×4, first 2 shown]
	s_load_dwordx2 s[0:1], s[4:5], 0x0
	s_mov_b64 s[4:5], exec
	v_writelane_b32 v56, s8, 8
	v_writelane_b32 v56, s9, 9
	s_and_b64 s[8:9], s[4:5], s[8:9]
	s_mov_b64 exec, s[8:9]
	s_cbranch_execz .LBB68_3
; %bb.2:
	v_mov_b32_e32 v2, 0
	v_mov_b32_e32 v4, s52
	;; [unrolled: 1-line block ×4, first 2 shown]
	ds_write_b32 v2, v2 offset:5136
	ds_write_b128 v2, v[2:5] offset:5120
.LBB68_3:
	s_or_b64 exec, exec, s[4:5]
	s_waitcnt lgkmcnt(0)
	s_mul_i32 s3, s3, s14
	s_mul_hi_u32 s4, s2, s14
	s_add_i32 s3, s4, s3
	s_mul_i32 s2, s2, s14
	s_mov_b32 s4, s14
	s_lshl_b64 s[2:3], s[2:3], 1
	v_writelane_b32 v56, s4, 10
	s_add_u32 s70, s0, s2
	v_writelane_b32 v56, s5, 11
	s_addc_u32 s71, s1, s3
	v_cmp_gt_u32_e64 s[0:1], 2, v0
	v_mov_b32_e32 v2, 0x600
	v_writelane_b32 v56, s0, 12
	v_mov_b32_e32 v3, 0
	v_writelane_b32 v56, s1, 13
	v_cmp_gt_i64_e64 s[0:1], s[52:53], v[2:3]
	v_writelane_b32 v56, s0, 14
	v_writelane_b32 v56, s1, 15
	v_mad_u64_u32 v[2:3], s[0:1], v0, s58, 0
	v_mov_b32_e32 v13, 0
	v_mbcnt_lo_u32_b32 v1, -1, 0
	v_mov_b32_e32 v4, v3
	v_mbcnt_hi_u32_b32 v32, -1, v1
	v_mov_b32_e32 v1, v13
	v_mad_u64_u32 v[4:5], s[0:1], v0, s59, v[4:5]
	v_cmp_gt_i64_e64 s[0:1], s[52:53], v[0:1]
	v_writelane_b32 v56, s0, 16
	s_barrier
	v_writelane_b32 v56, s1, 17
	s_load_dword s0, s[10:11], 0xc
	v_cmp_gt_u32_e32 vcc, 64, v0
	v_cmp_gt_i32_e64 s[2:3], 4, v32
	s_and_b64 s[46:47], vcc, s[2:3]
	v_mov_b32_e32 v3, v4
	s_waitcnt lgkmcnt(0)
	s_and_b32 s33, s0, 0xffff
	s_bfe_u32 s1, s0, 0xa0006
	v_cmp_gt_u16_e64 s[2:3], s0, 63
	v_writelane_b32 v56, s2, 18
	s_add_u32 s0, s33, -1
	v_writelane_b32 v56, s3, 19
	s_addc_u32 s2, 0, -1
	s_add_u32 s81, s0, s52
	s_addc_u32 s45, s2, s53
	s_cmp_lt_u32 s6, s12
	v_writelane_b32 v56, s0, 20
	s_cselect_b32 s0, 12, 18
	s_add_u32 s48, s10, s0
	s_addc_u32 s49, s11, 0
	s_add_i32 s0, s1, -1
	s_bfe_u32 s6, s33, 0x30006
	s_cmp_gt_u32 s0, 6
	v_writelane_b32 v56, s2, 21
	s_cselect_b64 s[2:3], -1, 0
	v_writelane_b32 v56, s2, 22
	s_and_b32 s89, s1, 0x3f8
	v_lshlrev_b64 v[4:5], 1, v[2:3]
	v_writelane_b32 v56, s3, 23
	s_cmp_lg_u32 s6, 0
	v_add_co_u32_e32 v10, vcc, s70, v4
	v_lshrrev_b32_e32 v4, 4, v0
	v_writelane_b32 v56, s6, 24
	s_cselect_b64 s[0:1], -1, 0
	v_mov_b32_e32 v6, s71
	v_and_b32_e32 v35, 60, v4
	v_lshlrev_b32_e32 v4, 2, v32
	v_writelane_b32 v56, s0, 25
	v_addc_co_u32_e32 v11, vcc, v6, v5, vcc
	v_and_b32_e32 v36, 0x100, v4
	v_lshlrev_b64 v[4:5], v32, -1
	v_writelane_b32 v56, s1, 26
	s_lshl_b64 s[0:1], s[58:59], 1
	v_lshlrev_b32_e32 v37, 3, v0
	v_not_b32_e32 v17, v5
	v_writelane_b32 v56, s0, 27
	v_or_b32_e32 v5, 6, v37
	v_writelane_b32 v56, s1, 28
	v_mad_u64_u32 v[18:19], s[0:1], s58, v5, 0
	v_not_b32_e32 v16, v4
	v_mov_b32_e32 v4, v19
	v_mad_u64_u32 v[4:5], s[0:1], s59, v5, v[4:5]
	s_lshl_b64 s[0:1], s[58:59], 3
	v_writelane_b32 v56, s0, 29
	v_or_b32_e32 v5, 4, v37
	v_writelane_b32 v56, s1, 30
	v_mad_u64_u32 v[20:21], s[0:1], s58, v5, 0
	v_mov_b32_e32 v19, v4
	v_mov_b32_e32 v4, v21
	v_mad_u64_u32 v[4:5], s[0:1], s59, v5, v[4:5]
	v_or_b32_e32 v5, 2, v37
	v_mad_u64_u32 v[22:23], s[0:1], s58, v5, 0
	v_mov_b32_e32 v21, v4
	v_mov_b32_e32 v4, v23
	v_writelane_b32 v56, s70, 31
	v_mad_u64_u32 v[4:5], s[0:1], s59, v5, v[4:5]
	v_writelane_b32 v56, s71, 32
	v_lshlrev_b64 v[24:25], 3, v[2:3]
	v_mov_b32_e32 v2, s53
	v_add_co_u32_e32 v38, vcc, s52, v0
	s_mul_i32 s0, s59, s33
	s_mul_hi_u32 s1, s58, s33
	v_writelane_b32 v56, s46, 33
	s_mov_b32 s73, 0
	v_lshlrev_b32_e32 v33, 1, v0
	v_addc_co_u32_e32 v39, vcc, 0, v2, vcc
	v_mov_b32_e32 v2, 0xc00
	s_add_i32 s1, s1, s0
	s_mul_i32 s0, s58, s33
	v_writelane_b32 v56, s47, 34
	v_cmp_eq_u32_e64 s[4:5], 0, v32
	v_add_u32_e32 v34, 0xc00, v33
	v_lshlrev_b32_e32 v14, 2, v0
	v_mov_b32_e32 v15, v13
	s_mov_b32 s88, s73
	v_mov_b32_e32 v23, v4
	v_lshl_or_b32 v40, v32, 3, v2
	s_lshl_b64 s[68:69], s[0:1], 1
	s_lshl_b32 s74, s33, 1
	s_mov_b32 s80, 14
	s_mov_b64 s[90:91], 0
	s_movk_i32 s50, 0x3f80
	v_mov_b32_e32 v41, 0xffff
	v_mov_b32_e32 v42, 0x8000
	v_cvt_f32_ubyte0_e32 v43, 0
	v_mov_b32_e32 v44, -1
	v_mov_b32_e32 v45, 0x5040100
	v_mov_b32_e32 v46, 0
	s_mov_b32 s86, 0
	s_mov_b32 s0, 0
	;; [unrolled: 1-line block ×3, first 2 shown]
	v_writelane_b32 v56, s48, 35
                                        ; implicit-def: $sgpr94_sgpr95
                                        ; implicit-def: $sgpr62_sgpr63
                                        ; implicit-def: $sgpr56_sgpr57
                                        ; implicit-def: $sgpr64_sgpr65
                                        ; implicit-def: $sgpr66_sgpr67
                                        ; implicit-def: $sgpr92_sgpr93
	v_writelane_b32 v56, s49, 36
	s_branch .LBB68_8
.LBB68_4:                               ;   in Loop: Header=BB68_8 Depth=1
	s_xor_b32 s86, s86, 1
	s_add_i32 s1, s80, -2
	s_cmp_eq_u32 s80, 0
	s_mov_b64 s[6:7], 0
	s_cselect_b64 s[8:9], -1, 0
	s_mov_b32 s80, s1
.LBB68_5:                               ;   in Loop: Header=BB68_8 Depth=1
	s_andn2_b64 s[10:11], s[20:21], exec
	s_and_b64 s[6:7], s[6:7], exec
	s_or_b64 s[20:21], s[10:11], s[6:7]
	s_andn2_b64 s[22:23], s[22:23], exec
	s_andn2_b64 s[18:19], s[18:19], exec
	s_orn2_b64 s[14:15], s[8:9], exec
.LBB68_6:                               ;   in Loop: Header=BB68_8 Depth=1
	s_or_b64 exec, exec, s[2:3]
	s_andn2_b64 s[2:3], s[92:93], exec
	s_and_b64 s[6:7], s[20:21], exec
	s_or_b64 s[92:93], s[2:3], s[6:7]
	s_andn2_b64 s[2:3], s[66:67], exec
	s_and_b64 s[6:7], s[22:23], exec
	s_or_b64 s[66:67], s[2:3], s[6:7]
	;; [unrolled: 3-line block ×3, first 2 shown]
	s_orn2_b64 s[18:19], s[14:15], exec
.LBB68_7:                               ;   in Loop: Header=BB68_8 Depth=1
	s_or_b64 exec, exec, s[12:13]
	s_and_b64 s[2:3], exec, s[18:19]
	s_or_b64 s[90:91], s[2:3], s[90:91]
	s_andn2_b64 s[2:3], s[56:57], exec
	s_and_b64 s[6:7], s[92:93], exec
	s_or_b64 s[56:57], s[2:3], s[6:7]
	s_andn2_b64 s[2:3], s[62:63], exec
	s_and_b64 s[6:7], s[66:67], exec
	s_or_b64 s[62:63], s[2:3], s[6:7]
	s_andn2_b64 s[2:3], s[94:95], exec
	s_and_b64 s[6:7], s[64:65], exec
	v_mov_b32_e32 v2, s0
	s_or_b64 s[94:95], s[2:3], s[6:7]
	s_andn2_b64 exec, exec, s[90:91]
	s_cbranch_execz .LBB68_275
.LBB68_8:                               ; =>This Loop Header: Depth=1
                                        ;     Child Loop BB68_13 Depth 2
                                        ;     Child Loop BB68_32 Depth 2
	;; [unrolled: 1-line block ×16, first 2 shown]
	ds_read_b128 v[2:5], v13 offset:5120
	s_waitcnt lgkmcnt(0)
	v_readfirstlane_b32 s83, v3
	v_readfirstlane_b32 s82, v2
	v_cmp_gt_i64_e64 s[2:3], s[82:83], 0
	s_and_b64 vcc, exec, s[2:3]
	s_cbranch_vccnz .LBB68_39
; %bb.9:                                ;   in Loop: Header=BB68_8 Depth=1
	v_readlane_b32 s2, v56, 14
	v_readlane_b32 s3, v56, 15
	s_and_b64 vcc, exec, s[2:3]
	s_cbranch_vccz .LBB68_21
; %bb.10:                               ;   in Loop: Header=BB68_8 Depth=1
	s_mov_b64 s[2:3], 0x601
	v_cmp_gt_i64_e32 vcc, s[2:3], v[4:5]
	s_mov_b64 s[2:3], 0
	s_mov_b64 s[6:7], 0
	s_cbranch_vccz .LBB68_26
; %bb.11:                               ;   in Loop: Header=BB68_8 Depth=1
	global_load_ushort v6, v13, s[48:49]
	global_load_ushort v7, v[10:11], off
	v_pk_mov_b32 v[2:3], s[70:71], s[70:71] op_sel:[0,1]
	v_readlane_b32 s12, v56, 27
	v_readlane_b32 s13, v56, 28
	s_mov_b64 s[8:9], 0
	s_waitcnt vmcnt(1)
	v_readfirstlane_b32 s1, v6
	s_and_b32 s1, 0xffff, s1
	v_add_u32_e32 v5, s1, v0
	v_mad_u64_u32 v[2:3], s[6:7], s12, v5, v[2:3]
	v_mov_b32_e32 v4, v3
	s_mul_i32 s10, s13, s1
	s_mul_hi_u32 s11, s12, s1
	v_mad_u64_u32 v[4:5], s[6:7], s13, v5, v[4:5]
	s_mul_i32 s1, s12, s1
	s_add_i32 s18, s11, s10
	v_mov_b32_e32 v3, v4
	v_pk_mov_b32 v[4:5], v[0:1], v[0:1] op_sel:[0,1]
	s_branch .LBB68_13
.LBB68_12:                              ;   in Loop: Header=BB68_13 Depth=2
	s_or_b64 exec, exec, s[6:7]
	v_mov_b32_e32 v7, s18
	v_add_co_u32_e32 v2, vcc, s1, v2
	v_addc_co_u32_e32 v3, vcc, v3, v7, vcc
	v_mov_b32_e32 v7, v8
	s_andn2_b64 exec, exec, s[8:9]
	s_cbranch_execz .LBB68_22
.LBB68_13:                              ;   Parent Loop BB68_8 Depth=1
                                        ; =>  This Inner Loop Header: Depth=2
	v_add_co_u32_sdwa v4, vcc, v4, v6 dst_sel:DWORD dst_unused:UNUSED_PAD src0_sel:DWORD src1_sel:WORD_0
	v_addc_co_u32_e32 v5, vcc, 0, v5, vcc
	v_cmp_gt_i64_e64 s[6:7], s[52:53], v[4:5]
	v_cmp_le_i64_e32 vcc, s[52:53], v[4:5]
	s_waitcnt lgkmcnt(0)
	v_mov_b32_e32 v9, 0
	v_mov_b32_e32 v8, 0
	s_and_saveexec_b64 s[10:11], s[6:7]
	s_cbranch_execz .LBB68_15
; %bb.14:                               ;   in Loop: Header=BB68_13 Depth=2
	global_load_ushort v8, v[2:3], off
.LBB68_15:                              ;   in Loop: Header=BB68_13 Depth=2
	s_or_b64 exec, exec, s[10:11]
	s_waitcnt vmcnt(0)
	v_cmp_lt_i16_e64 s[6:7], -1, v7
	v_cndmask_b32_e64 v12, v41, v42, s[6:7]
	v_lshlrev_b32_e32 v26, 16, v7
	v_xor_b32_sdwa v12, v12, v7 dst_sel:DWORD dst_unused:UNUSED_PAD src0_sel:DWORD src1_sel:WORD_0
	v_cmp_o_f32_e64 s[6:7], v26, v26
	v_cndmask_b32_e64 v12, v41, v12, s[6:7]
	v_and_b32_e32 v12, s75, v12
	v_cmp_eq_u32_e64 s[10:11], s0, v12
	s_cmp_lg_u64 s[10:11], 0
	s_cselect_b64 s[6:7], -1, 0
	s_and_b64 s[6:7], s[4:5], s[6:7]
	s_and_saveexec_b64 s[12:13], s[6:7]
	s_cbranch_execz .LBB68_19
; %bb.16:                               ;   in Loop: Header=BB68_13 Depth=2
	s_mov_b64 s[16:17], exec
	v_mbcnt_lo_u32_b32 v9, s16, 0
	v_mbcnt_hi_u32_b32 v9, s17, v9
	s_bcnt1_i32_b64 s19, s[10:11]
	v_cmp_eq_u32_e64 s[6:7], 0, v9
                                        ; implicit-def: $vgpr12
	s_and_saveexec_b64 s[14:15], s[6:7]
	s_cbranch_execz .LBB68_18
; %bb.17:                               ;   in Loop: Header=BB68_13 Depth=2
	s_bcnt1_i32_b64 s6, s[16:17]
	s_mul_i32 s6, s19, s6
	v_mov_b32_e32 v12, s6
	ds_add_rtn_u32 v12, v13, v12 offset:5136
.LBB68_18:                              ;   in Loop: Header=BB68_13 Depth=2
	s_or_b64 exec, exec, s[14:15]
	s_waitcnt lgkmcnt(0)
	v_readfirstlane_b32 s6, v12
	v_mov_b32_e32 v12, s6
	v_mad_u32_u24 v9, s19, v9, v12
.LBB68_19:                              ;   in Loop: Header=BB68_13 Depth=2
	s_or_b64 exec, exec, s[12:13]
	ds_bpermute_b32 v9, v36, v9
	s_and_b64 s[6:7], exec, vcc
	s_or_b64 s[8:9], s[6:7], s[8:9]
	s_and_saveexec_b64 s[6:7], s[10:11]
	s_cbranch_execz .LBB68_12
; %bb.20:                               ;   in Loop: Header=BB68_13 Depth=2
	v_and_b32_e32 v26, s10, v16
	v_and_b32_e32 v12, s11, v17
	v_bcnt_u32_b32 v26, v26, 0
	v_bcnt_u32_b32 v12, v12, v26
	v_lshlrev_b32_e32 v12, 1, v12
	s_waitcnt lgkmcnt(0)
	v_lshl_add_u32 v9, v9, 1, v12
	ds_write_b16 v9, v7
	s_branch .LBB68_12
.LBB68_21:                              ;   in Loop: Header=BB68_8 Depth=1
	s_mov_b64 s[2:3], -1
	s_mov_b64 s[6:7], 0
	s_branch .LBB68_25
.LBB68_22:                              ;   in Loop: Header=BB68_8 Depth=1
	s_or_b64 exec, exec, s[8:9]
	s_waitcnt lgkmcnt(0)
	s_barrier
	s_mov_b64 s[6:7], exec
	v_readlane_b32 s8, v56, 8
	v_readlane_b32 s9, v56, 9
	s_and_b64 s[8:9], s[6:7], s[8:9]
	s_mov_b64 exec, s[8:9]
	s_cbranch_execz .LBB68_24
; %bb.23:                               ;   in Loop: Header=BB68_8 Depth=1
	ds_read_b32 v2, v13 offset:5136
	s_waitcnt lgkmcnt(0)
	v_ashrrev_i32_e32 v3, 31, v2
	ds_write_b64 v13, v[2:3] offset:5120
.LBB68_24:                              ;   in Loop: Header=BB68_8 Depth=1
	s_or_b64 exec, exec, s[6:7]
	s_waitcnt lgkmcnt(0)
	s_barrier
	s_mov_b64 s[6:7], -1
.LBB68_25:                              ;   in Loop: Header=BB68_8 Depth=1
                                        ; implicit-def: $sgpr82_sgpr83
.LBB68_26:                              ;   in Loop: Header=BB68_8 Depth=1
	s_and_b64 vcc, exec, s[2:3]
	s_cbranch_vccz .LBB68_37
; %bb.27:                               ;   in Loop: Header=BB68_8 Depth=1
	v_mov_b32_e32 v6, 0
	s_mov_b64 s[2:3], exec
	v_readlane_b32 s6, v56, 16
	v_readlane_b32 s7, v56, 17
	s_and_b64 s[6:7], s[2:3], s[6:7]
	s_mov_b64 exec, s[6:7]
	s_cbranch_execz .LBB68_29
; %bb.28:                               ;   in Loop: Header=BB68_8 Depth=1
	global_load_ushort v6, v[10:11], off
.LBB68_29:                              ;   in Loop: Header=BB68_8 Depth=1
	s_or_b64 exec, exec, s[2:3]
	s_mov_b64 s[2:3], exec
	v_readlane_b32 s6, v56, 16
	v_readlane_b32 s7, v56, 17
	s_and_b64 s[6:7], s[2:3], s[6:7]
	s_mov_b64 exec, s[6:7]
	s_cbranch_execz .LBB68_34
; %bb.30:                               ;   in Loop: Header=BB68_8 Depth=1
	global_load_ushort v7, v13, s[48:49]
	v_readlane_b32 s14, v56, 27
	v_pk_mov_b32 v[2:3], s[70:71], s[70:71] op_sel:[0,1]
	v_readlane_b32 s15, v56, 28
	s_mov_b64 s[8:9], 0
	v_mov_b32_e32 v8, v33
	s_waitcnt vmcnt(0)
	v_readfirstlane_b32 s1, v7
	s_and_b32 s6, 0xffff, s1
	v_add_u32_e32 v5, s6, v0
	s_lshl_b32 s1, s6, 1
	s_mul_i32 s10, s15, s6
	s_mul_hi_u32 s11, s14, s6
	s_mul_i32 s12, s14, s6
	v_mad_u64_u32 v[2:3], s[6:7], s14, v5, v[2:3]
	v_mov_b32_e32 v4, v3
	v_mad_u64_u32 v[4:5], s[6:7], s15, v5, v[4:5]
	s_add_i32 s13, s11, s10
	v_mov_b32_e32 v3, v4
	v_pk_mov_b32 v[4:5], v[0:1], v[0:1] op_sel:[0,1]
	s_branch .LBB68_32
.LBB68_31:                              ;   in Loop: Header=BB68_32 Depth=2
	s_or_b64 exec, exec, s[10:11]
	s_and_b64 s[6:7], exec, vcc
	ds_write_b16 v8, v6
	v_mov_b32_e32 v6, s13
	v_add_co_u32_e32 v2, vcc, s12, v2
	s_or_b64 s[8:9], s[6:7], s[8:9]
	v_add_u32_e32 v8, s1, v8
	v_addc_co_u32_e32 v3, vcc, v3, v6, vcc
	s_waitcnt vmcnt(0)
	v_mov_b32_e32 v6, v9
	s_andn2_b64 exec, exec, s[8:9]
	s_cbranch_execz .LBB68_34
.LBB68_32:                              ;   Parent Loop BB68_8 Depth=1
                                        ; =>  This Inner Loop Header: Depth=2
	v_add_co_u32_sdwa v4, vcc, v4, v7 dst_sel:DWORD dst_unused:UNUSED_PAD src0_sel:DWORD src1_sel:WORD_0
	v_addc_co_u32_e32 v5, vcc, 0, v5, vcc
	v_cmp_gt_i64_e64 s[6:7], s[52:53], v[4:5]
	v_cmp_le_i64_e32 vcc, s[52:53], v[4:5]
	v_mov_b32_e32 v9, 0
	s_and_saveexec_b64 s[10:11], s[6:7]
	s_cbranch_execz .LBB68_31
; %bb.33:                               ;   in Loop: Header=BB68_32 Depth=2
	global_load_ushort v9, v[2:3], off
	s_branch .LBB68_31
.LBB68_34:                              ;   in Loop: Header=BB68_8 Depth=1
	s_or_b64 exec, exec, s[2:3]
	s_waitcnt lgkmcnt(0)
	s_barrier
	s_mov_b64 s[2:3], exec
	v_readlane_b32 s6, v56, 8
	v_readlane_b32 s7, v56, 9
	s_and_b64 s[6:7], s[2:3], s[6:7]
	s_mov_b64 exec, s[6:7]
	s_cbranch_execz .LBB68_36
; %bb.35:                               ;   in Loop: Header=BB68_8 Depth=1
	v_pk_mov_b32 v[2:3], s[52:53], s[52:53] op_sel:[0,1]
	ds_write_b64 v13, v[2:3] offset:5120
.LBB68_36:                              ;   in Loop: Header=BB68_8 Depth=1
	s_or_b64 exec, exec, s[2:3]
	s_mov_b64 s[6:7], -1
	s_waitcnt lgkmcnt(0)
	s_barrier
                                        ; implicit-def: $sgpr82_sgpr83
.LBB68_37:                              ;   in Loop: Header=BB68_8 Depth=1
	s_and_b64 vcc, exec, s[6:7]
	s_cbranch_vccz .LBB68_39
; %bb.38:                               ;   in Loop: Header=BB68_8 Depth=1
	ds_read_b64 v[2:3], v13 offset:5120
	s_waitcnt lgkmcnt(0)
	v_readfirstlane_b32 s82, v2
.LBB68_39:                              ;   in Loop: Header=BB68_8 Depth=1
	s_cmp_lt_i32 s82, 1
	s_cbranch_scc0 .LBB68_54
; %bb.40:                               ;   in Loop: Header=BB68_8 Depth=1
	global_load_ushort v2, v13, s[48:49]
	s_mov_b32 s2, s73
	s_mov_b32 s3, s53
	s_waitcnt vmcnt(0)
	v_readfirstlane_b32 s1, v2
	s_and_b32 s1, s1, 0xffff
	s_lshl_b32 s72, s1, 2
	s_cmp_lg_u64 s[2:3], 0
	s_cbranch_scc0 .LBB68_74
; %bb.41:                               ;   in Loop: Header=BB68_8 Depth=1
	v_cvt_f32_u32_e32 v2, s72
	s_sub_u32 s2, 0, s72
	s_subb_u32 s3, 0, 0
	v_mac_f32_e32 v2, 0x4f800000, v43
	v_rcp_f32_e32 v2, v2
	v_mul_f32_e32 v2, 0x5f7ffffc, v2
	v_mul_f32_e32 v3, 0x2f800000, v2
	v_trunc_f32_e32 v3, v3
	v_mac_f32_e32 v2, 0xcf800000, v3
	v_cvt_u32_f32_e32 v3, v3
	v_cvt_u32_f32_e32 v2, v2
	v_readfirstlane_b32 s6, v3
	v_readfirstlane_b32 s7, v2
	s_mul_i32 s8, s2, s6
	s_mul_hi_u32 s10, s2, s7
	s_mul_i32 s9, s3, s7
	s_add_i32 s8, s10, s8
	s_mul_i32 s11, s2, s7
	s_add_i32 s8, s8, s9
	s_mul_hi_u32 s10, s7, s11
	s_mul_hi_u32 s9, s7, s8
	s_mul_i32 s7, s7, s8
	s_add_u32 s7, s10, s7
	s_addc_u32 s9, 0, s9
	s_mul_hi_u32 s12, s6, s11
	s_mul_i32 s11, s6, s11
	s_add_u32 s7, s7, s11
	s_mul_hi_u32 s10, s6, s8
	s_addc_u32 s7, s9, s12
	s_addc_u32 s9, s10, 0
	s_mul_i32 s8, s6, s8
	s_add_u32 s7, s7, s8
	s_addc_u32 s8, 0, s9
	v_add_co_u32_e32 v2, vcc, s7, v2
	s_cmp_lg_u64 vcc, 0
	s_addc_u32 s6, s6, s8
	v_readfirstlane_b32 s8, v2
	s_mul_i32 s7, s2, s6
	s_mul_hi_u32 s9, s2, s8
	s_add_i32 s7, s9, s7
	s_mul_i32 s3, s3, s8
	s_add_i32 s7, s7, s3
	s_mul_i32 s2, s2, s8
	s_mul_hi_u32 s9, s6, s2
	s_mul_i32 s10, s6, s2
	s_mul_i32 s12, s8, s7
	s_mul_hi_u32 s2, s8, s2
	s_mul_hi_u32 s11, s8, s7
	s_add_u32 s2, s2, s12
	s_addc_u32 s8, 0, s11
	s_add_u32 s2, s2, s10
	s_mul_hi_u32 s3, s6, s7
	s_addc_u32 s2, s8, s9
	s_addc_u32 s3, s3, 0
	s_mul_i32 s7, s6, s7
	s_add_u32 s2, s2, s7
	s_addc_u32 s3, 0, s3
	v_add_co_u32_e32 v2, vcc, s2, v2
	s_cmp_lg_u64 vcc, 0
	s_addc_u32 s8, s6, s3
	s_ashr_i32 s2, s53, 31
	s_add_u32 s6, s52, s2
	s_mov_b32 s3, s2
	s_addc_u32 s7, s53, s2
	s_xor_b64 s[6:7], s[6:7], s[2:3]
	v_readfirstlane_b32 s10, v2
	s_mul_i32 s9, s6, s8
	s_mul_hi_u32 s11, s6, s10
	s_mul_hi_u32 s3, s6, s8
	s_add_u32 s9, s11, s9
	s_addc_u32 s3, 0, s3
	s_mul_hi_u32 s12, s7, s10
	s_mul_i32 s10, s7, s10
	s_add_u32 s9, s9, s10
	s_mul_hi_u32 s11, s7, s8
	s_addc_u32 s3, s3, s12
	s_addc_u32 s9, s11, 0
	s_mul_i32 s8, s7, s8
	s_add_u32 s3, s3, s8
	s_addc_u32 s8, 0, s9
	s_mul_hi_u32 s9, s72, s3
	s_mul_i32 s3, s72, s3
	s_mul_i32 s8, s72, s8
	v_mov_b32_e32 v2, s3
	s_add_i32 s9, s9, s8
	v_sub_co_u32_e32 v2, vcc, s6, v2
	s_cmp_lg_u64 vcc, 0
	s_subb_u32 s3, s7, s9
	v_subrev_co_u32_e32 v3, vcc, s72, v2
	s_cmp_lg_u64 vcc, 0
	s_subb_u32 s6, s3, 0
	v_subrev_co_u32_e32 v4, vcc, s72, v3
	s_cmp_lg_u64 vcc, 0
	s_subb_u32 s7, s6, 0
	v_cmp_le_u32_e32 vcc, s72, v3
	s_cmp_eq_u32 s6, 0
	v_cndmask_b32_e64 v5, 0, -1, vcc
	s_cselect_b64 vcc, -1, 0
	v_cndmask_b32_e32 v5, -1, v5, vcc
	v_mov_b32_e32 v6, s6
	v_mov_b32_e32 v7, s7
	v_cmp_ne_u32_e32 vcc, 0, v5
	v_cndmask_b32_e32 v5, v6, v7, vcc
	v_cndmask_b32_e32 v3, v3, v4, vcc
	v_cmp_le_u32_e32 vcc, s72, v2
	s_cmp_eq_u32 s3, 0
	v_cndmask_b32_e64 v4, 0, -1, vcc
	s_cselect_b64 vcc, -1, 0
	v_cndmask_b32_e32 v4, -1, v4, vcc
	v_cmp_ne_u32_e32 vcc, 0, v4
	v_mov_b32_e32 v6, s3
	v_cndmask_b32_e32 v2, v2, v3, vcc
	v_cndmask_b32_e32 v4, v6, v5, vcc
	v_xor_b32_e32 v2, s2, v2
	v_xor_b32_e32 v3, s2, v4
	v_mov_b32_e32 v4, s2
	v_subrev_co_u32_e32 v26, vcc, s2, v2
	v_subb_co_u32_e32 v27, vcc, v3, v4, vcc
	s_cbranch_execnz .LBB68_43
.LBB68_42:                              ;   in Loop: Header=BB68_8 Depth=1
	v_cvt_f32_u32_e32 v2, s72
	s_sub_i32 s2, 0, s72
	v_rcp_iflag_f32_e32 v2, v2
	v_mul_f32_e32 v2, 0x4f7ffffe, v2
	v_cvt_u32_f32_e32 v2, v2
	v_mul_lo_u32 v3, s2, v2
	v_mul_hi_u32 v3, v2, v3
	v_add_u32_e32 v2, v2, v3
	v_mul_hi_u32 v2, s52, v2
	v_mul_lo_u32 v2, v2, s72
	v_sub_u32_e32 v2, s52, v2
	v_subrev_u32_e32 v3, s72, v2
	v_cmp_le_u32_e32 vcc, s72, v2
	v_cndmask_b32_e32 v2, v2, v3, vcc
	v_subrev_u32_e32 v3, s72, v2
	v_cmp_le_u32_e32 vcc, s72, v2
	v_cndmask_b32_e32 v12, v2, v3, vcc
	v_pk_mov_b32 v[26:27], v[12:13], v[12:13] op_sel:[0,1]
.LBB68_43:                              ;   in Loop: Header=BB68_8 Depth=1
	v_mov_b32_e32 v2, s53
	v_sub_co_u32_e32 v28, vcc, s52, v26
	v_subb_co_u32_e32 v29, vcc, v2, v27, vcc
	v_pk_mov_b32 v[2:3], 0, 0
	v_cmp_gt_i64_e32 vcc, v[28:29], v[14:15]
	s_mov_b64 s[60:61], 0
	v_pk_mov_b32 v[4:5], v[2:3], v[2:3] op_sel:[0,1]
	v_pk_mov_b32 v[6:7], v[2:3], v[2:3] op_sel:[0,1]
	;; [unrolled: 1-line block ×3, first 2 shown]
	s_and_saveexec_b64 s[84:85], vcc
	s_cbranch_execz .LBB68_47
; %bb.44:                               ;   in Loop: Header=BB68_8 Depth=1
	v_readlane_b32 s6, v56, 29
	v_readlane_b32 s7, v56, 30
	s_mul_i32 s2, s7, s1
	s_mul_hi_u32 s3, s6, s1
	s_mov_b32 s87, s45
	s_mov_b32 s79, s81
	s_and_b32 s78, s80, 0xfe
	s_add_i32 s83, s3, s2
	s_mul_i32 s81, s6, s1
	s_mov_b64 s[8:9], 0
	s_mov_b64 s[76:77], 0
	;; [unrolled: 1-line block ×4, first 2 shown]
	v_pk_mov_b32 v[30:31], v[14:15], v[14:15] op_sel:[0,1]
.LBB68_45:                              ;   Parent Loop BB68_8 Depth=1
                                        ; =>  This Inner Loop Header: Depth=2
	v_add_co_u32_e64 v30, s[6:7], s72, v30
	v_addc_co_u32_e64 v31, s[6:7], 0, v31, s[6:7]
	v_mov_b32_e32 v7, s71
	v_add_co_u32_e32 v2, vcc, s70, v22
	v_add_co_u32_e64 v8, s[6:7], s70, v24
	v_add_co_u32_e64 v4, s[10:11], s70, v20
	;; [unrolled: 1-line block ×3, first 2 shown]
	v_addc_co_u32_e64 v9, s[6:7], v7, v25, s[6:7]
	v_addc_co_u32_e32 v3, vcc, v7, v23, vcc
	v_addc_co_u32_e64 v5, vcc, v7, v21, s[10:11]
	v_addc_co_u32_e64 v7, vcc, v7, v19, s[12:13]
	global_load_ushort v8, v[8:9], off
	s_nop 0
	global_load_ushort v2, v[2:3], off
	s_nop 0
	;; [unrolled: 2-line block ×3, first 2 shown]
	global_load_ushort v4, v[6:7], off
	v_cmp_ge_i64_e32 vcc, v[30:31], v[28:29]
	s_waitcnt vmcnt(3)
	v_cmp_lt_i16_e64 s[6:7], -1, v8
	v_cndmask_b32_e64 v12, v41, v42, s[6:7]
	s_waitcnt vmcnt(2)
	v_cmp_lt_i16_e64 s[6:7], -1, v2
	v_cndmask_b32_e64 v47, v41, v42, s[6:7]
	s_waitcnt vmcnt(1)
	v_cmp_lt_i16_e64 s[6:7], -1, v3
	v_lshlrev_b32_e32 v5, 16, v8
	v_lshlrev_b32_e32 v6, 16, v2
	v_cndmask_b32_e64 v48, v41, v42, s[6:7]
	s_waitcnt vmcnt(0)
	v_cmp_lt_i16_e64 s[6:7], -1, v4
	v_cndmask_b32_e64 v49, v41, v42, s[6:7]
	v_cmp_o_f32_e64 s[6:7], v6, v6
	v_xor_b32_sdwa v6, v12, v8 dst_sel:DWORD dst_unused:UNUSED_PAD src0_sel:DWORD src1_sel:WORD_0
	v_cmp_o_f32_e64 s[14:15], v5, v5
	v_lshlrev_b32_e32 v7, 16, v3
	v_xor_b32_sdwa v2, v47, v2 dst_sel:DWORD dst_unused:UNUSED_PAD src0_sel:DWORD src1_sel:WORD_0
	v_cndmask_b32_e64 v5, v41, v6, s[14:15]
	v_lshlrev_b32_e32 v9, 16, v4
	v_xor_b32_sdwa v3, v48, v3 dst_sel:DWORD dst_unused:UNUSED_PAD src0_sel:DWORD src1_sel:WORD_0
	v_cmp_o_f32_e64 s[10:11], v7, v7
	v_cndmask_b32_e64 v2, v41, v2, s[6:7]
	v_and_b32_e32 v6, s75, v5
	v_bfe_u32 v5, v5, s78, 2
	v_xor_b32_sdwa v4, v49, v4 dst_sel:DWORD dst_unused:UNUSED_PAD src0_sel:DWORD src1_sel:WORD_0
	v_cmp_o_f32_e64 s[12:13], v9, v9
	v_cndmask_b32_e64 v3, v41, v3, s[10:11]
	v_and_b32_e32 v7, s75, v2
	v_bfe_u32 v2, v2, s78, 2
	v_cmp_eq_u32_e64 s[16:17], s0, v6
	v_cmp_eq_u32_e64 s[6:7], 0, v5
	v_cndmask_b32_e64 v4, v41, v4, s[12:13]
	v_and_b32_e32 v8, s75, v3
	v_bfe_u32 v3, v3, s78, 2
	v_cmp_eq_u32_e64 s[14:15], s0, v7
	v_cmp_eq_u32_e64 s[28:29], 0, v2
	s_and_b64 s[6:7], s[16:17], s[6:7]
	v_and_b32_e32 v9, s75, v4
	v_bfe_u32 v4, v4, s78, 2
	v_cmp_eq_u32_e64 s[12:13], s0, v8
	v_cmp_eq_u32_e64 s[30:31], 0, v3
	;; [unrolled: 1-line block ×5, first 2 shown]
	v_cndmask_b32_e64 v2, 0, 1, s[6:7]
	s_and_b64 s[6:7], s[14:15], s[28:29]
	v_cmp_eq_u32_e64 s[10:11], s0, v9
	v_cmp_eq_u32_e64 s[34:35], 0, v4
	;; [unrolled: 1-line block ×5, first 2 shown]
	v_cndmask_b32_e64 v3, 0, 1, s[6:7]
	s_and_b64 s[6:7], s[12:13], s[30:31]
	v_cmp_eq_u32_e64 s[42:43], 1, v4
	v_cmp_eq_u32_e64 s[50:51], 2, v4
	;; [unrolled: 1-line block ×3, first 2 shown]
	v_cndmask_b32_e64 v4, 0, 1, s[6:7]
	s_and_b64 s[6:7], s[10:11], s[34:35]
	v_cmp_eq_u32_e64 s[36:37], 1, v5
	v_cmp_eq_u32_e64 s[44:45], 2, v5
	;; [unrolled: 1-line block ×3, first 2 shown]
	v_cndmask_b32_e64 v5, 0, 1, s[6:7]
	v_cmp_ne_u32_e64 s[6:7], 0, v2
	v_cmp_ne_u32_e64 s[28:29], 0, v3
	v_cmp_ne_u32_e64 s[30:31], 0, v4
	v_cmp_ne_u32_e64 s[34:35], 0, v5
	s_bcnt1_i32_b64 s6, s[6:7]
	s_bcnt1_i32_b64 s7, s[28:29]
	s_bcnt1_i32_b64 s28, s[30:31]
	s_bcnt1_i32_b64 s29, s[34:35]
	s_add_u32 s6, s6, s26
	s_addc_u32 s26, 0, s27
	s_add_u32 s6, s6, s7
	s_addc_u32 s7, s26, 0
	s_add_u32 s6, s6, s28
	s_addc_u32 s7, s7, 0
	s_add_u32 s26, s6, s29
	s_addc_u32 s27, s7, 0
	s_and_b64 s[6:7], s[16:17], s[36:37]
	v_cndmask_b32_e64 v4, 0, 1, s[6:7]
	s_and_b64 s[6:7], s[14:15], s[38:39]
	v_cndmask_b32_e64 v5, 0, 1, s[6:7]
	s_and_b64 s[6:7], s[12:13], s[40:41]
	v_cndmask_b32_e64 v6, 0, 1, s[6:7]
	s_and_b64 s[6:7], s[10:11], s[42:43]
	v_cndmask_b32_e64 v7, 0, 1, s[6:7]
	v_cmp_ne_u32_e64 s[6:7], 0, v4
	v_cmp_ne_u32_e64 s[28:29], 0, v5
	v_cmp_ne_u32_e64 s[30:31], 0, v6
	v_cmp_ne_u32_e64 s[34:35], 0, v7
	s_bcnt1_i32_b64 s6, s[6:7]
	s_bcnt1_i32_b64 s7, s[28:29]
	s_bcnt1_i32_b64 s28, s[30:31]
	s_bcnt1_i32_b64 s29, s[34:35]
	s_add_u32 s2, s6, s2
	s_addc_u32 s3, 0, s3
	s_add_u32 s2, s2, s7
	s_addc_u32 s3, s3, 0
	s_add_u32 s2, s2, s28
	s_addc_u32 s3, s3, 0
	s_add_u32 s2, s2, s29
	s_addc_u32 s3, s3, 0
	s_and_b64 s[6:7], s[16:17], s[44:45]
	v_cndmask_b32_e64 v6, 0, 1, s[6:7]
	s_and_b64 s[6:7], s[14:15], s[46:47]
	v_cndmask_b32_e64 v7, 0, 1, s[6:7]
	s_and_b64 s[6:7], s[12:13], s[48:49]
	v_cndmask_b32_e64 v8, 0, 1, s[6:7]
	s_and_b64 s[6:7], s[10:11], s[50:51]
	;; [unrolled: 24-line block ×3, first 2 shown]
	v_cndmask_b32_e64 v47, 0, 1, s[6:7]
	v_cmp_ne_u32_e64 s[6:7], 0, v8
	v_cmp_ne_u32_e64 s[10:11], 0, v9
	v_cmp_ne_u32_e64 s[12:13], 0, v12
	v_cmp_ne_u32_e64 s[14:15], 0, v47
	s_bcnt1_i32_b64 s6, s[6:7]
	s_bcnt1_i32_b64 s7, s[10:11]
	;; [unrolled: 1-line block ×4, first 2 shown]
	s_add_u32 s6, s6, s8
	s_addc_u32 s8, 0, s9
	s_add_u32 s6, s6, s7
	s_addc_u32 s7, s8, 0
	;; [unrolled: 2-line block ×5, first 2 shown]
	v_pk_mov_b32 v[2:3], s[26:27], s[26:27] op_sel:[0,1]
	v_pk_mov_b32 v[4:5], s[2:3], s[2:3] op_sel:[0,1]
	;; [unrolled: 1-line block ×3, first 2 shown]
	s_or_b64 s[60:61], vcc, s[60:61]
	v_pk_mov_b32 v[8:9], s[8:9], s[8:9] op_sel:[0,1]
	s_andn2_b64 exec, exec, s[60:61]
	s_cbranch_execnz .LBB68_45
; %bb.46:                               ;   in Loop: Header=BB68_8 Depth=1
	s_or_b64 exec, exec, s[60:61]
	v_readlane_b32 s70, v56, 31
	v_readlane_b32 s46, v56, 33
	v_readlane_b32 s48, v56, 35
	v_readlane_b32 s71, v56, 32
	v_readlane_b32 s47, v56, 34
	s_mov_b32 s81, s79
	s_mov_b32 s45, s87
	v_readlane_b32 s49, v56, 36
	s_movk_i32 s50, 0x3f80
.LBB68_47:                              ;   in Loop: Header=BB68_8 Depth=1
	s_or_b64 exec, exec, s[84:85]
	v_add_co_u32_e32 v28, vcc, v28, v0
	v_addc_co_u32_e32 v29, vcc, 0, v29, vcc
	v_cmp_gt_i64_e32 vcc, s[52:53], v[28:29]
	v_mov_b32_e32 v12, 0
	s_and_saveexec_b64 s[2:3], vcc
	s_cbranch_execz .LBB68_49
; %bb.48:                               ;   in Loop: Header=BB68_8 Depth=1
	v_mul_lo_u32 v12, v29, s58
	v_mul_lo_u32 v47, v28, s59
	v_mad_u64_u32 v[30:31], s[6:7], v28, s58, 0
	v_add3_u32 v31, v31, v47, v12
	v_lshlrev_b64 v[30:31], 1, v[30:31]
	v_mov_b32_e32 v12, s71
	v_add_co_u32_e64 v30, s[6:7], s70, v30
	v_addc_co_u32_e64 v31, s[6:7], v12, v31, s[6:7]
	global_load_ushort v12, v[30:31], off
.LBB68_49:                              ;   in Loop: Header=BB68_8 Depth=1
	s_or_b64 exec, exec, s[2:3]
	s_and_saveexec_b64 s[2:3], vcc
	s_cbranch_execz .LBB68_56
; %bb.50:                               ;   in Loop: Header=BB68_8 Depth=1
	v_mov_b32_e32 v30, s73
	v_add_co_u32_e32 v31, vcc, s1, v38
	v_addc_co_u32_e32 v30, vcc, v39, v30, vcc
	v_sub_co_u32_e32 v31, vcc, v31, v26
	v_subb_co_u32_e32 v26, vcc, v30, v27, vcc
	v_readlane_b32 s8, v56, 27
	v_mul_lo_u32 v30, s8, v26
	v_pk_mov_b32 v[26:27], s[70:71], s[70:71] op_sel:[0,1]
	v_readlane_b32 s9, v56, 28
	v_mad_u64_u32 v[26:27], s[6:7], s8, v31, v[26:27]
	v_mul_lo_u32 v47, s9, v31
	s_mul_i32 s6, s9, s1
	s_mul_hi_u32 s7, s8, s1
	s_and_b32 s12, s80, 0xfe
	v_add3_u32 v27, v47, v27, v30
	s_add_i32 s13, s7, s6
	s_mul_i32 s14, s8, s1
	s_mov_b64 s[8:9], 0
	s_branch .LBB68_52
.LBB68_51:                              ;   in Loop: Header=BB68_52 Depth=2
	s_or_b64 exec, exec, s[10:11]
	s_and_b64 s[6:7], exec, vcc
	s_waitcnt vmcnt(0)
	v_cmp_lt_i16_e32 vcc, -1, v12
	v_cndmask_b32_e32 v31, v41, v42, vcc
	v_lshlrev_b32_e32 v47, 16, v12
	v_xor_b32_sdwa v12, v31, v12 dst_sel:DWORD dst_unused:UNUSED_PAD src0_sel:DWORD src1_sel:WORD_0
	v_cmp_o_f32_e32 vcc, v47, v47
	v_cndmask_b32_e32 v12, v41, v12, vcc
	v_and_b32_e32 v31, s75, v12
	v_bfe_u32 v12, v12, s12, 2
	s_or_b64 s[8:9], s[6:7], s[8:9]
	v_cmp_eq_u32_e32 vcc, s0, v31
	v_cmp_eq_u32_e64 s[6:7], 0, v12
	s_and_b64 s[6:7], vcc, s[6:7]
	v_cndmask_b32_e64 v31, 0, 1, s[6:7]
	v_cmp_ne_u32_e64 s[6:7], 0, v31
	s_bcnt1_i32_b64 s6, s[6:7]
	v_add_co_u32_e64 v2, s[6:7], s6, v2
	v_addc_co_u32_e64 v3, s[6:7], 0, v3, s[6:7]
	v_cmp_eq_u32_e64 s[6:7], 1, v12
	s_and_b64 s[6:7], vcc, s[6:7]
	v_cndmask_b32_e64 v31, 0, 1, s[6:7]
	v_cmp_ne_u32_e64 s[6:7], 0, v31
	s_bcnt1_i32_b64 s6, s[6:7]
	v_add_co_u32_e64 v4, s[6:7], s6, v4
	v_addc_co_u32_e64 v5, s[6:7], 0, v5, s[6:7]
	;; [unrolled: 7-line block ×3, first 2 shown]
	v_cmp_eq_u32_e64 s[6:7], 3, v12
	s_and_b64 s[6:7], vcc, s[6:7]
	v_cndmask_b32_e64 v12, 0, 1, s[6:7]
	v_cmp_ne_u32_e32 vcc, 0, v12
	s_bcnt1_i32_b64 s6, vcc
	v_add_co_u32_e32 v8, vcc, s6, v8
	v_addc_co_u32_e32 v9, vcc, 0, v9, vcc
	v_mov_b32_e32 v12, s13
	v_add_co_u32_e32 v26, vcc, s14, v26
	v_addc_co_u32_e32 v27, vcc, v27, v12, vcc
	v_mov_b32_e32 v12, v30
	s_andn2_b64 exec, exec, s[8:9]
	s_cbranch_execz .LBB68_55
.LBB68_52:                              ;   Parent Loop BB68_8 Depth=1
                                        ; =>  This Inner Loop Header: Depth=2
	v_mov_b32_e32 v30, s73
	v_add_co_u32_e32 v28, vcc, s1, v28
	v_addc_co_u32_e32 v29, vcc, v29, v30, vcc
	v_cmp_gt_i64_e64 s[6:7], s[52:53], v[28:29]
	v_cmp_le_i64_e32 vcc, s[52:53], v[28:29]
	v_mov_b32_e32 v30, 0
	s_and_saveexec_b64 s[10:11], s[6:7]
	s_cbranch_execz .LBB68_51
; %bb.53:                               ;   in Loop: Header=BB68_52 Depth=2
	global_load_ushort v30, v[26:27], off
	s_branch .LBB68_51
.LBB68_54:                              ;   in Loop: Header=BB68_8 Depth=1
                                        ; implicit-def: $vgpr8_vgpr9
                                        ; implicit-def: $vgpr4_vgpr5
	s_cbranch_execnz .LBB68_57
	s_branch .LBB68_66
.LBB68_55:                              ;   in Loop: Header=BB68_8 Depth=1
	s_or_b64 exec, exec, s[8:9]
.LBB68_56:                              ;   in Loop: Header=BB68_8 Depth=1
	s_or_b64 exec, exec, s[2:3]
	s_branch .LBB68_66
.LBB68_57:                              ;   in Loop: Header=BB68_8 Depth=1
	global_load_ushort v8, v13, s[48:49]
	s_mov_b64 s[60:61], 0
	s_waitcnt vmcnt(0)
	v_readfirstlane_b32 s1, v8
	s_and_b32 s1, 0xffff, s1
	s_lshl_b32 s1, s1, 2
	v_cvt_f32_u32_e32 v2, s1
	s_sub_i32 s2, 0, s1
	v_and_b32_e32 v28, 0xffff, v8
	v_rcp_iflag_f32_e32 v6, v2
	v_pk_mov_b32 v[2:3], 0, 0
	v_pk_mov_b32 v[4:5], v[2:3], v[2:3] op_sel:[0,1]
	v_mul_f32_e32 v6, 0x4f7ffffe, v6
	v_cvt_u32_f32_e32 v9, v6
	v_pk_mov_b32 v[6:7], v[2:3], v[2:3] op_sel:[0,1]
	v_readfirstlane_b32 s3, v9
	s_mul_i32 s2, s2, s3
	s_mul_hi_u32 s2, s3, s2
	s_add_i32 s3, s3, s2
	s_mul_hi_u32 s2, s82, s3
	s_mul_i32 s2, s2, s1
	s_sub_i32 s2, s82, s2
	s_sub_i32 s3, s2, s1
	s_cmp_ge_u32 s2, s1
	s_cselect_b32 s2, s3, s2
	s_sub_i32 s3, s2, s1
	s_cmp_ge_u32 s2, s1
	s_cselect_b32 s2, s3, s2
	s_sub_i32 s72, s82, s2
	v_cmp_gt_u32_e32 vcc, s72, v14
	v_pk_mov_b32 v[8:9], v[2:3], v[2:3] op_sel:[0,1]
	s_and_saveexec_b64 s[2:3], vcc
	s_cbranch_execz .LBB68_61
; %bb.58:                               ;   in Loop: Header=BB68_8 Depth=1
	s_mov_b32 s79, s45
	s_and_b32 s78, s80, 0xfe
	v_lshlrev_b32_e32 v12, 3, v28
	v_mov_b32_e32 v29, v37
	s_mov_b64 s[8:9], 0
	s_mov_b64 s[26:27], 0
	;; [unrolled: 1-line block ×4, first 2 shown]
	v_pk_mov_b32 v[26:27], v[14:15], v[14:15] op_sel:[0,1]
.LBB68_59:                              ;   Parent Loop BB68_8 Depth=1
                                        ; =>  This Inner Loop Header: Depth=2
	ds_read_b64 v[2:3], v29
	v_add_co_u32_e32 v26, vcc, s1, v26
	v_addc_co_u32_e32 v27, vcc, 0, v27, vcc
	s_waitcnt lgkmcnt(0)
	v_cmp_lt_i16_e64 s[6:7], -1, v2
	v_cndmask_b32_e64 v8, v41, v42, s[6:7]
	v_cmp_gt_i16_sdwa s[6:7], v2, v44 src0_sel:WORD_1 src1_sel:DWORD
	v_lshlrev_b32_e32 v4, 16, v2
	v_cndmask_b32_e64 v9, v41, v42, s[6:7]
	v_cmp_lt_i16_e64 s[6:7], -1, v3
	v_and_b32_e32 v5, 0xffff0000, v2
	v_cndmask_b32_e64 v30, v41, v42, s[6:7]
	v_cmp_gt_i16_sdwa s[6:7], v3, v44 src0_sel:WORD_1 src1_sel:DWORD
	v_xor_b32_sdwa v9, v9, v2 dst_sel:DWORD dst_unused:UNUSED_PAD src0_sel:DWORD src1_sel:WORD_1
	v_xor_b32_sdwa v2, v8, v2 dst_sel:DWORD dst_unused:UNUSED_PAD src0_sel:DWORD src1_sel:WORD_0
	v_cmp_o_f32_e64 s[14:15], v4, v4
	v_lshlrev_b32_e32 v6, 16, v3
	v_cndmask_b32_e64 v31, v41, v42, s[6:7]
	v_cmp_o_f32_e64 s[6:7], v5, v5
	v_cndmask_b32_e64 v2, v41, v2, s[14:15]
	v_and_b32_e32 v7, 0xffff0000, v3
	v_xor_b32_sdwa v5, v30, v3 dst_sel:DWORD dst_unused:UNUSED_PAD src0_sel:DWORD src1_sel:WORD_0
	v_cmp_o_f32_e64 s[10:11], v6, v6
	v_cndmask_b32_e64 v4, v41, v9, s[6:7]
	v_and_b32_e32 v6, s75, v2
	v_bfe_u32 v2, v2, s78, 2
	v_xor_b32_sdwa v3, v31, v3 dst_sel:DWORD dst_unused:UNUSED_PAD src0_sel:DWORD src1_sel:WORD_1
	v_cmp_o_f32_e64 s[12:13], v7, v7
	v_cndmask_b32_e64 v5, v41, v5, s[10:11]
	v_and_b32_e32 v7, s75, v4
	v_bfe_u32 v4, v4, s78, 2
	v_cmp_eq_u32_e64 s[16:17], s0, v6
	v_cmp_eq_u32_e64 s[6:7], 0, v2
	v_cndmask_b32_e64 v3, v41, v3, s[12:13]
	v_and_b32_e32 v8, s75, v5
	v_bfe_u32 v5, v5, s78, 2
	v_cmp_eq_u32_e64 s[14:15], s0, v7
	v_cmp_eq_u32_e64 s[28:29], 0, v4
	s_and_b64 s[6:7], s[16:17], s[6:7]
	v_and_b32_e32 v9, s75, v3
	v_bfe_u32 v3, v3, s78, 2
	v_cmp_eq_u32_e64 s[12:13], s0, v8
	v_cmp_eq_u32_e64 s[30:31], 0, v5
	v_cmp_eq_u32_e64 s[36:37], 1, v2
	v_cmp_eq_u32_e64 s[44:45], 2, v2
	v_cmp_eq_u32_e64 s[24:25], 3, v2
	v_cndmask_b32_e64 v2, 0, 1, s[6:7]
	s_and_b64 s[6:7], s[14:15], s[28:29]
	v_cmp_eq_u32_e64 s[10:11], s0, v9
	v_cmp_eq_u32_e64 s[34:35], 0, v3
	;; [unrolled: 1-line block ×5, first 2 shown]
	v_cndmask_b32_e64 v3, 0, 1, s[6:7]
	s_and_b64 s[6:7], s[12:13], s[30:31]
	v_cmp_eq_u32_e64 s[38:39], 1, v4
	v_cmp_eq_u32_e64 s[46:47], 2, v4
	;; [unrolled: 1-line block ×3, first 2 shown]
	v_cndmask_b32_e64 v4, 0, 1, s[6:7]
	s_and_b64 s[6:7], s[10:11], s[34:35]
	v_cmp_eq_u32_e64 s[40:41], 1, v5
	v_cmp_eq_u32_e64 s[48:49], 2, v5
	;; [unrolled: 1-line block ×3, first 2 shown]
	v_cndmask_b32_e64 v5, 0, 1, s[6:7]
	v_cmp_ne_u32_e64 s[6:7], 0, v2
	v_cmp_ne_u32_e64 s[28:29], 0, v3
	v_cmp_ne_u32_e64 s[30:31], 0, v4
	v_cmp_ne_u32_e64 s[34:35], 0, v5
	s_bcnt1_i32_b64 s6, s[6:7]
	s_bcnt1_i32_b64 s7, s[28:29]
	s_bcnt1_i32_b64 s28, s[30:31]
	s_bcnt1_i32_b64 s29, s[34:35]
	s_add_u32 s6, s6, s76
	s_addc_u32 s30, 0, s77
	s_add_u32 s6, s6, s7
	s_addc_u32 s7, s30, 0
	s_add_u32 s6, s6, s28
	s_addc_u32 s7, s7, 0
	s_add_u32 s76, s6, s29
	s_addc_u32 s77, s7, 0
	s_and_b64 s[6:7], s[16:17], s[36:37]
	v_cndmask_b32_e64 v4, 0, 1, s[6:7]
	s_and_b64 s[6:7], s[14:15], s[38:39]
	v_cndmask_b32_e64 v5, 0, 1, s[6:7]
	s_and_b64 s[6:7], s[12:13], s[40:41]
	v_cndmask_b32_e64 v6, 0, 1, s[6:7]
	s_and_b64 s[6:7], s[10:11], s[42:43]
	v_cndmask_b32_e64 v7, 0, 1, s[6:7]
	v_cmp_ne_u32_e64 s[6:7], 0, v4
	v_cmp_ne_u32_e64 s[28:29], 0, v5
	v_cmp_ne_u32_e64 s[30:31], 0, v6
	v_cmp_ne_u32_e64 s[34:35], 0, v7
	s_bcnt1_i32_b64 s6, s[6:7]
	s_bcnt1_i32_b64 s7, s[28:29]
	s_bcnt1_i32_b64 s28, s[30:31]
	s_bcnt1_i32_b64 s29, s[34:35]
	s_add_u32 s6, s6, s70
	s_addc_u32 s30, 0, s71
	s_add_u32 s6, s6, s7
	s_addc_u32 s7, s30, 0
	s_add_u32 s6, s6, s28
	s_addc_u32 s7, s7, 0
	s_add_u32 s70, s6, s29
	s_addc_u32 s71, s7, 0
	s_and_b64 s[6:7], s[16:17], s[44:45]
	v_cndmask_b32_e64 v6, 0, 1, s[6:7]
	s_and_b64 s[6:7], s[14:15], s[46:47]
	v_cndmask_b32_e64 v7, 0, 1, s[6:7]
	s_and_b64 s[6:7], s[12:13], s[48:49]
	v_cndmask_b32_e64 v8, 0, 1, s[6:7]
	s_and_b64 s[6:7], s[10:11], s[50:51]
	;; [unrolled: 24-line block ×3, first 2 shown]
	v_cndmask_b32_e64 v31, 0, 1, s[6:7]
	v_cmp_ne_u32_e64 s[6:7], 0, v8
	v_cmp_ne_u32_e64 s[10:11], 0, v9
	;; [unrolled: 1-line block ×4, first 2 shown]
	s_bcnt1_i32_b64 s6, s[6:7]
	s_bcnt1_i32_b64 s7, s[10:11]
	;; [unrolled: 1-line block ×4, first 2 shown]
	s_add_u32 s6, s6, s8
	s_addc_u32 s8, 0, s9
	s_add_u32 s6, s6, s7
	s_addc_u32 s7, s8, 0
	;; [unrolled: 2-line block ×3, first 2 shown]
	s_add_u32 s8, s6, s11
	v_cmp_le_u64_e32 vcc, s[72:73], v[26:27]
	s_addc_u32 s9, s7, 0
	v_add_u32_e32 v29, v29, v12
	v_pk_mov_b32 v[2:3], s[76:77], s[76:77] op_sel:[0,1]
	v_pk_mov_b32 v[4:5], s[70:71], s[70:71] op_sel:[0,1]
	;; [unrolled: 1-line block ×3, first 2 shown]
	s_or_b64 s[60:61], vcc, s[60:61]
	v_pk_mov_b32 v[8:9], s[8:9], s[8:9] op_sel:[0,1]
	s_andn2_b64 exec, exec, s[60:61]
	s_cbranch_execnz .LBB68_59
; %bb.60:                               ;   in Loop: Header=BB68_8 Depth=1
	s_or_b64 exec, exec, s[60:61]
	v_readlane_b32 s70, v56, 31
	v_readlane_b32 s46, v56, 33
	;; [unrolled: 1-line block ×5, first 2 shown]
	s_mov_b32 s45, s79
	v_readlane_b32 s49, v56, 36
	s_movk_i32 s50, 0x3f80
.LBB68_61:                              ;   in Loop: Header=BB68_8 Depth=1
	s_or_b64 exec, exec, s[2:3]
	v_add_u32_e32 v12, s72, v0
	v_cmp_gt_u32_e32 vcc, s82, v12
	s_and_saveexec_b64 s[2:3], vcc
	s_cbranch_execz .LBB68_65
; %bb.62:                               ;   in Loop: Header=BB68_8 Depth=1
	s_and_b32 s72, s82, 0x7fffffff
	s_and_b32 s1, s80, 0xfe
	v_lshlrev_b32_e32 v29, 1, v12
	v_lshlrev_b32_e32 v30, 1, v28
	s_mov_b64 s[8:9], 0
	v_pk_mov_b32 v[26:27], v[12:13], v[12:13] op_sel:[0,1]
.LBB68_63:                              ;   Parent Loop BB68_8 Depth=1
                                        ; =>  This Inner Loop Header: Depth=2
	ds_read_u16 v12, v29
	v_add_co_u32_e32 v26, vcc, v26, v28
	v_addc_co_u32_e32 v27, vcc, 0, v27, vcc
	s_waitcnt lgkmcnt(0)
	v_cmp_lt_i16_e64 s[6:7], -1, v12
	v_cndmask_b32_e64 v31, v41, v42, s[6:7]
	v_lshlrev_b32_e32 v47, 16, v12
	v_xor_b32_sdwa v12, v31, v12 dst_sel:DWORD dst_unused:UNUSED_PAD src0_sel:DWORD src1_sel:WORD_0
	v_cmp_o_f32_e64 s[6:7], v47, v47
	v_cndmask_b32_e64 v12, v41, v12, s[6:7]
	v_and_b32_e32 v31, s75, v12
	v_bfe_u32 v12, v12, s1, 2
	v_cmp_eq_u32_e64 s[6:7], s0, v31
	v_cmp_eq_u32_e64 s[10:11], 0, v12
	;; [unrolled: 1-line block ×3, first 2 shown]
	s_and_b64 s[10:11], s[6:7], s[10:11]
	v_cmp_eq_u32_e64 s[14:15], 2, v12
	v_cmp_eq_u32_e64 s[16:17], 3, v12
	v_cndmask_b32_e64 v12, 0, 1, s[10:11]
	s_and_b64 s[10:11], s[6:7], s[12:13]
	v_cndmask_b32_e64 v31, 0, 1, s[10:11]
	s_and_b64 s[10:11], s[6:7], s[14:15]
	s_and_b64 s[6:7], s[6:7], s[16:17]
	v_cndmask_b32_e64 v48, 0, 1, s[6:7]
	v_cmp_ne_u32_e64 s[6:7], 0, v12
	s_bcnt1_i32_b64 s6, s[6:7]
	v_cndmask_b32_e64 v47, 0, 1, s[10:11]
	v_cmp_ne_u32_e64 s[10:11], 0, v31
	v_add_co_u32_e64 v2, s[6:7], s6, v2
	s_bcnt1_i32_b64 s10, s[10:11]
	v_addc_co_u32_e64 v3, s[6:7], 0, v3, s[6:7]
	v_cmp_ne_u32_e64 s[12:13], 0, v47
	v_cmp_ne_u32_e64 s[14:15], 0, v48
	v_add_co_u32_e64 v4, s[6:7], s10, v4
	v_cmp_le_u64_e32 vcc, s[72:73], v[26:27]
	s_bcnt1_i32_b64 s11, s[12:13]
	s_bcnt1_i32_b64 s12, s[14:15]
	v_addc_co_u32_e64 v5, s[6:7], 0, v5, s[6:7]
	v_add_co_u32_e64 v6, s[6:7], s11, v6
	s_or_b64 s[8:9], vcc, s[8:9]
	v_add_co_u32_e32 v8, vcc, s12, v8
	v_add_u32_e32 v29, v29, v30
	v_addc_co_u32_e64 v7, s[6:7], 0, v7, s[6:7]
	v_addc_co_u32_e32 v9, vcc, 0, v9, vcc
	s_andn2_b64 exec, exec, s[8:9]
	s_cbranch_execnz .LBB68_63
; %bb.64:                               ;   in Loop: Header=BB68_8 Depth=1
	s_or_b64 exec, exec, s[8:9]
.LBB68_65:                              ;   in Loop: Header=BB68_8 Depth=1
	s_or_b64 exec, exec, s[2:3]
.LBB68_66:                              ;   in Loop: Header=BB68_8 Depth=1
	s_lshl_b32 s1, s86, 6
	s_and_saveexec_b64 s[2:3], s[4:5]
	s_cbranch_execz .LBB68_68
; %bb.67:                               ;   in Loop: Header=BB68_8 Depth=1
	s_waitcnt vmcnt(0)
	v_or_b32_e32 v12, s1, v35
	v_lshlrev_b32_e32 v12, 3, v12
	ds_write_b128 v12, v[2:5] offset:3072
	ds_write_b128 v12, v[6:9] offset:3088
.LBB68_68:                              ;   in Loop: Header=BB68_8 Depth=1
	s_or_b64 exec, exec, s[2:3]
	s_waitcnt lgkmcnt(0)
	s_barrier
	s_and_saveexec_b64 s[2:3], s[46:47]
	s_cbranch_execz .LBB68_80
; %bb.69:                               ;   in Loop: Header=BB68_8 Depth=1
	v_readlane_b32 s6, v56, 18
	v_readlane_b32 s7, v56, 19
	s_andn2_b64 vcc, exec, s[6:7]
	v_pk_mov_b32 v[2:3], 0, 0
	s_cbranch_vccnz .LBB68_79
; %bb.70:                               ;   in Loop: Header=BB68_8 Depth=1
	v_readlane_b32 s6, v56, 22
	v_readlane_b32 s7, v56, 23
	s_andn2_b64 vcc, exec, s[6:7]
	s_cbranch_vccnz .LBB68_75
; %bb.71:                               ;   in Loop: Header=BB68_8 Depth=1
	v_lshl_add_u32 v4, s86, 9, v40
	s_mov_b32 s6, 0
	v_pk_mov_b32 v[2:3], 0, 0
.LBB68_72:                              ;   Parent Loop BB68_8 Depth=1
                                        ; =>  This Inner Loop Header: Depth=2
	s_waitcnt vmcnt(0)
	ds_read2_b64 v[6:9], v4 offset1:4
	ds_read2_b64 v[26:29], v4 offset0:8 offset1:12
	ds_read2_b64 v[48:51], v4 offset0:16 offset1:20
	;; [unrolled: 1-line block ×3, first 2 shown]
	s_add_i32 s6, s6, 8
	s_waitcnt lgkmcnt(3)
	v_add_co_u32_e32 v2, vcc, v6, v2
	v_addc_co_u32_e32 v3, vcc, v7, v3, vcc
	v_add_co_u32_e32 v2, vcc, v8, v2
	v_addc_co_u32_e32 v3, vcc, v9, v3, vcc
	s_waitcnt lgkmcnt(2)
	v_add_co_u32_e32 v2, vcc, v26, v2
	v_addc_co_u32_e32 v3, vcc, v27, v3, vcc
	v_add_co_u32_e32 v2, vcc, v28, v2
	v_addc_co_u32_e32 v3, vcc, v29, v3, vcc
	;; [unrolled: 5-line block ×3, first 2 shown]
	s_waitcnt lgkmcnt(0)
	v_add_co_u32_e32 v2, vcc, v52, v2
	v_addc_co_u32_e32 v3, vcc, v53, v3, vcc
	v_add_co_u32_e32 v2, vcc, v54, v2
	v_add_u32_e32 v4, 0x100, v4
	s_cmp_eq_u32 s89, s6
	v_addc_co_u32_e32 v3, vcc, v55, v3, vcc
	s_cbranch_scc0 .LBB68_72
; %bb.73:                               ;   in Loop: Header=BB68_8 Depth=1
	s_mov_b32 s6, s89
	s_branch .LBB68_76
.LBB68_74:                              ;   in Loop: Header=BB68_8 Depth=1
                                        ; implicit-def: $vgpr26_vgpr27
	s_branch .LBB68_42
.LBB68_75:                              ;   in Loop: Header=BB68_8 Depth=1
	s_mov_b32 s6, 0
	v_pk_mov_b32 v[2:3], 0, 0
.LBB68_76:                              ;   in Loop: Header=BB68_8 Depth=1
	v_readlane_b32 s8, v56, 25
	v_readlane_b32 s9, v56, 26
	s_andn2_b64 vcc, exec, s[8:9]
	s_cbranch_vccnz .LBB68_79
; %bb.77:                               ;   in Loop: Header=BB68_8 Depth=1
	s_lshl_b32 s7, s86, 9
	s_lshl_b32 s6, s6, 5
	s_add_i32 s7, s7, s6
	v_add_u32_e32 v4, s7, v40
	v_readlane_b32 s6, v56, 24
.LBB68_78:                              ;   Parent Loop BB68_8 Depth=1
                                        ; =>  This Inner Loop Header: Depth=2
	s_waitcnt vmcnt(0)
	ds_read_b64 v[6:7], v4
	s_add_i32 s6, s6, -1
	v_add_u32_e32 v4, 32, v4
	s_cmp_lg_u32 s6, 0
	s_waitcnt lgkmcnt(0)
	v_add_co_u32_e32 v2, vcc, v6, v2
	v_addc_co_u32_e32 v3, vcc, v7, v3, vcc
	s_cbranch_scc1 .LBB68_78
.LBB68_79:                              ;   in Loop: Header=BB68_8 Depth=1
	v_add_lshl_u32 v4, s1, v32, 3
	ds_write_b64 v4, v[2:3] offset:3072
.LBB68_80:                              ;   in Loop: Header=BB68_8 Depth=1
	s_or_b64 exec, exec, s[2:3]
	s_lshl_b32 s1, s1, 3
	s_waitcnt vmcnt(0)
	v_mov_b32_e32 v6, s1
	s_waitcnt lgkmcnt(0)
	s_barrier
	ds_read_b128 v[2:5], v6 offset:3072
	ds_read_b128 v[6:9], v6 offset:3088
	s_and_b32 s40, s80, 0xfe
	s_lshl_b32 s1, 3, s40
	s_not_b32 s41, s1
	s_waitcnt lgkmcnt(1)
	v_readfirstlane_b32 s15, v3
	v_readfirstlane_b32 s14, v2
	s_cmp_eq_u64 s[14:15], 1
	s_cselect_b64 s[2:3], -1, 0
	s_cmp_eq_u64 s[54:55], 1
	s_cselect_b64 s[6:7], -1, 0
	s_and_b64 s[20:21], s[2:3], s[6:7]
	v_readfirstlane_b32 s28, v4
	v_readfirstlane_b32 s29, v5
	s_waitcnt lgkmcnt(0)
	v_readfirstlane_b32 s16, v6
	v_readfirstlane_b32 s17, v7
	;; [unrolled: 1-line block ×4, first 2 shown]
	s_mov_b64 s[18:19], -1
	s_and_b64 vcc, exec, s[20:21]
	s_cbranch_vccz .LBB68_95
; %bb.81:                               ;   in Loop: Header=BB68_8 Depth=1
	ds_read_b64 v[2:3], v13 offset:5120
	s_waitcnt lgkmcnt(0)
	s_barrier
	v_readfirstlane_b32 s12, v2
	v_readfirstlane_b32 s13, v3
	s_mov_b64 s[2:3], exec
	v_readlane_b32 s6, v56, 12
	v_readlane_b32 s7, v56, 13
	s_and_b64 s[6:7], s[2:3], s[6:7]
	s_mov_b64 exec, s[6:7]
	s_cbranch_execz .LBB68_83
; %bb.82:                               ;   in Loop: Header=BB68_8 Depth=1
	ds_write_b16 v34, v13
.LBB68_83:                              ;   in Loop: Header=BB68_8 Depth=1
	s_or_b64 exec, exec, s[2:3]
	v_cmp_lt_i64_e64 s[2:3], s[12:13], 1
	s_and_b32 s0, s0, s41
	s_or_b32 s75, s75, s1
	s_and_b64 vcc, exec, s[2:3]
	s_waitcnt lgkmcnt(0)
	s_barrier
	s_cbranch_vccz .LBB68_96
; %bb.84:                               ;   in Loop: Header=BB68_8 Depth=1
	s_mov_b32 s44, s73
	s_cmp_lg_u64 s[44:45], 0
	s_cbranch_scc0 .LBB68_141
; %bb.85:                               ;   in Loop: Header=BB68_8 Depth=1
	v_cvt_f32_u32_e32 v2, s33
	s_sub_u32 s2, 0, s33
	s_subb_u32 s3, 0, 0
	v_mac_f32_e32 v2, 0x4f800000, v43
	v_rcp_f32_e32 v2, v2
	v_mul_f32_e32 v2, 0x5f7ffffc, v2
	v_mul_f32_e32 v3, 0x2f800000, v2
	v_trunc_f32_e32 v3, v3
	v_mac_f32_e32 v2, 0xcf800000, v3
	v_cvt_u32_f32_e32 v3, v3
	v_cvt_u32_f32_e32 v2, v2
	v_readfirstlane_b32 s6, v3
	v_readfirstlane_b32 s7, v2
	s_mul_i32 s8, s2, s6
	s_mul_hi_u32 s22, s2, s7
	s_mul_i32 s9, s3, s7
	s_add_i32 s8, s22, s8
	s_mul_i32 s23, s2, s7
	s_add_i32 s8, s8, s9
	s_mul_hi_u32 s22, s7, s23
	s_mul_hi_u32 s9, s7, s8
	s_mul_i32 s7, s7, s8
	s_add_u32 s7, s22, s7
	s_addc_u32 s9, 0, s9
	s_mul_hi_u32 s24, s6, s23
	s_mul_i32 s23, s6, s23
	s_add_u32 s7, s7, s23
	s_mul_hi_u32 s22, s6, s8
	s_addc_u32 s7, s9, s24
	s_addc_u32 s9, s22, 0
	s_mul_i32 s8, s6, s8
	s_add_u32 s7, s7, s8
	s_addc_u32 s8, 0, s9
	v_add_co_u32_e32 v2, vcc, s7, v2
	s_cmp_lg_u64 vcc, 0
	s_addc_u32 s6, s6, s8
	v_readfirstlane_b32 s8, v2
	s_mul_i32 s7, s2, s6
	s_mul_hi_u32 s9, s2, s8
	s_add_i32 s7, s9, s7
	s_mul_i32 s3, s3, s8
	s_add_i32 s7, s7, s3
	s_mul_i32 s2, s2, s8
	s_mul_hi_u32 s9, s6, s2
	s_mul_i32 s22, s6, s2
	s_mul_i32 s24, s8, s7
	s_mul_hi_u32 s2, s8, s2
	s_mul_hi_u32 s23, s8, s7
	s_add_u32 s2, s2, s24
	s_addc_u32 s8, 0, s23
	s_add_u32 s2, s2, s22
	s_mul_hi_u32 s3, s6, s7
	s_addc_u32 s2, s8, s9
	s_addc_u32 s3, s3, 0
	s_mul_i32 s7, s6, s7
	s_add_u32 s2, s2, s7
	s_addc_u32 s3, 0, s3
	v_add_co_u32_e32 v2, vcc, s2, v2
	s_cmp_lg_u64 vcc, 0
	s_addc_u32 s8, s6, s3
	s_ashr_i32 s2, s45, 31
	s_add_u32 s6, s81, s2
	s_mov_b32 s3, s2
	s_addc_u32 s7, s45, s2
	s_xor_b64 s[6:7], s[6:7], s[2:3]
	v_readfirstlane_b32 s22, v2
	s_mul_i32 s9, s6, s8
	s_mul_hi_u32 s23, s6, s22
	s_mul_hi_u32 s3, s6, s8
	s_add_u32 s9, s23, s9
	s_addc_u32 s3, 0, s3
	s_mul_hi_u32 s24, s7, s22
	s_mul_i32 s22, s7, s22
	s_add_u32 s9, s9, s22
	s_mul_hi_u32 s23, s7, s8
	s_addc_u32 s3, s3, s24
	s_addc_u32 s9, s23, 0
	s_mul_i32 s8, s7, s8
	s_add_u32 s3, s3, s8
	s_addc_u32 s8, 0, s9
	s_mul_hi_u32 s9, s33, s3
	s_mul_i32 s3, s33, s3
	s_mul_i32 s8, s33, s8
	v_mov_b32_e32 v2, s3
	s_add_i32 s9, s9, s8
	v_sub_co_u32_e32 v2, vcc, s6, v2
	s_cmp_lg_u64 vcc, 0
	s_subb_u32 s3, s7, s9
	v_subrev_co_u32_e32 v3, vcc, s33, v2
	s_cmp_lg_u64 vcc, 0
	s_subb_u32 s6, s3, 0
	v_subrev_co_u32_e32 v4, vcc, s33, v3
	s_cmp_lg_u64 vcc, 0
	s_subb_u32 s7, s6, 0
	v_cmp_le_u32_e32 vcc, s33, v3
	s_cmp_eq_u32 s6, 0
	v_cndmask_b32_e64 v5, 0, -1, vcc
	s_cselect_b64 vcc, -1, 0
	v_cndmask_b32_e32 v5, -1, v5, vcc
	v_mov_b32_e32 v6, s6
	v_mov_b32_e32 v7, s7
	v_cmp_ne_u32_e32 vcc, 0, v5
	v_cndmask_b32_e32 v5, v6, v7, vcc
	v_cndmask_b32_e32 v3, v3, v4, vcc
	v_cmp_le_u32_e32 vcc, s33, v2
	s_cmp_eq_u32 s3, 0
	v_cndmask_b32_e64 v4, 0, -1, vcc
	s_cselect_b64 vcc, -1, 0
	v_cndmask_b32_e32 v4, -1, v4, vcc
	v_cmp_ne_u32_e32 vcc, 0, v4
	v_mov_b32_e32 v6, s3
	v_cndmask_b32_e32 v2, v2, v3, vcc
	v_cndmask_b32_e32 v4, v6, v5, vcc
	v_xor_b32_e32 v2, s2, v2
	v_xor_b32_e32 v3, s2, v4
	v_mov_b32_e32 v4, s2
	v_subrev_co_u32_e32 v2, vcc, s2, v2
	v_subb_co_u32_e32 v3, vcc, v3, v4, vcc
	s_cbranch_execnz .LBB68_87
.LBB68_86:                              ;   in Loop: Header=BB68_8 Depth=1
	v_cvt_f32_u32_e32 v2, s33
	s_sub_i32 s2, 0, s33
	v_rcp_iflag_f32_e32 v2, v2
	v_mul_f32_e32 v2, 0x4f7ffffe, v2
	v_cvt_u32_f32_e32 v2, v2
	v_mul_lo_u32 v3, s2, v2
	v_mul_hi_u32 v3, v2, v3
	v_add_u32_e32 v2, v2, v3
	v_mul_hi_u32 v2, s81, v2
	v_mul_lo_u32 v2, v2, s33
	v_sub_u32_e32 v2, s81, v2
	v_subrev_u32_e32 v3, s33, v2
	v_cmp_le_u32_e32 vcc, s33, v2
	v_cndmask_b32_e32 v2, v2, v3, vcc
	v_subrev_u32_e32 v3, s33, v2
	v_cmp_le_u32_e32 vcc, s33, v2
	v_cndmask_b32_e32 v12, v2, v3, vcc
	v_pk_mov_b32 v[2:3], v[12:13], v[12:13] op_sel:[0,1]
.LBB68_87:                              ;   in Loop: Header=BB68_8 Depth=1
	v_mov_b32_e32 v4, s45
	v_sub_co_u32_e32 v2, vcc, s81, v2
	v_subb_co_u32_e32 v3, vcc, v4, v3, vcc
	v_cmp_gt_i64_e32 vcc, v[2:3], v[0:1]
	s_mov_b64 s[2:3], 0
                                        ; implicit-def: $vgpr46
	s_and_saveexec_b64 s[8:9], vcc
	s_cbranch_execz .LBB68_98
; %bb.88:                               ;   in Loop: Header=BB68_8 Depth=1
	v_pk_mov_b32 v[4:5], v[10:11], v[10:11] op_sel:[0,1]
	v_pk_mov_b32 v[6:7], v[0:1], v[0:1] op_sel:[0,1]
                                        ; implicit-def: $sgpr22_sgpr23
	s_branch .LBB68_90
.LBB68_89:                              ;   in Loop: Header=BB68_90 Depth=2
	s_or_b64 exec, exec, s[6:7]
	s_waitcnt lgkmcnt(0)
	s_barrier
	s_waitcnt vmcnt(0)
	ds_read_b32 v8, v13 offset:3072
	v_add_co_u32_e64 v6, s[6:7], s33, v6
	s_waitcnt lgkmcnt(0)
	s_barrier
	v_and_b32_e32 v9, 0x7fff, v8
	v_cmp_ne_u16_e32 vcc, 0, v9
	v_mov_b32_e32 v9, s88
	v_addc_co_u32_e64 v7, s[6:7], v7, v9, s[6:7]
	v_cmp_ge_i64_e64 s[6:7], v[6:7], v[2:3]
	s_or_b64 s[24:25], vcc, s[6:7]
	v_mov_b32_e32 v9, s69
	v_add_co_u32_e64 v4, s[6:7], s68, v4
	v_addc_co_u32_e64 v5, s[6:7], v5, v9, s[6:7]
	s_and_b64 s[6:7], exec, s[24:25]
	s_or_b64 s[2:3], s[6:7], s[2:3]
	s_andn2_b64 s[6:7], s[22:23], exec
	s_and_b64 s[22:23], vcc, exec
	s_or_b64 s[22:23], s[6:7], s[22:23]
	s_andn2_b64 exec, exec, s[2:3]
	s_cbranch_execz .LBB68_97
.LBB68_90:                              ;   Parent Loop BB68_8 Depth=1
                                        ; =>  This Inner Loop Header: Depth=2
	v_cmp_gt_i64_e32 vcc, s[52:53], v[6:7]
	v_mov_b32_e32 v8, 0
	s_and_saveexec_b64 s[6:7], vcc
	s_cbranch_execz .LBB68_92
; %bb.91:                               ;   in Loop: Header=BB68_90 Depth=2
	global_load_ushort v8, v[4:5], off
.LBB68_92:                              ;   in Loop: Header=BB68_90 Depth=2
	s_or_b64 exec, exec, s[6:7]
	s_and_saveexec_b64 s[6:7], vcc
	s_cbranch_execz .LBB68_89
; %bb.93:                               ;   in Loop: Header=BB68_90 Depth=2
	s_waitcnt vmcnt(0)
	v_cmp_lt_i16_e32 vcc, -1, v8
	v_cndmask_b32_e32 v9, v41, v42, vcc
	v_lshlrev_b32_e32 v12, 16, v8
	v_xor_b32_sdwa v9, v9, v8 dst_sel:DWORD dst_unused:UNUSED_PAD src0_sel:DWORD src1_sel:WORD_0
	v_cmp_o_f32_e32 vcc, v12, v12
	v_cndmask_b32_e32 v9, v41, v9, vcc
	v_and_b32_e32 v9, s75, v9
	v_cmp_eq_u32_e32 vcc, s0, v9
	s_and_b64 exec, exec, vcc
	s_cbranch_execz .LBB68_89
; %bb.94:                               ;   in Loop: Header=BB68_90 Depth=2
	v_perm_b32 v8, v8, s50, v45
	ds_write_b32 v13, v8 offset:3072
	s_branch .LBB68_89
.LBB68_95:                              ;   in Loop: Header=BB68_8 Depth=1
	s_mov_b64 s[2:3], -1
                                        ; implicit-def: $sgpr6_sgpr7
                                        ; implicit-def: $sgpr22_sgpr23
                                        ; implicit-def: $sgpr8_sgpr9
	s_branch .LBB68_112
.LBB68_96:                              ;   in Loop: Header=BB68_8 Depth=1
	s_mov_b64 s[6:7], -1
	s_mov_b64 s[2:3], 0
                                        ; implicit-def: $sgpr8_sgpr9
                                        ; implicit-def: $vgpr46
	s_mov_b64 s[22:23], s[6:7]
	s_cbranch_execnz .LBB68_99
	s_branch .LBB68_112
.LBB68_97:                              ;   in Loop: Header=BB68_8 Depth=1
	s_or_b64 exec, exec, s[2:3]
	v_lshrrev_b32_e32 v46, 16, v8
	s_and_b64 s[2:3], s[22:23], exec
.LBB68_98:                              ;   in Loop: Header=BB68_8 Depth=1
	s_or_b64 exec, exec, s[8:9]
	s_mov_b64 s[8:9], -1
	s_mov_b64 s[6:7], 0
	s_mov_b64 s[22:23], s[6:7]
	s_branch .LBB68_112
.LBB68_99:                              ;   in Loop: Header=BB68_8 Depth=1
	v_readlane_b32 s2, v56, 20
	s_add_u32 s8, s2, s12
	v_readlane_b32 s2, v56, 21
	s_addc_u32 s3, s2, s13
	s_mov_b32 s2, s73
	s_cmp_lg_u64 s[2:3], 0
	s_cbranch_scc0 .LBB68_142
; %bb.100:                              ;   in Loop: Header=BB68_8 Depth=1
	v_cvt_f32_u32_e32 v2, s33
	s_sub_u32 s2, 0, s33
	s_subb_u32 s6, 0, 0
	v_mac_f32_e32 v2, 0x4f800000, v43
	v_rcp_f32_e32 v2, v2
	v_mul_f32_e32 v2, 0x5f7ffffc, v2
	v_mul_f32_e32 v3, 0x2f800000, v2
	v_trunc_f32_e32 v3, v3
	v_mac_f32_e32 v2, 0xcf800000, v3
	v_cvt_u32_f32_e32 v3, v3
	v_cvt_u32_f32_e32 v2, v2
	v_readfirstlane_b32 s7, v3
	v_readfirstlane_b32 s9, v2
	s_mul_i32 s22, s2, s7
	s_mul_hi_u32 s24, s2, s9
	s_mul_i32 s23, s6, s9
	s_add_i32 s22, s24, s22
	s_mul_i32 s25, s2, s9
	s_add_i32 s22, s22, s23
	s_mul_hi_u32 s24, s9, s25
	s_mul_hi_u32 s23, s9, s22
	s_mul_i32 s9, s9, s22
	s_add_u32 s9, s24, s9
	s_addc_u32 s23, 0, s23
	s_mul_hi_u32 s26, s7, s25
	s_mul_i32 s25, s7, s25
	s_add_u32 s9, s9, s25
	s_mul_hi_u32 s24, s7, s22
	s_addc_u32 s9, s23, s26
	s_addc_u32 s23, s24, 0
	s_mul_i32 s22, s7, s22
	s_add_u32 s9, s9, s22
	s_addc_u32 s22, 0, s23
	v_add_co_u32_e32 v2, vcc, s9, v2
	s_cmp_lg_u64 vcc, 0
	s_addc_u32 s7, s7, s22
	v_readfirstlane_b32 s22, v2
	s_mul_i32 s9, s2, s7
	s_mul_hi_u32 s23, s2, s22
	s_add_i32 s9, s23, s9
	s_mul_i32 s6, s6, s22
	s_add_i32 s9, s9, s6
	s_mul_i32 s2, s2, s22
	s_mul_hi_u32 s23, s7, s2
	s_mul_i32 s24, s7, s2
	s_mul_i32 s26, s22, s9
	s_mul_hi_u32 s2, s22, s2
	s_mul_hi_u32 s25, s22, s9
	s_add_u32 s2, s2, s26
	s_addc_u32 s22, 0, s25
	s_add_u32 s2, s2, s24
	s_mul_hi_u32 s6, s7, s9
	s_addc_u32 s2, s22, s23
	s_addc_u32 s6, s6, 0
	s_mul_i32 s9, s7, s9
	s_add_u32 s2, s2, s9
	s_addc_u32 s6, 0, s6
	v_add_co_u32_e32 v2, vcc, s2, v2
	s_cmp_lg_u64 vcc, 0
	s_addc_u32 s2, s7, s6
	s_ashr_i32 s6, s3, 31
	s_add_u32 s22, s8, s6
	s_mov_b32 s7, s6
	s_addc_u32 s23, s3, s6
	s_xor_b64 s[22:23], s[22:23], s[6:7]
	v_readfirstlane_b32 s24, v2
	s_mul_i32 s9, s22, s2
	s_mul_hi_u32 s25, s22, s24
	s_mul_hi_u32 s7, s22, s2
	s_add_u32 s9, s25, s9
	s_addc_u32 s7, 0, s7
	s_mul_hi_u32 s26, s23, s24
	s_mul_i32 s24, s23, s24
	s_add_u32 s9, s9, s24
	s_mul_hi_u32 s25, s23, s2
	s_addc_u32 s7, s7, s26
	s_addc_u32 s9, s25, 0
	s_mul_i32 s2, s23, s2
	s_add_u32 s2, s7, s2
	s_addc_u32 s7, 0, s9
	s_mul_hi_u32 s9, s33, s2
	s_mul_i32 s2, s33, s2
	s_mul_i32 s7, s33, s7
	v_mov_b32_e32 v2, s2
	s_add_i32 s9, s9, s7
	v_sub_co_u32_e32 v2, vcc, s22, v2
	s_cmp_lg_u64 vcc, 0
	s_subb_u32 s2, s23, s9
	v_subrev_co_u32_e32 v3, vcc, s33, v2
	s_cmp_lg_u64 vcc, 0
	s_subb_u32 s7, s2, 0
	v_subrev_co_u32_e32 v4, vcc, s33, v3
	s_cmp_lg_u64 vcc, 0
	s_subb_u32 s9, s7, 0
	v_cmp_le_u32_e32 vcc, s33, v3
	s_cmp_eq_u32 s7, 0
	v_cndmask_b32_e64 v5, 0, -1, vcc
	s_cselect_b64 vcc, -1, 0
	v_cndmask_b32_e32 v5, -1, v5, vcc
	v_mov_b32_e32 v6, s7
	v_mov_b32_e32 v7, s9
	v_cmp_ne_u32_e32 vcc, 0, v5
	v_cndmask_b32_e32 v5, v6, v7, vcc
	v_cndmask_b32_e32 v3, v3, v4, vcc
	v_cmp_le_u32_e32 vcc, s33, v2
	s_cmp_eq_u32 s2, 0
	v_cndmask_b32_e64 v4, 0, -1, vcc
	s_cselect_b64 vcc, -1, 0
	v_cndmask_b32_e32 v4, -1, v4, vcc
	v_cmp_ne_u32_e32 vcc, 0, v4
	v_mov_b32_e32 v6, s2
	v_cndmask_b32_e32 v2, v2, v3, vcc
	v_cndmask_b32_e32 v4, v6, v5, vcc
	v_xor_b32_e32 v2, s6, v2
	v_xor_b32_e32 v3, s6, v4
	v_mov_b32_e32 v4, s6
	v_subrev_co_u32_e32 v2, vcc, s6, v2
	v_subb_co_u32_e32 v3, vcc, v3, v4, vcc
	s_cbranch_execnz .LBB68_102
.LBB68_101:                             ;   in Loop: Header=BB68_8 Depth=1
	v_cvt_f32_u32_e32 v2, s33
	s_sub_i32 s2, 0, s33
	v_rcp_iflag_f32_e32 v2, v2
	v_mul_f32_e32 v2, 0x4f7ffffe, v2
	v_cvt_u32_f32_e32 v2, v2
	v_mul_lo_u32 v3, s2, v2
	v_mul_hi_u32 v3, v2, v3
	v_add_u32_e32 v2, v2, v3
	v_mul_hi_u32 v2, s8, v2
	v_mul_lo_u32 v2, v2, s33
	v_sub_u32_e32 v2, s8, v2
	v_subrev_u32_e32 v3, s33, v2
	v_cmp_le_u32_e32 vcc, s33, v2
	v_cndmask_b32_e32 v2, v2, v3, vcc
	v_subrev_u32_e32 v3, s33, v2
	v_cmp_le_u32_e32 vcc, s33, v2
	v_cndmask_b32_e32 v12, v2, v3, vcc
	v_pk_mov_b32 v[2:3], v[12:13], v[12:13] op_sel:[0,1]
.LBB68_102:                             ;   in Loop: Header=BB68_8 Depth=1
	v_mov_b32_e32 v4, s3
	v_sub_co_u32_e32 v2, vcc, s8, v2
	v_subb_co_u32_e32 v3, vcc, v4, v3, vcc
	v_cmp_gt_i64_e32 vcc, v[2:3], v[0:1]
	s_mov_b64 s[2:3], 0
                                        ; implicit-def: $vgpr46
	s_and_saveexec_b64 s[8:9], vcc
	s_cbranch_execz .LBB68_111
; %bb.103:                              ;   in Loop: Header=BB68_8 Depth=1
	v_mov_b32_e32 v6, v33
	v_pk_mov_b32 v[4:5], v[0:1], v[0:1] op_sel:[0,1]
                                        ; implicit-def: $sgpr22_sgpr23
	s_branch .LBB68_105
.LBB68_104:                             ;   in Loop: Header=BB68_105 Depth=2
	s_or_b64 exec, exec, s[6:7]
	s_waitcnt lgkmcnt(0)
	s_barrier
	ds_read_b32 v7, v13 offset:3072
	v_add_co_u32_e64 v4, s[6:7], s33, v4
	v_add_u32_e32 v6, s74, v6
	s_waitcnt lgkmcnt(0)
	v_and_b32_e32 v8, 0x7fff, v7
	v_cmp_ne_u16_e32 vcc, 0, v8
	v_mov_b32_e32 v8, s88
	v_addc_co_u32_e64 v5, s[6:7], v5, v8, s[6:7]
	v_cmp_ge_i64_e64 s[6:7], v[4:5], v[2:3]
	s_or_b64 s[6:7], vcc, s[6:7]
	s_and_b64 s[6:7], exec, s[6:7]
	s_or_b64 s[2:3], s[6:7], s[2:3]
	s_andn2_b64 s[6:7], s[22:23], exec
	s_and_b64 s[22:23], vcc, exec
	s_or_b64 s[22:23], s[6:7], s[22:23]
	s_barrier
	s_andn2_b64 exec, exec, s[2:3]
	s_cbranch_execz .LBB68_110
.LBB68_105:                             ;   Parent Loop BB68_8 Depth=1
                                        ; =>  This Inner Loop Header: Depth=2
	v_cmp_gt_i64_e32 vcc, s[12:13], v[4:5]
	v_mov_b32_e32 v7, 0
	s_and_saveexec_b64 s[6:7], vcc
	s_cbranch_execz .LBB68_107
; %bb.106:                              ;   in Loop: Header=BB68_105 Depth=2
	ds_read_u16 v7, v6
.LBB68_107:                             ;   in Loop: Header=BB68_105 Depth=2
	s_or_b64 exec, exec, s[6:7]
	s_and_saveexec_b64 s[6:7], vcc
	s_cbranch_execz .LBB68_104
; %bb.108:                              ;   in Loop: Header=BB68_105 Depth=2
	s_waitcnt lgkmcnt(0)
	v_cmp_lt_i16_e32 vcc, -1, v7
	v_cndmask_b32_e32 v8, v41, v42, vcc
	v_lshlrev_b32_e32 v9, 16, v7
	v_xor_b32_sdwa v8, v8, v7 dst_sel:DWORD dst_unused:UNUSED_PAD src0_sel:DWORD src1_sel:WORD_0
	v_cmp_o_f32_e32 vcc, v9, v9
	v_cndmask_b32_e32 v8, v41, v8, vcc
	v_and_b32_e32 v8, s75, v8
	v_cmp_eq_u32_e32 vcc, s0, v8
	s_and_b64 exec, exec, vcc
	s_cbranch_execz .LBB68_104
; %bb.109:                              ;   in Loop: Header=BB68_105 Depth=2
	v_perm_b32 v7, v7, s50, v45
	ds_write_b32 v13, v7 offset:3072
	s_branch .LBB68_104
.LBB68_110:                             ;   in Loop: Header=BB68_8 Depth=1
	s_or_b64 exec, exec, s[2:3]
	v_lshrrev_b32_e32 v46, 16, v7
	s_and_b64 s[2:3], s[22:23], exec
.LBB68_111:                             ;   in Loop: Header=BB68_8 Depth=1
	s_or_b64 exec, exec, s[8:9]
	s_mov_b64 s[22:23], -1
	s_mov_b64 s[6:7], 0
	s_mov_b64 s[8:9], 0
.LBB68_112:                             ;   in Loop: Header=BB68_8 Depth=1
	s_andn2_b64 s[12:13], s[92:93], exec
	s_and_b64 s[6:7], s[6:7], exec
	s_or_b64 s[92:93], s[12:13], s[6:7]
	s_andn2_b64 s[6:7], s[66:67], exec
	s_and_b64 s[12:13], s[22:23], exec
	s_or_b64 s[66:67], s[6:7], s[12:13]
	;; [unrolled: 3-line block ×3, first 2 shown]
	s_and_saveexec_b64 s[12:13], s[2:3]
	s_cbranch_execz .LBB68_7
; %bb.113:                              ;   in Loop: Header=BB68_8 Depth=1
	s_xor_b64 s[2:3], s[20:21], -1
	s_andn2_b64 vcc, exec, s[2:3]
	s_mov_b32 s44, 1
	s_cbranch_vccnz .LBB68_124
; %bb.114:                              ;   in Loop: Header=BB68_8 Depth=1
	v_pk_mov_b32 v[2:3], s[14:15], s[14:15] op_sel:[0,1]
	v_cmp_gt_i64_e32 vcc, s[54:55], v[2:3]
	s_mov_b64 s[2:3], -1
                                        ; implicit-def: $sgpr44
                                        ; implicit-def: $sgpr6
                                        ; implicit-def: $sgpr7
	s_cbranch_vccnz .LBB68_120
; %bb.115:                              ;   in Loop: Header=BB68_8 Depth=1
	ds_read_b64 v[2:3], v13 offset:5120
	s_waitcnt lgkmcnt(0)
	v_cmp_ne_u64_e32 vcc, 0, v[2:3]
	s_cbranch_vccnz .LBB68_119
; %bb.116:                              ;   in Loop: Header=BB68_8 Depth=1
	s_mov_b64 s[2:3], exec
	v_readlane_b32 s6, v56, 8
	v_readlane_b32 s7, v56, 9
	s_and_b64 s[6:7], s[2:3], s[6:7]
	s_mov_b64 exec, s[6:7]
	s_cbranch_execz .LBB68_118
; %bb.117:                              ;   in Loop: Header=BB68_8 Depth=1
	v_pk_mov_b32 v[2:3], s[14:15], s[14:15] op_sel:[0,1]
	ds_write_b64 v13, v[2:3] offset:5128
.LBB68_118:                             ;   in Loop: Header=BB68_8 Depth=1
	s_or_b64 exec, exec, s[2:3]
	s_waitcnt lgkmcnt(0)
	s_barrier
.LBB68_119:                             ;   in Loop: Header=BB68_8 Depth=1
	s_and_b32 s6, s0, s41
	s_or_b32 s7, s75, s1
	s_mov_b64 s[2:3], 0
	s_mov_b32 s44, 8
.LBB68_120:                             ;   in Loop: Header=BB68_8 Depth=1
	s_andn2_b64 vcc, exec, s[2:3]
	s_cbranch_vccnz .LBB68_122
; %bb.121:                              ;   in Loop: Header=BB68_8 Depth=1
	s_sub_u32 s54, s54, s14
	s_subb_u32 s55, s55, s15
	s_mov_b64 s[2:3], -1
	s_mov_b32 s44, 0
	s_mov_b32 s6, s0
	;; [unrolled: 1-line block ×3, first 2 shown]
.LBB68_122:                             ;   in Loop: Header=BB68_8 Depth=1
	s_mov_b32 s75, s7
	s_mov_b32 s0, s6
	s_mov_b64 s[14:15], -1
	s_and_b64 vcc, exec, s[2:3]
	s_cbranch_vccnz .LBB68_125
.LBB68_123:                             ;   in Loop: Header=BB68_8 Depth=1
	s_mov_b64 s[6:7], -1
                                        ; implicit-def: $sgpr18_sgpr19
                                        ; implicit-def: $sgpr22_sgpr23
                                        ; implicit-def: $sgpr20_sgpr21
	s_and_saveexec_b64 s[2:3], s[6:7]
	s_xor_b64 s[2:3], exec, s[2:3]
	s_cbranch_execz .LBB68_6
	s_branch .LBB68_271
.LBB68_124:                             ;   in Loop: Header=BB68_8 Depth=1
	s_mov_b64 s[54:55], 1
	s_mov_b64 s[14:15], -1
	s_branch .LBB68_123
.LBB68_125:                             ;   in Loop: Header=BB68_8 Depth=1
	s_cmp_eq_u64 s[28:29], 1
	s_cselect_b64 s[2:3], -1, 0
	s_cmp_eq_u64 s[54:55], 1
	s_cselect_b64 s[6:7], -1, 0
	s_and_b64 s[30:31], s[2:3], s[6:7]
	s_mov_b64 s[2:3], -1
	s_and_b64 vcc, exec, s[30:31]
	s_cbranch_vccz .LBB68_140
; %bb.126:                              ;   in Loop: Header=BB68_8 Depth=1
	ds_read_b64 v[2:3], v13 offset:5120
	s_waitcnt lgkmcnt(0)
	s_barrier
	v_readfirstlane_b32 s24, v2
	v_readfirstlane_b32 s25, v3
	s_mov_b64 s[2:3], exec
	v_readlane_b32 s6, v56, 12
	v_readlane_b32 s7, v56, 13
	s_and_b64 s[6:7], s[2:3], s[6:7]
	s_mov_b64 exec, s[6:7]
	s_cbranch_execz .LBB68_128
; %bb.127:                              ;   in Loop: Header=BB68_8 Depth=1
	ds_write_b16 v34, v13
.LBB68_128:                             ;   in Loop: Header=BB68_8 Depth=1
	s_or_b64 exec, exec, s[2:3]
	s_lshl_b32 s2, 1, s40
	s_and_b32 s0, s0, s41
	s_or_b32 s0, s0, s2
	v_cmp_gt_i64_e64 s[2:3], s[24:25], 0
	s_or_b32 s75, s75, s1
	s_and_b64 vcc, exec, s[2:3]
	s_waitcnt lgkmcnt(0)
	s_barrier
	s_cbranch_vccnz .LBB68_143
; %bb.129:                              ;   in Loop: Header=BB68_8 Depth=1
	s_mov_b32 s44, s73
	s_cmp_lg_u64 s[44:45], 0
	s_cbranch_scc0 .LBB68_188
; %bb.130:                              ;   in Loop: Header=BB68_8 Depth=1
	v_cvt_f32_u32_e32 v2, s33
	s_sub_u32 s2, 0, s33
	s_subb_u32 s3, 0, 0
	v_mac_f32_e32 v2, 0x4f800000, v43
	v_rcp_f32_e32 v2, v2
	v_mul_f32_e32 v2, 0x5f7ffffc, v2
	v_mul_f32_e32 v3, 0x2f800000, v2
	v_trunc_f32_e32 v3, v3
	v_mac_f32_e32 v2, 0xcf800000, v3
	v_cvt_u32_f32_e32 v3, v3
	v_cvt_u32_f32_e32 v2, v2
	v_readfirstlane_b32 s6, v3
	v_readfirstlane_b32 s7, v2
	s_mul_i32 s8, s2, s6
	s_mul_hi_u32 s18, s2, s7
	s_mul_i32 s9, s3, s7
	s_add_i32 s8, s18, s8
	s_mul_i32 s19, s2, s7
	s_add_i32 s8, s8, s9
	s_mul_hi_u32 s18, s7, s19
	s_mul_hi_u32 s9, s7, s8
	s_mul_i32 s7, s7, s8
	s_add_u32 s7, s18, s7
	s_addc_u32 s9, 0, s9
	s_mul_hi_u32 s20, s6, s19
	s_mul_i32 s19, s6, s19
	s_add_u32 s7, s7, s19
	s_mul_hi_u32 s18, s6, s8
	s_addc_u32 s7, s9, s20
	s_addc_u32 s9, s18, 0
	s_mul_i32 s8, s6, s8
	s_add_u32 s7, s7, s8
	s_addc_u32 s8, 0, s9
	v_add_co_u32_e32 v2, vcc, s7, v2
	s_cmp_lg_u64 vcc, 0
	s_addc_u32 s6, s6, s8
	v_readfirstlane_b32 s8, v2
	s_mul_i32 s7, s2, s6
	s_mul_hi_u32 s9, s2, s8
	s_add_i32 s7, s9, s7
	s_mul_i32 s3, s3, s8
	s_add_i32 s7, s7, s3
	s_mul_i32 s2, s2, s8
	s_mul_hi_u32 s9, s6, s2
	s_mul_i32 s18, s6, s2
	s_mul_i32 s20, s8, s7
	s_mul_hi_u32 s2, s8, s2
	s_mul_hi_u32 s19, s8, s7
	s_add_u32 s2, s2, s20
	s_addc_u32 s8, 0, s19
	s_add_u32 s2, s2, s18
	s_mul_hi_u32 s3, s6, s7
	s_addc_u32 s2, s8, s9
	s_addc_u32 s3, s3, 0
	s_mul_i32 s7, s6, s7
	s_add_u32 s2, s2, s7
	s_addc_u32 s3, 0, s3
	v_add_co_u32_e32 v2, vcc, s2, v2
	s_cmp_lg_u64 vcc, 0
	s_addc_u32 s8, s6, s3
	s_ashr_i32 s2, s45, 31
	s_add_u32 s6, s81, s2
	s_mov_b32 s3, s2
	s_addc_u32 s7, s45, s2
	s_xor_b64 s[6:7], s[6:7], s[2:3]
	v_readfirstlane_b32 s18, v2
	s_mul_i32 s9, s6, s8
	s_mul_hi_u32 s19, s6, s18
	s_mul_hi_u32 s3, s6, s8
	s_add_u32 s9, s19, s9
	s_addc_u32 s3, 0, s3
	s_mul_hi_u32 s20, s7, s18
	s_mul_i32 s18, s7, s18
	s_add_u32 s9, s9, s18
	s_mul_hi_u32 s19, s7, s8
	s_addc_u32 s3, s3, s20
	s_addc_u32 s9, s19, 0
	s_mul_i32 s8, s7, s8
	s_add_u32 s3, s3, s8
	s_addc_u32 s8, 0, s9
	s_mul_hi_u32 s9, s33, s3
	s_mul_i32 s3, s33, s3
	s_mul_i32 s8, s33, s8
	v_mov_b32_e32 v2, s3
	s_add_i32 s9, s9, s8
	v_sub_co_u32_e32 v2, vcc, s6, v2
	s_cmp_lg_u64 vcc, 0
	s_subb_u32 s3, s7, s9
	v_subrev_co_u32_e32 v3, vcc, s33, v2
	s_cmp_lg_u64 vcc, 0
	s_subb_u32 s6, s3, 0
	v_subrev_co_u32_e32 v4, vcc, s33, v3
	s_cmp_lg_u64 vcc, 0
	s_subb_u32 s7, s6, 0
	v_cmp_le_u32_e32 vcc, s33, v3
	s_cmp_eq_u32 s6, 0
	v_cndmask_b32_e64 v5, 0, -1, vcc
	s_cselect_b64 vcc, -1, 0
	v_cndmask_b32_e32 v5, -1, v5, vcc
	v_mov_b32_e32 v6, s6
	v_mov_b32_e32 v7, s7
	v_cmp_ne_u32_e32 vcc, 0, v5
	v_cndmask_b32_e32 v5, v6, v7, vcc
	v_cndmask_b32_e32 v3, v3, v4, vcc
	v_cmp_le_u32_e32 vcc, s33, v2
	s_cmp_eq_u32 s3, 0
	v_cndmask_b32_e64 v4, 0, -1, vcc
	s_cselect_b64 vcc, -1, 0
	v_cndmask_b32_e32 v4, -1, v4, vcc
	v_cmp_ne_u32_e32 vcc, 0, v4
	v_mov_b32_e32 v6, s3
	v_cndmask_b32_e32 v2, v2, v3, vcc
	v_cndmask_b32_e32 v4, v6, v5, vcc
	v_xor_b32_e32 v2, s2, v2
	v_xor_b32_e32 v3, s2, v4
	v_mov_b32_e32 v4, s2
	v_subrev_co_u32_e32 v2, vcc, s2, v2
	v_subb_co_u32_e32 v3, vcc, v3, v4, vcc
	s_cbranch_execnz .LBB68_132
.LBB68_131:                             ;   in Loop: Header=BB68_8 Depth=1
	v_cvt_f32_u32_e32 v2, s33
	s_sub_i32 s2, 0, s33
	v_rcp_iflag_f32_e32 v2, v2
	v_mul_f32_e32 v2, 0x4f7ffffe, v2
	v_cvt_u32_f32_e32 v2, v2
	v_mul_lo_u32 v3, s2, v2
	v_mul_hi_u32 v3, v2, v3
	v_add_u32_e32 v2, v2, v3
	v_mul_hi_u32 v2, s81, v2
	v_mul_lo_u32 v2, v2, s33
	v_sub_u32_e32 v2, s81, v2
	v_subrev_u32_e32 v3, s33, v2
	v_cmp_le_u32_e32 vcc, s33, v2
	v_cndmask_b32_e32 v2, v2, v3, vcc
	v_subrev_u32_e32 v3, s33, v2
	v_cmp_le_u32_e32 vcc, s33, v2
	v_cndmask_b32_e32 v12, v2, v3, vcc
	v_pk_mov_b32 v[2:3], v[12:13], v[12:13] op_sel:[0,1]
.LBB68_132:                             ;   in Loop: Header=BB68_8 Depth=1
	v_mov_b32_e32 v4, s45
	v_sub_co_u32_e32 v2, vcc, s81, v2
	v_subb_co_u32_e32 v3, vcc, v4, v3, vcc
	v_cmp_gt_i64_e32 vcc, v[2:3], v[0:1]
	s_mov_b64 s[2:3], 0
                                        ; implicit-def: $vgpr46
	s_and_saveexec_b64 s[8:9], vcc
	s_cbranch_execz .LBB68_145
; %bb.133:                              ;   in Loop: Header=BB68_8 Depth=1
	v_pk_mov_b32 v[4:5], v[10:11], v[10:11] op_sel:[0,1]
	v_pk_mov_b32 v[6:7], v[0:1], v[0:1] op_sel:[0,1]
                                        ; implicit-def: $sgpr18_sgpr19
	s_branch .LBB68_135
.LBB68_134:                             ;   in Loop: Header=BB68_135 Depth=2
	s_or_b64 exec, exec, s[6:7]
	s_waitcnt lgkmcnt(0)
	s_barrier
	s_waitcnt vmcnt(0)
	ds_read_b32 v8, v13 offset:3072
	v_add_co_u32_e64 v6, s[6:7], s33, v6
	s_waitcnt lgkmcnt(0)
	s_barrier
	v_and_b32_e32 v9, 0x7fff, v8
	v_cmp_ne_u16_e32 vcc, 0, v9
	v_mov_b32_e32 v9, s88
	v_addc_co_u32_e64 v7, s[6:7], v7, v9, s[6:7]
	v_cmp_ge_i64_e64 s[6:7], v[6:7], v[2:3]
	s_or_b64 s[20:21], vcc, s[6:7]
	v_mov_b32_e32 v9, s69
	v_add_co_u32_e64 v4, s[6:7], s68, v4
	v_addc_co_u32_e64 v5, s[6:7], v5, v9, s[6:7]
	s_and_b64 s[6:7], exec, s[20:21]
	s_or_b64 s[2:3], s[6:7], s[2:3]
	s_andn2_b64 s[6:7], s[18:19], exec
	s_and_b64 s[18:19], vcc, exec
	s_or_b64 s[18:19], s[6:7], s[18:19]
	s_andn2_b64 exec, exec, s[2:3]
	s_cbranch_execz .LBB68_144
.LBB68_135:                             ;   Parent Loop BB68_8 Depth=1
                                        ; =>  This Inner Loop Header: Depth=2
	v_cmp_gt_i64_e32 vcc, s[52:53], v[6:7]
	v_mov_b32_e32 v8, 0
	s_and_saveexec_b64 s[6:7], vcc
	s_cbranch_execz .LBB68_137
; %bb.136:                              ;   in Loop: Header=BB68_135 Depth=2
	global_load_ushort v8, v[4:5], off
.LBB68_137:                             ;   in Loop: Header=BB68_135 Depth=2
	s_or_b64 exec, exec, s[6:7]
	s_and_saveexec_b64 s[6:7], vcc
	s_cbranch_execz .LBB68_134
; %bb.138:                              ;   in Loop: Header=BB68_135 Depth=2
	s_waitcnt vmcnt(0)
	v_cmp_lt_i16_e32 vcc, -1, v8
	v_cndmask_b32_e32 v9, v41, v42, vcc
	v_lshlrev_b32_e32 v12, 16, v8
	v_xor_b32_sdwa v9, v9, v8 dst_sel:DWORD dst_unused:UNUSED_PAD src0_sel:DWORD src1_sel:WORD_0
	v_cmp_o_f32_e32 vcc, v12, v12
	v_cndmask_b32_e32 v9, v41, v9, vcc
	v_and_b32_e32 v9, s75, v9
	v_cmp_eq_u32_e32 vcc, s0, v9
	s_and_b64 exec, exec, vcc
	s_cbranch_execz .LBB68_134
; %bb.139:                              ;   in Loop: Header=BB68_135 Depth=2
	v_perm_b32 v8, v8, s50, v45
	ds_write_b32 v13, v8 offset:3072
	s_branch .LBB68_134
.LBB68_140:                             ;   in Loop: Header=BB68_8 Depth=1
                                        ; implicit-def: $sgpr20_sgpr21
                                        ; implicit-def: $sgpr22_sgpr23
                                        ; implicit-def: $sgpr18_sgpr19
	s_branch .LBB68_159
.LBB68_141:                             ;   in Loop: Header=BB68_8 Depth=1
                                        ; implicit-def: $vgpr2_vgpr3
	s_branch .LBB68_86
.LBB68_142:                             ;   in Loop: Header=BB68_8 Depth=1
                                        ; implicit-def: $vgpr2_vgpr3
	s_branch .LBB68_101
.LBB68_143:                             ;   in Loop: Header=BB68_8 Depth=1
	s_mov_b64 s[20:21], -1
	s_mov_b64 s[2:3], 0
                                        ; implicit-def: $sgpr18_sgpr19
                                        ; implicit-def: $vgpr46
	s_mov_b64 s[22:23], s[20:21]
	s_cbranch_execnz .LBB68_146
	s_branch .LBB68_159
.LBB68_144:                             ;   in Loop: Header=BB68_8 Depth=1
	s_or_b64 exec, exec, s[2:3]
	v_lshrrev_b32_e32 v46, 16, v8
	s_and_b64 s[2:3], s[18:19], exec
.LBB68_145:                             ;   in Loop: Header=BB68_8 Depth=1
	s_or_b64 exec, exec, s[8:9]
	s_mov_b64 s[18:19], -1
	s_mov_b64 s[20:21], 0
	s_mov_b64 s[22:23], s[20:21]
	s_branch .LBB68_159
.LBB68_146:                             ;   in Loop: Header=BB68_8 Depth=1
	v_readlane_b32 s2, v56, 20
	s_add_u32 s8, s2, s24
	v_readlane_b32 s2, v56, 21
	s_addc_u32 s3, s2, s25
	s_mov_b32 s2, s73
	s_cmp_lg_u64 s[2:3], 0
	s_cbranch_scc0 .LBB68_189
; %bb.147:                              ;   in Loop: Header=BB68_8 Depth=1
	v_cvt_f32_u32_e32 v2, s33
	s_sub_u32 s2, 0, s33
	s_subb_u32 s6, 0, 0
	v_mac_f32_e32 v2, 0x4f800000, v43
	v_rcp_f32_e32 v2, v2
	v_mul_f32_e32 v2, 0x5f7ffffc, v2
	v_mul_f32_e32 v3, 0x2f800000, v2
	v_trunc_f32_e32 v3, v3
	v_mac_f32_e32 v2, 0xcf800000, v3
	v_cvt_u32_f32_e32 v3, v3
	v_cvt_u32_f32_e32 v2, v2
	v_readfirstlane_b32 s7, v3
	v_readfirstlane_b32 s9, v2
	s_mul_i32 s18, s2, s7
	s_mul_hi_u32 s20, s2, s9
	s_mul_i32 s19, s6, s9
	s_add_i32 s18, s20, s18
	s_mul_i32 s21, s2, s9
	s_add_i32 s18, s18, s19
	s_mul_hi_u32 s20, s9, s21
	s_mul_hi_u32 s19, s9, s18
	s_mul_i32 s9, s9, s18
	s_add_u32 s9, s20, s9
	s_addc_u32 s19, 0, s19
	s_mul_hi_u32 s22, s7, s21
	s_mul_i32 s21, s7, s21
	s_add_u32 s9, s9, s21
	s_mul_hi_u32 s20, s7, s18
	s_addc_u32 s9, s19, s22
	s_addc_u32 s19, s20, 0
	s_mul_i32 s18, s7, s18
	s_add_u32 s9, s9, s18
	s_addc_u32 s18, 0, s19
	v_add_co_u32_e32 v2, vcc, s9, v2
	s_cmp_lg_u64 vcc, 0
	s_addc_u32 s7, s7, s18
	v_readfirstlane_b32 s18, v2
	s_mul_i32 s9, s2, s7
	s_mul_hi_u32 s19, s2, s18
	s_add_i32 s9, s19, s9
	s_mul_i32 s6, s6, s18
	s_add_i32 s9, s9, s6
	s_mul_i32 s2, s2, s18
	s_mul_hi_u32 s19, s7, s2
	s_mul_i32 s20, s7, s2
	s_mul_i32 s22, s18, s9
	s_mul_hi_u32 s2, s18, s2
	s_mul_hi_u32 s21, s18, s9
	s_add_u32 s2, s2, s22
	s_addc_u32 s18, 0, s21
	s_add_u32 s2, s2, s20
	s_mul_hi_u32 s6, s7, s9
	s_addc_u32 s2, s18, s19
	s_addc_u32 s6, s6, 0
	s_mul_i32 s9, s7, s9
	s_add_u32 s2, s2, s9
	s_addc_u32 s6, 0, s6
	v_add_co_u32_e32 v2, vcc, s2, v2
	s_cmp_lg_u64 vcc, 0
	s_addc_u32 s2, s7, s6
	s_ashr_i32 s6, s3, 31
	s_add_u32 s18, s8, s6
	s_mov_b32 s7, s6
	s_addc_u32 s19, s3, s6
	s_xor_b64 s[18:19], s[18:19], s[6:7]
	v_readfirstlane_b32 s20, v2
	s_mul_i32 s9, s18, s2
	s_mul_hi_u32 s21, s18, s20
	s_mul_hi_u32 s7, s18, s2
	s_add_u32 s9, s21, s9
	s_addc_u32 s7, 0, s7
	s_mul_hi_u32 s22, s19, s20
	s_mul_i32 s20, s19, s20
	s_add_u32 s9, s9, s20
	s_mul_hi_u32 s21, s19, s2
	s_addc_u32 s7, s7, s22
	s_addc_u32 s9, s21, 0
	s_mul_i32 s2, s19, s2
	s_add_u32 s2, s7, s2
	s_addc_u32 s7, 0, s9
	s_mul_hi_u32 s9, s33, s2
	s_mul_i32 s2, s33, s2
	s_mul_i32 s7, s33, s7
	v_mov_b32_e32 v2, s2
	s_add_i32 s9, s9, s7
	v_sub_co_u32_e32 v2, vcc, s18, v2
	s_cmp_lg_u64 vcc, 0
	s_subb_u32 s2, s19, s9
	v_subrev_co_u32_e32 v3, vcc, s33, v2
	s_cmp_lg_u64 vcc, 0
	s_subb_u32 s7, s2, 0
	v_subrev_co_u32_e32 v4, vcc, s33, v3
	s_cmp_lg_u64 vcc, 0
	s_subb_u32 s9, s7, 0
	v_cmp_le_u32_e32 vcc, s33, v3
	s_cmp_eq_u32 s7, 0
	v_cndmask_b32_e64 v5, 0, -1, vcc
	s_cselect_b64 vcc, -1, 0
	v_cndmask_b32_e32 v5, -1, v5, vcc
	v_mov_b32_e32 v6, s7
	v_mov_b32_e32 v7, s9
	v_cmp_ne_u32_e32 vcc, 0, v5
	v_cndmask_b32_e32 v5, v6, v7, vcc
	v_cndmask_b32_e32 v3, v3, v4, vcc
	v_cmp_le_u32_e32 vcc, s33, v2
	s_cmp_eq_u32 s2, 0
	v_cndmask_b32_e64 v4, 0, -1, vcc
	s_cselect_b64 vcc, -1, 0
	v_cndmask_b32_e32 v4, -1, v4, vcc
	v_cmp_ne_u32_e32 vcc, 0, v4
	v_mov_b32_e32 v6, s2
	v_cndmask_b32_e32 v2, v2, v3, vcc
	v_cndmask_b32_e32 v4, v6, v5, vcc
	v_xor_b32_e32 v2, s6, v2
	v_xor_b32_e32 v3, s6, v4
	v_mov_b32_e32 v4, s6
	v_subrev_co_u32_e32 v2, vcc, s6, v2
	v_subb_co_u32_e32 v3, vcc, v3, v4, vcc
	s_cbranch_execnz .LBB68_149
.LBB68_148:                             ;   in Loop: Header=BB68_8 Depth=1
	v_cvt_f32_u32_e32 v2, s33
	s_sub_i32 s2, 0, s33
	v_rcp_iflag_f32_e32 v2, v2
	v_mul_f32_e32 v2, 0x4f7ffffe, v2
	v_cvt_u32_f32_e32 v2, v2
	v_mul_lo_u32 v3, s2, v2
	v_mul_hi_u32 v3, v2, v3
	v_add_u32_e32 v2, v2, v3
	v_mul_hi_u32 v2, s8, v2
	v_mul_lo_u32 v2, v2, s33
	v_sub_u32_e32 v2, s8, v2
	v_subrev_u32_e32 v3, s33, v2
	v_cmp_le_u32_e32 vcc, s33, v2
	v_cndmask_b32_e32 v2, v2, v3, vcc
	v_subrev_u32_e32 v3, s33, v2
	v_cmp_le_u32_e32 vcc, s33, v2
	v_cndmask_b32_e32 v12, v2, v3, vcc
	v_pk_mov_b32 v[2:3], v[12:13], v[12:13] op_sel:[0,1]
.LBB68_149:                             ;   in Loop: Header=BB68_8 Depth=1
	v_mov_b32_e32 v4, s3
	v_sub_co_u32_e32 v2, vcc, s8, v2
	v_subb_co_u32_e32 v3, vcc, v4, v3, vcc
	v_cmp_gt_i64_e32 vcc, v[2:3], v[0:1]
	s_mov_b64 s[2:3], 0
                                        ; implicit-def: $vgpr46
	s_and_saveexec_b64 s[8:9], vcc
	s_cbranch_execz .LBB68_158
; %bb.150:                              ;   in Loop: Header=BB68_8 Depth=1
	v_mov_b32_e32 v6, v33
	v_pk_mov_b32 v[4:5], v[0:1], v[0:1] op_sel:[0,1]
                                        ; implicit-def: $sgpr18_sgpr19
	s_branch .LBB68_152
.LBB68_151:                             ;   in Loop: Header=BB68_152 Depth=2
	s_or_b64 exec, exec, s[6:7]
	s_waitcnt lgkmcnt(0)
	s_barrier
	ds_read_b32 v7, v13 offset:3072
	v_add_co_u32_e64 v4, s[6:7], s33, v4
	v_add_u32_e32 v6, s74, v6
	s_waitcnt lgkmcnt(0)
	v_and_b32_e32 v8, 0x7fff, v7
	v_cmp_ne_u16_e32 vcc, 0, v8
	v_mov_b32_e32 v8, s88
	v_addc_co_u32_e64 v5, s[6:7], v5, v8, s[6:7]
	v_cmp_ge_i64_e64 s[6:7], v[4:5], v[2:3]
	s_or_b64 s[6:7], vcc, s[6:7]
	s_and_b64 s[6:7], exec, s[6:7]
	s_or_b64 s[2:3], s[6:7], s[2:3]
	s_andn2_b64 s[6:7], s[18:19], exec
	s_and_b64 s[18:19], vcc, exec
	s_or_b64 s[18:19], s[6:7], s[18:19]
	s_barrier
	s_andn2_b64 exec, exec, s[2:3]
	s_cbranch_execz .LBB68_157
.LBB68_152:                             ;   Parent Loop BB68_8 Depth=1
                                        ; =>  This Inner Loop Header: Depth=2
	v_cmp_gt_i64_e32 vcc, s[24:25], v[4:5]
	v_mov_b32_e32 v7, 0
	s_and_saveexec_b64 s[6:7], vcc
	s_cbranch_execz .LBB68_154
; %bb.153:                              ;   in Loop: Header=BB68_152 Depth=2
	ds_read_u16 v7, v6
.LBB68_154:                             ;   in Loop: Header=BB68_152 Depth=2
	s_or_b64 exec, exec, s[6:7]
	s_and_saveexec_b64 s[6:7], vcc
	s_cbranch_execz .LBB68_151
; %bb.155:                              ;   in Loop: Header=BB68_152 Depth=2
	s_waitcnt lgkmcnt(0)
	v_cmp_lt_i16_e32 vcc, -1, v7
	v_cndmask_b32_e32 v8, v41, v42, vcc
	v_lshlrev_b32_e32 v9, 16, v7
	v_xor_b32_sdwa v8, v8, v7 dst_sel:DWORD dst_unused:UNUSED_PAD src0_sel:DWORD src1_sel:WORD_0
	v_cmp_o_f32_e32 vcc, v9, v9
	v_cndmask_b32_e32 v8, v41, v8, vcc
	v_and_b32_e32 v8, s75, v8
	v_cmp_eq_u32_e32 vcc, s0, v8
	s_and_b64 exec, exec, vcc
	s_cbranch_execz .LBB68_151
; %bb.156:                              ;   in Loop: Header=BB68_152 Depth=2
	v_perm_b32 v7, v7, s50, v45
	ds_write_b32 v13, v7 offset:3072
	s_branch .LBB68_151
.LBB68_157:                             ;   in Loop: Header=BB68_8 Depth=1
	s_or_b64 exec, exec, s[2:3]
	v_lshrrev_b32_e32 v46, 16, v7
	s_and_b64 s[2:3], s[18:19], exec
.LBB68_158:                             ;   in Loop: Header=BB68_8 Depth=1
	s_or_b64 exec, exec, s[8:9]
	s_mov_b64 s[22:23], -1
	s_mov_b64 s[20:21], 0
	s_mov_b64 s[18:19], 0
.LBB68_159:                             ;   in Loop: Header=BB68_8 Depth=1
	s_mov_b64 s[6:7], 0
                                        ; implicit-def: $sgpr44
	s_and_saveexec_b64 s[24:25], s[2:3]
	s_cbranch_execz .LBB68_270
; %bb.160:                              ;   in Loop: Header=BB68_8 Depth=1
	s_xor_b64 s[2:3], s[30:31], -1
	s_andn2_b64 vcc, exec, s[2:3]
	s_mov_b32 s44, 1
	s_cbranch_vccnz .LBB68_171
; %bb.161:                              ;   in Loop: Header=BB68_8 Depth=1
	v_pk_mov_b32 v[2:3], s[28:29], s[28:29] op_sel:[0,1]
	v_cmp_gt_i64_e32 vcc, s[54:55], v[2:3]
	s_mov_b64 s[2:3], -1
                                        ; implicit-def: $sgpr44
                                        ; implicit-def: $sgpr6
                                        ; implicit-def: $sgpr7
	s_cbranch_vccnz .LBB68_167
; %bb.162:                              ;   in Loop: Header=BB68_8 Depth=1
	ds_read_b64 v[2:3], v13 offset:5120
	s_waitcnt lgkmcnt(0)
	v_cmp_ne_u64_e32 vcc, 0, v[2:3]
	s_cbranch_vccnz .LBB68_166
; %bb.163:                              ;   in Loop: Header=BB68_8 Depth=1
	s_mov_b64 s[2:3], exec
	v_readlane_b32 s6, v56, 8
	v_readlane_b32 s7, v56, 9
	s_and_b64 s[6:7], s[2:3], s[6:7]
	s_mov_b64 exec, s[6:7]
	s_cbranch_execz .LBB68_165
; %bb.164:                              ;   in Loop: Header=BB68_8 Depth=1
	v_pk_mov_b32 v[2:3], s[28:29], s[28:29] op_sel:[0,1]
	ds_write_b64 v13, v[2:3] offset:5128
.LBB68_165:                             ;   in Loop: Header=BB68_8 Depth=1
	s_or_b64 exec, exec, s[2:3]
	s_waitcnt lgkmcnt(0)
	s_barrier
.LBB68_166:                             ;   in Loop: Header=BB68_8 Depth=1
	s_lshl_b32 s2, 1, s40
	s_and_b32 s3, s0, s41
	s_or_b32 s6, s3, s2
	s_or_b32 s7, s75, s1
	s_mov_b64 s[2:3], 0
	s_mov_b32 s44, 8
.LBB68_167:                             ;   in Loop: Header=BB68_8 Depth=1
	s_andn2_b64 vcc, exec, s[2:3]
	s_cbranch_vccnz .LBB68_169
; %bb.168:                              ;   in Loop: Header=BB68_8 Depth=1
	s_sub_u32 s54, s54, s28
	s_subb_u32 s55, s55, s29
	s_mov_b64 s[2:3], -1
	s_mov_b32 s44, 0
	s_mov_b32 s6, s0
	;; [unrolled: 1-line block ×3, first 2 shown]
.LBB68_169:                             ;   in Loop: Header=BB68_8 Depth=1
	s_mov_b32 s75, s7
	s_mov_b32 s0, s6
	s_andn2_b64 vcc, exec, s[2:3]
	s_mov_b64 s[6:7], -1
	s_cbranch_vccz .LBB68_172
.LBB68_170:                             ;   in Loop: Header=BB68_8 Depth=1
                                        ; implicit-def: $sgpr30_sgpr31
                                        ; implicit-def: $sgpr34_sgpr35
                                        ; implicit-def: $sgpr28_sgpr29
	s_branch .LBB68_269
.LBB68_171:                             ;   in Loop: Header=BB68_8 Depth=1
	s_mov_b64 s[54:55], 1
	s_mov_b64 s[6:7], -1
	s_cbranch_execnz .LBB68_170
.LBB68_172:                             ;   in Loop: Header=BB68_8 Depth=1
	s_cmp_eq_u64 s[16:17], 1
	s_cselect_b64 s[2:3], -1, 0
	s_cmp_eq_u64 s[54:55], 1
	s_cselect_b64 s[6:7], -1, 0
	s_and_b64 s[38:39], s[2:3], s[6:7]
	s_mov_b64 s[2:3], -1
	s_and_b64 vcc, exec, s[38:39]
	s_cbranch_vccz .LBB68_187
; %bb.173:                              ;   in Loop: Header=BB68_8 Depth=1
	ds_read_b64 v[2:3], v13 offset:5120
	s_waitcnt lgkmcnt(0)
	s_barrier
	v_readfirstlane_b32 s36, v2
	v_readfirstlane_b32 s37, v3
	s_mov_b64 s[2:3], exec
	v_readlane_b32 s6, v56, 12
	v_readlane_b32 s7, v56, 13
	s_and_b64 s[6:7], s[2:3], s[6:7]
	s_mov_b64 exec, s[6:7]
	s_cbranch_execz .LBB68_175
; %bb.174:                              ;   in Loop: Header=BB68_8 Depth=1
	ds_write_b16 v34, v13
.LBB68_175:                             ;   in Loop: Header=BB68_8 Depth=1
	s_or_b64 exec, exec, s[2:3]
	s_lshl_b32 s2, 2, s40
	s_and_b32 s0, s0, s41
	s_or_b32 s0, s0, s2
	v_cmp_gt_i64_e64 s[2:3], s[36:37], 0
	s_or_b32 s75, s75, s1
	s_and_b64 vcc, exec, s[2:3]
	s_waitcnt lgkmcnt(0)
	s_barrier
	s_cbranch_vccnz .LBB68_190
; %bb.176:                              ;   in Loop: Header=BB68_8 Depth=1
	s_mov_b32 s44, s73
	s_cmp_lg_u64 s[44:45], 0
	s_cbranch_scc0 .LBB68_235
; %bb.177:                              ;   in Loop: Header=BB68_8 Depth=1
	v_cvt_f32_u32_e32 v2, s33
	s_sub_u32 s2, 0, s33
	s_subb_u32 s3, 0, 0
	v_mac_f32_e32 v2, 0x4f800000, v43
	v_rcp_f32_e32 v2, v2
	v_mul_f32_e32 v2, 0x5f7ffffc, v2
	v_mul_f32_e32 v3, 0x2f800000, v2
	v_trunc_f32_e32 v3, v3
	v_mac_f32_e32 v2, 0xcf800000, v3
	v_cvt_u32_f32_e32 v3, v3
	v_cvt_u32_f32_e32 v2, v2
	v_readfirstlane_b32 s6, v3
	v_readfirstlane_b32 s7, v2
	s_mul_i32 s8, s2, s6
	s_mul_hi_u32 s26, s2, s7
	s_mul_i32 s9, s3, s7
	s_add_i32 s8, s26, s8
	s_mul_i32 s27, s2, s7
	s_add_i32 s8, s8, s9
	s_mul_hi_u32 s26, s7, s27
	s_mul_hi_u32 s9, s7, s8
	s_mul_i32 s7, s7, s8
	s_add_u32 s7, s26, s7
	s_addc_u32 s9, 0, s9
	s_mul_hi_u32 s28, s6, s27
	s_mul_i32 s27, s6, s27
	s_add_u32 s7, s7, s27
	s_mul_hi_u32 s26, s6, s8
	s_addc_u32 s7, s9, s28
	s_addc_u32 s9, s26, 0
	s_mul_i32 s8, s6, s8
	s_add_u32 s7, s7, s8
	s_addc_u32 s8, 0, s9
	v_add_co_u32_e32 v2, vcc, s7, v2
	s_cmp_lg_u64 vcc, 0
	s_addc_u32 s6, s6, s8
	v_readfirstlane_b32 s8, v2
	s_mul_i32 s7, s2, s6
	s_mul_hi_u32 s9, s2, s8
	s_add_i32 s7, s9, s7
	s_mul_i32 s3, s3, s8
	s_add_i32 s7, s7, s3
	s_mul_i32 s2, s2, s8
	s_mul_hi_u32 s9, s6, s2
	s_mul_i32 s26, s6, s2
	s_mul_i32 s28, s8, s7
	s_mul_hi_u32 s2, s8, s2
	s_mul_hi_u32 s27, s8, s7
	s_add_u32 s2, s2, s28
	s_addc_u32 s8, 0, s27
	s_add_u32 s2, s2, s26
	s_mul_hi_u32 s3, s6, s7
	s_addc_u32 s2, s8, s9
	s_addc_u32 s3, s3, 0
	s_mul_i32 s7, s6, s7
	s_add_u32 s2, s2, s7
	s_addc_u32 s3, 0, s3
	v_add_co_u32_e32 v2, vcc, s2, v2
	s_cmp_lg_u64 vcc, 0
	s_addc_u32 s8, s6, s3
	s_ashr_i32 s2, s45, 31
	s_add_u32 s6, s81, s2
	s_mov_b32 s3, s2
	s_addc_u32 s7, s45, s2
	s_xor_b64 s[6:7], s[6:7], s[2:3]
	v_readfirstlane_b32 s26, v2
	s_mul_i32 s9, s6, s8
	s_mul_hi_u32 s27, s6, s26
	s_mul_hi_u32 s3, s6, s8
	s_add_u32 s9, s27, s9
	s_addc_u32 s3, 0, s3
	s_mul_hi_u32 s28, s7, s26
	s_mul_i32 s26, s7, s26
	s_add_u32 s9, s9, s26
	s_mul_hi_u32 s27, s7, s8
	s_addc_u32 s3, s3, s28
	s_addc_u32 s9, s27, 0
	s_mul_i32 s8, s7, s8
	s_add_u32 s3, s3, s8
	s_addc_u32 s8, 0, s9
	s_mul_hi_u32 s9, s33, s3
	s_mul_i32 s3, s33, s3
	s_mul_i32 s8, s33, s8
	v_mov_b32_e32 v2, s3
	s_add_i32 s9, s9, s8
	v_sub_co_u32_e32 v2, vcc, s6, v2
	s_cmp_lg_u64 vcc, 0
	s_subb_u32 s3, s7, s9
	v_subrev_co_u32_e32 v3, vcc, s33, v2
	s_cmp_lg_u64 vcc, 0
	s_subb_u32 s6, s3, 0
	v_subrev_co_u32_e32 v4, vcc, s33, v3
	s_cmp_lg_u64 vcc, 0
	s_subb_u32 s7, s6, 0
	v_cmp_le_u32_e32 vcc, s33, v3
	s_cmp_eq_u32 s6, 0
	v_cndmask_b32_e64 v5, 0, -1, vcc
	s_cselect_b64 vcc, -1, 0
	v_cndmask_b32_e32 v5, -1, v5, vcc
	v_mov_b32_e32 v6, s6
	v_mov_b32_e32 v7, s7
	v_cmp_ne_u32_e32 vcc, 0, v5
	v_cndmask_b32_e32 v5, v6, v7, vcc
	v_cndmask_b32_e32 v3, v3, v4, vcc
	v_cmp_le_u32_e32 vcc, s33, v2
	s_cmp_eq_u32 s3, 0
	v_cndmask_b32_e64 v4, 0, -1, vcc
	s_cselect_b64 vcc, -1, 0
	v_cndmask_b32_e32 v4, -1, v4, vcc
	v_cmp_ne_u32_e32 vcc, 0, v4
	v_mov_b32_e32 v6, s3
	v_cndmask_b32_e32 v2, v2, v3, vcc
	v_cndmask_b32_e32 v4, v6, v5, vcc
	v_xor_b32_e32 v2, s2, v2
	v_xor_b32_e32 v3, s2, v4
	v_mov_b32_e32 v4, s2
	v_subrev_co_u32_e32 v2, vcc, s2, v2
	v_subb_co_u32_e32 v3, vcc, v3, v4, vcc
	s_cbranch_execnz .LBB68_179
.LBB68_178:                             ;   in Loop: Header=BB68_8 Depth=1
	v_cvt_f32_u32_e32 v2, s33
	s_sub_i32 s2, 0, s33
	v_rcp_iflag_f32_e32 v2, v2
	v_mul_f32_e32 v2, 0x4f7ffffe, v2
	v_cvt_u32_f32_e32 v2, v2
	v_mul_lo_u32 v3, s2, v2
	v_mul_hi_u32 v3, v2, v3
	v_add_u32_e32 v2, v2, v3
	v_mul_hi_u32 v2, s81, v2
	v_mul_lo_u32 v2, v2, s33
	v_sub_u32_e32 v2, s81, v2
	v_subrev_u32_e32 v3, s33, v2
	v_cmp_le_u32_e32 vcc, s33, v2
	v_cndmask_b32_e32 v2, v2, v3, vcc
	v_subrev_u32_e32 v3, s33, v2
	v_cmp_le_u32_e32 vcc, s33, v2
	v_cndmask_b32_e32 v12, v2, v3, vcc
	v_pk_mov_b32 v[2:3], v[12:13], v[12:13] op_sel:[0,1]
.LBB68_179:                             ;   in Loop: Header=BB68_8 Depth=1
	v_mov_b32_e32 v4, s45
	v_sub_co_u32_e32 v2, vcc, s81, v2
	v_subb_co_u32_e32 v3, vcc, v4, v3, vcc
	v_cmp_gt_i64_e32 vcc, v[2:3], v[0:1]
	s_mov_b64 s[2:3], 0
                                        ; implicit-def: $vgpr46
	s_and_saveexec_b64 s[8:9], vcc
	s_cbranch_execz .LBB68_192
; %bb.180:                              ;   in Loop: Header=BB68_8 Depth=1
	v_pk_mov_b32 v[4:5], v[10:11], v[10:11] op_sel:[0,1]
	v_pk_mov_b32 v[6:7], v[0:1], v[0:1] op_sel:[0,1]
                                        ; implicit-def: $sgpr26_sgpr27
	s_branch .LBB68_182
.LBB68_181:                             ;   in Loop: Header=BB68_182 Depth=2
	s_or_b64 exec, exec, s[6:7]
	s_waitcnt lgkmcnt(0)
	s_barrier
	s_waitcnt vmcnt(0)
	ds_read_b32 v8, v13 offset:3072
	v_add_co_u32_e64 v6, s[6:7], s33, v6
	s_waitcnt lgkmcnt(0)
	s_barrier
	v_and_b32_e32 v9, 0x7fff, v8
	v_cmp_ne_u16_e32 vcc, 0, v9
	v_mov_b32_e32 v9, s88
	v_addc_co_u32_e64 v7, s[6:7], v7, v9, s[6:7]
	v_cmp_ge_i64_e64 s[6:7], v[6:7], v[2:3]
	s_or_b64 s[28:29], vcc, s[6:7]
	v_mov_b32_e32 v9, s69
	v_add_co_u32_e64 v4, s[6:7], s68, v4
	v_addc_co_u32_e64 v5, s[6:7], v5, v9, s[6:7]
	s_and_b64 s[6:7], exec, s[28:29]
	s_or_b64 s[2:3], s[6:7], s[2:3]
	s_andn2_b64 s[6:7], s[26:27], exec
	s_and_b64 s[26:27], vcc, exec
	s_or_b64 s[26:27], s[6:7], s[26:27]
	s_andn2_b64 exec, exec, s[2:3]
	s_cbranch_execz .LBB68_191
.LBB68_182:                             ;   Parent Loop BB68_8 Depth=1
                                        ; =>  This Inner Loop Header: Depth=2
	v_cmp_gt_i64_e32 vcc, s[52:53], v[6:7]
	v_mov_b32_e32 v8, 0
	s_and_saveexec_b64 s[6:7], vcc
	s_cbranch_execz .LBB68_184
; %bb.183:                              ;   in Loop: Header=BB68_182 Depth=2
	global_load_ushort v8, v[4:5], off
.LBB68_184:                             ;   in Loop: Header=BB68_182 Depth=2
	s_or_b64 exec, exec, s[6:7]
	s_and_saveexec_b64 s[6:7], vcc
	s_cbranch_execz .LBB68_181
; %bb.185:                              ;   in Loop: Header=BB68_182 Depth=2
	s_waitcnt vmcnt(0)
	v_cmp_lt_i16_e32 vcc, -1, v8
	v_cndmask_b32_e32 v9, v41, v42, vcc
	v_lshlrev_b32_e32 v12, 16, v8
	v_xor_b32_sdwa v9, v9, v8 dst_sel:DWORD dst_unused:UNUSED_PAD src0_sel:DWORD src1_sel:WORD_0
	v_cmp_o_f32_e32 vcc, v12, v12
	v_cndmask_b32_e32 v9, v41, v9, vcc
	v_and_b32_e32 v9, s75, v9
	v_cmp_eq_u32_e32 vcc, s0, v9
	s_and_b64 exec, exec, vcc
	s_cbranch_execz .LBB68_181
; %bb.186:                              ;   in Loop: Header=BB68_182 Depth=2
	v_perm_b32 v8, v8, s50, v45
	ds_write_b32 v13, v8 offset:3072
	s_branch .LBB68_181
.LBB68_187:                             ;   in Loop: Header=BB68_8 Depth=1
                                        ; implicit-def: $sgpr28_sgpr29
                                        ; implicit-def: $sgpr34_sgpr35
                                        ; implicit-def: $sgpr30_sgpr31
	s_branch .LBB68_206
.LBB68_188:                             ;   in Loop: Header=BB68_8 Depth=1
                                        ; implicit-def: $vgpr2_vgpr3
	s_branch .LBB68_131
.LBB68_189:                             ;   in Loop: Header=BB68_8 Depth=1
                                        ; implicit-def: $vgpr2_vgpr3
	s_branch .LBB68_148
.LBB68_190:                             ;   in Loop: Header=BB68_8 Depth=1
	s_mov_b64 s[28:29], -1
	s_mov_b64 s[2:3], 0
                                        ; implicit-def: $sgpr30_sgpr31
                                        ; implicit-def: $vgpr46
	s_mov_b64 s[34:35], s[28:29]
	s_cbranch_execnz .LBB68_193
	s_branch .LBB68_206
.LBB68_191:                             ;   in Loop: Header=BB68_8 Depth=1
	s_or_b64 exec, exec, s[2:3]
	v_lshrrev_b32_e32 v46, 16, v8
	s_and_b64 s[2:3], s[26:27], exec
.LBB68_192:                             ;   in Loop: Header=BB68_8 Depth=1
	s_or_b64 exec, exec, s[8:9]
	s_mov_b64 s[30:31], -1
	s_mov_b64 s[28:29], 0
	s_mov_b64 s[34:35], s[28:29]
	s_branch .LBB68_206
.LBB68_193:                             ;   in Loop: Header=BB68_8 Depth=1
	v_readlane_b32 s2, v56, 20
	s_add_u32 s8, s2, s36
	v_readlane_b32 s2, v56, 21
	s_addc_u32 s3, s2, s37
	s_mov_b32 s2, s73
	s_cmp_lg_u64 s[2:3], 0
	s_cbranch_scc0 .LBB68_236
; %bb.194:                              ;   in Loop: Header=BB68_8 Depth=1
	v_cvt_f32_u32_e32 v2, s33
	s_sub_u32 s2, 0, s33
	s_subb_u32 s6, 0, 0
	v_mac_f32_e32 v2, 0x4f800000, v43
	v_rcp_f32_e32 v2, v2
	v_mul_f32_e32 v2, 0x5f7ffffc, v2
	v_mul_f32_e32 v3, 0x2f800000, v2
	v_trunc_f32_e32 v3, v3
	v_mac_f32_e32 v2, 0xcf800000, v3
	v_cvt_u32_f32_e32 v3, v3
	v_cvt_u32_f32_e32 v2, v2
	v_readfirstlane_b32 s7, v3
	v_readfirstlane_b32 s9, v2
	s_mul_i32 s26, s2, s7
	s_mul_hi_u32 s28, s2, s9
	s_mul_i32 s27, s6, s9
	s_add_i32 s26, s28, s26
	s_mul_i32 s29, s2, s9
	s_add_i32 s26, s26, s27
	s_mul_hi_u32 s28, s9, s29
	s_mul_hi_u32 s27, s9, s26
	s_mul_i32 s9, s9, s26
	s_add_u32 s9, s28, s9
	s_addc_u32 s27, 0, s27
	s_mul_hi_u32 s30, s7, s29
	s_mul_i32 s29, s7, s29
	s_add_u32 s9, s9, s29
	s_mul_hi_u32 s28, s7, s26
	s_addc_u32 s9, s27, s30
	s_addc_u32 s27, s28, 0
	s_mul_i32 s26, s7, s26
	s_add_u32 s9, s9, s26
	s_addc_u32 s26, 0, s27
	v_add_co_u32_e32 v2, vcc, s9, v2
	s_cmp_lg_u64 vcc, 0
	s_addc_u32 s7, s7, s26
	v_readfirstlane_b32 s26, v2
	s_mul_i32 s9, s2, s7
	s_mul_hi_u32 s27, s2, s26
	s_add_i32 s9, s27, s9
	s_mul_i32 s6, s6, s26
	s_add_i32 s9, s9, s6
	s_mul_i32 s2, s2, s26
	s_mul_hi_u32 s27, s7, s2
	s_mul_i32 s28, s7, s2
	s_mul_i32 s30, s26, s9
	s_mul_hi_u32 s2, s26, s2
	s_mul_hi_u32 s29, s26, s9
	s_add_u32 s2, s2, s30
	s_addc_u32 s26, 0, s29
	s_add_u32 s2, s2, s28
	s_mul_hi_u32 s6, s7, s9
	s_addc_u32 s2, s26, s27
	s_addc_u32 s6, s6, 0
	s_mul_i32 s9, s7, s9
	s_add_u32 s2, s2, s9
	s_addc_u32 s6, 0, s6
	v_add_co_u32_e32 v2, vcc, s2, v2
	s_cmp_lg_u64 vcc, 0
	s_addc_u32 s2, s7, s6
	s_ashr_i32 s6, s3, 31
	s_add_u32 s26, s8, s6
	s_mov_b32 s7, s6
	s_addc_u32 s27, s3, s6
	s_xor_b64 s[26:27], s[26:27], s[6:7]
	v_readfirstlane_b32 s28, v2
	s_mul_i32 s9, s26, s2
	s_mul_hi_u32 s29, s26, s28
	s_mul_hi_u32 s7, s26, s2
	s_add_u32 s9, s29, s9
	s_addc_u32 s7, 0, s7
	s_mul_hi_u32 s30, s27, s28
	s_mul_i32 s28, s27, s28
	s_add_u32 s9, s9, s28
	s_mul_hi_u32 s29, s27, s2
	s_addc_u32 s7, s7, s30
	s_addc_u32 s9, s29, 0
	s_mul_i32 s2, s27, s2
	s_add_u32 s2, s7, s2
	s_addc_u32 s7, 0, s9
	s_mul_hi_u32 s9, s33, s2
	s_mul_i32 s2, s33, s2
	s_mul_i32 s7, s33, s7
	v_mov_b32_e32 v2, s2
	s_add_i32 s9, s9, s7
	v_sub_co_u32_e32 v2, vcc, s26, v2
	s_cmp_lg_u64 vcc, 0
	s_subb_u32 s2, s27, s9
	v_subrev_co_u32_e32 v3, vcc, s33, v2
	s_cmp_lg_u64 vcc, 0
	s_subb_u32 s7, s2, 0
	v_subrev_co_u32_e32 v4, vcc, s33, v3
	s_cmp_lg_u64 vcc, 0
	s_subb_u32 s9, s7, 0
	v_cmp_le_u32_e32 vcc, s33, v3
	s_cmp_eq_u32 s7, 0
	v_cndmask_b32_e64 v5, 0, -1, vcc
	s_cselect_b64 vcc, -1, 0
	v_cndmask_b32_e32 v5, -1, v5, vcc
	v_mov_b32_e32 v6, s7
	v_mov_b32_e32 v7, s9
	v_cmp_ne_u32_e32 vcc, 0, v5
	v_cndmask_b32_e32 v5, v6, v7, vcc
	v_cndmask_b32_e32 v3, v3, v4, vcc
	v_cmp_le_u32_e32 vcc, s33, v2
	s_cmp_eq_u32 s2, 0
	v_cndmask_b32_e64 v4, 0, -1, vcc
	s_cselect_b64 vcc, -1, 0
	v_cndmask_b32_e32 v4, -1, v4, vcc
	v_cmp_ne_u32_e32 vcc, 0, v4
	v_mov_b32_e32 v6, s2
	v_cndmask_b32_e32 v2, v2, v3, vcc
	v_cndmask_b32_e32 v4, v6, v5, vcc
	v_xor_b32_e32 v2, s6, v2
	v_xor_b32_e32 v3, s6, v4
	v_mov_b32_e32 v4, s6
	v_subrev_co_u32_e32 v2, vcc, s6, v2
	v_subb_co_u32_e32 v3, vcc, v3, v4, vcc
	s_cbranch_execnz .LBB68_196
.LBB68_195:                             ;   in Loop: Header=BB68_8 Depth=1
	v_cvt_f32_u32_e32 v2, s33
	s_sub_i32 s2, 0, s33
	v_rcp_iflag_f32_e32 v2, v2
	v_mul_f32_e32 v2, 0x4f7ffffe, v2
	v_cvt_u32_f32_e32 v2, v2
	v_mul_lo_u32 v3, s2, v2
	v_mul_hi_u32 v3, v2, v3
	v_add_u32_e32 v2, v2, v3
	v_mul_hi_u32 v2, s8, v2
	v_mul_lo_u32 v2, v2, s33
	v_sub_u32_e32 v2, s8, v2
	v_subrev_u32_e32 v3, s33, v2
	v_cmp_le_u32_e32 vcc, s33, v2
	v_cndmask_b32_e32 v2, v2, v3, vcc
	v_subrev_u32_e32 v3, s33, v2
	v_cmp_le_u32_e32 vcc, s33, v2
	v_cndmask_b32_e32 v12, v2, v3, vcc
	v_pk_mov_b32 v[2:3], v[12:13], v[12:13] op_sel:[0,1]
.LBB68_196:                             ;   in Loop: Header=BB68_8 Depth=1
	v_mov_b32_e32 v4, s3
	v_sub_co_u32_e32 v2, vcc, s8, v2
	v_subb_co_u32_e32 v3, vcc, v4, v3, vcc
	v_cmp_gt_i64_e32 vcc, v[2:3], v[0:1]
	s_mov_b64 s[2:3], 0
                                        ; implicit-def: $vgpr46
	s_and_saveexec_b64 s[8:9], vcc
	s_cbranch_execz .LBB68_205
; %bb.197:                              ;   in Loop: Header=BB68_8 Depth=1
	v_mov_b32_e32 v6, v33
	v_pk_mov_b32 v[4:5], v[0:1], v[0:1] op_sel:[0,1]
                                        ; implicit-def: $sgpr26_sgpr27
	s_branch .LBB68_199
.LBB68_198:                             ;   in Loop: Header=BB68_199 Depth=2
	s_or_b64 exec, exec, s[6:7]
	s_waitcnt lgkmcnt(0)
	s_barrier
	ds_read_b32 v7, v13 offset:3072
	v_add_co_u32_e64 v4, s[6:7], s33, v4
	v_add_u32_e32 v6, s74, v6
	s_waitcnt lgkmcnt(0)
	v_and_b32_e32 v8, 0x7fff, v7
	v_cmp_ne_u16_e32 vcc, 0, v8
	v_mov_b32_e32 v8, s88
	v_addc_co_u32_e64 v5, s[6:7], v5, v8, s[6:7]
	v_cmp_ge_i64_e64 s[6:7], v[4:5], v[2:3]
	s_or_b64 s[6:7], vcc, s[6:7]
	s_and_b64 s[6:7], exec, s[6:7]
	s_or_b64 s[2:3], s[6:7], s[2:3]
	s_andn2_b64 s[6:7], s[26:27], exec
	s_and_b64 s[26:27], vcc, exec
	s_or_b64 s[26:27], s[6:7], s[26:27]
	s_barrier
	s_andn2_b64 exec, exec, s[2:3]
	s_cbranch_execz .LBB68_204
.LBB68_199:                             ;   Parent Loop BB68_8 Depth=1
                                        ; =>  This Inner Loop Header: Depth=2
	v_cmp_gt_i64_e32 vcc, s[36:37], v[4:5]
	v_mov_b32_e32 v7, 0
	s_and_saveexec_b64 s[6:7], vcc
	s_cbranch_execz .LBB68_201
; %bb.200:                              ;   in Loop: Header=BB68_199 Depth=2
	ds_read_u16 v7, v6
.LBB68_201:                             ;   in Loop: Header=BB68_199 Depth=2
	s_or_b64 exec, exec, s[6:7]
	s_and_saveexec_b64 s[6:7], vcc
	s_cbranch_execz .LBB68_198
; %bb.202:                              ;   in Loop: Header=BB68_199 Depth=2
	s_waitcnt lgkmcnt(0)
	v_cmp_lt_i16_e32 vcc, -1, v7
	v_cndmask_b32_e32 v8, v41, v42, vcc
	v_lshlrev_b32_e32 v9, 16, v7
	v_xor_b32_sdwa v8, v8, v7 dst_sel:DWORD dst_unused:UNUSED_PAD src0_sel:DWORD src1_sel:WORD_0
	v_cmp_o_f32_e32 vcc, v9, v9
	v_cndmask_b32_e32 v8, v41, v8, vcc
	v_and_b32_e32 v8, s75, v8
	v_cmp_eq_u32_e32 vcc, s0, v8
	s_and_b64 exec, exec, vcc
	s_cbranch_execz .LBB68_198
; %bb.203:                              ;   in Loop: Header=BB68_199 Depth=2
	v_perm_b32 v7, v7, s50, v45
	ds_write_b32 v13, v7 offset:3072
	s_branch .LBB68_198
.LBB68_204:                             ;   in Loop: Header=BB68_8 Depth=1
	s_or_b64 exec, exec, s[2:3]
	v_lshrrev_b32_e32 v46, 16, v7
	s_and_b64 s[2:3], s[26:27], exec
.LBB68_205:                             ;   in Loop: Header=BB68_8 Depth=1
	s_or_b64 exec, exec, s[8:9]
	s_mov_b64 s[34:35], -1
	s_mov_b64 s[28:29], 0
	s_mov_b64 s[30:31], 0
.LBB68_206:                             ;   in Loop: Header=BB68_8 Depth=1
	s_mov_b64 s[6:7], 0
                                        ; implicit-def: $sgpr44
	s_and_saveexec_b64 s[36:37], s[2:3]
	s_cbranch_execz .LBB68_268
; %bb.207:                              ;   in Loop: Header=BB68_8 Depth=1
	s_xor_b64 s[2:3], s[38:39], -1
	s_andn2_b64 vcc, exec, s[2:3]
	s_mov_b32 s44, 1
	s_cbranch_vccnz .LBB68_218
; %bb.208:                              ;   in Loop: Header=BB68_8 Depth=1
	v_pk_mov_b32 v[2:3], s[16:17], s[16:17] op_sel:[0,1]
	v_cmp_gt_i64_e32 vcc, s[54:55], v[2:3]
	s_mov_b64 s[2:3], -1
                                        ; implicit-def: $sgpr44
                                        ; implicit-def: $sgpr6
                                        ; implicit-def: $sgpr7
	s_cbranch_vccnz .LBB68_214
; %bb.209:                              ;   in Loop: Header=BB68_8 Depth=1
	ds_read_b64 v[2:3], v13 offset:5120
	s_waitcnt lgkmcnt(0)
	v_cmp_ne_u64_e32 vcc, 0, v[2:3]
	s_cbranch_vccnz .LBB68_213
; %bb.210:                              ;   in Loop: Header=BB68_8 Depth=1
	s_mov_b64 s[2:3], exec
	v_readlane_b32 s6, v56, 8
	v_readlane_b32 s7, v56, 9
	s_and_b64 s[6:7], s[2:3], s[6:7]
	s_mov_b64 exec, s[6:7]
	s_cbranch_execz .LBB68_212
; %bb.211:                              ;   in Loop: Header=BB68_8 Depth=1
	v_pk_mov_b32 v[2:3], s[16:17], s[16:17] op_sel:[0,1]
	ds_write_b64 v13, v[2:3] offset:5128
.LBB68_212:                             ;   in Loop: Header=BB68_8 Depth=1
	s_or_b64 exec, exec, s[2:3]
	s_waitcnt lgkmcnt(0)
	s_barrier
.LBB68_213:                             ;   in Loop: Header=BB68_8 Depth=1
	s_lshl_b32 s2, 2, s40
	s_and_b32 s3, s0, s41
	s_or_b32 s6, s3, s2
	s_or_b32 s7, s75, s1
	s_mov_b64 s[2:3], 0
	s_mov_b32 s44, 8
.LBB68_214:                             ;   in Loop: Header=BB68_8 Depth=1
	s_andn2_b64 vcc, exec, s[2:3]
	s_cbranch_vccnz .LBB68_216
; %bb.215:                              ;   in Loop: Header=BB68_8 Depth=1
	s_sub_u32 s54, s54, s16
	s_subb_u32 s55, s55, s17
	s_mov_b64 s[2:3], -1
	s_mov_b32 s44, 0
	s_mov_b32 s6, s0
	;; [unrolled: 1-line block ×3, first 2 shown]
.LBB68_216:                             ;   in Loop: Header=BB68_8 Depth=1
	s_mov_b32 s75, s7
	s_mov_b32 s0, s6
	s_andn2_b64 vcc, exec, s[2:3]
	s_mov_b64 s[40:41], -1
	s_cbranch_vccz .LBB68_219
.LBB68_217:                             ;   in Loop: Header=BB68_8 Depth=1
                                        ; implicit-def: $sgpr2_sgpr3
                                        ; implicit-def: $sgpr8_sgpr9
                                        ; implicit-def: $sgpr6_sgpr7
	s_branch .LBB68_267
.LBB68_218:                             ;   in Loop: Header=BB68_8 Depth=1
	s_mov_b64 s[54:55], 1
	s_mov_b64 s[40:41], -1
	s_cbranch_execnz .LBB68_217
.LBB68_219:                             ;   in Loop: Header=BB68_8 Depth=1
	s_cmp_eq_u64 s[10:11], 1
	s_cselect_b64 s[2:3], -1, 0
	s_cmp_eq_u64 s[54:55], 1
	s_cselect_b64 s[6:7], -1, 0
	s_and_b64 s[16:17], s[2:3], s[6:7]
	s_mov_b64 s[26:27], -1
	s_and_b64 vcc, exec, s[16:17]
	s_cbranch_vccz .LBB68_234
; %bb.220:                              ;   in Loop: Header=BB68_8 Depth=1
	ds_read_b64 v[2:3], v13 offset:5120
	s_waitcnt lgkmcnt(0)
	s_barrier
	v_readfirstlane_b32 s38, v2
	v_readfirstlane_b32 s39, v3
	s_mov_b64 s[2:3], exec
	v_readlane_b32 s6, v56, 12
	v_readlane_b32 s7, v56, 13
	s_and_b64 s[6:7], s[2:3], s[6:7]
	s_mov_b64 exec, s[6:7]
	s_cbranch_execz .LBB68_222
; %bb.221:                              ;   in Loop: Header=BB68_8 Depth=1
	ds_write_b16 v34, v13
.LBB68_222:                             ;   in Loop: Header=BB68_8 Depth=1
	s_or_b64 exec, exec, s[2:3]
	v_cmp_gt_i64_e64 s[2:3], s[38:39], 0
	s_or_b32 s0, s0, s1
	s_or_b32 s75, s75, s1
	s_and_b64 vcc, exec, s[2:3]
	s_waitcnt lgkmcnt(0)
	s_barrier
	s_cbranch_vccnz .LBB68_237
; %bb.223:                              ;   in Loop: Header=BB68_8 Depth=1
	s_mov_b32 s44, s73
	s_cmp_lg_u64 s[44:45], 0
	s_cbranch_scc0 .LBB68_273
; %bb.224:                              ;   in Loop: Header=BB68_8 Depth=1
	v_cvt_f32_u32_e32 v2, s33
	s_sub_u32 s2, 0, s33
	s_subb_u32 s3, 0, 0
	v_mac_f32_e32 v2, 0x4f800000, v43
	v_rcp_f32_e32 v2, v2
	v_mul_f32_e32 v2, 0x5f7ffffc, v2
	v_mul_f32_e32 v3, 0x2f800000, v2
	v_trunc_f32_e32 v3, v3
	v_mac_f32_e32 v2, 0xcf800000, v3
	v_cvt_u32_f32_e32 v3, v3
	v_cvt_u32_f32_e32 v2, v2
	v_readfirstlane_b32 s6, v3
	v_readfirstlane_b32 s7, v2
	s_mul_i32 s8, s2, s6
	s_mul_hi_u32 s26, s2, s7
	s_mul_i32 s9, s3, s7
	s_add_i32 s8, s26, s8
	s_mul_i32 s27, s2, s7
	s_add_i32 s8, s8, s9
	s_mul_hi_u32 s26, s7, s27
	s_mul_hi_u32 s9, s7, s8
	s_mul_i32 s7, s7, s8
	s_add_u32 s7, s26, s7
	s_addc_u32 s9, 0, s9
	s_mul_hi_u32 s40, s6, s27
	s_mul_i32 s27, s6, s27
	s_add_u32 s7, s7, s27
	s_mul_hi_u32 s26, s6, s8
	s_addc_u32 s7, s9, s40
	s_addc_u32 s9, s26, 0
	s_mul_i32 s8, s6, s8
	s_add_u32 s7, s7, s8
	s_addc_u32 s8, 0, s9
	v_add_co_u32_e32 v2, vcc, s7, v2
	s_cmp_lg_u64 vcc, 0
	s_addc_u32 s6, s6, s8
	v_readfirstlane_b32 s8, v2
	s_mul_i32 s7, s2, s6
	s_mul_hi_u32 s9, s2, s8
	s_add_i32 s7, s9, s7
	s_mul_i32 s3, s3, s8
	s_add_i32 s7, s7, s3
	s_mul_i32 s2, s2, s8
	s_mul_hi_u32 s9, s6, s2
	s_mul_i32 s26, s6, s2
	s_mul_i32 s40, s8, s7
	s_mul_hi_u32 s2, s8, s2
	s_mul_hi_u32 s27, s8, s7
	s_add_u32 s2, s2, s40
	s_addc_u32 s8, 0, s27
	s_add_u32 s2, s2, s26
	s_mul_hi_u32 s3, s6, s7
	s_addc_u32 s2, s8, s9
	s_addc_u32 s3, s3, 0
	s_mul_i32 s7, s6, s7
	s_add_u32 s2, s2, s7
	s_addc_u32 s3, 0, s3
	v_add_co_u32_e32 v2, vcc, s2, v2
	s_cmp_lg_u64 vcc, 0
	s_addc_u32 s8, s6, s3
	s_ashr_i32 s2, s45, 31
	s_add_u32 s6, s81, s2
	s_mov_b32 s3, s2
	s_addc_u32 s7, s45, s2
	s_xor_b64 s[6:7], s[6:7], s[2:3]
	v_readfirstlane_b32 s26, v2
	s_mul_i32 s9, s6, s8
	s_mul_hi_u32 s27, s6, s26
	s_mul_hi_u32 s3, s6, s8
	s_add_u32 s9, s27, s9
	s_addc_u32 s3, 0, s3
	s_mul_hi_u32 s40, s7, s26
	s_mul_i32 s26, s7, s26
	s_add_u32 s9, s9, s26
	s_mul_hi_u32 s27, s7, s8
	s_addc_u32 s3, s3, s40
	s_addc_u32 s9, s27, 0
	s_mul_i32 s8, s7, s8
	s_add_u32 s3, s3, s8
	s_addc_u32 s8, 0, s9
	s_mul_hi_u32 s9, s33, s3
	s_mul_i32 s3, s33, s3
	s_mul_i32 s8, s33, s8
	v_mov_b32_e32 v2, s3
	s_add_i32 s9, s9, s8
	v_sub_co_u32_e32 v2, vcc, s6, v2
	s_cmp_lg_u64 vcc, 0
	s_subb_u32 s3, s7, s9
	v_subrev_co_u32_e32 v3, vcc, s33, v2
	s_cmp_lg_u64 vcc, 0
	s_subb_u32 s6, s3, 0
	v_subrev_co_u32_e32 v4, vcc, s33, v3
	s_cmp_lg_u64 vcc, 0
	s_subb_u32 s7, s6, 0
	v_cmp_le_u32_e32 vcc, s33, v3
	s_cmp_eq_u32 s6, 0
	v_cndmask_b32_e64 v5, 0, -1, vcc
	s_cselect_b64 vcc, -1, 0
	v_cndmask_b32_e32 v5, -1, v5, vcc
	v_mov_b32_e32 v6, s6
	v_mov_b32_e32 v7, s7
	v_cmp_ne_u32_e32 vcc, 0, v5
	v_cndmask_b32_e32 v5, v6, v7, vcc
	v_cndmask_b32_e32 v3, v3, v4, vcc
	v_cmp_le_u32_e32 vcc, s33, v2
	s_cmp_eq_u32 s3, 0
	v_cndmask_b32_e64 v4, 0, -1, vcc
	s_cselect_b64 vcc, -1, 0
	v_cndmask_b32_e32 v4, -1, v4, vcc
	v_cmp_ne_u32_e32 vcc, 0, v4
	v_mov_b32_e32 v6, s3
	v_cndmask_b32_e32 v2, v2, v3, vcc
	v_cndmask_b32_e32 v4, v6, v5, vcc
	v_xor_b32_e32 v2, s2, v2
	v_xor_b32_e32 v3, s2, v4
	v_mov_b32_e32 v4, s2
	v_subrev_co_u32_e32 v2, vcc, s2, v2
	v_subb_co_u32_e32 v3, vcc, v3, v4, vcc
	s_cbranch_execnz .LBB68_226
.LBB68_225:                             ;   in Loop: Header=BB68_8 Depth=1
	v_cvt_f32_u32_e32 v2, s33
	s_sub_i32 s2, 0, s33
	v_rcp_iflag_f32_e32 v2, v2
	v_mul_f32_e32 v2, 0x4f7ffffe, v2
	v_cvt_u32_f32_e32 v2, v2
	v_mul_lo_u32 v3, s2, v2
	v_mul_hi_u32 v3, v2, v3
	v_add_u32_e32 v2, v2, v3
	v_mul_hi_u32 v2, s81, v2
	v_mul_lo_u32 v2, v2, s33
	v_sub_u32_e32 v2, s81, v2
	v_subrev_u32_e32 v3, s33, v2
	v_cmp_le_u32_e32 vcc, s33, v2
	v_cndmask_b32_e32 v2, v2, v3, vcc
	v_subrev_u32_e32 v3, s33, v2
	v_cmp_le_u32_e32 vcc, s33, v2
	v_cndmask_b32_e32 v12, v2, v3, vcc
	v_pk_mov_b32 v[2:3], v[12:13], v[12:13] op_sel:[0,1]
.LBB68_226:                             ;   in Loop: Header=BB68_8 Depth=1
	v_mov_b32_e32 v4, s45
	v_sub_co_u32_e32 v2, vcc, s81, v2
	v_subb_co_u32_e32 v3, vcc, v4, v3, vcc
	v_cmp_gt_i64_e32 vcc, v[2:3], v[0:1]
	s_mov_b64 s[26:27], 0
                                        ; implicit-def: $vgpr46
	s_and_saveexec_b64 s[2:3], vcc
	s_cbranch_execz .LBB68_239
; %bb.227:                              ;   in Loop: Header=BB68_8 Depth=1
	s_mov_b64 s[8:9], 0
	v_pk_mov_b32 v[4:5], v[10:11], v[10:11] op_sel:[0,1]
	v_pk_mov_b32 v[6:7], v[0:1], v[0:1] op_sel:[0,1]
                                        ; implicit-def: $sgpr26_sgpr27
	s_branch .LBB68_229
.LBB68_228:                             ;   in Loop: Header=BB68_229 Depth=2
	s_or_b64 exec, exec, s[6:7]
	s_waitcnt lgkmcnt(0)
	s_barrier
	s_waitcnt vmcnt(0)
	ds_read_b32 v8, v13 offset:3072
	v_add_co_u32_e64 v6, s[6:7], s33, v6
	s_waitcnt lgkmcnt(0)
	s_barrier
	v_and_b32_e32 v9, 0x7fff, v8
	v_cmp_ne_u16_e32 vcc, 0, v9
	v_mov_b32_e32 v9, s88
	v_addc_co_u32_e64 v7, s[6:7], v7, v9, s[6:7]
	v_cmp_ge_i64_e64 s[6:7], v[6:7], v[2:3]
	s_or_b64 s[40:41], vcc, s[6:7]
	v_mov_b32_e32 v9, s69
	v_add_co_u32_e64 v4, s[6:7], s68, v4
	v_addc_co_u32_e64 v5, s[6:7], v5, v9, s[6:7]
	s_and_b64 s[6:7], exec, s[40:41]
	s_or_b64 s[8:9], s[6:7], s[8:9]
	s_andn2_b64 s[6:7], s[26:27], exec
	s_and_b64 s[26:27], vcc, exec
	s_or_b64 s[26:27], s[6:7], s[26:27]
	s_andn2_b64 exec, exec, s[8:9]
	s_cbranch_execz .LBB68_238
.LBB68_229:                             ;   Parent Loop BB68_8 Depth=1
                                        ; =>  This Inner Loop Header: Depth=2
	v_cmp_gt_i64_e32 vcc, s[52:53], v[6:7]
	v_mov_b32_e32 v8, 0
	s_and_saveexec_b64 s[6:7], vcc
	s_cbranch_execz .LBB68_231
; %bb.230:                              ;   in Loop: Header=BB68_229 Depth=2
	global_load_ushort v8, v[4:5], off
.LBB68_231:                             ;   in Loop: Header=BB68_229 Depth=2
	s_or_b64 exec, exec, s[6:7]
	s_and_saveexec_b64 s[6:7], vcc
	s_cbranch_execz .LBB68_228
; %bb.232:                              ;   in Loop: Header=BB68_229 Depth=2
	s_waitcnt vmcnt(0)
	v_cmp_lt_i16_e32 vcc, -1, v8
	v_cndmask_b32_e32 v9, v41, v42, vcc
	v_lshlrev_b32_e32 v12, 16, v8
	v_xor_b32_sdwa v9, v9, v8 dst_sel:DWORD dst_unused:UNUSED_PAD src0_sel:DWORD src1_sel:WORD_0
	v_cmp_o_f32_e32 vcc, v12, v12
	v_cndmask_b32_e32 v9, v41, v9, vcc
	v_and_b32_e32 v9, s75, v9
	v_cmp_eq_u32_e32 vcc, s0, v9
	s_and_b64 exec, exec, vcc
	s_cbranch_execz .LBB68_228
; %bb.233:                              ;   in Loop: Header=BB68_229 Depth=2
	v_perm_b32 v8, v8, s50, v45
	ds_write_b32 v13, v8 offset:3072
	s_branch .LBB68_228
.LBB68_234:                             ;   in Loop: Header=BB68_8 Depth=1
                                        ; implicit-def: $sgpr2_sgpr3
                                        ; implicit-def: $sgpr8_sgpr9
                                        ; implicit-def: $sgpr6_sgpr7
	s_branch .LBB68_253
.LBB68_235:                             ;   in Loop: Header=BB68_8 Depth=1
                                        ; implicit-def: $vgpr2_vgpr3
	s_branch .LBB68_178
.LBB68_236:                             ;   in Loop: Header=BB68_8 Depth=1
                                        ; implicit-def: $vgpr2_vgpr3
	s_branch .LBB68_195
.LBB68_237:                             ;   in Loop: Header=BB68_8 Depth=1
	s_mov_b64 s[2:3], -1
	s_mov_b64 s[26:27], 0
                                        ; implicit-def: $sgpr6_sgpr7
                                        ; implicit-def: $vgpr46
	s_mov_b64 s[8:9], s[2:3]
	s_cbranch_execnz .LBB68_240
	s_branch .LBB68_253
.LBB68_238:                             ;   in Loop: Header=BB68_8 Depth=1
	s_or_b64 exec, exec, s[8:9]
	v_lshrrev_b32_e32 v46, 16, v8
	s_and_b64 s[26:27], s[26:27], exec
.LBB68_239:                             ;   in Loop: Header=BB68_8 Depth=1
	s_or_b64 exec, exec, s[2:3]
	s_mov_b64 s[6:7], -1
	s_mov_b64 s[2:3], 0
	s_mov_b64 s[8:9], s[2:3]
	s_branch .LBB68_253
.LBB68_240:                             ;   in Loop: Header=BB68_8 Depth=1
	v_readlane_b32 s2, v56, 20
	s_add_u32 s8, s2, s38
	v_readlane_b32 s2, v56, 21
	s_addc_u32 s3, s2, s39
	s_mov_b32 s2, s73
	s_cmp_lg_u64 s[2:3], 0
	s_cbranch_scc0 .LBB68_274
; %bb.241:                              ;   in Loop: Header=BB68_8 Depth=1
	v_cvt_f32_u32_e32 v2, s33
	s_sub_u32 s2, 0, s33
	s_subb_u32 s6, 0, 0
	v_mac_f32_e32 v2, 0x4f800000, v43
	v_rcp_f32_e32 v2, v2
	v_mul_f32_e32 v2, 0x5f7ffffc, v2
	v_mul_f32_e32 v3, 0x2f800000, v2
	v_trunc_f32_e32 v3, v3
	v_mac_f32_e32 v2, 0xcf800000, v3
	v_cvt_u32_f32_e32 v3, v3
	v_cvt_u32_f32_e32 v2, v2
	v_readfirstlane_b32 s7, v3
	v_readfirstlane_b32 s9, v2
	s_mul_i32 s26, s2, s7
	s_mul_hi_u32 s40, s2, s9
	s_mul_i32 s27, s6, s9
	s_add_i32 s26, s40, s26
	s_mul_i32 s41, s2, s9
	s_add_i32 s26, s26, s27
	s_mul_hi_u32 s40, s9, s41
	s_mul_hi_u32 s27, s9, s26
	s_mul_i32 s9, s9, s26
	s_add_u32 s9, s40, s9
	s_addc_u32 s27, 0, s27
	s_mul_hi_u32 s42, s7, s41
	s_mul_i32 s41, s7, s41
	s_add_u32 s9, s9, s41
	s_mul_hi_u32 s40, s7, s26
	s_addc_u32 s9, s27, s42
	s_addc_u32 s27, s40, 0
	s_mul_i32 s26, s7, s26
	s_add_u32 s9, s9, s26
	s_addc_u32 s26, 0, s27
	v_add_co_u32_e32 v2, vcc, s9, v2
	s_cmp_lg_u64 vcc, 0
	s_addc_u32 s7, s7, s26
	v_readfirstlane_b32 s26, v2
	s_mul_i32 s9, s2, s7
	s_mul_hi_u32 s27, s2, s26
	s_add_i32 s9, s27, s9
	s_mul_i32 s6, s6, s26
	s_add_i32 s9, s9, s6
	s_mul_i32 s2, s2, s26
	s_mul_hi_u32 s27, s7, s2
	s_mul_i32 s40, s7, s2
	s_mul_i32 s42, s26, s9
	s_mul_hi_u32 s2, s26, s2
	s_mul_hi_u32 s41, s26, s9
	s_add_u32 s2, s2, s42
	s_addc_u32 s26, 0, s41
	s_add_u32 s2, s2, s40
	s_mul_hi_u32 s6, s7, s9
	s_addc_u32 s2, s26, s27
	s_addc_u32 s6, s6, 0
	s_mul_i32 s9, s7, s9
	s_add_u32 s2, s2, s9
	s_addc_u32 s6, 0, s6
	v_add_co_u32_e32 v2, vcc, s2, v2
	s_cmp_lg_u64 vcc, 0
	s_addc_u32 s2, s7, s6
	s_ashr_i32 s6, s3, 31
	s_add_u32 s26, s8, s6
	s_mov_b32 s7, s6
	s_addc_u32 s27, s3, s6
	s_xor_b64 s[26:27], s[26:27], s[6:7]
	v_readfirstlane_b32 s40, v2
	s_mul_i32 s9, s26, s2
	s_mul_hi_u32 s41, s26, s40
	s_mul_hi_u32 s7, s26, s2
	s_add_u32 s9, s41, s9
	s_addc_u32 s7, 0, s7
	s_mul_hi_u32 s42, s27, s40
	s_mul_i32 s40, s27, s40
	s_add_u32 s9, s9, s40
	s_mul_hi_u32 s41, s27, s2
	s_addc_u32 s7, s7, s42
	s_addc_u32 s9, s41, 0
	s_mul_i32 s2, s27, s2
	s_add_u32 s2, s7, s2
	s_addc_u32 s7, 0, s9
	s_mul_hi_u32 s9, s33, s2
	s_mul_i32 s2, s33, s2
	s_mul_i32 s7, s33, s7
	v_mov_b32_e32 v2, s2
	s_add_i32 s9, s9, s7
	v_sub_co_u32_e32 v2, vcc, s26, v2
	s_cmp_lg_u64 vcc, 0
	s_subb_u32 s2, s27, s9
	v_subrev_co_u32_e32 v3, vcc, s33, v2
	s_cmp_lg_u64 vcc, 0
	s_subb_u32 s7, s2, 0
	v_subrev_co_u32_e32 v4, vcc, s33, v3
	s_cmp_lg_u64 vcc, 0
	s_subb_u32 s9, s7, 0
	v_cmp_le_u32_e32 vcc, s33, v3
	s_cmp_eq_u32 s7, 0
	v_cndmask_b32_e64 v5, 0, -1, vcc
	s_cselect_b64 vcc, -1, 0
	v_cndmask_b32_e32 v5, -1, v5, vcc
	v_mov_b32_e32 v6, s7
	v_mov_b32_e32 v7, s9
	v_cmp_ne_u32_e32 vcc, 0, v5
	v_cndmask_b32_e32 v5, v6, v7, vcc
	v_cndmask_b32_e32 v3, v3, v4, vcc
	v_cmp_le_u32_e32 vcc, s33, v2
	s_cmp_eq_u32 s2, 0
	v_cndmask_b32_e64 v4, 0, -1, vcc
	s_cselect_b64 vcc, -1, 0
	v_cndmask_b32_e32 v4, -1, v4, vcc
	v_cmp_ne_u32_e32 vcc, 0, v4
	v_mov_b32_e32 v6, s2
	v_cndmask_b32_e32 v2, v2, v3, vcc
	v_cndmask_b32_e32 v4, v6, v5, vcc
	v_xor_b32_e32 v2, s6, v2
	v_xor_b32_e32 v3, s6, v4
	v_mov_b32_e32 v4, s6
	v_subrev_co_u32_e32 v2, vcc, s6, v2
	v_subb_co_u32_e32 v3, vcc, v3, v4, vcc
	s_cbranch_execnz .LBB68_243
.LBB68_242:                             ;   in Loop: Header=BB68_8 Depth=1
	v_cvt_f32_u32_e32 v2, s33
	s_sub_i32 s2, 0, s33
	v_rcp_iflag_f32_e32 v2, v2
	v_mul_f32_e32 v2, 0x4f7ffffe, v2
	v_cvt_u32_f32_e32 v2, v2
	v_mul_lo_u32 v3, s2, v2
	v_mul_hi_u32 v3, v2, v3
	v_add_u32_e32 v2, v2, v3
	v_mul_hi_u32 v2, s8, v2
	v_mul_lo_u32 v2, v2, s33
	v_sub_u32_e32 v2, s8, v2
	v_subrev_u32_e32 v3, s33, v2
	v_cmp_le_u32_e32 vcc, s33, v2
	v_cndmask_b32_e32 v2, v2, v3, vcc
	v_subrev_u32_e32 v3, s33, v2
	v_cmp_le_u32_e32 vcc, s33, v2
	v_cndmask_b32_e32 v12, v2, v3, vcc
	v_pk_mov_b32 v[2:3], v[12:13], v[12:13] op_sel:[0,1]
.LBB68_243:                             ;   in Loop: Header=BB68_8 Depth=1
	v_mov_b32_e32 v4, s3
	v_sub_co_u32_e32 v2, vcc, s8, v2
	v_subb_co_u32_e32 v3, vcc, v4, v3, vcc
	v_cmp_gt_i64_e32 vcc, v[2:3], v[0:1]
	s_mov_b64 s[26:27], 0
                                        ; implicit-def: $vgpr46
	s_and_saveexec_b64 s[2:3], vcc
	s_cbranch_execz .LBB68_252
; %bb.244:                              ;   in Loop: Header=BB68_8 Depth=1
	s_mov_b64 s[8:9], 0
	v_mov_b32_e32 v6, v33
	v_pk_mov_b32 v[4:5], v[0:1], v[0:1] op_sel:[0,1]
                                        ; implicit-def: $sgpr26_sgpr27
	s_branch .LBB68_246
.LBB68_245:                             ;   in Loop: Header=BB68_246 Depth=2
	s_or_b64 exec, exec, s[6:7]
	s_waitcnt lgkmcnt(0)
	s_barrier
	ds_read_b32 v7, v13 offset:3072
	v_add_co_u32_e64 v4, s[6:7], s33, v4
	v_add_u32_e32 v6, s74, v6
	s_waitcnt lgkmcnt(0)
	v_and_b32_e32 v8, 0x7fff, v7
	v_cmp_ne_u16_e32 vcc, 0, v8
	v_mov_b32_e32 v8, s88
	v_addc_co_u32_e64 v5, s[6:7], v5, v8, s[6:7]
	v_cmp_ge_i64_e64 s[6:7], v[4:5], v[2:3]
	s_or_b64 s[6:7], vcc, s[6:7]
	s_and_b64 s[6:7], exec, s[6:7]
	s_or_b64 s[8:9], s[6:7], s[8:9]
	s_andn2_b64 s[6:7], s[26:27], exec
	s_and_b64 s[26:27], vcc, exec
	s_or_b64 s[26:27], s[6:7], s[26:27]
	s_barrier
	s_andn2_b64 exec, exec, s[8:9]
	s_cbranch_execz .LBB68_251
.LBB68_246:                             ;   Parent Loop BB68_8 Depth=1
                                        ; =>  This Inner Loop Header: Depth=2
	v_cmp_gt_i64_e32 vcc, s[38:39], v[4:5]
	v_mov_b32_e32 v7, 0
	s_and_saveexec_b64 s[6:7], vcc
	s_cbranch_execz .LBB68_248
; %bb.247:                              ;   in Loop: Header=BB68_246 Depth=2
	ds_read_u16 v7, v6
.LBB68_248:                             ;   in Loop: Header=BB68_246 Depth=2
	s_or_b64 exec, exec, s[6:7]
	s_and_saveexec_b64 s[6:7], vcc
	s_cbranch_execz .LBB68_245
; %bb.249:                              ;   in Loop: Header=BB68_246 Depth=2
	s_waitcnt lgkmcnt(0)
	v_cmp_lt_i16_e32 vcc, -1, v7
	v_cndmask_b32_e32 v8, v41, v42, vcc
	v_lshlrev_b32_e32 v9, 16, v7
	v_xor_b32_sdwa v8, v8, v7 dst_sel:DWORD dst_unused:UNUSED_PAD src0_sel:DWORD src1_sel:WORD_0
	v_cmp_o_f32_e32 vcc, v9, v9
	v_cndmask_b32_e32 v8, v41, v8, vcc
	v_and_b32_e32 v8, s75, v8
	v_cmp_eq_u32_e32 vcc, s0, v8
	s_and_b64 exec, exec, vcc
	s_cbranch_execz .LBB68_245
; %bb.250:                              ;   in Loop: Header=BB68_246 Depth=2
	v_perm_b32 v7, v7, s50, v45
	ds_write_b32 v13, v7 offset:3072
	s_branch .LBB68_245
.LBB68_251:                             ;   in Loop: Header=BB68_8 Depth=1
	s_or_b64 exec, exec, s[8:9]
	v_lshrrev_b32_e32 v46, 16, v7
	s_and_b64 s[26:27], s[26:27], exec
.LBB68_252:                             ;   in Loop: Header=BB68_8 Depth=1
	s_or_b64 exec, exec, s[2:3]
	s_mov_b64 s[8:9], -1
	s_mov_b64 s[2:3], 0
	s_mov_b64 s[6:7], 0
.LBB68_253:                             ;   in Loop: Header=BB68_8 Depth=1
	s_mov_b64 s[40:41], 0
                                        ; implicit-def: $sgpr44
                                        ; implicit-def: $sgpr42_sgpr43
	s_and_saveexec_b64 s[38:39], s[26:27]
	s_cbranch_execz .LBB68_266
; %bb.254:                              ;   in Loop: Header=BB68_8 Depth=1
	s_xor_b64 s[16:17], s[16:17], -1
	s_mov_b64 s[42:43], 1
	s_andn2_b64 vcc, exec, s[16:17]
	s_mov_b32 s44, 1
	s_cbranch_vccnz .LBB68_265
; %bb.255:                              ;   in Loop: Header=BB68_8 Depth=1
	v_pk_mov_b32 v[2:3], s[10:11], s[10:11] op_sel:[0,1]
	v_cmp_gt_i64_e32 vcc, s[54:55], v[2:3]
	s_cbranch_vccnz .LBB68_261
; %bb.256:                              ;   in Loop: Header=BB68_8 Depth=1
	ds_read_b64 v[2:3], v13 offset:5120
	s_waitcnt lgkmcnt(0)
	v_cmp_ne_u64_e32 vcc, 0, v[2:3]
	s_cbranch_vccnz .LBB68_260
; %bb.257:                              ;   in Loop: Header=BB68_8 Depth=1
	s_mov_b64 s[16:17], exec
	v_readlane_b32 s26, v56, 8
	v_readlane_b32 s27, v56, 9
	s_and_b64 s[26:27], s[16:17], s[26:27]
	s_mov_b64 exec, s[26:27]
	s_cbranch_execz .LBB68_259
; %bb.258:                              ;   in Loop: Header=BB68_8 Depth=1
	v_pk_mov_b32 v[2:3], s[10:11], s[10:11] op_sel:[0,1]
	ds_write_b64 v13, v[2:3] offset:5128
.LBB68_259:                             ;   in Loop: Header=BB68_8 Depth=1
	s_or_b64 exec, exec, s[16:17]
	s_waitcnt lgkmcnt(0)
	s_barrier
.LBB68_260:                             ;   in Loop: Header=BB68_8 Depth=1
	s_or_b32 s26, s0, s1
	s_or_b32 s1, s75, s1
	s_mov_b64 s[16:17], 0
	s_mov_b32 s44, 8
	s_branch .LBB68_262
.LBB68_261:                             ;   in Loop: Header=BB68_8 Depth=1
	s_mov_b64 s[16:17], -1
                                        ; implicit-def: $sgpr44
                                        ; implicit-def: $sgpr26
                                        ; implicit-def: $sgpr1
.LBB68_262:                             ;   in Loop: Header=BB68_8 Depth=1
	s_andn2_b64 vcc, exec, s[16:17]
	s_cbranch_vccnz .LBB68_264
; %bb.263:                              ;   in Loop: Header=BB68_8 Depth=1
	s_sub_u32 s54, s54, s10
	s_subb_u32 s55, s55, s11
	s_mov_b32 s44, 8
	s_mov_b32 s26, s0
	;; [unrolled: 1-line block ×3, first 2 shown]
.LBB68_264:                             ;   in Loop: Header=BB68_8 Depth=1
	s_mov_b64 s[42:43], s[54:55]
	s_mov_b32 s0, s26
	s_mov_b32 s75, s1
.LBB68_265:                             ;   in Loop: Header=BB68_8 Depth=1
	s_mov_b64 s[40:41], exec
.LBB68_266:                             ;   in Loop: Header=BB68_8 Depth=1
	s_or_b64 exec, exec, s[38:39]
	s_mov_b64 s[54:55], s[42:43]
.LBB68_267:                             ;   in Loop: Header=BB68_8 Depth=1
	s_andn2_b64 s[10:11], s[28:29], exec
	s_and_b64 s[2:3], s[2:3], exec
	s_or_b64 s[28:29], s[10:11], s[2:3]
	s_andn2_b64 s[2:3], s[34:35], exec
	s_and_b64 s[8:9], s[8:9], exec
	s_or_b64 s[34:35], s[2:3], s[8:9]
	;; [unrolled: 3-line block ×3, first 2 shown]
	s_and_b64 s[6:7], s[40:41], exec
.LBB68_268:                             ;   in Loop: Header=BB68_8 Depth=1
	s_or_b64 exec, exec, s[36:37]
.LBB68_269:                             ;   in Loop: Header=BB68_8 Depth=1
	s_andn2_b64 s[2:3], s[20:21], exec
	s_and_b64 s[8:9], s[28:29], exec
	s_or_b64 s[20:21], s[2:3], s[8:9]
	s_andn2_b64 s[2:3], s[22:23], exec
	s_and_b64 s[8:9], s[34:35], exec
	s_or_b64 s[22:23], s[2:3], s[8:9]
	;; [unrolled: 3-line block ×3, first 2 shown]
	s_and_b64 s[6:7], s[6:7], exec
.LBB68_270:                             ;   in Loop: Header=BB68_8 Depth=1
	s_or_b64 exec, exec, s[24:25]
	s_and_saveexec_b64 s[2:3], s[6:7]
	s_xor_b64 s[2:3], exec, s[2:3]
	s_cbranch_execz .LBB68_6
.LBB68_271:                             ;   in Loop: Header=BB68_8 Depth=1
	s_and_b32 s1, s44, -9
	s_cmp_eq_u32 s1, 0
	s_cbranch_scc1 .LBB68_4
; %bb.272:                              ;   in Loop: Header=BB68_8 Depth=1
	s_mov_b64 s[6:7], -1
                                        ; implicit-def: $sgpr75
                                        ; implicit-def: $sgpr80
                                        ; implicit-def: $sgpr86
	s_mov_b64 s[8:9], -1
	s_branch .LBB68_5
.LBB68_273:                             ;   in Loop: Header=BB68_8 Depth=1
                                        ; implicit-def: $vgpr2_vgpr3
	s_branch .LBB68_225
.LBB68_274:                             ;   in Loop: Header=BB68_8 Depth=1
                                        ; implicit-def: $vgpr2_vgpr3
	s_branch .LBB68_242
.LBB68_275:
	s_or_b64 exec, exec, s[90:91]
	s_xor_b64 s[4:5], s[62:63], -1
	s_xor_b64 s[0:1], s[94:95], -1
	;; [unrolled: 1-line block ×3, first 2 shown]
	s_mov_b64 s[2:3], 0
	s_and_saveexec_b64 s[8:9], s[0:1]
	s_xor_b64 s[0:1], exec, s[8:9]
	s_cbranch_execnz .LBB68_280
; %bb.276:
	s_andn2_saveexec_b64 s[0:1], s[0:1]
	s_cbranch_execnz .LBB68_302
.LBB68_277:
	s_or_b64 exec, exec, s[0:1]
	s_and_saveexec_b64 s[0:1], s[2:3]
.LBB68_278:
	; divergent unreachable
.LBB68_279:
	s_endpgm
.LBB68_280:
	s_and_saveexec_b64 s[2:3], s[4:5]
	s_xor_b64 s[4:5], exec, s[2:3]
	s_cbranch_execz .LBB68_300
; %bb.281:
	s_and_saveexec_b64 s[2:3], s[6:7]
	s_xor_b64 s[2:3], exec, s[2:3]
; %bb.282:
	v_and_b32_e32 v3, 0x8000, v2
	v_mov_b32_e32 v4, 0x8000
	v_mov_b32_e32 v5, 0xffff
	v_cmp_eq_u32_e32 vcc, 0, v3
	v_cndmask_b32_e32 v3, v4, v5, vcc
	v_xor_b32_e32 v46, v3, v2
; %bb.283:
	s_or_b64 exec, exec, s[2:3]
	s_mov_b64 s[2:3], exec
	v_readlane_b32 s6, v56, 8
	v_readlane_b32 s7, v56, 9
	s_and_b64 s[6:7], s[2:3], s[6:7]
	v_readlane_b32 s26, v56, 10
	v_readlane_b32 s27, v56, 11
	s_mov_b64 exec, s[6:7]
	s_cbranch_execz .LBB68_285
; %bb.284:
	v_mov_b32_e32 v2, 0
	v_mov_b32_e32 v3, s52
	ds_write_b32 v2, v3 offset:5140
.LBB68_285:
	s_or_b64 exec, exec, s[2:3]
	s_waitcnt lgkmcnt(0)
	s_barrier
	s_mov_b64 s[6:7], exec
	v_readlane_b32 s2, v56, 16
	v_readlane_b32 s3, v56, 17
	s_and_b64 s[2:3], s[6:7], s[2:3]
	s_mov_b64 exec, s[2:3]
	s_cbranch_execz .LBB68_297
; %bb.286:
	v_mov_b32_e32 v2, 0
	ds_read_b32 v4, v2 offset:5140
	v_lshlrev_b32_e32 v6, 16, v46
	v_cmp_u_f32_e32 vcc, v6, v6
	s_mov_b64 s[8:9], 0
	s_xor_b64 s[10:11], vcc, -1
	s_waitcnt lgkmcnt(0)
	v_ashrrev_i32_e32 v5, 31, v4
                                        ; implicit-def: $sgpr12_sgpr13
                                        ; implicit-def: $sgpr14_sgpr15
                                        ; implicit-def: $sgpr16_sgpr17
	s_branch .LBB68_289
.LBB68_287:                             ;   in Loop: Header=BB68_289 Depth=1
	s_or_b64 exec, exec, s[22:23]
	s_andn2_b64 s[16:17], s[16:17], exec
	s_and_b64 s[2:3], s[2:3], exec
	s_or_b64 s[16:17], s[16:17], s[2:3]
	s_andn2_b64 s[2:3], s[14:15], exec
	s_and_b64 s[14:15], s[20:21], exec
	s_or_b64 s[14:15], s[2:3], s[14:15]
.LBB68_288:                             ;   in Loop: Header=BB68_289 Depth=1
	s_or_b64 exec, exec, s[18:19]
	s_and_b64 s[2:3], exec, s[14:15]
	s_or_b64 s[8:9], s[2:3], s[8:9]
	s_andn2_b64 s[2:3], s[12:13], exec
	s_and_b64 s[12:13], s[16:17], exec
	s_or_b64 s[12:13], s[2:3], s[12:13]
	s_andn2_b64 exec, exec, s[8:9]
	s_cbranch_execz .LBB68_292
.LBB68_289:                             ; =>This Inner Loop Header: Depth=1
	v_pk_mov_b32 v[2:3], v[0:1], v[0:1] op_sel:[0,1]
	v_cmp_lt_i64_e32 vcc, v[2:3], v[4:5]
	s_or_b64 s[16:17], s[16:17], exec
	s_or_b64 s[14:15], s[14:15], exec
                                        ; implicit-def: $vgpr0_vgpr1
	s_and_saveexec_b64 s[18:19], vcc
	s_cbranch_execz .LBB68_288
; %bb.290:                              ;   in Loop: Header=BB68_289 Depth=1
	global_load_ushort v0, v[10:11], off
	s_mov_b64 s[20:21], -1
	s_waitcnt vmcnt(0)
	v_lshlrev_b32_e32 v0, 16, v0
	v_cmp_o_f32_e64 s[2:3], v0, v0
	v_cmp_neq_f32_e32 vcc, v0, v6
	s_or_b64 s[2:3], s[10:11], s[2:3]
	s_and_b64 s[24:25], vcc, s[2:3]
	s_mov_b64 s[2:3], 0
                                        ; implicit-def: $vgpr0_vgpr1
	s_and_saveexec_b64 s[22:23], s[24:25]
	s_cbranch_execz .LBB68_287
; %bb.291:                              ;   in Loop: Header=BB68_289 Depth=1
	v_mov_b32_e32 v1, s88
	v_add_co_u32_e32 v0, vcc, s33, v2
	v_addc_co_u32_e32 v1, vcc, v3, v1, vcc
	v_mov_b32_e32 v3, s69
	v_add_co_u32_e32 v10, vcc, s68, v10
	v_addc_co_u32_e32 v11, vcc, v11, v3, vcc
	v_cmp_le_i64_e32 vcc, s[52:53], v[0:1]
	s_mov_b64 s[2:3], exec
	s_orn2_b64 s[20:21], vcc, exec
	s_branch .LBB68_287
.LBB68_292:
	s_or_b64 exec, exec, s[8:9]
	s_xor_b64 s[2:3], s[12:13], -1
	s_and_saveexec_b64 s[8:9], s[2:3]
	s_xor_b64 s[8:9], exec, s[8:9]
	s_cbranch_execz .LBB68_297
; %bb.293:
	s_mov_b64 s[2:3], exec
	s_brev_b32 s8, -2
.LBB68_294:                             ; =>This Inner Loop Header: Depth=1
	s_ff1_i32_b64 s9, s[2:3]
	v_readlane_b32 s12, v2, s9
	s_lshl_b64 s[10:11], 1, s9
	s_min_i32 s8, s8, s12
	s_andn2_b64 s[2:3], s[2:3], s[10:11]
	s_cmp_lg_u64 s[2:3], 0
	s_cbranch_scc1 .LBB68_294
; %bb.295:
	v_mbcnt_lo_u32_b32 v0, exec_lo, 0
	v_mbcnt_hi_u32_b32 v0, exec_hi, v0
	v_cmp_eq_u32_e32 vcc, 0, v0
	s_and_saveexec_b64 s[2:3], vcc
	s_xor_b64 s[2:3], exec, s[2:3]
	s_cbranch_execz .LBB68_297
; %bb.296:
	v_mov_b32_e32 v0, 0
	v_mov_b32_e32 v1, s8
	ds_min_i32 v0, v1 offset:5140
.LBB68_297:
	s_or_b64 exec, exec, s[6:7]
	s_waitcnt lgkmcnt(0)
	s_barrier
	s_mov_b64 s[2:3], exec
	v_readlane_b32 s6, v56, 8
	v_readlane_b32 s7, v56, 9
	s_and_b64 s[6:7], s[2:3], s[6:7]
	s_mov_b64 exec, s[6:7]
	s_cbranch_execz .LBB68_299
; %bb.298:
	v_readlane_b32 s8, v56, 4
	v_readlane_b32 s9, v56, 5
	;; [unrolled: 1-line block ×3, first 2 shown]
	s_mul_i32 s6, s9, s26
	s_mul_hi_u32 s7, s8, s26
	v_readlane_b32 s11, v56, 1
	v_mov_b32_e32 v2, 0
	s_add_i32 s7, s7, s6
	s_mul_i32 s6, s8, s26
	s_mul_i32 s8, s11, s26
	s_mul_hi_u32 s9, s10, s26
	ds_read_b32 v0, v2 offset:5140
	s_add_i32 s9, s9, s8
	s_mul_i32 s8, s10, s26
	s_lshl_b64 s[6:7], s[6:7], 1
	v_readlane_b32 s10, v56, 6
	v_readlane_b32 s11, v56, 7
	s_add_u32 s6, s10, s6
	s_addc_u32 s7, s11, s7
	s_lshl_b64 s[8:9], s[8:9], 3
	v_readlane_b32 s10, v56, 2
	v_readlane_b32 s11, v56, 3
	s_add_u32 s8, s10, s8
	s_addc_u32 s9, s11, s9
	s_waitcnt lgkmcnt(0)
	v_ashrrev_i32_e32 v1, 31, v0
	global_store_dwordx2 v2, v[0:1], s[8:9]
	global_store_short v2, v46, s[6:7]
.LBB68_299:
	s_or_b64 exec, exec, s[2:3]
.LBB68_300:
	s_or_saveexec_b64 s[2:3], s[4:5]
	s_mov_b64 s[4:5], 0
	s_xor_b64 exec, exec, s[2:3]
	s_cbranch_execnz .LBB68_303
.LBB68_301:
	s_or_b64 exec, exec, s[2:3]
	s_and_b64 s[2:3], s[4:5], exec
	s_andn2_saveexec_b64 s[0:1], s[0:1]
	s_cbranch_execz .LBB68_277
.LBB68_302:
	s_or_b64 s[2:3], s[2:3], exec
	s_trap 2
	s_or_b64 exec, exec, s[0:1]
	s_and_saveexec_b64 s[0:1], s[2:3]
	s_cbranch_execnz .LBB68_278
	s_branch .LBB68_279
.LBB68_303:
	s_mov_b64 s[4:5], exec
	s_trap 2
	s_branch .LBB68_301
	.section	.rodata,"a",@progbits
	.p2align	6, 0x0
	.amdhsa_kernel _ZN2at6native12_GLOBAL__N_114gatherKthValueIN3c108BFloat16ElLi1EEEvNS_4cuda6detail10TensorInfoIKT_T0_EESA_SA_SA_SA_NS7_IS8_SA_EENS7_IlSA_EE
		.amdhsa_group_segment_fixed_size 5144
		.amdhsa_private_segment_fixed_size 0
		.amdhsa_kernarg_size 1536
		.amdhsa_user_sgpr_count 6
		.amdhsa_user_sgpr_private_segment_buffer 1
		.amdhsa_user_sgpr_dispatch_ptr 0
		.amdhsa_user_sgpr_queue_ptr 0
		.amdhsa_user_sgpr_kernarg_segment_ptr 1
		.amdhsa_user_sgpr_dispatch_id 0
		.amdhsa_user_sgpr_flat_scratch_init 0
		.amdhsa_user_sgpr_kernarg_preload_length 0
		.amdhsa_user_sgpr_kernarg_preload_offset 0
		.amdhsa_user_sgpr_private_segment_size 0
		.amdhsa_uses_dynamic_stack 0
		.amdhsa_system_sgpr_private_segment_wavefront_offset 0
		.amdhsa_system_sgpr_workgroup_id_x 1
		.amdhsa_system_sgpr_workgroup_id_y 1
		.amdhsa_system_sgpr_workgroup_id_z 1
		.amdhsa_system_sgpr_workgroup_info 0
		.amdhsa_system_vgpr_workitem_id 0
		.amdhsa_next_free_vgpr 57
		.amdhsa_next_free_sgpr 96
		.amdhsa_accum_offset 60
		.amdhsa_reserve_vcc 1
		.amdhsa_reserve_flat_scratch 0
		.amdhsa_float_round_mode_32 0
		.amdhsa_float_round_mode_16_64 0
		.amdhsa_float_denorm_mode_32 3
		.amdhsa_float_denorm_mode_16_64 3
		.amdhsa_dx10_clamp 1
		.amdhsa_ieee_mode 1
		.amdhsa_fp16_overflow 0
		.amdhsa_tg_split 0
		.amdhsa_exception_fp_ieee_invalid_op 0
		.amdhsa_exception_fp_denorm_src 0
		.amdhsa_exception_fp_ieee_div_zero 0
		.amdhsa_exception_fp_ieee_overflow 0
		.amdhsa_exception_fp_ieee_underflow 0
		.amdhsa_exception_fp_ieee_inexact 0
		.amdhsa_exception_int_div_zero 0
	.end_amdhsa_kernel
	.section	.text._ZN2at6native12_GLOBAL__N_114gatherKthValueIN3c108BFloat16ElLi1EEEvNS_4cuda6detail10TensorInfoIKT_T0_EESA_SA_SA_SA_NS7_IS8_SA_EENS7_IlSA_EE,"axG",@progbits,_ZN2at6native12_GLOBAL__N_114gatherKthValueIN3c108BFloat16ElLi1EEEvNS_4cuda6detail10TensorInfoIKT_T0_EESA_SA_SA_SA_NS7_IS8_SA_EENS7_IlSA_EE,comdat
.Lfunc_end68:
	.size	_ZN2at6native12_GLOBAL__N_114gatherKthValueIN3c108BFloat16ElLi1EEEvNS_4cuda6detail10TensorInfoIKT_T0_EESA_SA_SA_SA_NS7_IS8_SA_EENS7_IlSA_EE, .Lfunc_end68-_ZN2at6native12_GLOBAL__N_114gatherKthValueIN3c108BFloat16ElLi1EEEvNS_4cuda6detail10TensorInfoIKT_T0_EESA_SA_SA_SA_NS7_IS8_SA_EENS7_IlSA_EE
                                        ; -- End function
	.section	.AMDGPU.csdata,"",@progbits
; Kernel info:
; codeLenInByte = 16640
; NumSgprs: 100
; NumVgprs: 57
; NumAgprs: 0
; TotalNumVgprs: 57
; ScratchSize: 0
; MemoryBound: 0
; FloatMode: 240
; IeeeMode: 1
; LDSByteSize: 5144 bytes/workgroup (compile time only)
; SGPRBlocks: 12
; VGPRBlocks: 7
; NumSGPRsForWavesPerEU: 100
; NumVGPRsForWavesPerEU: 57
; AccumOffset: 60
; Occupancy: 8
; WaveLimiterHint : 1
; COMPUTE_PGM_RSRC2:SCRATCH_EN: 0
; COMPUTE_PGM_RSRC2:USER_SGPR: 6
; COMPUTE_PGM_RSRC2:TRAP_HANDLER: 0
; COMPUTE_PGM_RSRC2:TGID_X_EN: 1
; COMPUTE_PGM_RSRC2:TGID_Y_EN: 1
; COMPUTE_PGM_RSRC2:TGID_Z_EN: 1
; COMPUTE_PGM_RSRC2:TIDIG_COMP_CNT: 0
; COMPUTE_PGM_RSRC3_GFX90A:ACCUM_OFFSET: 14
; COMPUTE_PGM_RSRC3_GFX90A:TG_SPLIT: 0
	.section	.text._ZN2at6native12_GLOBAL__N_114gatherKthValueIN3c108BFloat16ElLi2EEEvNS_4cuda6detail10TensorInfoIKT_T0_EESA_SA_SA_SA_NS7_IS8_SA_EENS7_IlSA_EE,"axG",@progbits,_ZN2at6native12_GLOBAL__N_114gatherKthValueIN3c108BFloat16ElLi2EEEvNS_4cuda6detail10TensorInfoIKT_T0_EESA_SA_SA_SA_NS7_IS8_SA_EENS7_IlSA_EE,comdat
	.globl	_ZN2at6native12_GLOBAL__N_114gatherKthValueIN3c108BFloat16ElLi2EEEvNS_4cuda6detail10TensorInfoIKT_T0_EESA_SA_SA_SA_NS7_IS8_SA_EENS7_IlSA_EE ; -- Begin function _ZN2at6native12_GLOBAL__N_114gatherKthValueIN3c108BFloat16ElLi2EEEvNS_4cuda6detail10TensorInfoIKT_T0_EESA_SA_SA_SA_NS7_IS8_SA_EENS7_IlSA_EE
	.p2align	8
	.type	_ZN2at6native12_GLOBAL__N_114gatherKthValueIN3c108BFloat16ElLi2EEEvNS_4cuda6detail10TensorInfoIKT_T0_EESA_SA_SA_SA_NS7_IS8_SA_EENS7_IlSA_EE,@function
_ZN2at6native12_GLOBAL__N_114gatherKthValueIN3c108BFloat16ElLi2EEEvNS_4cuda6detail10TensorInfoIKT_T0_EESA_SA_SA_SA_NS7_IS8_SA_EENS7_IlSA_EE: ; @_ZN2at6native12_GLOBAL__N_114gatherKthValueIN3c108BFloat16ElLi2EEEvNS_4cuda6detail10TensorInfoIKT_T0_EESA_SA_SA_SA_NS7_IS8_SA_EENS7_IlSA_EE
; %bb.0:
	s_load_dwordx8 s[52:59], s[4:5], 0x1a0
	s_load_dwordx2 s[14:15], s[4:5], 0x500
	s_add_u32 s12, s4, 0x500
	s_addc_u32 s13, s5, 0
	s_mov_b32 s29, 0
	s_waitcnt lgkmcnt(0)
	v_mov_b32_e32 v2, s56
	s_mul_i32 s0, s15, s8
	s_add_i32 s0, s0, s7
	s_mul_i32 s0, s0, s14
	v_mov_b32_e32 v3, s57
	s_add_i32 s28, s0, s6
	v_cmp_ge_i64_e32 vcc, s[28:29], v[2:3]
	s_cbranch_vccnz .LBB69_288
; %bb.1:
	s_load_dwordx2 s[2:3], s[4:5], 0x10
	s_load_dwordx2 s[0:1], s[4:5], 0x1d0
                                        ; implicit-def: $vgpr55 : SGPR spill to VGPR lane
	s_waitcnt lgkmcnt(0)
	v_writelane_b32 v55, s0, 0
	v_writelane_b32 v55, s1, 1
	s_mov_b32 s0, s29
	s_mov_b32 s1, s3
	s_cmp_lg_u64 s[0:1], 0
	s_cbranch_scc0 .LBB69_301
; %bb.2:
	s_ashr_i32 s8, s3, 31
	s_add_u32 s0, s2, s8
	s_mov_b32 s9, s8
	s_addc_u32 s1, s3, s8
	s_xor_b64 s[16:17], s[0:1], s[8:9]
	v_cvt_f32_u32_e32 v1, s16
	v_cvt_f32_u32_e32 v2, s17
	s_sub_u32 s0, 0, s16
	s_subb_u32 s1, 0, s17
	v_madmk_f32 v1, v2, 0x4f800000, v1
	v_rcp_f32_e32 v1, v1
	v_mul_f32_e32 v1, 0x5f7ffffc, v1
	v_mul_f32_e32 v2, 0x2f800000, v1
	v_trunc_f32_e32 v2, v2
	v_madmk_f32 v1, v2, 0xcf800000, v1
	v_cvt_u32_f32_e32 v2, v2
	v_cvt_u32_f32_e32 v1, v1
	v_readfirstlane_b32 s7, v2
	v_readfirstlane_b32 s15, v1
	s_mul_i32 s18, s0, s7
	s_mul_hi_u32 s20, s0, s15
	s_mul_i32 s19, s1, s15
	s_add_i32 s18, s20, s18
	s_add_i32 s18, s18, s19
	s_mul_i32 s21, s0, s15
	s_mul_hi_u32 s19, s15, s18
	s_mul_i32 s20, s15, s18
	s_mul_hi_u32 s15, s15, s21
	s_add_u32 s15, s15, s20
	s_addc_u32 s19, 0, s19
	s_mul_hi_u32 s22, s7, s21
	s_mul_i32 s21, s7, s21
	s_add_u32 s15, s15, s21
	s_mul_hi_u32 s20, s7, s18
	s_addc_u32 s15, s19, s22
	s_addc_u32 s19, s20, 0
	s_mul_i32 s18, s7, s18
	s_add_u32 s15, s15, s18
	s_addc_u32 s18, 0, s19
	v_add_co_u32_e32 v1, vcc, s15, v1
	s_cmp_lg_u64 vcc, 0
	s_addc_u32 s7, s7, s18
	v_readfirstlane_b32 s18, v1
	s_mul_i32 s15, s0, s7
	s_mul_hi_u32 s19, s0, s18
	s_add_i32 s15, s19, s15
	s_mul_i32 s1, s1, s18
	s_add_i32 s15, s15, s1
	s_mul_i32 s0, s0, s18
	s_mul_hi_u32 s19, s7, s0
	s_mul_i32 s20, s7, s0
	s_mul_i32 s22, s18, s15
	s_mul_hi_u32 s0, s18, s0
	s_mul_hi_u32 s21, s18, s15
	s_add_u32 s0, s0, s22
	s_addc_u32 s18, 0, s21
	s_add_u32 s0, s0, s20
	s_mul_hi_u32 s1, s7, s15
	s_addc_u32 s0, s18, s19
	s_addc_u32 s1, s1, 0
	s_mul_i32 s15, s7, s15
	s_add_u32 s0, s0, s15
	s_addc_u32 s1, 0, s1
	v_add_co_u32_e32 v1, vcc, s0, v1
	s_cmp_lg_u64 vcc, 0
	s_addc_u32 s7, s7, s1
	s_ashr_i32 s18, 0, 31
	s_add_u32 s0, s28, s18
	s_mov_b32 s19, s18
	s_addc_u32 s1, 0, s18
	s_xor_b64 s[20:21], s[0:1], s[18:19]
	v_readfirstlane_b32 s15, v1
	s_mul_i32 s1, s20, s7
	s_mul_hi_u32 s22, s20, s15
	s_mul_hi_u32 s0, s20, s7
	s_add_u32 s1, s22, s1
	s_addc_u32 s0, 0, s0
	s_mul_hi_u32 s23, s21, s15
	s_mul_i32 s15, s21, s15
	s_add_u32 s1, s1, s15
	s_mul_hi_u32 s22, s21, s7
	s_addc_u32 s0, s0, s23
	s_addc_u32 s1, s22, 0
	s_mul_i32 s7, s21, s7
	s_add_u32 s7, s0, s7
	s_addc_u32 s15, 0, s1
	s_mul_i32 s0, s16, s15
	s_mul_hi_u32 s1, s16, s7
	s_add_i32 s0, s1, s0
	s_mul_i32 s1, s17, s7
	s_add_i32 s22, s0, s1
	s_mul_i32 s1, s16, s7
	v_mov_b32_e32 v1, s1
	s_sub_i32 s0, s21, s22
	v_sub_co_u32_e32 v1, vcc, s20, v1
	s_cmp_lg_u64 vcc, 0
	s_subb_u32 s20, s0, s17
	v_subrev_co_u32_e64 v2, s[0:1], s16, v1
	s_cmp_lg_u64 s[0:1], 0
	s_subb_u32 s0, s20, 0
	s_cmp_ge_u32 s0, s17
	v_readfirstlane_b32 s20, v2
	s_cselect_b32 s1, -1, 0
	s_cmp_ge_u32 s20, s16
	s_cselect_b32 s20, -1, 0
	s_cmp_eq_u32 s0, s17
	s_cselect_b32 s0, s20, s1
	s_add_u32 s1, s7, 1
	s_addc_u32 s20, s15, 0
	s_add_u32 s23, s7, 2
	s_addc_u32 s24, s15, 0
	s_cmp_lg_u32 s0, 0
	s_cselect_b32 s0, s23, s1
	s_cselect_b32 s1, s24, s20
	s_cmp_lg_u64 vcc, 0
	s_subb_u32 s20, s21, s22
	s_cmp_ge_u32 s20, s17
	v_readfirstlane_b32 s22, v1
	s_cselect_b32 s21, -1, 0
	s_cmp_ge_u32 s22, s16
	s_cselect_b32 s16, -1, 0
	s_cmp_eq_u32 s20, s17
	s_cselect_b32 s16, s16, s21
	s_cmp_lg_u32 s16, 0
	s_cselect_b32 s1, s1, s15
	s_cselect_b32 s0, s0, s7
	s_xor_b64 s[8:9], s[18:19], s[8:9]
	s_xor_b64 s[0:1], s[0:1], s[8:9]
	s_sub_u32 s16, s0, s8
	s_subb_u32 s17, s1, s9
	s_cbranch_execnz .LBB69_4
.LBB69_3:
	v_cvt_f32_u32_e32 v1, s2
	s_sub_i32 s0, 0, s2
	s_mov_b32 s17, 0
	v_rcp_iflag_f32_e32 v1, v1
	v_mul_f32_e32 v1, 0x4f7ffffe, v1
	v_cvt_u32_f32_e32 v1, v1
	v_readfirstlane_b32 s1, v1
	s_mul_i32 s0, s0, s1
	s_mul_hi_u32 s0, s1, s0
	s_add_i32 s1, s1, s0
	s_mul_hi_u32 s0, s28, s1
	s_mul_i32 s7, s0, s2
	s_sub_i32 s7, s28, s7
	s_add_i32 s1, s0, 1
	s_sub_i32 s8, s7, s2
	s_cmp_ge_u32 s7, s2
	s_cselect_b32 s0, s1, s0
	s_cselect_b32 s7, s8, s7
	s_add_i32 s1, s0, 1
	s_cmp_ge_u32 s7, s2
	s_cselect_b32 s16, s1, s0
.LBB69_4:
	s_load_dwordx2 s[30:31], s[4:5], 0x370
	s_load_dwordx2 s[10:11], s[4:5], 0x1d0
	s_mov_b32 s0, 0
	s_waitcnt lgkmcnt(0)
	s_mov_b32 s1, s11
	s_cmp_lg_u64 s[0:1], 0
	s_cbranch_scc0 .LBB69_302
; %bb.5:
	s_ashr_i32 s8, s11, 31
	s_add_u32 s0, s10, s8
	s_mov_b32 s9, s8
	s_addc_u32 s1, s11, s8
	s_xor_b64 s[18:19], s[0:1], s[8:9]
	v_cvt_f32_u32_e32 v1, s18
	v_cvt_f32_u32_e32 v2, s19
	s_sub_u32 s0, 0, s18
	s_subb_u32 s1, 0, s19
	v_madmk_f32 v1, v2, 0x4f800000, v1
	v_rcp_f32_e32 v1, v1
	v_mul_f32_e32 v1, 0x5f7ffffc, v1
	v_mul_f32_e32 v2, 0x2f800000, v1
	v_trunc_f32_e32 v2, v2
	v_madmk_f32 v1, v2, 0xcf800000, v1
	v_cvt_u32_f32_e32 v2, v2
	v_cvt_u32_f32_e32 v1, v1
	v_readfirstlane_b32 s7, v2
	v_readfirstlane_b32 s15, v1
	s_mul_i32 s20, s0, s7
	s_mul_hi_u32 s22, s0, s15
	s_mul_i32 s21, s1, s15
	s_add_i32 s20, s22, s20
	s_add_i32 s20, s20, s21
	s_mul_i32 s23, s0, s15
	s_mul_hi_u32 s21, s15, s20
	s_mul_i32 s22, s15, s20
	s_mul_hi_u32 s15, s15, s23
	s_add_u32 s15, s15, s22
	s_addc_u32 s21, 0, s21
	s_mul_hi_u32 s24, s7, s23
	s_mul_i32 s23, s7, s23
	s_add_u32 s15, s15, s23
	s_mul_hi_u32 s22, s7, s20
	s_addc_u32 s15, s21, s24
	s_addc_u32 s21, s22, 0
	s_mul_i32 s20, s7, s20
	s_add_u32 s15, s15, s20
	s_addc_u32 s20, 0, s21
	v_add_co_u32_e32 v1, vcc, s15, v1
	s_cmp_lg_u64 vcc, 0
	s_addc_u32 s7, s7, s20
	v_readfirstlane_b32 s20, v1
	s_mul_i32 s15, s0, s7
	s_mul_hi_u32 s21, s0, s20
	s_add_i32 s15, s21, s15
	s_mul_i32 s1, s1, s20
	s_add_i32 s15, s15, s1
	s_mul_i32 s0, s0, s20
	s_mul_hi_u32 s21, s7, s0
	s_mul_i32 s22, s7, s0
	s_mul_i32 s24, s20, s15
	s_mul_hi_u32 s0, s20, s0
	s_mul_hi_u32 s23, s20, s15
	s_add_u32 s0, s0, s24
	s_addc_u32 s20, 0, s23
	s_add_u32 s0, s0, s22
	s_mul_hi_u32 s1, s7, s15
	s_addc_u32 s0, s20, s21
	s_addc_u32 s1, s1, 0
	s_mul_i32 s15, s7, s15
	s_add_u32 s0, s0, s15
	s_addc_u32 s1, 0, s1
	v_add_co_u32_e32 v1, vcc, s0, v1
	s_cmp_lg_u64 vcc, 0
	s_addc_u32 s7, s7, s1
	s_ashr_i32 s20, 0, 31
	s_add_u32 s0, s28, s20
	s_mov_b32 s21, s20
	s_addc_u32 s1, 0, s20
	s_xor_b64 s[22:23], s[0:1], s[20:21]
	v_readfirstlane_b32 s15, v1
	s_mul_i32 s1, s22, s7
	s_mul_hi_u32 s24, s22, s15
	s_mul_hi_u32 s0, s22, s7
	s_add_u32 s1, s24, s1
	s_addc_u32 s0, 0, s0
	s_mul_hi_u32 s25, s23, s15
	s_mul_i32 s15, s23, s15
	s_add_u32 s1, s1, s15
	s_mul_hi_u32 s24, s23, s7
	s_addc_u32 s0, s0, s25
	s_addc_u32 s1, s24, 0
	s_mul_i32 s7, s23, s7
	s_add_u32 s7, s0, s7
	s_addc_u32 s15, 0, s1
	s_mul_i32 s0, s18, s15
	s_mul_hi_u32 s1, s18, s7
	s_add_i32 s0, s1, s0
	s_mul_i32 s1, s19, s7
	s_add_i32 s24, s0, s1
	s_mul_i32 s1, s18, s7
	v_mov_b32_e32 v1, s1
	s_sub_i32 s0, s23, s24
	v_sub_co_u32_e32 v1, vcc, s22, v1
	s_cmp_lg_u64 vcc, 0
	s_subb_u32 s22, s0, s19
	v_subrev_co_u32_e64 v2, s[0:1], s18, v1
	s_cmp_lg_u64 s[0:1], 0
	s_subb_u32 s0, s22, 0
	s_cmp_ge_u32 s0, s19
	v_readfirstlane_b32 s22, v2
	s_cselect_b32 s1, -1, 0
	s_cmp_ge_u32 s22, s18
	s_cselect_b32 s22, -1, 0
	s_cmp_eq_u32 s0, s19
	s_cselect_b32 s0, s22, s1
	s_add_u32 s1, s7, 1
	s_addc_u32 s22, s15, 0
	s_add_u32 s25, s7, 2
	s_addc_u32 s26, s15, 0
	s_cmp_lg_u32 s0, 0
	s_cselect_b32 s0, s25, s1
	s_cselect_b32 s1, s26, s22
	s_cmp_lg_u64 vcc, 0
	s_subb_u32 s22, s23, s24
	s_cmp_ge_u32 s22, s19
	v_readfirstlane_b32 s24, v1
	s_cselect_b32 s23, -1, 0
	s_cmp_ge_u32 s24, s18
	s_cselect_b32 s18, -1, 0
	s_cmp_eq_u32 s22, s19
	s_cselect_b32 s18, s18, s23
	s_cmp_lg_u32 s18, 0
	s_cselect_b32 s1, s1, s15
	s_cselect_b32 s0, s0, s7
	s_xor_b64 s[8:9], s[20:21], s[8:9]
	s_xor_b64 s[0:1], s[0:1], s[8:9]
	s_sub_u32 s0, s0, s8
	s_subb_u32 s1, s1, s9
	v_writelane_b32 v55, s0, 2
	v_writelane_b32 v55, s1, 3
	s_cbranch_execnz .LBB69_7
.LBB69_6:
	s_load_dwordx2 s[10:11], s[4:5], 0x1d0
	s_mov_b32 s9, 0
	s_waitcnt lgkmcnt(0)
	v_cvt_f32_u32_e32 v1, s10
	s_sub_i32 s0, 0, s10
	v_rcp_iflag_f32_e32 v1, v1
	v_mul_f32_e32 v1, 0x4f7ffffe, v1
	v_cvt_u32_f32_e32 v1, v1
	v_readfirstlane_b32 s1, v1
	s_mul_i32 s0, s0, s1
	s_mul_hi_u32 s0, s1, s0
	s_add_i32 s1, s1, s0
	s_mul_hi_u32 s0, s28, s1
	s_mul_i32 s7, s0, s10
	s_sub_i32 s7, s28, s7
	s_add_i32 s1, s0, 1
	s_sub_i32 s8, s7, s10
	s_cmp_ge_u32 s7, s10
	s_cselect_b32 s0, s1, s0
	s_cselect_b32 s7, s8, s7
	s_add_i32 s1, s0, 1
	s_cmp_ge_u32 s7, s10
	s_cselect_b32 s8, s1, s0
	v_writelane_b32 v55, s8, 2
	v_writelane_b32 v55, s9, 3
.LBB69_7:
	s_mov_b32 s0, 0
	s_mov_b32 s1, s31
	s_cmp_lg_u64 s[0:1], 0
	s_cbranch_scc0 .LBB69_303
; %bb.8:
	s_ashr_i32 s10, s31, 31
	s_add_u32 s0, s30, s10
	s_mov_b32 s11, s10
	s_addc_u32 s1, s31, s10
	s_xor_b64 s[18:19], s[0:1], s[10:11]
	v_cvt_f32_u32_e32 v1, s18
	v_cvt_f32_u32_e32 v2, s19
	s_sub_u32 s0, 0, s18
	s_subb_u32 s1, 0, s19
	v_madmk_f32 v1, v2, 0x4f800000, v1
	v_rcp_f32_e32 v1, v1
	v_mul_f32_e32 v1, 0x5f7ffffc, v1
	v_mul_f32_e32 v2, 0x2f800000, v1
	v_trunc_f32_e32 v2, v2
	v_madmk_f32 v1, v2, 0xcf800000, v1
	v_cvt_u32_f32_e32 v2, v2
	v_cvt_u32_f32_e32 v1, v1
	v_readfirstlane_b32 s7, v2
	v_readfirstlane_b32 s15, v1
	s_mul_i32 s20, s0, s7
	s_mul_hi_u32 s22, s0, s15
	s_mul_i32 s21, s1, s15
	s_add_i32 s20, s22, s20
	s_add_i32 s20, s20, s21
	s_mul_i32 s23, s0, s15
	s_mul_hi_u32 s21, s15, s20
	s_mul_i32 s22, s15, s20
	s_mul_hi_u32 s15, s15, s23
	s_add_u32 s15, s15, s22
	s_addc_u32 s21, 0, s21
	s_mul_hi_u32 s24, s7, s23
	s_mul_i32 s23, s7, s23
	s_add_u32 s15, s15, s23
	s_mul_hi_u32 s22, s7, s20
	s_addc_u32 s15, s21, s24
	s_addc_u32 s21, s22, 0
	s_mul_i32 s20, s7, s20
	s_add_u32 s15, s15, s20
	s_addc_u32 s20, 0, s21
	v_add_co_u32_e32 v1, vcc, s15, v1
	s_cmp_lg_u64 vcc, 0
	s_addc_u32 s7, s7, s20
	v_readfirstlane_b32 s20, v1
	s_mul_i32 s15, s0, s7
	s_mul_hi_u32 s21, s0, s20
	s_add_i32 s15, s21, s15
	s_mul_i32 s1, s1, s20
	s_add_i32 s15, s15, s1
	s_mul_i32 s0, s0, s20
	s_mul_hi_u32 s21, s7, s0
	s_mul_i32 s22, s7, s0
	s_mul_i32 s24, s20, s15
	s_mul_hi_u32 s0, s20, s0
	s_mul_hi_u32 s23, s20, s15
	s_add_u32 s0, s0, s24
	s_addc_u32 s20, 0, s23
	s_add_u32 s0, s0, s22
	s_mul_hi_u32 s1, s7, s15
	s_addc_u32 s0, s20, s21
	s_addc_u32 s1, s1, 0
	s_mul_i32 s15, s7, s15
	s_add_u32 s0, s0, s15
	s_addc_u32 s1, 0, s1
	v_add_co_u32_e32 v1, vcc, s0, v1
	s_cmp_lg_u64 vcc, 0
	s_addc_u32 s7, s7, s1
	s_ashr_i32 s20, 0, 31
	s_add_u32 s0, s28, s20
	s_mov_b32 s21, s20
	s_addc_u32 s1, 0, s20
	s_xor_b64 s[22:23], s[0:1], s[20:21]
	v_readfirstlane_b32 s15, v1
	s_mul_i32 s1, s22, s7
	s_mul_hi_u32 s24, s22, s15
	s_mul_hi_u32 s0, s22, s7
	s_add_u32 s1, s24, s1
	s_addc_u32 s0, 0, s0
	s_mul_hi_u32 s25, s23, s15
	s_mul_i32 s15, s23, s15
	s_add_u32 s1, s1, s15
	s_mul_hi_u32 s24, s23, s7
	s_addc_u32 s0, s0, s25
	s_addc_u32 s1, s24, 0
	s_mul_i32 s7, s23, s7
	s_add_u32 s7, s0, s7
	s_addc_u32 s15, 0, s1
	s_mul_i32 s0, s18, s15
	s_mul_hi_u32 s1, s18, s7
	s_add_i32 s0, s1, s0
	s_mul_i32 s1, s19, s7
	s_add_i32 s24, s0, s1
	s_mul_i32 s1, s18, s7
	v_mov_b32_e32 v1, s1
	s_sub_i32 s0, s23, s24
	v_sub_co_u32_e32 v1, vcc, s22, v1
	s_cmp_lg_u64 vcc, 0
	s_subb_u32 s22, s0, s19
	v_subrev_co_u32_e64 v2, s[0:1], s18, v1
	s_cmp_lg_u64 s[0:1], 0
	s_subb_u32 s0, s22, 0
	s_cmp_ge_u32 s0, s19
	v_readfirstlane_b32 s22, v2
	s_cselect_b32 s1, -1, 0
	s_cmp_ge_u32 s22, s18
	s_cselect_b32 s22, -1, 0
	s_cmp_eq_u32 s0, s19
	s_cselect_b32 s0, s22, s1
	s_add_u32 s1, s7, 1
	s_addc_u32 s22, s15, 0
	s_add_u32 s25, s7, 2
	s_addc_u32 s26, s15, 0
	s_cmp_lg_u32 s0, 0
	s_cselect_b32 s0, s25, s1
	s_cselect_b32 s1, s26, s22
	s_cmp_lg_u64 vcc, 0
	s_subb_u32 s22, s23, s24
	s_cmp_ge_u32 s22, s19
	v_readfirstlane_b32 s24, v1
	s_cselect_b32 s23, -1, 0
	s_cmp_ge_u32 s24, s18
	s_cselect_b32 s18, -1, 0
	s_cmp_eq_u32 s22, s19
	s_cselect_b32 s18, s18, s23
	s_cmp_lg_u32 s18, 0
	s_cselect_b32 s1, s1, s15
	s_cselect_b32 s0, s0, s7
	s_xor_b64 s[10:11], s[20:21], s[10:11]
	s_xor_b64 s[0:1], s[0:1], s[10:11]
	s_sub_u32 s0, s0, s10
	s_subb_u32 s1, s1, s11
	v_writelane_b32 v55, s0, 4
	v_writelane_b32 v55, s1, 5
	s_load_dwordx2 s[0:1], s[4:5], 0x0
	s_cbranch_execnz .LBB69_10
.LBB69_9:
	v_cvt_f32_u32_e32 v1, s30
	s_sub_i32 s7, 0, s30
	s_mov_b32 s11, 0
	v_rcp_iflag_f32_e32 v1, v1
	v_mul_f32_e32 v1, 0x4f7ffffe, v1
	v_cvt_u32_f32_e32 v1, v1
	v_readfirstlane_b32 s8, v1
	s_mul_i32 s7, s7, s8
	s_mul_hi_u32 s7, s8, s7
	s_add_i32 s8, s8, s7
	s_mul_hi_u32 s7, s28, s8
	s_mul_i32 s9, s7, s30
	s_sub_i32 s9, s28, s9
	s_add_i32 s8, s7, 1
	s_sub_i32 s10, s9, s30
	s_cmp_ge_u32 s9, s30
	s_cselect_b32 s7, s8, s7
	s_cselect_b32 s9, s10, s9
	s_add_i32 s8, s7, 1
	s_cmp_ge_u32 s9, s30
	s_cselect_b32 s10, s8, s7
	v_writelane_b32 v55, s10, 4
	v_writelane_b32 v55, s11, 5
.LBB69_10:
	s_load_dwordx2 s[8:9], s[4:5], 0x360
	v_writelane_b32 v55, s30, 6
	v_writelane_b32 v55, s31, 7
	s_mov_b32 s83, 0
	v_cmp_eq_u32_e64 s[20:21], 0, v0
	s_waitcnt lgkmcnt(0)
	v_writelane_b32 v55, s8, 8
	v_writelane_b32 v55, s9, 9
	s_load_dwordx2 s[8:9], s[4:5], 0x1c0
	s_waitcnt lgkmcnt(0)
	v_writelane_b32 v55, s8, 10
	v_writelane_b32 v55, s9, 11
	s_load_dwordx4 s[8:11], s[4:5], 0xd0
	s_mov_b64 s[18:19], exec
	v_writelane_b32 v55, s20, 12
	v_writelane_b32 v55, s21, 13
	s_and_b64 s[20:21], s[18:19], s[20:21]
	s_mov_b64 exec, s[20:21]
	s_cbranch_execz .LBB69_12
; %bb.11:
	v_mov_b32_e32 v2, 0
	v_mov_b32_e32 v4, s52
	;; [unrolled: 1-line block ×4, first 2 shown]
	ds_write_b32 v2, v2 offset:5136
	ds_write_b128 v2, v[2:5] offset:5120
.LBB69_12:
	s_or_b64 exec, exec, s[18:19]
	s_load_dwordx4 s[20:23], s[4:5], 0x430
                                        ; kill: killed $sgpr4 killed $sgpr5
	s_mul_i32 s3, s16, s3
	v_mov_b32_e32 v2, 0x600
	v_mov_b32_e32 v3, 0
	;; [unrolled: 1-line block ×3, first 2 shown]
	s_waitcnt lgkmcnt(0)
	v_writelane_b32 v55, s20, 14
	v_writelane_b32 v55, s21, 15
	;; [unrolled: 1-line block ×4, first 2 shown]
	s_load_dwordx4 s[20:23], s[4:5], 0x290
	s_mul_hi_u32 s4, s16, s2
	s_add_i32 s3, s4, s3
	s_mul_i32 s4, s17, s2
	s_add_i32 s3, s3, s4
	s_waitcnt lgkmcnt(0)
	v_writelane_b32 v55, s20, 18
	v_writelane_b32 v55, s21, 19
	;; [unrolled: 1-line block ×4, first 2 shown]
	s_mul_i32 s2, s16, s2
	s_mov_b32 s4, s28
	v_writelane_b32 v55, s4, 22
	s_sub_u32 s2, s28, s2
	v_writelane_b32 v55, s5, 23
	s_subb_u32 s3, 0, s3
	s_mul_i32 s4, s2, s11
	s_mul_hi_u32 s5, s2, s10
	s_add_i32 s4, s5, s4
	s_mul_i32 s3, s3, s10
	s_add_i32 s3, s4, s3
	s_mul_i32 s4, s16, s9
	s_mul_hi_u32 s5, s16, s8
	s_add_i32 s4, s5, s4
	s_mul_i32 s5, s17, s8
	s_mul_i32 s2, s2, s10
	s_add_i32 s5, s4, s5
	s_mul_i32 s4, s16, s8
	s_lshl_b64 s[4:5], s[4:5], 1
	s_lshl_b64 s[2:3], s[2:3], 1
	s_add_u32 s2, s4, s2
	s_addc_u32 s3, s5, s3
	s_add_u32 s84, s0, s2
	s_addc_u32 s85, s1, s3
	v_cmp_gt_u32_e64 s[0:1], 2, v0
	v_writelane_b32 v55, s0, 24
	v_writelane_b32 v55, s1, 25
	v_cmp_gt_i64_e64 s[0:1], s[52:53], v[2:3]
	v_writelane_b32 v55, s0, 26
	v_writelane_b32 v55, s1, 27
	v_mad_u64_u32 v[2:3], s[0:1], v0, s58, 0
	v_mbcnt_lo_u32_b32 v1, -1, 0
	v_mov_b32_e32 v4, v3
	v_mbcnt_hi_u32_b32 v34, -1, v1
	v_mov_b32_e32 v1, v13
	v_mad_u64_u32 v[4:5], s[0:1], v0, s59, v[4:5]
	v_cmp_gt_i64_e64 s[0:1], s[52:53], v[0:1]
	v_writelane_b32 v55, s0, 28
	s_barrier
	v_writelane_b32 v55, s1, 29
	s_load_dword s0, s[12:13], 0xc
	v_cmp_gt_u32_e32 vcc, 64, v0
	v_cmp_gt_i32_e64 s[2:3], 4, v34
	s_and_b64 s[46:47], vcc, s[2:3]
	v_mov_b32_e32 v3, v4
	s_waitcnt lgkmcnt(0)
	s_and_b32 s33, s0, 0xffff
	s_bfe_u32 s1, s0, 0xa0006
	v_cmp_gt_u16_e64 s[2:3], s0, 63
	v_writelane_b32 v55, s2, 30
	s_add_u32 s0, s33, -1
	v_writelane_b32 v55, s3, 31
	s_addc_u32 s2, 0, -1
	v_writelane_b32 v55, s0, 32
	s_add_u32 s0, s0, s52
	s_addc_u32 s91, s2, s53
	s_cmp_lt_u32 s6, s14
	v_writelane_b32 v55, s0, 33
	s_cselect_b32 s0, 12, 18
	s_add_u32 s48, s12, s0
	v_writelane_b32 v55, s2, 34
	s_addc_u32 s49, s13, 0
	s_add_i32 s0, s1, -1
	s_bfe_u32 s2, s33, 0x30006
	s_cmp_gt_u32 s0, 6
	v_lshlrev_b64 v[4:5], 1, v[2:3]
	s_cselect_b64 s[6:7], -1, 0
	v_add_co_u32_e32 v10, vcc, s84, v4
	v_lshrrev_b32_e32 v4, 4, v0
	v_writelane_b32 v55, s6, 35
	s_and_b32 s60, s1, 0x3f8
	v_mov_b32_e32 v6, s85
	v_and_b32_e32 v37, 60, v4
	v_lshlrev_b32_e32 v4, 2, v34
	v_writelane_b32 v55, s7, 36
	s_cmp_lg_u32 s2, 0
	v_addc_co_u32_e32 v11, vcc, v6, v5, vcc
	v_and_b32_e32 v38, 0x100, v4
	v_lshlrev_b64 v[4:5], v34, -1
	v_writelane_b32 v55, s2, 37
	s_cselect_b64 s[0:1], -1, 0
	v_lshlrev_b32_e32 v39, 3, v0
	v_not_b32_e32 v17, v5
	v_writelane_b32 v55, s0, 38
	v_or_b32_e32 v5, 6, v39
	v_writelane_b32 v55, s1, 39
	v_mad_u64_u32 v[18:19], s[0:1], s58, v5, 0
	v_not_b32_e32 v16, v4
	v_mov_b32_e32 v4, v19
	v_mad_u64_u32 v[4:5], s[0:1], s59, v5, v[4:5]
	s_lshl_b64 s[0:1], s[58:59], 3
	v_writelane_b32 v55, s0, 40
	v_or_b32_e32 v5, 4, v39
	v_writelane_b32 v55, s1, 41
	v_mad_u64_u32 v[20:21], s[0:1], s58, v5, 0
	v_mov_b32_e32 v19, v4
	v_mov_b32_e32 v4, v21
	v_mad_u64_u32 v[4:5], s[0:1], s59, v5, v[4:5]
	v_or_b32_e32 v5, 2, v39
	v_mad_u64_u32 v[22:23], s[0:1], s58, v5, 0
	v_mov_b32_e32 v21, v4
	v_mov_b32_e32 v4, v23
	v_mad_u64_u32 v[4:5], s[0:1], s59, v5, v[4:5]
	v_lshlrev_b64 v[24:25], 3, v[2:3]
	v_mov_b32_e32 v2, s53
	v_add_co_u32_e32 v40, vcc, s52, v0
	s_mul_i32 s0, s59, s33
	s_mul_hi_u32 s1, s58, s33
	v_writelane_b32 v55, s46, 42
	v_lshlrev_b32_e32 v35, 1, v0
	v_addc_co_u32_e32 v41, vcc, 0, v2, vcc
	v_mov_b32_e32 v2, 0xc00
	s_add_i32 s1, s1, s0
	s_mul_i32 s0, s58, s33
	v_writelane_b32 v55, s47, 43
	v_cmp_eq_u32_e64 s[4:5], 0, v34
	v_add_u32_e32 v36, 0xc00, v35
	v_lshlrev_b32_e32 v14, 2, v0
	v_mov_b32_e32 v15, v13
	s_mov_b32 s26, s83
	s_lshl_b64 s[78:79], s[58:59], 1
	v_mov_b32_e32 v23, v4
	v_lshl_or_b32 v42, v34, 3, v2
	s_lshl_b64 s[80:81], s[0:1], 1
	s_lshl_b32 s61, s33, 1
	s_mov_b32 s86, 14
	s_mov_b64 s[62:63], 0
	s_movk_i32 s27, 0x3f80
	v_mov_b32_e32 v43, 0xffff
	v_mov_b32_e32 v44, 0x8000
	v_cvt_f32_ubyte0_e32 v45, 0
	v_mov_b32_e32 v46, -1
	v_mov_b32_e32 v47, 0x5040100
	v_mov_b32_e32 v48, 0
	s_mov_b32 s87, 0
	s_mov_b32 s93, 0
	;; [unrolled: 1-line block ×3, first 2 shown]
	v_writelane_b32 v55, s48, 44
                                        ; implicit-def: $sgpr66_sgpr67
                                        ; implicit-def: $sgpr70_sgpr71
                                        ; implicit-def: $sgpr68_sgpr69
                                        ; implicit-def: $sgpr72_sgpr73
                                        ; implicit-def: $sgpr74_sgpr75
                                        ; implicit-def: $sgpr64_sgpr65
	v_writelane_b32 v55, s49, 45
	s_branch .LBB69_17
.LBB69_13:                              ;   in Loop: Header=BB69_17 Depth=1
	s_xor_b32 s87, s87, 1
	s_add_i32 s8, s86, -2
	s_cmp_eq_u32 s86, 0
	s_mov_b64 s[2:3], 0
	s_cselect_b64 s[6:7], -1, 0
	s_mov_b32 s86, s8
.LBB69_14:                              ;   in Loop: Header=BB69_17 Depth=1
	s_andn2_b64 s[8:9], s[20:21], exec
	s_and_b64 s[2:3], s[2:3], exec
	s_or_b64 s[20:21], s[8:9], s[2:3]
	s_andn2_b64 s[22:23], s[22:23], exec
	s_andn2_b64 s[18:19], s[18:19], exec
	s_orn2_b64 s[14:15], s[6:7], exec
.LBB69_15:                              ;   in Loop: Header=BB69_17 Depth=1
	s_or_b64 exec, exec, s[0:1]
	s_andn2_b64 s[0:1], s[64:65], exec
	s_and_b64 s[2:3], s[20:21], exec
	s_or_b64 s[64:65], s[0:1], s[2:3]
	s_andn2_b64 s[0:1], s[74:75], exec
	s_and_b64 s[2:3], s[22:23], exec
	s_or_b64 s[74:75], s[0:1], s[2:3]
	;; [unrolled: 3-line block ×3, first 2 shown]
	s_orn2_b64 s[18:19], s[14:15], exec
.LBB69_16:                              ;   in Loop: Header=BB69_17 Depth=1
	s_or_b64 exec, exec, s[12:13]
	s_and_b64 s[0:1], exec, s[18:19]
	s_or_b64 s[62:63], s[0:1], s[62:63]
	s_andn2_b64 s[0:1], s[68:69], exec
	s_and_b64 s[2:3], s[64:65], exec
	s_or_b64 s[68:69], s[0:1], s[2:3]
	s_andn2_b64 s[0:1], s[70:71], exec
	s_and_b64 s[2:3], s[74:75], exec
	;; [unrolled: 3-line block ×3, first 2 shown]
	v_mov_b32_e32 v2, s93
	s_or_b64 s[66:67], s[0:1], s[2:3]
	s_andn2_b64 exec, exec, s[62:63]
	s_cbranch_execz .LBB69_284
.LBB69_17:                              ; =>This Loop Header: Depth=1
                                        ;     Child Loop BB69_22 Depth 2
                                        ;     Child Loop BB69_41 Depth 2
	;; [unrolled: 1-line block ×16, first 2 shown]
	ds_read_b128 v[2:5], v13 offset:5120
	s_waitcnt lgkmcnt(0)
	v_readfirstlane_b32 s95, v3
	v_readfirstlane_b32 s94, v2
	v_cmp_gt_i64_e64 s[0:1], s[94:95], 0
	s_and_b64 vcc, exec, s[0:1]
	s_cbranch_vccnz .LBB69_48
; %bb.18:                               ;   in Loop: Header=BB69_17 Depth=1
	v_readlane_b32 s0, v55, 26
	v_readlane_b32 s1, v55, 27
	s_and_b64 vcc, exec, s[0:1]
	s_cbranch_vccz .LBB69_30
; %bb.19:                               ;   in Loop: Header=BB69_17 Depth=1
	s_mov_b64 s[0:1], 0x601
	v_cmp_gt_i64_e32 vcc, s[0:1], v[4:5]
	s_mov_b64 s[0:1], 0
	s_mov_b64 s[2:3], 0
	s_cbranch_vccz .LBB69_35
; %bb.20:                               ;   in Loop: Header=BB69_17 Depth=1
	global_load_ushort v6, v13, s[48:49]
	global_load_ushort v7, v[10:11], off
	v_pk_mov_b32 v[2:3], s[84:85], s[84:85] op_sel:[0,1]
	s_waitcnt vmcnt(1)
	v_readfirstlane_b32 s6, v6
	s_and_b32 s6, 0xffff, s6
	v_add_u32_e32 v5, s6, v0
	s_mul_i32 s8, s79, s6
	s_mul_hi_u32 s9, s78, s6
	s_mul_i32 s16, s78, s6
	v_mad_u64_u32 v[2:3], s[6:7], s78, v5, v[2:3]
	v_mov_b32_e32 v4, v3
	v_mad_u64_u32 v[4:5], s[6:7], s79, v5, v[4:5]
	s_add_i32 s17, s9, s8
	v_mov_b32_e32 v3, v4
	v_pk_mov_b32 v[4:5], v[0:1], v[0:1] op_sel:[0,1]
	s_branch .LBB69_22
.LBB69_21:                              ;   in Loop: Header=BB69_22 Depth=2
	s_or_b64 exec, exec, s[6:7]
	v_mov_b32_e32 v7, s17
	v_add_co_u32_e32 v2, vcc, s16, v2
	v_addc_co_u32_e32 v3, vcc, v3, v7, vcc
	v_mov_b32_e32 v7, v8
	s_andn2_b64 exec, exec, s[2:3]
	s_cbranch_execz .LBB69_31
.LBB69_22:                              ;   Parent Loop BB69_17 Depth=1
                                        ; =>  This Inner Loop Header: Depth=2
	v_add_co_u32_sdwa v4, vcc, v4, v6 dst_sel:DWORD dst_unused:UNUSED_PAD src0_sel:DWORD src1_sel:WORD_0
	v_addc_co_u32_e32 v5, vcc, 0, v5, vcc
	v_cmp_gt_i64_e64 s[6:7], s[52:53], v[4:5]
	v_cmp_le_i64_e32 vcc, s[52:53], v[4:5]
	s_waitcnt lgkmcnt(0)
	v_mov_b32_e32 v9, 0
	v_mov_b32_e32 v8, 0
	s_and_saveexec_b64 s[8:9], s[6:7]
	s_cbranch_execz .LBB69_24
; %bb.23:                               ;   in Loop: Header=BB69_22 Depth=2
	global_load_ushort v8, v[2:3], off
.LBB69_24:                              ;   in Loop: Header=BB69_22 Depth=2
	s_or_b64 exec, exec, s[8:9]
	s_waitcnt vmcnt(0)
	v_cmp_lt_i16_e64 s[6:7], -1, v7
	v_cndmask_b32_e64 v12, v43, v44, s[6:7]
	v_lshlrev_b32_e32 v26, 16, v7
	v_xor_b32_sdwa v12, v12, v7 dst_sel:DWORD dst_unused:UNUSED_PAD src0_sel:DWORD src1_sel:WORD_0
	v_cmp_o_f32_e64 s[6:7], v26, v26
	v_cndmask_b32_e64 v12, v43, v12, s[6:7]
	v_and_b32_e32 v12, s92, v12
	v_cmp_eq_u32_e64 s[10:11], s93, v12
	s_cmp_lg_u64 s[10:11], 0
	s_cselect_b64 s[6:7], -1, 0
	s_and_b64 s[6:7], s[4:5], s[6:7]
	s_and_saveexec_b64 s[8:9], s[6:7]
	s_cbranch_execz .LBB69_28
; %bb.25:                               ;   in Loop: Header=BB69_22 Depth=2
	s_mov_b64 s[14:15], exec
	v_mbcnt_lo_u32_b32 v9, s14, 0
	v_mbcnt_hi_u32_b32 v9, s15, v9
	s_bcnt1_i32_b64 s18, s[10:11]
	v_cmp_eq_u32_e64 s[6:7], 0, v9
                                        ; implicit-def: $vgpr12
	s_and_saveexec_b64 s[12:13], s[6:7]
	s_cbranch_execz .LBB69_27
; %bb.26:                               ;   in Loop: Header=BB69_22 Depth=2
	s_bcnt1_i32_b64 s6, s[14:15]
	s_mul_i32 s6, s18, s6
	v_mov_b32_e32 v12, s6
	ds_add_rtn_u32 v12, v13, v12 offset:5136
.LBB69_27:                              ;   in Loop: Header=BB69_22 Depth=2
	s_or_b64 exec, exec, s[12:13]
	s_waitcnt lgkmcnt(0)
	v_readfirstlane_b32 s6, v12
	v_mov_b32_e32 v12, s6
	v_mad_u32_u24 v9, s18, v9, v12
.LBB69_28:                              ;   in Loop: Header=BB69_22 Depth=2
	s_or_b64 exec, exec, s[8:9]
	ds_bpermute_b32 v9, v38, v9
	s_and_b64 s[6:7], exec, vcc
	s_or_b64 s[2:3], s[6:7], s[2:3]
	s_and_saveexec_b64 s[6:7], s[10:11]
	s_cbranch_execz .LBB69_21
; %bb.29:                               ;   in Loop: Header=BB69_22 Depth=2
	v_and_b32_e32 v26, s10, v16
	v_and_b32_e32 v12, s11, v17
	v_bcnt_u32_b32 v26, v26, 0
	v_bcnt_u32_b32 v12, v12, v26
	v_lshlrev_b32_e32 v12, 1, v12
	s_waitcnt lgkmcnt(0)
	v_lshl_add_u32 v9, v9, 1, v12
	ds_write_b16 v9, v7
	s_branch .LBB69_21
.LBB69_30:                              ;   in Loop: Header=BB69_17 Depth=1
	s_mov_b64 s[0:1], -1
	s_mov_b64 s[2:3], 0
	s_branch .LBB69_34
.LBB69_31:                              ;   in Loop: Header=BB69_17 Depth=1
	s_or_b64 exec, exec, s[2:3]
	s_waitcnt lgkmcnt(0)
	s_barrier
	s_mov_b64 s[2:3], exec
	v_readlane_b32 s6, v55, 12
	v_readlane_b32 s7, v55, 13
	s_and_b64 s[6:7], s[2:3], s[6:7]
	s_mov_b64 exec, s[6:7]
	s_cbranch_execz .LBB69_33
; %bb.32:                               ;   in Loop: Header=BB69_17 Depth=1
	ds_read_b32 v2, v13 offset:5136
	s_waitcnt lgkmcnt(0)
	v_ashrrev_i32_e32 v3, 31, v2
	ds_write_b64 v13, v[2:3] offset:5120
.LBB69_33:                              ;   in Loop: Header=BB69_17 Depth=1
	s_or_b64 exec, exec, s[2:3]
	s_waitcnt lgkmcnt(0)
	s_barrier
	s_mov_b64 s[2:3], -1
.LBB69_34:                              ;   in Loop: Header=BB69_17 Depth=1
                                        ; implicit-def: $sgpr94_sgpr95
.LBB69_35:                              ;   in Loop: Header=BB69_17 Depth=1
	s_and_b64 vcc, exec, s[0:1]
	s_cbranch_vccz .LBB69_46
; %bb.36:                               ;   in Loop: Header=BB69_17 Depth=1
	v_mov_b32_e32 v6, 0
	s_mov_b64 s[0:1], exec
	v_readlane_b32 s2, v55, 28
	v_readlane_b32 s3, v55, 29
	s_and_b64 s[2:3], s[0:1], s[2:3]
	s_mov_b64 exec, s[2:3]
	s_cbranch_execz .LBB69_38
; %bb.37:                               ;   in Loop: Header=BB69_17 Depth=1
	global_load_ushort v6, v[10:11], off
.LBB69_38:                              ;   in Loop: Header=BB69_17 Depth=1
	s_or_b64 exec, exec, s[0:1]
	s_mov_b64 s[0:1], exec
	v_readlane_b32 s2, v55, 28
	v_readlane_b32 s3, v55, 29
	s_and_b64 s[2:3], s[0:1], s[2:3]
	s_mov_b64 exec, s[2:3]
	s_cbranch_execz .LBB69_43
; %bb.39:                               ;   in Loop: Header=BB69_17 Depth=1
	global_load_ushort v7, v13, s[48:49]
	v_pk_mov_b32 v[2:3], s[84:85], s[84:85] op_sel:[0,1]
	s_mov_b64 s[2:3], 0
	v_mov_b32_e32 v8, v35
	s_waitcnt vmcnt(0)
	v_readfirstlane_b32 s6, v7
	s_and_b32 s6, 0xffff, s6
	v_add_u32_e32 v5, s6, v0
	s_lshl_b32 s10, s6, 1
	s_mul_i32 s8, s79, s6
	s_mul_hi_u32 s9, s78, s6
	s_mul_i32 s11, s78, s6
	v_mad_u64_u32 v[2:3], s[6:7], s78, v5, v[2:3]
	v_mov_b32_e32 v4, v3
	v_mad_u64_u32 v[4:5], s[6:7], s79, v5, v[4:5]
	s_add_i32 s12, s9, s8
	v_mov_b32_e32 v3, v4
	v_pk_mov_b32 v[4:5], v[0:1], v[0:1] op_sel:[0,1]
	s_branch .LBB69_41
.LBB69_40:                              ;   in Loop: Header=BB69_41 Depth=2
	s_or_b64 exec, exec, s[8:9]
	s_and_b64 s[6:7], exec, vcc
	ds_write_b16 v8, v6
	v_mov_b32_e32 v6, s12
	v_add_co_u32_e32 v2, vcc, s11, v2
	s_or_b64 s[2:3], s[6:7], s[2:3]
	v_add_u32_e32 v8, s10, v8
	v_addc_co_u32_e32 v3, vcc, v3, v6, vcc
	s_waitcnt vmcnt(0)
	v_mov_b32_e32 v6, v9
	s_andn2_b64 exec, exec, s[2:3]
	s_cbranch_execz .LBB69_43
.LBB69_41:                              ;   Parent Loop BB69_17 Depth=1
                                        ; =>  This Inner Loop Header: Depth=2
	v_add_co_u32_sdwa v4, vcc, v4, v7 dst_sel:DWORD dst_unused:UNUSED_PAD src0_sel:DWORD src1_sel:WORD_0
	v_addc_co_u32_e32 v5, vcc, 0, v5, vcc
	v_cmp_gt_i64_e64 s[6:7], s[52:53], v[4:5]
	v_cmp_le_i64_e32 vcc, s[52:53], v[4:5]
	v_mov_b32_e32 v9, 0
	s_and_saveexec_b64 s[8:9], s[6:7]
	s_cbranch_execz .LBB69_40
; %bb.42:                               ;   in Loop: Header=BB69_41 Depth=2
	global_load_ushort v9, v[2:3], off
	s_branch .LBB69_40
.LBB69_43:                              ;   in Loop: Header=BB69_17 Depth=1
	s_or_b64 exec, exec, s[0:1]
	s_waitcnt lgkmcnt(0)
	s_barrier
	s_mov_b64 s[0:1], exec
	v_readlane_b32 s2, v55, 12
	v_readlane_b32 s3, v55, 13
	s_and_b64 s[2:3], s[0:1], s[2:3]
	s_mov_b64 exec, s[2:3]
	s_cbranch_execz .LBB69_45
; %bb.44:                               ;   in Loop: Header=BB69_17 Depth=1
	v_pk_mov_b32 v[2:3], s[52:53], s[52:53] op_sel:[0,1]
	ds_write_b64 v13, v[2:3] offset:5120
.LBB69_45:                              ;   in Loop: Header=BB69_17 Depth=1
	s_or_b64 exec, exec, s[0:1]
	s_mov_b64 s[2:3], -1
	s_waitcnt lgkmcnt(0)
	s_barrier
                                        ; implicit-def: $sgpr94_sgpr95
.LBB69_46:                              ;   in Loop: Header=BB69_17 Depth=1
	s_and_b64 vcc, exec, s[2:3]
	s_cbranch_vccz .LBB69_48
; %bb.47:                               ;   in Loop: Header=BB69_17 Depth=1
	ds_read_b64 v[2:3], v13 offset:5120
	s_waitcnt lgkmcnt(0)
	v_readfirstlane_b32 s94, v2
.LBB69_48:                              ;   in Loop: Header=BB69_17 Depth=1
	s_cmp_lt_i32 s94, 1
	s_cbranch_scc0 .LBB69_63
; %bb.49:                               ;   in Loop: Header=BB69_17 Depth=1
	global_load_ushort v2, v13, s[48:49]
	s_mov_b32 s0, s83
	s_waitcnt vmcnt(0)
	v_readfirstlane_b32 s1, v2
	s_and_b32 s1, 0xffff, s1
	s_lshl_b32 s82, s1, 2
	s_mov_b32 s1, s53
	s_cmp_lg_u64 s[0:1], 0
	s_cbranch_scc0 .LBB69_83
; %bb.50:                               ;   in Loop: Header=BB69_17 Depth=1
	v_cvt_f32_u32_e32 v3, s82
	s_sub_u32 s0, 0, s82
	s_subb_u32 s1, 0, 0
	v_mac_f32_e32 v3, 0x4f800000, v45
	v_rcp_f32_e32 v3, v3
	v_mul_f32_e32 v3, 0x5f7ffffc, v3
	v_mul_f32_e32 v4, 0x2f800000, v3
	v_trunc_f32_e32 v4, v4
	v_mac_f32_e32 v3, 0xcf800000, v4
	v_cvt_u32_f32_e32 v4, v4
	v_cvt_u32_f32_e32 v3, v3
	v_readfirstlane_b32 s2, v4
	v_readfirstlane_b32 s3, v3
	s_mul_i32 s6, s0, s2
	s_mul_hi_u32 s8, s0, s3
	s_mul_i32 s7, s1, s3
	s_add_i32 s6, s8, s6
	s_mul_i32 s9, s0, s3
	s_add_i32 s6, s6, s7
	s_mul_hi_u32 s8, s3, s9
	s_mul_hi_u32 s7, s3, s6
	s_mul_i32 s3, s3, s6
	s_add_u32 s3, s8, s3
	s_addc_u32 s7, 0, s7
	s_mul_hi_u32 s10, s2, s9
	s_mul_i32 s9, s2, s9
	s_add_u32 s3, s3, s9
	s_mul_hi_u32 s8, s2, s6
	s_addc_u32 s3, s7, s10
	s_addc_u32 s7, s8, 0
	s_mul_i32 s6, s2, s6
	s_add_u32 s3, s3, s6
	s_addc_u32 s6, 0, s7
	v_add_co_u32_e32 v3, vcc, s3, v3
	s_cmp_lg_u64 vcc, 0
	s_addc_u32 s2, s2, s6
	v_readfirstlane_b32 s6, v3
	s_mul_i32 s3, s0, s2
	s_mul_hi_u32 s7, s0, s6
	s_add_i32 s3, s7, s3
	s_mul_i32 s1, s1, s6
	s_add_i32 s3, s3, s1
	s_mul_i32 s0, s0, s6
	s_mul_hi_u32 s7, s2, s0
	s_mul_i32 s8, s2, s0
	s_mul_i32 s10, s6, s3
	s_mul_hi_u32 s0, s6, s0
	s_mul_hi_u32 s9, s6, s3
	s_add_u32 s0, s0, s10
	s_addc_u32 s6, 0, s9
	s_add_u32 s0, s0, s8
	s_mul_hi_u32 s1, s2, s3
	s_addc_u32 s0, s6, s7
	s_addc_u32 s1, s1, 0
	s_mul_i32 s3, s2, s3
	s_add_u32 s0, s0, s3
	s_addc_u32 s1, 0, s1
	v_add_co_u32_e32 v3, vcc, s0, v3
	s_cmp_lg_u64 vcc, 0
	s_addc_u32 s6, s2, s1
	s_ashr_i32 s0, s53, 31
	s_add_u32 s2, s52, s0
	s_mov_b32 s1, s0
	s_addc_u32 s3, s53, s0
	s_xor_b64 s[2:3], s[2:3], s[0:1]
	v_readfirstlane_b32 s8, v3
	s_mul_i32 s7, s2, s6
	s_mul_hi_u32 s9, s2, s8
	s_mul_hi_u32 s1, s2, s6
	s_add_u32 s7, s9, s7
	s_addc_u32 s1, 0, s1
	s_mul_hi_u32 s10, s3, s8
	s_mul_i32 s8, s3, s8
	s_add_u32 s7, s7, s8
	s_mul_hi_u32 s9, s3, s6
	s_addc_u32 s1, s1, s10
	s_addc_u32 s7, s9, 0
	s_mul_i32 s6, s3, s6
	s_add_u32 s1, s1, s6
	s_addc_u32 s6, 0, s7
	s_mul_hi_u32 s7, s82, s1
	s_mul_i32 s1, s82, s1
	s_mul_i32 s6, s82, s6
	v_mov_b32_e32 v3, s1
	s_add_i32 s7, s7, s6
	v_sub_co_u32_e32 v3, vcc, s2, v3
	s_cmp_lg_u64 vcc, 0
	s_subb_u32 s1, s3, s7
	v_subrev_co_u32_e32 v4, vcc, s82, v3
	s_cmp_lg_u64 vcc, 0
	s_subb_u32 s2, s1, 0
	v_subrev_co_u32_e32 v5, vcc, s82, v4
	s_cmp_lg_u64 vcc, 0
	s_subb_u32 s3, s2, 0
	v_cmp_le_u32_e32 vcc, s82, v4
	s_cmp_eq_u32 s2, 0
	v_cndmask_b32_e64 v6, 0, -1, vcc
	s_cselect_b64 vcc, -1, 0
	v_cndmask_b32_e32 v6, -1, v6, vcc
	v_mov_b32_e32 v7, s2
	v_mov_b32_e32 v8, s3
	v_cmp_ne_u32_e32 vcc, 0, v6
	v_cndmask_b32_e32 v6, v7, v8, vcc
	v_cndmask_b32_e32 v4, v4, v5, vcc
	v_cmp_le_u32_e32 vcc, s82, v3
	s_cmp_eq_u32 s1, 0
	v_cndmask_b32_e64 v5, 0, -1, vcc
	s_cselect_b64 vcc, -1, 0
	v_cndmask_b32_e32 v5, -1, v5, vcc
	v_cmp_ne_u32_e32 vcc, 0, v5
	v_mov_b32_e32 v7, s1
	v_cndmask_b32_e32 v3, v3, v4, vcc
	v_cndmask_b32_e32 v5, v7, v6, vcc
	v_xor_b32_e32 v3, s0, v3
	v_xor_b32_e32 v4, s0, v5
	v_mov_b32_e32 v5, s0
	v_subrev_co_u32_e32 v26, vcc, s0, v3
	v_subb_co_u32_e32 v27, vcc, v4, v5, vcc
	s_cbranch_execnz .LBB69_52
.LBB69_51:                              ;   in Loop: Header=BB69_17 Depth=1
	v_cvt_f32_u32_e32 v3, s82
	s_sub_i32 s0, 0, s82
	v_rcp_iflag_f32_e32 v3, v3
	v_mul_f32_e32 v3, 0x4f7ffffe, v3
	v_cvt_u32_f32_e32 v3, v3
	v_mul_lo_u32 v4, s0, v3
	v_mul_hi_u32 v4, v3, v4
	v_add_u32_e32 v3, v3, v4
	v_mul_hi_u32 v3, s52, v3
	v_mul_lo_u32 v3, v3, s82
	v_sub_u32_e32 v3, s52, v3
	v_subrev_u32_e32 v4, s82, v3
	v_cmp_le_u32_e32 vcc, s82, v3
	v_cndmask_b32_e32 v3, v3, v4, vcc
	v_subrev_u32_e32 v4, s82, v3
	v_cmp_le_u32_e32 vcc, s82, v3
	v_cndmask_b32_e32 v12, v3, v4, vcc
	v_pk_mov_b32 v[26:27], v[12:13], v[12:13] op_sel:[0,1]
.LBB69_52:                              ;   in Loop: Header=BB69_17 Depth=1
	v_and_b32_e32 v12, 0xffff, v2
	v_mov_b32_e32 v2, s53
	v_sub_co_u32_e32 v28, vcc, s52, v26
	v_subb_co_u32_e32 v29, vcc, v2, v27, vcc
	v_pk_mov_b32 v[2:3], 0, 0
	v_cmp_gt_i64_e32 vcc, v[28:29], v[14:15]
	s_mov_b64 s[56:57], 0
	v_pk_mov_b32 v[4:5], v[2:3], v[2:3] op_sel:[0,1]
	v_pk_mov_b32 v[6:7], v[2:3], v[2:3] op_sel:[0,1]
	;; [unrolled: 1-line block ×3, first 2 shown]
	s_and_saveexec_b64 s[76:77], vcc
	s_cbranch_execz .LBB69_56
; %bb.53:                               ;   in Loop: Header=BB69_17 Depth=1
	v_readlane_b32 s0, v55, 40
	v_readlane_b32 s1, v55, 41
	v_mul_lo_u32 v2, s1, v12
	v_mul_hi_u32 v3, s0, v12
	s_and_b32 s90, s86, 0xfe
	v_add_u32_e32 v49, v3, v2
	v_mul_lo_u32 v50, s0, v12
	v_pk_mov_b32 v[30:31], s[84:85], s[84:85] op_sel:[0,1]
	s_mov_b64 s[0:1], 0
	s_mov_b64 s[8:9], 0
	;; [unrolled: 1-line block ×4, first 2 shown]
	v_pk_mov_b32 v[32:33], v[14:15], v[14:15] op_sel:[0,1]
.LBB69_54:                              ;   Parent Loop BB69_17 Depth=1
                                        ; =>  This Inner Loop Header: Depth=2
	v_add_co_u32_e32 v2, vcc, v30, v24
	v_addc_co_u32_e32 v3, vcc, v31, v25, vcc
	v_add_co_u32_e32 v4, vcc, v30, v22
	v_addc_co_u32_e32 v5, vcc, v31, v23, vcc
	;; [unrolled: 2-line block ×4, first 2 shown]
	global_load_ushort v2, v[2:3], off
	s_nop 0
	global_load_ushort v3, v[4:5], off
	s_nop 0
	global_load_ushort v4, v[6:7], off
	global_load_ushort v5, v[8:9], off
	v_add_co_u32_e32 v32, vcc, s82, v32
	v_addc_co_u32_e32 v33, vcc, 0, v33, vcc
	v_add_co_u32_e32 v30, vcc, v30, v50
	v_addc_co_u32_e32 v31, vcc, v31, v49, vcc
	v_cmp_ge_i64_e32 vcc, v[32:33], v[28:29]
	s_waitcnt vmcnt(3)
	v_cmp_lt_i16_e64 s[6:7], -1, v2
	v_cndmask_b32_e64 v51, v43, v44, s[6:7]
	s_waitcnt vmcnt(2)
	v_cmp_lt_i16_e64 s[6:7], -1, v3
	v_lshlrev_b32_e32 v6, 16, v2
	v_cndmask_b32_e64 v52, v43, v44, s[6:7]
	s_waitcnt vmcnt(1)
	v_cmp_lt_i16_e64 s[6:7], -1, v4
	v_lshlrev_b32_e32 v7, 16, v3
	v_cndmask_b32_e64 v53, v43, v44, s[6:7]
	s_waitcnt vmcnt(0)
	v_cmp_lt_i16_e64 s[6:7], -1, v5
	v_xor_b32_sdwa v2, v51, v2 dst_sel:DWORD dst_unused:UNUSED_PAD src0_sel:DWORD src1_sel:WORD_0
	v_cmp_o_f32_e64 s[14:15], v6, v6
	v_lshlrev_b32_e32 v8, 16, v4
	v_cndmask_b32_e64 v54, v43, v44, s[6:7]
	v_xor_b32_sdwa v3, v52, v3 dst_sel:DWORD dst_unused:UNUSED_PAD src0_sel:DWORD src1_sel:WORD_0
	v_cmp_o_f32_e64 s[6:7], v7, v7
	v_cndmask_b32_e64 v2, v43, v2, s[14:15]
	v_lshlrev_b32_e32 v9, 16, v5
	v_xor_b32_sdwa v4, v53, v4 dst_sel:DWORD dst_unused:UNUSED_PAD src0_sel:DWORD src1_sel:WORD_0
	v_cmp_o_f32_e64 s[10:11], v8, v8
	v_cndmask_b32_e64 v3, v43, v3, s[6:7]
	v_and_b32_e32 v6, s92, v2
	v_bfe_u32 v2, v2, s90, 2
	v_xor_b32_sdwa v5, v54, v5 dst_sel:DWORD dst_unused:UNUSED_PAD src0_sel:DWORD src1_sel:WORD_0
	v_cmp_o_f32_e64 s[12:13], v9, v9
	v_cndmask_b32_e64 v4, v43, v4, s[10:11]
	v_and_b32_e32 v7, s92, v3
	v_bfe_u32 v3, v3, s90, 2
	v_cmp_eq_u32_e64 s[16:17], s93, v6
	v_cmp_eq_u32_e64 s[6:7], 0, v2
	v_cndmask_b32_e64 v5, v43, v5, s[12:13]
	v_and_b32_e32 v8, s92, v4
	v_bfe_u32 v4, v4, s90, 2
	v_cmp_eq_u32_e64 s[14:15], s93, v7
	v_cmp_eq_u32_e64 s[28:29], 0, v3
	s_and_b64 s[6:7], s[16:17], s[6:7]
	v_and_b32_e32 v9, s92, v5
	v_bfe_u32 v5, v5, s90, 2
	v_cmp_eq_u32_e64 s[12:13], s93, v8
	v_cmp_eq_u32_e64 s[30:31], 0, v4
	;; [unrolled: 1-line block ×5, first 2 shown]
	v_cndmask_b32_e64 v2, 0, 1, s[6:7]
	s_and_b64 s[6:7], s[14:15], s[28:29]
	v_cmp_eq_u32_e64 s[10:11], s93, v9
	v_cmp_eq_u32_e64 s[34:35], 0, v5
	;; [unrolled: 1-line block ×5, first 2 shown]
	v_cndmask_b32_e64 v3, 0, 1, s[6:7]
	s_and_b64 s[6:7], s[12:13], s[30:31]
	v_cmp_eq_u32_e64 s[40:41], 1, v4
	v_cmp_eq_u32_e64 s[48:49], 2, v4
	;; [unrolled: 1-line block ×3, first 2 shown]
	v_cndmask_b32_e64 v4, 0, 1, s[6:7]
	s_and_b64 s[6:7], s[10:11], s[34:35]
	v_cmp_eq_u32_e64 s[42:43], 1, v5
	v_cmp_eq_u32_e64 s[50:51], 2, v5
	;; [unrolled: 1-line block ×3, first 2 shown]
	v_cndmask_b32_e64 v5, 0, 1, s[6:7]
	v_cmp_ne_u32_e64 s[6:7], 0, v2
	v_cmp_ne_u32_e64 s[28:29], 0, v3
	v_cmp_ne_u32_e64 s[30:31], 0, v4
	v_cmp_ne_u32_e64 s[34:35], 0, v5
	s_bcnt1_i32_b64 s6, s[6:7]
	s_bcnt1_i32_b64 s7, s[28:29]
	s_bcnt1_i32_b64 s28, s[30:31]
	s_bcnt1_i32_b64 s29, s[34:35]
	s_add_u32 s2, s6, s2
	s_addc_u32 s3, 0, s3
	s_add_u32 s2, s2, s7
	s_addc_u32 s3, s3, 0
	s_add_u32 s2, s2, s28
	s_addc_u32 s3, s3, 0
	s_add_u32 s2, s2, s29
	s_addc_u32 s3, s3, 0
	s_and_b64 s[6:7], s[16:17], s[36:37]
	v_cndmask_b32_e64 v4, 0, 1, s[6:7]
	s_and_b64 s[6:7], s[14:15], s[38:39]
	v_cndmask_b32_e64 v5, 0, 1, s[6:7]
	s_and_b64 s[6:7], s[12:13], s[40:41]
	v_cndmask_b32_e64 v6, 0, 1, s[6:7]
	s_and_b64 s[6:7], s[10:11], s[42:43]
	v_cndmask_b32_e64 v7, 0, 1, s[6:7]
	v_cmp_ne_u32_e64 s[6:7], 0, v4
	v_cmp_ne_u32_e64 s[28:29], 0, v5
	v_cmp_ne_u32_e64 s[30:31], 0, v6
	v_cmp_ne_u32_e64 s[34:35], 0, v7
	s_bcnt1_i32_b64 s6, s[6:7]
	s_bcnt1_i32_b64 s7, s[28:29]
	s_bcnt1_i32_b64 s28, s[30:31]
	s_bcnt1_i32_b64 s29, s[34:35]
	s_add_u32 s6, s6, s88
	s_addc_u32 s30, 0, s89
	s_add_u32 s6, s6, s7
	s_addc_u32 s7, s30, 0
	s_add_u32 s6, s6, s28
	s_addc_u32 s7, s7, 0
	s_add_u32 s88, s6, s29
	s_addc_u32 s89, s7, 0
	s_and_b64 s[6:7], s[16:17], s[44:45]
	v_cndmask_b32_e64 v6, 0, 1, s[6:7]
	s_and_b64 s[6:7], s[14:15], s[46:47]
	v_cndmask_b32_e64 v7, 0, 1, s[6:7]
	s_and_b64 s[6:7], s[12:13], s[48:49]
	v_cndmask_b32_e64 v8, 0, 1, s[6:7]
	s_and_b64 s[6:7], s[10:11], s[50:51]
	;; [unrolled: 24-line block ×3, first 2 shown]
	v_cndmask_b32_e64 v52, 0, 1, s[6:7]
	v_cmp_ne_u32_e64 s[6:7], 0, v8
	v_cmp_ne_u32_e64 s[10:11], 0, v9
	;; [unrolled: 1-line block ×4, first 2 shown]
	s_bcnt1_i32_b64 s6, s[6:7]
	s_bcnt1_i32_b64 s7, s[10:11]
	s_bcnt1_i32_b64 s10, s[12:13]
	s_bcnt1_i32_b64 s11, s[14:15]
	s_add_u32 s0, s6, s0
	s_addc_u32 s1, 0, s1
	s_add_u32 s0, s0, s7
	s_addc_u32 s1, s1, 0
	;; [unrolled: 2-line block ×4, first 2 shown]
	v_pk_mov_b32 v[2:3], s[2:3], s[2:3] op_sel:[0,1]
	v_pk_mov_b32 v[4:5], s[88:89], s[88:89] op_sel:[0,1]
	;; [unrolled: 1-line block ×3, first 2 shown]
	s_or_b64 s[56:57], vcc, s[56:57]
	v_pk_mov_b32 v[8:9], s[0:1], s[0:1] op_sel:[0,1]
	s_andn2_b64 exec, exec, s[56:57]
	s_cbranch_execnz .LBB69_54
; %bb.55:                               ;   in Loop: Header=BB69_17 Depth=1
	s_or_b64 exec, exec, s[56:57]
	v_readlane_b32 s46, v55, 42
	v_readlane_b32 s48, v55, 44
	v_readlane_b32 s47, v55, 43
	v_readlane_b32 s49, v55, 45
.LBB69_56:                              ;   in Loop: Header=BB69_17 Depth=1
	s_or_b64 exec, exec, s[76:77]
	v_add_co_u32_e32 v28, vcc, v28, v0
	v_addc_co_u32_e32 v29, vcc, 0, v29, vcc
	v_cmp_gt_i64_e32 vcc, s[52:53], v[28:29]
	v_mov_b32_e32 v32, 0
	s_and_saveexec_b64 s[0:1], vcc
	s_cbranch_execz .LBB69_58
; %bb.57:                               ;   in Loop: Header=BB69_17 Depth=1
	v_mul_lo_u32 v32, v29, s58
	v_mul_lo_u32 v33, v28, s59
	v_mad_u64_u32 v[30:31], s[2:3], v28, s58, 0
	v_add3_u32 v31, v31, v33, v32
	v_lshlrev_b64 v[30:31], 1, v[30:31]
	v_mov_b32_e32 v32, s85
	v_add_co_u32_e64 v30, s[6:7], s84, v30
	v_addc_co_u32_e64 v31, s[6:7], v32, v31, s[6:7]
	global_load_ushort v32, v[30:31], off
.LBB69_58:                              ;   in Loop: Header=BB69_17 Depth=1
	s_or_b64 exec, exec, s[0:1]
	s_and_saveexec_b64 s[0:1], vcc
	s_cbranch_execz .LBB69_65
; %bb.59:                               ;   in Loop: Header=BB69_17 Depth=1
	v_add_co_u32_e32 v30, vcc, v40, v12
	v_addc_co_u32_e32 v31, vcc, 0, v41, vcc
	v_sub_co_u32_e32 v30, vcc, v30, v26
	v_subb_co_u32_e32 v26, vcc, v31, v27, vcc
	v_mul_lo_u32 v31, s78, v26
	v_pk_mov_b32 v[26:27], s[84:85], s[84:85] op_sel:[0,1]
	v_mul_lo_u32 v33, s79, v30
	v_mad_u64_u32 v[26:27], s[2:3], s78, v30, v[26:27]
	v_add3_u32 v27, v33, v27, v31
	v_mul_lo_u32 v30, s79, v12
	v_mul_hi_u32 v31, s78, v12
	s_and_b32 s10, s86, 0xfe
	v_add_u32_e32 v30, v31, v30
	v_mul_lo_u32 v31, s78, v12
	s_mov_b64 s[2:3], 0
	s_branch .LBB69_61
.LBB69_60:                              ;   in Loop: Header=BB69_61 Depth=2
	s_or_b64 exec, exec, s[8:9]
	s_and_b64 s[6:7], exec, vcc
	s_waitcnt vmcnt(0)
	v_cmp_lt_i16_e32 vcc, -1, v32
	v_cndmask_b32_e32 v49, v43, v44, vcc
	v_lshlrev_b32_e32 v50, 16, v32
	v_xor_b32_sdwa v32, v49, v32 dst_sel:DWORD dst_unused:UNUSED_PAD src0_sel:DWORD src1_sel:WORD_0
	v_cmp_o_f32_e32 vcc, v50, v50
	v_cndmask_b32_e32 v32, v43, v32, vcc
	v_and_b32_e32 v49, s92, v32
	v_bfe_u32 v32, v32, s10, 2
	s_or_b64 s[2:3], s[6:7], s[2:3]
	v_cmp_eq_u32_e32 vcc, s93, v49
	v_cmp_eq_u32_e64 s[6:7], 0, v32
	s_and_b64 s[6:7], vcc, s[6:7]
	v_cndmask_b32_e64 v49, 0, 1, s[6:7]
	v_cmp_ne_u32_e64 s[6:7], 0, v49
	s_bcnt1_i32_b64 s6, s[6:7]
	v_add_co_u32_e64 v2, s[6:7], s6, v2
	v_addc_co_u32_e64 v3, s[6:7], 0, v3, s[6:7]
	v_cmp_eq_u32_e64 s[6:7], 1, v32
	s_and_b64 s[6:7], vcc, s[6:7]
	v_cndmask_b32_e64 v49, 0, 1, s[6:7]
	v_cmp_ne_u32_e64 s[6:7], 0, v49
	s_bcnt1_i32_b64 s6, s[6:7]
	v_add_co_u32_e64 v4, s[6:7], s6, v4
	v_addc_co_u32_e64 v5, s[6:7], 0, v5, s[6:7]
	;; [unrolled: 7-line block ×3, first 2 shown]
	v_cmp_eq_u32_e64 s[6:7], 3, v32
	s_and_b64 s[6:7], vcc, s[6:7]
	v_cndmask_b32_e64 v32, 0, 1, s[6:7]
	v_cmp_ne_u32_e32 vcc, 0, v32
	s_bcnt1_i32_b64 s6, vcc
	v_add_co_u32_e32 v8, vcc, s6, v8
	v_addc_co_u32_e32 v9, vcc, 0, v9, vcc
	v_add_co_u32_e32 v26, vcc, v26, v31
	v_addc_co_u32_e32 v27, vcc, v27, v30, vcc
	v_mov_b32_e32 v32, v33
	s_andn2_b64 exec, exec, s[2:3]
	s_cbranch_execz .LBB69_64
.LBB69_61:                              ;   Parent Loop BB69_17 Depth=1
                                        ; =>  This Inner Loop Header: Depth=2
	v_add_co_u32_e32 v28, vcc, v28, v12
	v_addc_co_u32_e32 v29, vcc, 0, v29, vcc
	v_cmp_gt_i64_e64 s[6:7], s[52:53], v[28:29]
	v_cmp_le_i64_e32 vcc, s[52:53], v[28:29]
	v_mov_b32_e32 v33, 0
	s_and_saveexec_b64 s[8:9], s[6:7]
	s_cbranch_execz .LBB69_60
; %bb.62:                               ;   in Loop: Header=BB69_61 Depth=2
	global_load_ushort v33, v[26:27], off
	s_branch .LBB69_60
.LBB69_63:                              ;   in Loop: Header=BB69_17 Depth=1
                                        ; implicit-def: $vgpr8_vgpr9
                                        ; implicit-def: $vgpr4_vgpr5
	s_cbranch_execnz .LBB69_66
	s_branch .LBB69_75
.LBB69_64:                              ;   in Loop: Header=BB69_17 Depth=1
	s_or_b64 exec, exec, s[2:3]
.LBB69_65:                              ;   in Loop: Header=BB69_17 Depth=1
	s_or_b64 exec, exec, s[0:1]
	s_branch .LBB69_75
.LBB69_66:                              ;   in Loop: Header=BB69_17 Depth=1
	global_load_ushort v8, v13, s[48:49]
	s_mov_b64 s[56:57], 0
	s_waitcnt vmcnt(0)
	v_readfirstlane_b32 s0, v8
	s_and_b32 s0, 0xffff, s0
	s_lshl_b32 s90, s0, 2
	v_cvt_f32_u32_e32 v2, s90
	s_sub_i32 s0, 0, s90
	v_and_b32_e32 v28, 0xffff, v8
	v_rcp_iflag_f32_e32 v6, v2
	v_pk_mov_b32 v[2:3], 0, 0
	v_pk_mov_b32 v[4:5], v[2:3], v[2:3] op_sel:[0,1]
	v_mul_f32_e32 v6, 0x4f7ffffe, v6
	v_cvt_u32_f32_e32 v9, v6
	v_pk_mov_b32 v[6:7], v[2:3], v[2:3] op_sel:[0,1]
	v_readfirstlane_b32 s1, v9
	s_mul_i32 s0, s0, s1
	s_mul_hi_u32 s0, s1, s0
	s_add_i32 s1, s1, s0
	s_mul_hi_u32 s0, s94, s1
	s_mul_i32 s0, s0, s90
	s_sub_i32 s0, s94, s0
	s_sub_i32 s1, s0, s90
	s_cmp_ge_u32 s0, s90
	s_cselect_b32 s0, s1, s0
	s_sub_i32 s1, s0, s90
	s_cmp_ge_u32 s0, s90
	s_cselect_b32 s0, s1, s0
	s_sub_i32 s82, s94, s0
	v_cmp_gt_u32_e32 vcc, s82, v14
	v_pk_mov_b32 v[8:9], v[2:3], v[2:3] op_sel:[0,1]
	s_and_saveexec_b64 s[0:1], vcc
	s_cbranch_execz .LBB69_70
; %bb.67:                               ;   in Loop: Header=BB69_17 Depth=1
	s_and_b32 s95, s86, 0xfe
	v_lshlrev_b32_e32 v12, 3, v28
	v_mov_b32_e32 v29, v39
	s_mov_b64 s[2:3], 0
	s_mov_b64 s[8:9], 0
	s_mov_b64 s[76:77], 0
	s_mov_b64 s[88:89], 0
	v_pk_mov_b32 v[26:27], v[14:15], v[14:15] op_sel:[0,1]
.LBB69_68:                              ;   Parent Loop BB69_17 Depth=1
                                        ; =>  This Inner Loop Header: Depth=2
	ds_read_b64 v[2:3], v29
	v_add_co_u32_e32 v26, vcc, s90, v26
	v_addc_co_u32_e32 v27, vcc, 0, v27, vcc
	s_waitcnt lgkmcnt(0)
	v_cmp_lt_i16_e64 s[6:7], -1, v2
	v_cndmask_b32_e64 v8, v43, v44, s[6:7]
	v_cmp_gt_i16_sdwa s[6:7], v2, v46 src0_sel:WORD_1 src1_sel:DWORD
	v_lshlrev_b32_e32 v4, 16, v2
	v_cndmask_b32_e64 v9, v43, v44, s[6:7]
	v_cmp_lt_i16_e64 s[6:7], -1, v3
	v_and_b32_e32 v5, 0xffff0000, v2
	v_cndmask_b32_e64 v30, v43, v44, s[6:7]
	v_cmp_gt_i16_sdwa s[6:7], v3, v46 src0_sel:WORD_1 src1_sel:DWORD
	v_xor_b32_sdwa v9, v9, v2 dst_sel:DWORD dst_unused:UNUSED_PAD src0_sel:DWORD src1_sel:WORD_1
	v_xor_b32_sdwa v2, v8, v2 dst_sel:DWORD dst_unused:UNUSED_PAD src0_sel:DWORD src1_sel:WORD_0
	v_cmp_o_f32_e64 s[14:15], v4, v4
	v_lshlrev_b32_e32 v6, 16, v3
	v_cndmask_b32_e64 v31, v43, v44, s[6:7]
	v_cmp_o_f32_e64 s[6:7], v5, v5
	v_cndmask_b32_e64 v2, v43, v2, s[14:15]
	v_and_b32_e32 v7, 0xffff0000, v3
	v_xor_b32_sdwa v5, v30, v3 dst_sel:DWORD dst_unused:UNUSED_PAD src0_sel:DWORD src1_sel:WORD_0
	v_cmp_o_f32_e64 s[10:11], v6, v6
	v_cndmask_b32_e64 v4, v43, v9, s[6:7]
	v_and_b32_e32 v6, s92, v2
	v_bfe_u32 v2, v2, s95, 2
	v_xor_b32_sdwa v3, v31, v3 dst_sel:DWORD dst_unused:UNUSED_PAD src0_sel:DWORD src1_sel:WORD_1
	v_cmp_o_f32_e64 s[12:13], v7, v7
	v_cndmask_b32_e64 v5, v43, v5, s[10:11]
	v_and_b32_e32 v7, s92, v4
	v_bfe_u32 v4, v4, s95, 2
	v_cmp_eq_u32_e64 s[16:17], s93, v6
	v_cmp_eq_u32_e64 s[6:7], 0, v2
	v_cndmask_b32_e64 v3, v43, v3, s[12:13]
	v_and_b32_e32 v8, s92, v5
	v_bfe_u32 v5, v5, s95, 2
	v_cmp_eq_u32_e64 s[14:15], s93, v7
	v_cmp_eq_u32_e64 s[28:29], 0, v4
	s_and_b64 s[6:7], s[16:17], s[6:7]
	v_and_b32_e32 v9, s92, v3
	v_bfe_u32 v3, v3, s95, 2
	v_cmp_eq_u32_e64 s[12:13], s93, v8
	v_cmp_eq_u32_e64 s[30:31], 0, v5
	v_cmp_eq_u32_e64 s[36:37], 1, v2
	v_cmp_eq_u32_e64 s[44:45], 2, v2
	v_cmp_eq_u32_e64 s[24:25], 3, v2
	v_cndmask_b32_e64 v2, 0, 1, s[6:7]
	s_and_b64 s[6:7], s[14:15], s[28:29]
	v_cmp_eq_u32_e64 s[10:11], s93, v9
	v_cmp_eq_u32_e64 s[34:35], 0, v3
	;; [unrolled: 1-line block ×5, first 2 shown]
	v_cndmask_b32_e64 v3, 0, 1, s[6:7]
	s_and_b64 s[6:7], s[12:13], s[30:31]
	v_cmp_eq_u32_e64 s[38:39], 1, v4
	v_cmp_eq_u32_e64 s[46:47], 2, v4
	;; [unrolled: 1-line block ×3, first 2 shown]
	v_cndmask_b32_e64 v4, 0, 1, s[6:7]
	s_and_b64 s[6:7], s[10:11], s[34:35]
	v_cmp_eq_u32_e64 s[40:41], 1, v5
	v_cmp_eq_u32_e64 s[48:49], 2, v5
	;; [unrolled: 1-line block ×3, first 2 shown]
	v_cndmask_b32_e64 v5, 0, 1, s[6:7]
	v_cmp_ne_u32_e64 s[6:7], 0, v2
	v_cmp_ne_u32_e64 s[28:29], 0, v3
	v_cmp_ne_u32_e64 s[30:31], 0, v4
	v_cmp_ne_u32_e64 s[34:35], 0, v5
	s_bcnt1_i32_b64 s6, s[6:7]
	s_bcnt1_i32_b64 s7, s[28:29]
	s_bcnt1_i32_b64 s28, s[30:31]
	s_bcnt1_i32_b64 s29, s[34:35]
	s_add_u32 s6, s6, s88
	s_addc_u32 s30, 0, s89
	s_add_u32 s6, s6, s7
	s_addc_u32 s7, s30, 0
	s_add_u32 s6, s6, s28
	s_addc_u32 s7, s7, 0
	s_add_u32 s88, s6, s29
	s_addc_u32 s89, s7, 0
	s_and_b64 s[6:7], s[16:17], s[36:37]
	v_cndmask_b32_e64 v4, 0, 1, s[6:7]
	s_and_b64 s[6:7], s[14:15], s[38:39]
	v_cndmask_b32_e64 v5, 0, 1, s[6:7]
	s_and_b64 s[6:7], s[12:13], s[40:41]
	v_cndmask_b32_e64 v6, 0, 1, s[6:7]
	s_and_b64 s[6:7], s[10:11], s[42:43]
	v_cndmask_b32_e64 v7, 0, 1, s[6:7]
	v_cmp_ne_u32_e64 s[6:7], 0, v4
	v_cmp_ne_u32_e64 s[28:29], 0, v5
	v_cmp_ne_u32_e64 s[30:31], 0, v6
	v_cmp_ne_u32_e64 s[34:35], 0, v7
	s_bcnt1_i32_b64 s6, s[6:7]
	s_bcnt1_i32_b64 s7, s[28:29]
	s_bcnt1_i32_b64 s28, s[30:31]
	s_bcnt1_i32_b64 s29, s[34:35]
	s_add_u32 s6, s6, s76
	s_addc_u32 s30, 0, s77
	s_add_u32 s6, s6, s7
	s_addc_u32 s7, s30, 0
	s_add_u32 s6, s6, s28
	s_addc_u32 s7, s7, 0
	s_add_u32 s76, s6, s29
	s_addc_u32 s77, s7, 0
	s_and_b64 s[6:7], s[16:17], s[44:45]
	v_cndmask_b32_e64 v6, 0, 1, s[6:7]
	s_and_b64 s[6:7], s[14:15], s[46:47]
	v_cndmask_b32_e64 v7, 0, 1, s[6:7]
	s_and_b64 s[6:7], s[12:13], s[48:49]
	v_cndmask_b32_e64 v8, 0, 1, s[6:7]
	s_and_b64 s[6:7], s[10:11], s[50:51]
	;; [unrolled: 24-line block ×3, first 2 shown]
	v_cndmask_b32_e64 v31, 0, 1, s[6:7]
	v_cmp_ne_u32_e64 s[6:7], 0, v8
	v_cmp_ne_u32_e64 s[10:11], 0, v9
	;; [unrolled: 1-line block ×4, first 2 shown]
	s_bcnt1_i32_b64 s6, s[6:7]
	s_bcnt1_i32_b64 s7, s[10:11]
	;; [unrolled: 1-line block ×4, first 2 shown]
	s_add_u32 s2, s6, s2
	s_addc_u32 s3, 0, s3
	s_add_u32 s2, s2, s7
	s_addc_u32 s3, s3, 0
	;; [unrolled: 2-line block ×3, first 2 shown]
	s_add_u32 s2, s2, s11
	v_cmp_le_u64_e32 vcc, s[82:83], v[26:27]
	s_addc_u32 s3, s3, 0
	v_add_u32_e32 v29, v29, v12
	v_pk_mov_b32 v[2:3], s[88:89], s[88:89] op_sel:[0,1]
	v_pk_mov_b32 v[4:5], s[76:77], s[76:77] op_sel:[0,1]
	;; [unrolled: 1-line block ×3, first 2 shown]
	s_or_b64 s[56:57], vcc, s[56:57]
	v_pk_mov_b32 v[8:9], s[2:3], s[2:3] op_sel:[0,1]
	s_andn2_b64 exec, exec, s[56:57]
	s_cbranch_execnz .LBB69_68
; %bb.69:                               ;   in Loop: Header=BB69_17 Depth=1
	s_or_b64 exec, exec, s[56:57]
	v_readlane_b32 s46, v55, 42
	v_readlane_b32 s48, v55, 44
	;; [unrolled: 1-line block ×4, first 2 shown]
.LBB69_70:                              ;   in Loop: Header=BB69_17 Depth=1
	s_or_b64 exec, exec, s[0:1]
	v_add_u32_e32 v12, s82, v0
	v_cmp_gt_u32_e32 vcc, s94, v12
	s_and_saveexec_b64 s[0:1], vcc
	s_cbranch_execz .LBB69_74
; %bb.71:                               ;   in Loop: Header=BB69_17 Depth=1
	s_and_b32 s82, s94, 0x7fffffff
	s_and_b32 s8, s86, 0xfe
	v_lshlrev_b32_e32 v29, 1, v12
	v_lshlrev_b32_e32 v30, 1, v28
	s_mov_b64 s[2:3], 0
	v_pk_mov_b32 v[26:27], v[12:13], v[12:13] op_sel:[0,1]
.LBB69_72:                              ;   Parent Loop BB69_17 Depth=1
                                        ; =>  This Inner Loop Header: Depth=2
	ds_read_u16 v12, v29
	v_add_co_u32_e32 v26, vcc, v26, v28
	v_addc_co_u32_e32 v27, vcc, 0, v27, vcc
	s_waitcnt lgkmcnt(0)
	v_cmp_lt_i16_e64 s[6:7], -1, v12
	v_lshlrev_b32_e32 v31, 16, v12
	v_cndmask_b32_e64 v32, v43, v44, s[6:7]
	v_xor_b32_sdwa v12, v32, v12 dst_sel:DWORD dst_unused:UNUSED_PAD src0_sel:DWORD src1_sel:WORD_0
	v_cmp_o_f32_e64 s[6:7], v31, v31
	v_cndmask_b32_e64 v12, v43, v12, s[6:7]
	v_and_b32_e32 v31, s92, v12
	v_bfe_u32 v12, v12, s8, 2
	v_cmp_eq_u32_e64 s[6:7], s93, v31
	v_cmp_eq_u32_e64 s[10:11], 0, v12
	;; [unrolled: 1-line block ×3, first 2 shown]
	s_and_b64 s[10:11], s[6:7], s[10:11]
	v_cmp_eq_u32_e64 s[14:15], 2, v12
	v_cmp_eq_u32_e64 s[16:17], 3, v12
	v_cndmask_b32_e64 v12, 0, 1, s[10:11]
	s_and_b64 s[10:11], s[6:7], s[12:13]
	v_cndmask_b32_e64 v31, 0, 1, s[10:11]
	s_and_b64 s[10:11], s[6:7], s[14:15]
	s_and_b64 s[6:7], s[6:7], s[16:17]
	v_cndmask_b32_e64 v32, 0, 1, s[10:11]
	v_cndmask_b32_e64 v33, 0, 1, s[6:7]
	v_cmp_ne_u32_e64 s[6:7], 0, v12
	v_cmp_ne_u32_e64 s[10:11], 0, v31
	;; [unrolled: 1-line block ×4, first 2 shown]
	v_cmp_le_u64_e32 vcc, s[82:83], v[26:27]
	s_bcnt1_i32_b64 s6, s[6:7]
	s_bcnt1_i32_b64 s7, s[10:11]
	;; [unrolled: 1-line block ×4, first 2 shown]
	s_or_b64 s[2:3], vcc, s[2:3]
	v_add_co_u32_e32 v2, vcc, s6, v2
	v_addc_co_u32_e32 v3, vcc, 0, v3, vcc
	v_add_co_u32_e32 v4, vcc, s7, v4
	v_addc_co_u32_e32 v5, vcc, 0, v5, vcc
	;; [unrolled: 2-line block ×3, first 2 shown]
	v_add_co_u32_e32 v8, vcc, s10, v8
	v_add_u32_e32 v29, v29, v30
	v_addc_co_u32_e32 v9, vcc, 0, v9, vcc
	s_andn2_b64 exec, exec, s[2:3]
	s_cbranch_execnz .LBB69_72
; %bb.73:                               ;   in Loop: Header=BB69_17 Depth=1
	s_or_b64 exec, exec, s[2:3]
.LBB69_74:                              ;   in Loop: Header=BB69_17 Depth=1
	s_or_b64 exec, exec, s[0:1]
.LBB69_75:                              ;   in Loop: Header=BB69_17 Depth=1
	s_lshl_b32 s2, s87, 6
	s_and_saveexec_b64 s[0:1], s[4:5]
	s_cbranch_execz .LBB69_77
; %bb.76:                               ;   in Loop: Header=BB69_17 Depth=1
	v_or_b32_e32 v12, s2, v37
	v_lshlrev_b32_e32 v12, 3, v12
	ds_write_b128 v12, v[2:5] offset:3072
	s_waitcnt vmcnt(0)
	ds_write_b128 v12, v[6:9] offset:3088
.LBB69_77:                              ;   in Loop: Header=BB69_17 Depth=1
	s_or_b64 exec, exec, s[0:1]
	s_waitcnt lgkmcnt(0)
	s_barrier
	s_and_saveexec_b64 s[0:1], s[46:47]
	s_cbranch_execz .LBB69_89
; %bb.78:                               ;   in Loop: Header=BB69_17 Depth=1
	v_readlane_b32 s6, v55, 30
	v_readlane_b32 s7, v55, 31
	s_andn2_b64 vcc, exec, s[6:7]
	v_pk_mov_b32 v[2:3], 0, 0
	s_cbranch_vccnz .LBB69_88
; %bb.79:                               ;   in Loop: Header=BB69_17 Depth=1
	v_readlane_b32 s6, v55, 35
	v_readlane_b32 s7, v55, 36
	s_andn2_b64 vcc, exec, s[6:7]
	s_cbranch_vccnz .LBB69_84
; %bb.80:                               ;   in Loop: Header=BB69_17 Depth=1
	v_lshl_add_u32 v4, s87, 9, v42
	s_mov_b32 s3, 0
	v_pk_mov_b32 v[2:3], 0, 0
.LBB69_81:                              ;   Parent Loop BB69_17 Depth=1
                                        ; =>  This Inner Loop Header: Depth=2
	s_waitcnt vmcnt(0)
	ds_read2_b64 v[6:9], v4 offset1:4
	ds_read2_b64 v[26:29], v4 offset0:8 offset1:12
	ds_read2_b64 v[30:33], v4 offset0:16 offset1:20
	;; [unrolled: 1-line block ×3, first 2 shown]
	s_add_i32 s3, s3, 8
	s_waitcnt lgkmcnt(3)
	v_add_co_u32_e32 v2, vcc, v6, v2
	v_addc_co_u32_e32 v3, vcc, v7, v3, vcc
	v_add_co_u32_e32 v2, vcc, v8, v2
	v_addc_co_u32_e32 v3, vcc, v9, v3, vcc
	s_waitcnt lgkmcnt(2)
	v_add_co_u32_e32 v2, vcc, v26, v2
	v_addc_co_u32_e32 v3, vcc, v27, v3, vcc
	v_add_co_u32_e32 v2, vcc, v28, v2
	v_addc_co_u32_e32 v3, vcc, v29, v3, vcc
	;; [unrolled: 5-line block ×3, first 2 shown]
	s_waitcnt lgkmcnt(0)
	v_add_co_u32_e32 v2, vcc, v50, v2
	v_addc_co_u32_e32 v3, vcc, v51, v3, vcc
	v_add_co_u32_e32 v2, vcc, v52, v2
	v_add_u32_e32 v4, 0x100, v4
	s_cmp_eq_u32 s60, s3
	v_addc_co_u32_e32 v3, vcc, v53, v3, vcc
	s_cbranch_scc0 .LBB69_81
; %bb.82:                               ;   in Loop: Header=BB69_17 Depth=1
	s_mov_b32 s3, s60
	s_branch .LBB69_85
.LBB69_83:                              ;   in Loop: Header=BB69_17 Depth=1
                                        ; implicit-def: $vgpr26_vgpr27
	s_branch .LBB69_51
.LBB69_84:                              ;   in Loop: Header=BB69_17 Depth=1
	s_mov_b32 s3, 0
	v_pk_mov_b32 v[2:3], 0, 0
.LBB69_85:                              ;   in Loop: Header=BB69_17 Depth=1
	v_readlane_b32 s6, v55, 38
	v_readlane_b32 s7, v55, 39
	s_andn2_b64 vcc, exec, s[6:7]
	s_cbranch_vccnz .LBB69_88
; %bb.86:                               ;   in Loop: Header=BB69_17 Depth=1
	s_lshl_b32 s6, s87, 9
	s_lshl_b32 s3, s3, 5
	s_add_i32 s6, s6, s3
	v_add_u32_e32 v4, s6, v42
	v_readlane_b32 s3, v55, 37
.LBB69_87:                              ;   Parent Loop BB69_17 Depth=1
                                        ; =>  This Inner Loop Header: Depth=2
	s_waitcnt vmcnt(0)
	ds_read_b64 v[6:7], v4
	s_add_i32 s3, s3, -1
	v_add_u32_e32 v4, 32, v4
	s_cmp_lg_u32 s3, 0
	s_waitcnt lgkmcnt(0)
	v_add_co_u32_e32 v2, vcc, v6, v2
	v_addc_co_u32_e32 v3, vcc, v7, v3, vcc
	s_cbranch_scc1 .LBB69_87
.LBB69_88:                              ;   in Loop: Header=BB69_17 Depth=1
	v_add_lshl_u32 v4, s2, v34, 3
	ds_write_b64 v4, v[2:3] offset:3072
.LBB69_89:                              ;   in Loop: Header=BB69_17 Depth=1
	s_or_b64 exec, exec, s[0:1]
	s_lshl_b32 s0, s2, 3
	s_waitcnt vmcnt(0)
	v_mov_b32_e32 v6, s0
	s_waitcnt lgkmcnt(0)
	s_barrier
	ds_read_b128 v[2:5], v6 offset:3072
	ds_read_b128 v[6:9], v6 offset:3088
	s_and_b32 s40, s86, 0xfe
	s_lshl_b32 s44, 3, s40
	s_not_b32 s41, s44
	s_waitcnt lgkmcnt(1)
	v_readfirstlane_b32 s15, v3
	v_readfirstlane_b32 s14, v2
	s_cmp_eq_u64 s[14:15], 1
	s_cselect_b64 s[0:1], -1, 0
	s_cmp_eq_u64 s[54:55], 1
	s_cselect_b64 s[2:3], -1, 0
	s_and_b64 s[20:21], s[0:1], s[2:3]
	v_readfirstlane_b32 s28, v4
	v_readfirstlane_b32 s29, v5
	s_waitcnt lgkmcnt(0)
	v_readfirstlane_b32 s16, v6
	v_readfirstlane_b32 s17, v7
	;; [unrolled: 1-line block ×4, first 2 shown]
	s_mov_b64 s[18:19], -1
	s_and_b64 vcc, exec, s[20:21]
	s_cbranch_vccz .LBB69_104
; %bb.90:                               ;   in Loop: Header=BB69_17 Depth=1
	ds_read_b64 v[2:3], v13 offset:5120
	s_waitcnt lgkmcnt(0)
	s_barrier
	v_readfirstlane_b32 s12, v2
	v_readfirstlane_b32 s13, v3
	s_mov_b64 s[0:1], exec
	v_readlane_b32 s2, v55, 24
	v_readlane_b32 s3, v55, 25
	s_and_b64 s[2:3], s[0:1], s[2:3]
	s_mov_b64 exec, s[2:3]
	s_cbranch_execz .LBB69_92
; %bb.91:                               ;   in Loop: Header=BB69_17 Depth=1
	ds_write_b16 v36, v13
.LBB69_92:                              ;   in Loop: Header=BB69_17 Depth=1
	s_or_b64 exec, exec, s[0:1]
	v_cmp_lt_i64_e64 s[0:1], s[12:13], 1
	s_and_b32 s93, s93, s41
	s_or_b32 s92, s92, s44
	s_and_b64 vcc, exec, s[0:1]
	s_waitcnt lgkmcnt(0)
	s_barrier
	s_cbranch_vccz .LBB69_105
; %bb.93:                               ;   in Loop: Header=BB69_17 Depth=1
	s_mov_b32 s90, s83
	s_cmp_lg_u64 s[90:91], 0
	s_cbranch_scc0 .LBB69_150
; %bb.94:                               ;   in Loop: Header=BB69_17 Depth=1
	v_cvt_f32_u32_e32 v2, s33
	s_sub_u32 s0, 0, s33
	s_subb_u32 s1, 0, 0
	v_mac_f32_e32 v2, 0x4f800000, v45
	v_rcp_f32_e32 v2, v2
	v_mul_f32_e32 v2, 0x5f7ffffc, v2
	v_mul_f32_e32 v3, 0x2f800000, v2
	v_trunc_f32_e32 v3, v3
	v_mac_f32_e32 v2, 0xcf800000, v3
	v_cvt_u32_f32_e32 v3, v3
	v_cvt_u32_f32_e32 v2, v2
	v_readfirstlane_b32 s2, v3
	v_readfirstlane_b32 s3, v2
	s_mul_i32 s6, s0, s2
	s_mul_hi_u32 s8, s0, s3
	s_mul_i32 s7, s1, s3
	s_add_i32 s6, s8, s6
	s_mul_i32 s9, s0, s3
	s_add_i32 s6, s6, s7
	s_mul_hi_u32 s8, s3, s9
	s_mul_hi_u32 s7, s3, s6
	s_mul_i32 s3, s3, s6
	s_add_u32 s3, s8, s3
	s_addc_u32 s7, 0, s7
	s_mul_hi_u32 s22, s2, s9
	s_mul_i32 s9, s2, s9
	s_add_u32 s3, s3, s9
	s_mul_hi_u32 s8, s2, s6
	s_addc_u32 s3, s7, s22
	s_addc_u32 s7, s8, 0
	s_mul_i32 s6, s2, s6
	s_add_u32 s3, s3, s6
	s_addc_u32 s6, 0, s7
	v_add_co_u32_e32 v2, vcc, s3, v2
	s_cmp_lg_u64 vcc, 0
	s_addc_u32 s2, s2, s6
	v_readfirstlane_b32 s6, v2
	s_mul_i32 s3, s0, s2
	s_mul_hi_u32 s7, s0, s6
	s_add_i32 s3, s7, s3
	s_mul_i32 s1, s1, s6
	s_add_i32 s3, s3, s1
	s_mul_i32 s0, s0, s6
	s_mul_hi_u32 s7, s2, s0
	s_mul_i32 s8, s2, s0
	s_mul_i32 s22, s6, s3
	s_mul_hi_u32 s0, s6, s0
	s_mul_hi_u32 s9, s6, s3
	s_add_u32 s0, s0, s22
	s_addc_u32 s6, 0, s9
	s_add_u32 s0, s0, s8
	s_mul_hi_u32 s1, s2, s3
	s_addc_u32 s0, s6, s7
	s_addc_u32 s1, s1, 0
	s_mul_i32 s3, s2, s3
	s_add_u32 s0, s0, s3
	s_addc_u32 s1, 0, s1
	v_add_co_u32_e32 v2, vcc, s0, v2
	s_cmp_lg_u64 vcc, 0
	s_addc_u32 s6, s2, s1
	s_ashr_i32 s0, s91, 31
	v_readlane_b32 s2, v55, 33
	s_add_u32 s2, s2, s0
	s_mov_b32 s1, s0
	s_addc_u32 s3, s91, s0
	s_xor_b64 s[2:3], s[2:3], s[0:1]
	v_readfirstlane_b32 s8, v2
	s_mul_i32 s7, s2, s6
	s_mul_hi_u32 s9, s2, s8
	s_mul_hi_u32 s1, s2, s6
	s_add_u32 s7, s9, s7
	s_addc_u32 s1, 0, s1
	s_mul_hi_u32 s22, s3, s8
	s_mul_i32 s8, s3, s8
	s_add_u32 s7, s7, s8
	s_mul_hi_u32 s9, s3, s6
	s_addc_u32 s1, s1, s22
	s_addc_u32 s7, s9, 0
	s_mul_i32 s6, s3, s6
	s_add_u32 s1, s1, s6
	s_addc_u32 s6, 0, s7
	s_mul_hi_u32 s7, s33, s1
	s_mul_i32 s1, s33, s1
	s_mul_i32 s6, s33, s6
	v_mov_b32_e32 v2, s1
	s_add_i32 s7, s7, s6
	v_sub_co_u32_e32 v2, vcc, s2, v2
	s_cmp_lg_u64 vcc, 0
	s_subb_u32 s1, s3, s7
	v_subrev_co_u32_e32 v3, vcc, s33, v2
	s_cmp_lg_u64 vcc, 0
	s_subb_u32 s2, s1, 0
	v_subrev_co_u32_e32 v4, vcc, s33, v3
	s_cmp_lg_u64 vcc, 0
	s_subb_u32 s3, s2, 0
	v_cmp_le_u32_e32 vcc, s33, v3
	s_cmp_eq_u32 s2, 0
	v_cndmask_b32_e64 v5, 0, -1, vcc
	s_cselect_b64 vcc, -1, 0
	v_cndmask_b32_e32 v5, -1, v5, vcc
	v_mov_b32_e32 v6, s2
	v_mov_b32_e32 v7, s3
	v_cmp_ne_u32_e32 vcc, 0, v5
	v_cndmask_b32_e32 v5, v6, v7, vcc
	v_cndmask_b32_e32 v3, v3, v4, vcc
	v_cmp_le_u32_e32 vcc, s33, v2
	s_cmp_eq_u32 s1, 0
	v_cndmask_b32_e64 v4, 0, -1, vcc
	s_cselect_b64 vcc, -1, 0
	v_cndmask_b32_e32 v4, -1, v4, vcc
	v_cmp_ne_u32_e32 vcc, 0, v4
	v_mov_b32_e32 v6, s1
	v_cndmask_b32_e32 v2, v2, v3, vcc
	v_cndmask_b32_e32 v4, v6, v5, vcc
	v_xor_b32_e32 v2, s0, v2
	v_xor_b32_e32 v3, s0, v4
	v_mov_b32_e32 v4, s0
	v_subrev_co_u32_e32 v2, vcc, s0, v2
	v_subb_co_u32_e32 v3, vcc, v3, v4, vcc
	s_cbranch_execnz .LBB69_96
.LBB69_95:                              ;   in Loop: Header=BB69_17 Depth=1
	v_cvt_f32_u32_e32 v2, s33
	s_sub_i32 s0, 0, s33
	v_rcp_iflag_f32_e32 v2, v2
	v_mul_f32_e32 v2, 0x4f7ffffe, v2
	v_cvt_u32_f32_e32 v2, v2
	v_mul_lo_u32 v3, s0, v2
	v_mul_hi_u32 v3, v2, v3
	v_add_u32_e32 v2, v2, v3
	v_readlane_b32 s0, v55, 33
	v_mul_hi_u32 v2, s0, v2
	v_mul_lo_u32 v2, v2, s33
	v_sub_u32_e32 v2, s0, v2
	v_subrev_u32_e32 v3, s33, v2
	v_cmp_le_u32_e32 vcc, s33, v2
	v_cndmask_b32_e32 v2, v2, v3, vcc
	v_subrev_u32_e32 v3, s33, v2
	v_cmp_le_u32_e32 vcc, s33, v2
	v_cndmask_b32_e32 v12, v2, v3, vcc
	v_pk_mov_b32 v[2:3], v[12:13], v[12:13] op_sel:[0,1]
.LBB69_96:                              ;   in Loop: Header=BB69_17 Depth=1
	v_readlane_b32 s0, v55, 33
	v_mov_b32_e32 v4, s91
	v_sub_co_u32_e32 v2, vcc, s0, v2
	v_subb_co_u32_e32 v3, vcc, v4, v3, vcc
	v_cmp_gt_i64_e32 vcc, v[2:3], v[0:1]
	s_mov_b64 s[0:1], 0
                                        ; implicit-def: $vgpr48
	s_and_saveexec_b64 s[2:3], vcc
	s_cbranch_execz .LBB69_107
; %bb.97:                               ;   in Loop: Header=BB69_17 Depth=1
	v_pk_mov_b32 v[4:5], v[10:11], v[10:11] op_sel:[0,1]
	v_pk_mov_b32 v[6:7], v[0:1], v[0:1] op_sel:[0,1]
                                        ; implicit-def: $sgpr8_sgpr9
	s_branch .LBB69_99
.LBB69_98:                              ;   in Loop: Header=BB69_99 Depth=2
	s_or_b64 exec, exec, s[6:7]
	s_waitcnt lgkmcnt(0)
	s_barrier
	s_waitcnt vmcnt(0)
	ds_read_b32 v8, v13 offset:3072
	v_add_co_u32_e64 v6, s[6:7], s33, v6
	s_waitcnt lgkmcnt(0)
	s_barrier
	v_and_b32_e32 v9, 0x7fff, v8
	v_cmp_ne_u16_e32 vcc, 0, v9
	v_mov_b32_e32 v9, s26
	v_addc_co_u32_e64 v7, s[6:7], v7, v9, s[6:7]
	v_cmp_ge_i64_e64 s[6:7], v[6:7], v[2:3]
	s_or_b64 s[22:23], vcc, s[6:7]
	v_mov_b32_e32 v9, s81
	v_add_co_u32_e64 v4, s[6:7], s80, v4
	v_addc_co_u32_e64 v5, s[6:7], v5, v9, s[6:7]
	s_and_b64 s[6:7], exec, s[22:23]
	s_or_b64 s[0:1], s[6:7], s[0:1]
	s_andn2_b64 s[6:7], s[8:9], exec
	s_and_b64 s[8:9], vcc, exec
	s_or_b64 s[8:9], s[6:7], s[8:9]
	s_andn2_b64 exec, exec, s[0:1]
	s_cbranch_execz .LBB69_106
.LBB69_99:                              ;   Parent Loop BB69_17 Depth=1
                                        ; =>  This Inner Loop Header: Depth=2
	v_cmp_gt_i64_e32 vcc, s[52:53], v[6:7]
	v_mov_b32_e32 v8, 0
	s_and_saveexec_b64 s[6:7], vcc
	s_cbranch_execz .LBB69_101
; %bb.100:                              ;   in Loop: Header=BB69_99 Depth=2
	global_load_ushort v8, v[4:5], off
.LBB69_101:                             ;   in Loop: Header=BB69_99 Depth=2
	s_or_b64 exec, exec, s[6:7]
	s_and_saveexec_b64 s[6:7], vcc
	s_cbranch_execz .LBB69_98
; %bb.102:                              ;   in Loop: Header=BB69_99 Depth=2
	s_waitcnt vmcnt(0)
	v_cmp_lt_i16_e32 vcc, -1, v8
	v_cndmask_b32_e32 v9, v43, v44, vcc
	v_lshlrev_b32_e32 v12, 16, v8
	v_xor_b32_sdwa v9, v9, v8 dst_sel:DWORD dst_unused:UNUSED_PAD src0_sel:DWORD src1_sel:WORD_0
	v_cmp_o_f32_e32 vcc, v12, v12
	v_cndmask_b32_e32 v9, v43, v9, vcc
	v_and_b32_e32 v9, s92, v9
	v_cmp_eq_u32_e32 vcc, s93, v9
	s_and_b64 exec, exec, vcc
	s_cbranch_execz .LBB69_98
; %bb.103:                              ;   in Loop: Header=BB69_99 Depth=2
	v_perm_b32 v8, v8, s27, v47
	ds_write_b32 v13, v8 offset:3072
	s_branch .LBB69_98
.LBB69_104:                             ;   in Loop: Header=BB69_17 Depth=1
	s_mov_b64 s[0:1], -1
                                        ; implicit-def: $sgpr2_sgpr3
                                        ; implicit-def: $sgpr8_sgpr9
                                        ; implicit-def: $sgpr6_sgpr7
	s_branch .LBB69_121
.LBB69_105:                             ;   in Loop: Header=BB69_17 Depth=1
	s_mov_b64 s[2:3], -1
	s_mov_b64 s[0:1], 0
                                        ; implicit-def: $sgpr6_sgpr7
                                        ; implicit-def: $vgpr48
	s_mov_b64 s[8:9], s[2:3]
	s_cbranch_execnz .LBB69_108
	s_branch .LBB69_121
.LBB69_106:                             ;   in Loop: Header=BB69_17 Depth=1
	s_or_b64 exec, exec, s[0:1]
	v_lshrrev_b32_e32 v48, 16, v8
	s_and_b64 s[0:1], s[8:9], exec
.LBB69_107:                             ;   in Loop: Header=BB69_17 Depth=1
	s_or_b64 exec, exec, s[2:3]
	s_mov_b64 s[6:7], -1
	s_mov_b64 s[2:3], 0
	s_mov_b64 s[8:9], s[2:3]
	s_branch .LBB69_121
.LBB69_108:                             ;   in Loop: Header=BB69_17 Depth=1
	v_readlane_b32 s0, v55, 32
	s_add_u32 s6, s0, s12
	v_readlane_b32 s0, v55, 34
	s_addc_u32 s1, s0, s13
	s_mov_b32 s0, s83
	s_cmp_lg_u64 s[0:1], 0
	s_cbranch_scc0 .LBB69_151
; %bb.109:                              ;   in Loop: Header=BB69_17 Depth=1
	v_cvt_f32_u32_e32 v2, s33
	s_sub_u32 s0, 0, s33
	s_subb_u32 s2, 0, 0
	v_mac_f32_e32 v2, 0x4f800000, v45
	v_rcp_f32_e32 v2, v2
	v_mul_f32_e32 v2, 0x5f7ffffc, v2
	v_mul_f32_e32 v3, 0x2f800000, v2
	v_trunc_f32_e32 v3, v3
	v_mac_f32_e32 v2, 0xcf800000, v3
	v_cvt_u32_f32_e32 v3, v3
	v_cvt_u32_f32_e32 v2, v2
	v_readfirstlane_b32 s3, v3
	v_readfirstlane_b32 s7, v2
	s_mul_i32 s8, s0, s3
	s_mul_hi_u32 s22, s0, s7
	s_mul_i32 s9, s2, s7
	s_add_i32 s8, s22, s8
	s_mul_i32 s23, s0, s7
	s_add_i32 s8, s8, s9
	s_mul_hi_u32 s22, s7, s23
	s_mul_hi_u32 s9, s7, s8
	s_mul_i32 s7, s7, s8
	s_add_u32 s7, s22, s7
	s_addc_u32 s9, 0, s9
	s_mul_hi_u32 s24, s3, s23
	s_mul_i32 s23, s3, s23
	s_add_u32 s7, s7, s23
	s_mul_hi_u32 s22, s3, s8
	s_addc_u32 s7, s9, s24
	s_addc_u32 s9, s22, 0
	s_mul_i32 s8, s3, s8
	s_add_u32 s7, s7, s8
	s_addc_u32 s8, 0, s9
	v_add_co_u32_e32 v2, vcc, s7, v2
	s_cmp_lg_u64 vcc, 0
	s_addc_u32 s3, s3, s8
	v_readfirstlane_b32 s8, v2
	s_mul_i32 s7, s0, s3
	s_mul_hi_u32 s9, s0, s8
	s_add_i32 s7, s9, s7
	s_mul_i32 s2, s2, s8
	s_add_i32 s7, s7, s2
	s_mul_i32 s0, s0, s8
	s_mul_hi_u32 s9, s3, s0
	s_mul_i32 s22, s3, s0
	s_mul_i32 s24, s8, s7
	s_mul_hi_u32 s0, s8, s0
	s_mul_hi_u32 s23, s8, s7
	s_add_u32 s0, s0, s24
	s_addc_u32 s8, 0, s23
	s_add_u32 s0, s0, s22
	s_mul_hi_u32 s2, s3, s7
	s_addc_u32 s0, s8, s9
	s_addc_u32 s2, s2, 0
	s_mul_i32 s7, s3, s7
	s_add_u32 s0, s0, s7
	s_addc_u32 s2, 0, s2
	v_add_co_u32_e32 v2, vcc, s0, v2
	s_cmp_lg_u64 vcc, 0
	s_addc_u32 s0, s3, s2
	s_ashr_i32 s2, s1, 31
	s_add_u32 s8, s6, s2
	s_mov_b32 s3, s2
	s_addc_u32 s9, s1, s2
	s_xor_b64 s[8:9], s[8:9], s[2:3]
	v_readfirstlane_b32 s22, v2
	s_mul_i32 s7, s8, s0
	s_mul_hi_u32 s23, s8, s22
	s_mul_hi_u32 s3, s8, s0
	s_add_u32 s7, s23, s7
	s_addc_u32 s3, 0, s3
	s_mul_hi_u32 s24, s9, s22
	s_mul_i32 s22, s9, s22
	s_add_u32 s7, s7, s22
	s_mul_hi_u32 s23, s9, s0
	s_addc_u32 s3, s3, s24
	s_addc_u32 s7, s23, 0
	s_mul_i32 s0, s9, s0
	s_add_u32 s0, s3, s0
	s_addc_u32 s3, 0, s7
	s_mul_hi_u32 s7, s33, s0
	s_mul_i32 s0, s33, s0
	s_mul_i32 s3, s33, s3
	v_mov_b32_e32 v2, s0
	s_add_i32 s7, s7, s3
	v_sub_co_u32_e32 v2, vcc, s8, v2
	s_cmp_lg_u64 vcc, 0
	s_subb_u32 s0, s9, s7
	v_subrev_co_u32_e32 v3, vcc, s33, v2
	s_cmp_lg_u64 vcc, 0
	s_subb_u32 s3, s0, 0
	v_subrev_co_u32_e32 v4, vcc, s33, v3
	s_cmp_lg_u64 vcc, 0
	s_subb_u32 s7, s3, 0
	v_cmp_le_u32_e32 vcc, s33, v3
	s_cmp_eq_u32 s3, 0
	v_cndmask_b32_e64 v5, 0, -1, vcc
	s_cselect_b64 vcc, -1, 0
	v_cndmask_b32_e32 v5, -1, v5, vcc
	v_mov_b32_e32 v6, s3
	v_mov_b32_e32 v7, s7
	v_cmp_ne_u32_e32 vcc, 0, v5
	v_cndmask_b32_e32 v5, v6, v7, vcc
	v_cndmask_b32_e32 v3, v3, v4, vcc
	v_cmp_le_u32_e32 vcc, s33, v2
	s_cmp_eq_u32 s0, 0
	v_cndmask_b32_e64 v4, 0, -1, vcc
	s_cselect_b64 vcc, -1, 0
	v_cndmask_b32_e32 v4, -1, v4, vcc
	v_cmp_ne_u32_e32 vcc, 0, v4
	v_mov_b32_e32 v6, s0
	v_cndmask_b32_e32 v2, v2, v3, vcc
	v_cndmask_b32_e32 v4, v6, v5, vcc
	v_xor_b32_e32 v2, s2, v2
	v_xor_b32_e32 v3, s2, v4
	v_mov_b32_e32 v4, s2
	v_subrev_co_u32_e32 v2, vcc, s2, v2
	v_subb_co_u32_e32 v3, vcc, v3, v4, vcc
	s_cbranch_execnz .LBB69_111
.LBB69_110:                             ;   in Loop: Header=BB69_17 Depth=1
	v_cvt_f32_u32_e32 v2, s33
	s_sub_i32 s0, 0, s33
	v_rcp_iflag_f32_e32 v2, v2
	v_mul_f32_e32 v2, 0x4f7ffffe, v2
	v_cvt_u32_f32_e32 v2, v2
	v_mul_lo_u32 v3, s0, v2
	v_mul_hi_u32 v3, v2, v3
	v_add_u32_e32 v2, v2, v3
	v_mul_hi_u32 v2, s6, v2
	v_mul_lo_u32 v2, v2, s33
	v_sub_u32_e32 v2, s6, v2
	v_subrev_u32_e32 v3, s33, v2
	v_cmp_le_u32_e32 vcc, s33, v2
	v_cndmask_b32_e32 v2, v2, v3, vcc
	v_subrev_u32_e32 v3, s33, v2
	v_cmp_le_u32_e32 vcc, s33, v2
	v_cndmask_b32_e32 v12, v2, v3, vcc
	v_pk_mov_b32 v[2:3], v[12:13], v[12:13] op_sel:[0,1]
.LBB69_111:                             ;   in Loop: Header=BB69_17 Depth=1
	v_mov_b32_e32 v4, s1
	v_sub_co_u32_e32 v2, vcc, s6, v2
	v_subb_co_u32_e32 v3, vcc, v4, v3, vcc
	v_cmp_gt_i64_e32 vcc, v[2:3], v[0:1]
	s_mov_b64 s[0:1], 0
                                        ; implicit-def: $vgpr48
	s_and_saveexec_b64 s[2:3], vcc
	s_cbranch_execz .LBB69_120
; %bb.112:                              ;   in Loop: Header=BB69_17 Depth=1
	v_mov_b32_e32 v6, v35
	v_pk_mov_b32 v[4:5], v[0:1], v[0:1] op_sel:[0,1]
                                        ; implicit-def: $sgpr8_sgpr9
	s_branch .LBB69_114
.LBB69_113:                             ;   in Loop: Header=BB69_114 Depth=2
	s_or_b64 exec, exec, s[6:7]
	s_waitcnt lgkmcnt(0)
	s_barrier
	ds_read_b32 v7, v13 offset:3072
	v_add_co_u32_e64 v4, s[6:7], s33, v4
	v_add_u32_e32 v6, s61, v6
	s_waitcnt lgkmcnt(0)
	v_and_b32_e32 v8, 0x7fff, v7
	v_cmp_ne_u16_e32 vcc, 0, v8
	v_mov_b32_e32 v8, s26
	v_addc_co_u32_e64 v5, s[6:7], v5, v8, s[6:7]
	v_cmp_ge_i64_e64 s[6:7], v[4:5], v[2:3]
	s_or_b64 s[6:7], vcc, s[6:7]
	s_and_b64 s[6:7], exec, s[6:7]
	s_or_b64 s[0:1], s[6:7], s[0:1]
	s_andn2_b64 s[6:7], s[8:9], exec
	s_and_b64 s[8:9], vcc, exec
	s_or_b64 s[8:9], s[6:7], s[8:9]
	s_barrier
	s_andn2_b64 exec, exec, s[0:1]
	s_cbranch_execz .LBB69_119
.LBB69_114:                             ;   Parent Loop BB69_17 Depth=1
                                        ; =>  This Inner Loop Header: Depth=2
	v_cmp_gt_i64_e32 vcc, s[12:13], v[4:5]
	v_mov_b32_e32 v7, 0
	s_and_saveexec_b64 s[6:7], vcc
	s_cbranch_execz .LBB69_116
; %bb.115:                              ;   in Loop: Header=BB69_114 Depth=2
	ds_read_u16 v7, v6
.LBB69_116:                             ;   in Loop: Header=BB69_114 Depth=2
	s_or_b64 exec, exec, s[6:7]
	s_and_saveexec_b64 s[6:7], vcc
	s_cbranch_execz .LBB69_113
; %bb.117:                              ;   in Loop: Header=BB69_114 Depth=2
	s_waitcnt lgkmcnt(0)
	v_cmp_lt_i16_e32 vcc, -1, v7
	v_cndmask_b32_e32 v8, v43, v44, vcc
	v_lshlrev_b32_e32 v9, 16, v7
	v_xor_b32_sdwa v8, v8, v7 dst_sel:DWORD dst_unused:UNUSED_PAD src0_sel:DWORD src1_sel:WORD_0
	v_cmp_o_f32_e32 vcc, v9, v9
	v_cndmask_b32_e32 v8, v43, v8, vcc
	v_and_b32_e32 v8, s92, v8
	v_cmp_eq_u32_e32 vcc, s93, v8
	s_and_b64 exec, exec, vcc
	s_cbranch_execz .LBB69_113
; %bb.118:                              ;   in Loop: Header=BB69_114 Depth=2
	v_perm_b32 v7, v7, s27, v47
	ds_write_b32 v13, v7 offset:3072
	s_branch .LBB69_113
.LBB69_119:                             ;   in Loop: Header=BB69_17 Depth=1
	s_or_b64 exec, exec, s[0:1]
	v_lshrrev_b32_e32 v48, 16, v7
	s_and_b64 s[0:1], s[8:9], exec
.LBB69_120:                             ;   in Loop: Header=BB69_17 Depth=1
	s_or_b64 exec, exec, s[2:3]
	s_mov_b64 s[8:9], -1
	s_mov_b64 s[2:3], 0
	s_mov_b64 s[6:7], 0
.LBB69_121:                             ;   in Loop: Header=BB69_17 Depth=1
	s_andn2_b64 s[12:13], s[64:65], exec
	s_and_b64 s[2:3], s[2:3], exec
	s_or_b64 s[64:65], s[12:13], s[2:3]
	s_andn2_b64 s[2:3], s[74:75], exec
	s_and_b64 s[8:9], s[8:9], exec
	s_or_b64 s[74:75], s[2:3], s[8:9]
	;; [unrolled: 3-line block ×3, first 2 shown]
	s_and_saveexec_b64 s[12:13], s[0:1]
	s_cbranch_execz .LBB69_16
; %bb.122:                              ;   in Loop: Header=BB69_17 Depth=1
	s_xor_b64 s[0:1], s[20:21], -1
	s_andn2_b64 vcc, exec, s[0:1]
	s_mov_b32 s45, 1
	s_cbranch_vccnz .LBB69_133
; %bb.123:                              ;   in Loop: Header=BB69_17 Depth=1
	v_pk_mov_b32 v[2:3], s[14:15], s[14:15] op_sel:[0,1]
	v_cmp_gt_i64_e32 vcc, s[54:55], v[2:3]
	s_mov_b64 s[0:1], -1
                                        ; implicit-def: $sgpr45
                                        ; implicit-def: $sgpr2
                                        ; implicit-def: $sgpr3
	s_cbranch_vccnz .LBB69_129
; %bb.124:                              ;   in Loop: Header=BB69_17 Depth=1
	ds_read_b64 v[2:3], v13 offset:5120
	s_waitcnt lgkmcnt(0)
	v_cmp_ne_u64_e32 vcc, 0, v[2:3]
	s_cbranch_vccnz .LBB69_128
; %bb.125:                              ;   in Loop: Header=BB69_17 Depth=1
	s_mov_b64 s[0:1], exec
	v_readlane_b32 s2, v55, 12
	v_readlane_b32 s3, v55, 13
	s_and_b64 s[2:3], s[0:1], s[2:3]
	s_mov_b64 exec, s[2:3]
	s_cbranch_execz .LBB69_127
; %bb.126:                              ;   in Loop: Header=BB69_17 Depth=1
	v_pk_mov_b32 v[2:3], s[14:15], s[14:15] op_sel:[0,1]
	ds_write_b64 v13, v[2:3] offset:5128
.LBB69_127:                             ;   in Loop: Header=BB69_17 Depth=1
	s_or_b64 exec, exec, s[0:1]
	s_waitcnt lgkmcnt(0)
	s_barrier
.LBB69_128:                             ;   in Loop: Header=BB69_17 Depth=1
	s_and_b32 s2, s93, s41
	s_or_b32 s3, s92, s44
	s_mov_b64 s[0:1], 0
	s_mov_b32 s45, 8
.LBB69_129:                             ;   in Loop: Header=BB69_17 Depth=1
	s_andn2_b64 vcc, exec, s[0:1]
	s_cbranch_vccnz .LBB69_131
; %bb.130:                              ;   in Loop: Header=BB69_17 Depth=1
	s_sub_u32 s54, s54, s14
	s_subb_u32 s55, s55, s15
	s_mov_b64 s[0:1], -1
	s_mov_b32 s45, 0
	s_mov_b32 s2, s93
	;; [unrolled: 1-line block ×3, first 2 shown]
.LBB69_131:                             ;   in Loop: Header=BB69_17 Depth=1
	s_mov_b32 s92, s3
	s_mov_b32 s93, s2
	s_mov_b64 s[14:15], -1
	s_and_b64 vcc, exec, s[0:1]
	s_cbranch_vccnz .LBB69_134
.LBB69_132:                             ;   in Loop: Header=BB69_17 Depth=1
	s_mov_b64 s[2:3], -1
                                        ; implicit-def: $sgpr18_sgpr19
                                        ; implicit-def: $sgpr22_sgpr23
                                        ; implicit-def: $sgpr20_sgpr21
	s_and_saveexec_b64 s[0:1], s[2:3]
	s_xor_b64 s[0:1], exec, s[0:1]
	s_cbranch_execz .LBB69_15
	s_branch .LBB69_280
.LBB69_133:                             ;   in Loop: Header=BB69_17 Depth=1
	s_mov_b64 s[54:55], 1
	s_mov_b64 s[14:15], -1
	s_branch .LBB69_132
.LBB69_134:                             ;   in Loop: Header=BB69_17 Depth=1
	s_cmp_eq_u64 s[28:29], 1
	s_cselect_b64 s[0:1], -1, 0
	s_cmp_eq_u64 s[54:55], 1
	s_cselect_b64 s[2:3], -1, 0
	s_and_b64 s[30:31], s[0:1], s[2:3]
	s_mov_b64 s[0:1], -1
	s_and_b64 vcc, exec, s[30:31]
	s_cbranch_vccz .LBB69_149
; %bb.135:                              ;   in Loop: Header=BB69_17 Depth=1
	ds_read_b64 v[2:3], v13 offset:5120
	s_waitcnt lgkmcnt(0)
	s_barrier
	v_readfirstlane_b32 s24, v2
	v_readfirstlane_b32 s25, v3
	s_mov_b64 s[0:1], exec
	v_readlane_b32 s2, v55, 24
	v_readlane_b32 s3, v55, 25
	s_and_b64 s[2:3], s[0:1], s[2:3]
	s_mov_b64 exec, s[2:3]
	s_cbranch_execz .LBB69_137
; %bb.136:                              ;   in Loop: Header=BB69_17 Depth=1
	ds_write_b16 v36, v13
.LBB69_137:                             ;   in Loop: Header=BB69_17 Depth=1
	s_or_b64 exec, exec, s[0:1]
	s_lshl_b32 s0, 1, s40
	s_and_b32 s1, s93, s41
	s_or_b32 s93, s1, s0
	v_cmp_gt_i64_e64 s[0:1], s[24:25], 0
	s_or_b32 s92, s92, s44
	s_and_b64 vcc, exec, s[0:1]
	s_waitcnt lgkmcnt(0)
	s_barrier
	s_cbranch_vccnz .LBB69_152
; %bb.138:                              ;   in Loop: Header=BB69_17 Depth=1
	s_mov_b32 s90, s83
	s_cmp_lg_u64 s[90:91], 0
	s_cbranch_scc0 .LBB69_197
; %bb.139:                              ;   in Loop: Header=BB69_17 Depth=1
	v_cvt_f32_u32_e32 v2, s33
	s_sub_u32 s0, 0, s33
	s_subb_u32 s1, 0, 0
	v_mac_f32_e32 v2, 0x4f800000, v45
	v_rcp_f32_e32 v2, v2
	v_mul_f32_e32 v2, 0x5f7ffffc, v2
	v_mul_f32_e32 v3, 0x2f800000, v2
	v_trunc_f32_e32 v3, v3
	v_mac_f32_e32 v2, 0xcf800000, v3
	v_cvt_u32_f32_e32 v3, v3
	v_cvt_u32_f32_e32 v2, v2
	v_readfirstlane_b32 s2, v3
	v_readfirstlane_b32 s3, v2
	s_mul_i32 s6, s0, s2
	s_mul_hi_u32 s8, s0, s3
	s_mul_i32 s7, s1, s3
	s_add_i32 s6, s8, s6
	s_mul_i32 s9, s0, s3
	s_add_i32 s6, s6, s7
	s_mul_hi_u32 s8, s3, s9
	s_mul_hi_u32 s7, s3, s6
	s_mul_i32 s3, s3, s6
	s_add_u32 s3, s8, s3
	s_addc_u32 s7, 0, s7
	s_mul_hi_u32 s18, s2, s9
	s_mul_i32 s9, s2, s9
	s_add_u32 s3, s3, s9
	s_mul_hi_u32 s8, s2, s6
	s_addc_u32 s3, s7, s18
	s_addc_u32 s7, s8, 0
	s_mul_i32 s6, s2, s6
	s_add_u32 s3, s3, s6
	s_addc_u32 s6, 0, s7
	v_add_co_u32_e32 v2, vcc, s3, v2
	s_cmp_lg_u64 vcc, 0
	s_addc_u32 s2, s2, s6
	v_readfirstlane_b32 s6, v2
	s_mul_i32 s3, s0, s2
	s_mul_hi_u32 s7, s0, s6
	s_add_i32 s3, s7, s3
	s_mul_i32 s1, s1, s6
	s_add_i32 s3, s3, s1
	s_mul_i32 s0, s0, s6
	s_mul_hi_u32 s7, s2, s0
	s_mul_i32 s8, s2, s0
	s_mul_i32 s18, s6, s3
	s_mul_hi_u32 s0, s6, s0
	s_mul_hi_u32 s9, s6, s3
	s_add_u32 s0, s0, s18
	s_addc_u32 s6, 0, s9
	s_add_u32 s0, s0, s8
	s_mul_hi_u32 s1, s2, s3
	s_addc_u32 s0, s6, s7
	s_addc_u32 s1, s1, 0
	s_mul_i32 s3, s2, s3
	s_add_u32 s0, s0, s3
	s_addc_u32 s1, 0, s1
	v_add_co_u32_e32 v2, vcc, s0, v2
	s_cmp_lg_u64 vcc, 0
	s_addc_u32 s6, s2, s1
	s_ashr_i32 s0, s91, 31
	v_readlane_b32 s2, v55, 33
	s_add_u32 s2, s2, s0
	s_mov_b32 s1, s0
	s_addc_u32 s3, s91, s0
	s_xor_b64 s[2:3], s[2:3], s[0:1]
	v_readfirstlane_b32 s8, v2
	s_mul_i32 s7, s2, s6
	s_mul_hi_u32 s9, s2, s8
	s_mul_hi_u32 s1, s2, s6
	s_add_u32 s7, s9, s7
	s_addc_u32 s1, 0, s1
	s_mul_hi_u32 s18, s3, s8
	s_mul_i32 s8, s3, s8
	s_add_u32 s7, s7, s8
	s_mul_hi_u32 s9, s3, s6
	s_addc_u32 s1, s1, s18
	s_addc_u32 s7, s9, 0
	s_mul_i32 s6, s3, s6
	s_add_u32 s1, s1, s6
	s_addc_u32 s6, 0, s7
	s_mul_hi_u32 s7, s33, s1
	s_mul_i32 s1, s33, s1
	s_mul_i32 s6, s33, s6
	v_mov_b32_e32 v2, s1
	s_add_i32 s7, s7, s6
	v_sub_co_u32_e32 v2, vcc, s2, v2
	s_cmp_lg_u64 vcc, 0
	s_subb_u32 s1, s3, s7
	v_subrev_co_u32_e32 v3, vcc, s33, v2
	s_cmp_lg_u64 vcc, 0
	s_subb_u32 s2, s1, 0
	v_subrev_co_u32_e32 v4, vcc, s33, v3
	s_cmp_lg_u64 vcc, 0
	s_subb_u32 s3, s2, 0
	v_cmp_le_u32_e32 vcc, s33, v3
	s_cmp_eq_u32 s2, 0
	v_cndmask_b32_e64 v5, 0, -1, vcc
	s_cselect_b64 vcc, -1, 0
	v_cndmask_b32_e32 v5, -1, v5, vcc
	v_mov_b32_e32 v6, s2
	v_mov_b32_e32 v7, s3
	v_cmp_ne_u32_e32 vcc, 0, v5
	v_cndmask_b32_e32 v5, v6, v7, vcc
	v_cndmask_b32_e32 v3, v3, v4, vcc
	v_cmp_le_u32_e32 vcc, s33, v2
	s_cmp_eq_u32 s1, 0
	v_cndmask_b32_e64 v4, 0, -1, vcc
	s_cselect_b64 vcc, -1, 0
	v_cndmask_b32_e32 v4, -1, v4, vcc
	v_cmp_ne_u32_e32 vcc, 0, v4
	v_mov_b32_e32 v6, s1
	v_cndmask_b32_e32 v2, v2, v3, vcc
	v_cndmask_b32_e32 v4, v6, v5, vcc
	v_xor_b32_e32 v2, s0, v2
	v_xor_b32_e32 v3, s0, v4
	v_mov_b32_e32 v4, s0
	v_subrev_co_u32_e32 v2, vcc, s0, v2
	v_subb_co_u32_e32 v3, vcc, v3, v4, vcc
	s_cbranch_execnz .LBB69_141
.LBB69_140:                             ;   in Loop: Header=BB69_17 Depth=1
	v_cvt_f32_u32_e32 v2, s33
	s_sub_i32 s0, 0, s33
	v_rcp_iflag_f32_e32 v2, v2
	v_mul_f32_e32 v2, 0x4f7ffffe, v2
	v_cvt_u32_f32_e32 v2, v2
	v_mul_lo_u32 v3, s0, v2
	v_mul_hi_u32 v3, v2, v3
	v_add_u32_e32 v2, v2, v3
	v_readlane_b32 s0, v55, 33
	v_mul_hi_u32 v2, s0, v2
	v_mul_lo_u32 v2, v2, s33
	v_sub_u32_e32 v2, s0, v2
	v_subrev_u32_e32 v3, s33, v2
	v_cmp_le_u32_e32 vcc, s33, v2
	v_cndmask_b32_e32 v2, v2, v3, vcc
	v_subrev_u32_e32 v3, s33, v2
	v_cmp_le_u32_e32 vcc, s33, v2
	v_cndmask_b32_e32 v12, v2, v3, vcc
	v_pk_mov_b32 v[2:3], v[12:13], v[12:13] op_sel:[0,1]
.LBB69_141:                             ;   in Loop: Header=BB69_17 Depth=1
	v_readlane_b32 s0, v55, 33
	v_mov_b32_e32 v4, s91
	v_sub_co_u32_e32 v2, vcc, s0, v2
	v_subb_co_u32_e32 v3, vcc, v4, v3, vcc
	v_cmp_gt_i64_e32 vcc, v[2:3], v[0:1]
	s_mov_b64 s[0:1], 0
                                        ; implicit-def: $vgpr48
	s_and_saveexec_b64 s[2:3], vcc
	s_cbranch_execz .LBB69_154
; %bb.142:                              ;   in Loop: Header=BB69_17 Depth=1
	v_pk_mov_b32 v[4:5], v[10:11], v[10:11] op_sel:[0,1]
	v_pk_mov_b32 v[6:7], v[0:1], v[0:1] op_sel:[0,1]
                                        ; implicit-def: $sgpr8_sgpr9
	s_branch .LBB69_144
.LBB69_143:                             ;   in Loop: Header=BB69_144 Depth=2
	s_or_b64 exec, exec, s[6:7]
	s_waitcnt lgkmcnt(0)
	s_barrier
	s_waitcnt vmcnt(0)
	ds_read_b32 v8, v13 offset:3072
	v_add_co_u32_e64 v6, s[6:7], s33, v6
	s_waitcnt lgkmcnt(0)
	s_barrier
	v_and_b32_e32 v9, 0x7fff, v8
	v_cmp_ne_u16_e32 vcc, 0, v9
	v_mov_b32_e32 v9, s26
	v_addc_co_u32_e64 v7, s[6:7], v7, v9, s[6:7]
	v_cmp_ge_i64_e64 s[6:7], v[6:7], v[2:3]
	s_or_b64 s[18:19], vcc, s[6:7]
	v_mov_b32_e32 v9, s81
	v_add_co_u32_e64 v4, s[6:7], s80, v4
	v_addc_co_u32_e64 v5, s[6:7], v5, v9, s[6:7]
	s_and_b64 s[6:7], exec, s[18:19]
	s_or_b64 s[0:1], s[6:7], s[0:1]
	s_andn2_b64 s[6:7], s[8:9], exec
	s_and_b64 s[8:9], vcc, exec
	s_or_b64 s[8:9], s[6:7], s[8:9]
	s_andn2_b64 exec, exec, s[0:1]
	s_cbranch_execz .LBB69_153
.LBB69_144:                             ;   Parent Loop BB69_17 Depth=1
                                        ; =>  This Inner Loop Header: Depth=2
	v_cmp_gt_i64_e32 vcc, s[52:53], v[6:7]
	v_mov_b32_e32 v8, 0
	s_and_saveexec_b64 s[6:7], vcc
	s_cbranch_execz .LBB69_146
; %bb.145:                              ;   in Loop: Header=BB69_144 Depth=2
	global_load_ushort v8, v[4:5], off
.LBB69_146:                             ;   in Loop: Header=BB69_144 Depth=2
	s_or_b64 exec, exec, s[6:7]
	s_and_saveexec_b64 s[6:7], vcc
	s_cbranch_execz .LBB69_143
; %bb.147:                              ;   in Loop: Header=BB69_144 Depth=2
	s_waitcnt vmcnt(0)
	v_cmp_lt_i16_e32 vcc, -1, v8
	v_cndmask_b32_e32 v9, v43, v44, vcc
	v_lshlrev_b32_e32 v12, 16, v8
	v_xor_b32_sdwa v9, v9, v8 dst_sel:DWORD dst_unused:UNUSED_PAD src0_sel:DWORD src1_sel:WORD_0
	v_cmp_o_f32_e32 vcc, v12, v12
	v_cndmask_b32_e32 v9, v43, v9, vcc
	v_and_b32_e32 v9, s92, v9
	v_cmp_eq_u32_e32 vcc, s93, v9
	s_and_b64 exec, exec, vcc
	s_cbranch_execz .LBB69_143
; %bb.148:                              ;   in Loop: Header=BB69_144 Depth=2
	v_perm_b32 v8, v8, s27, v47
	ds_write_b32 v13, v8 offset:3072
	s_branch .LBB69_143
.LBB69_149:                             ;   in Loop: Header=BB69_17 Depth=1
                                        ; implicit-def: $sgpr20_sgpr21
                                        ; implicit-def: $sgpr22_sgpr23
                                        ; implicit-def: $sgpr18_sgpr19
	s_branch .LBB69_168
.LBB69_150:                             ;   in Loop: Header=BB69_17 Depth=1
                                        ; implicit-def: $vgpr2_vgpr3
	s_branch .LBB69_95
.LBB69_151:                             ;   in Loop: Header=BB69_17 Depth=1
                                        ; implicit-def: $vgpr2_vgpr3
	s_branch .LBB69_110
.LBB69_152:                             ;   in Loop: Header=BB69_17 Depth=1
	s_mov_b64 s[20:21], -1
	s_mov_b64 s[0:1], 0
                                        ; implicit-def: $sgpr18_sgpr19
                                        ; implicit-def: $vgpr48
	s_mov_b64 s[22:23], s[20:21]
	s_cbranch_execnz .LBB69_155
	s_branch .LBB69_168
.LBB69_153:                             ;   in Loop: Header=BB69_17 Depth=1
	s_or_b64 exec, exec, s[0:1]
	v_lshrrev_b32_e32 v48, 16, v8
	s_and_b64 s[0:1], s[8:9], exec
.LBB69_154:                             ;   in Loop: Header=BB69_17 Depth=1
	s_or_b64 exec, exec, s[2:3]
	s_mov_b64 s[18:19], -1
	s_mov_b64 s[20:21], 0
	s_mov_b64 s[22:23], s[20:21]
	s_branch .LBB69_168
.LBB69_155:                             ;   in Loop: Header=BB69_17 Depth=1
	v_readlane_b32 s0, v55, 32
	s_add_u32 s6, s0, s24
	v_readlane_b32 s0, v55, 34
	s_addc_u32 s1, s0, s25
	s_mov_b32 s0, s83
	s_cmp_lg_u64 s[0:1], 0
	s_cbranch_scc0 .LBB69_198
; %bb.156:                              ;   in Loop: Header=BB69_17 Depth=1
	v_cvt_f32_u32_e32 v2, s33
	s_sub_u32 s0, 0, s33
	s_subb_u32 s2, 0, 0
	v_mac_f32_e32 v2, 0x4f800000, v45
	v_rcp_f32_e32 v2, v2
	v_mul_f32_e32 v2, 0x5f7ffffc, v2
	v_mul_f32_e32 v3, 0x2f800000, v2
	v_trunc_f32_e32 v3, v3
	v_mac_f32_e32 v2, 0xcf800000, v3
	v_cvt_u32_f32_e32 v3, v3
	v_cvt_u32_f32_e32 v2, v2
	v_readfirstlane_b32 s3, v3
	v_readfirstlane_b32 s7, v2
	s_mul_i32 s8, s0, s3
	s_mul_hi_u32 s18, s0, s7
	s_mul_i32 s9, s2, s7
	s_add_i32 s8, s18, s8
	s_mul_i32 s19, s0, s7
	s_add_i32 s8, s8, s9
	s_mul_hi_u32 s18, s7, s19
	s_mul_hi_u32 s9, s7, s8
	s_mul_i32 s7, s7, s8
	s_add_u32 s7, s18, s7
	s_addc_u32 s9, 0, s9
	s_mul_hi_u32 s20, s3, s19
	s_mul_i32 s19, s3, s19
	s_add_u32 s7, s7, s19
	s_mul_hi_u32 s18, s3, s8
	s_addc_u32 s7, s9, s20
	s_addc_u32 s9, s18, 0
	s_mul_i32 s8, s3, s8
	s_add_u32 s7, s7, s8
	s_addc_u32 s8, 0, s9
	v_add_co_u32_e32 v2, vcc, s7, v2
	s_cmp_lg_u64 vcc, 0
	s_addc_u32 s3, s3, s8
	v_readfirstlane_b32 s8, v2
	s_mul_i32 s7, s0, s3
	s_mul_hi_u32 s9, s0, s8
	s_add_i32 s7, s9, s7
	s_mul_i32 s2, s2, s8
	s_add_i32 s7, s7, s2
	s_mul_i32 s0, s0, s8
	s_mul_hi_u32 s9, s3, s0
	s_mul_i32 s18, s3, s0
	s_mul_i32 s20, s8, s7
	s_mul_hi_u32 s0, s8, s0
	s_mul_hi_u32 s19, s8, s7
	s_add_u32 s0, s0, s20
	s_addc_u32 s8, 0, s19
	s_add_u32 s0, s0, s18
	s_mul_hi_u32 s2, s3, s7
	s_addc_u32 s0, s8, s9
	s_addc_u32 s2, s2, 0
	s_mul_i32 s7, s3, s7
	s_add_u32 s0, s0, s7
	s_addc_u32 s2, 0, s2
	v_add_co_u32_e32 v2, vcc, s0, v2
	s_cmp_lg_u64 vcc, 0
	s_addc_u32 s0, s3, s2
	s_ashr_i32 s2, s1, 31
	s_add_u32 s8, s6, s2
	s_mov_b32 s3, s2
	s_addc_u32 s9, s1, s2
	s_xor_b64 s[8:9], s[8:9], s[2:3]
	v_readfirstlane_b32 s18, v2
	s_mul_i32 s7, s8, s0
	s_mul_hi_u32 s19, s8, s18
	s_mul_hi_u32 s3, s8, s0
	s_add_u32 s7, s19, s7
	s_addc_u32 s3, 0, s3
	s_mul_hi_u32 s20, s9, s18
	s_mul_i32 s18, s9, s18
	s_add_u32 s7, s7, s18
	s_mul_hi_u32 s19, s9, s0
	s_addc_u32 s3, s3, s20
	s_addc_u32 s7, s19, 0
	s_mul_i32 s0, s9, s0
	s_add_u32 s0, s3, s0
	s_addc_u32 s3, 0, s7
	s_mul_hi_u32 s7, s33, s0
	s_mul_i32 s0, s33, s0
	s_mul_i32 s3, s33, s3
	v_mov_b32_e32 v2, s0
	s_add_i32 s7, s7, s3
	v_sub_co_u32_e32 v2, vcc, s8, v2
	s_cmp_lg_u64 vcc, 0
	s_subb_u32 s0, s9, s7
	v_subrev_co_u32_e32 v3, vcc, s33, v2
	s_cmp_lg_u64 vcc, 0
	s_subb_u32 s3, s0, 0
	v_subrev_co_u32_e32 v4, vcc, s33, v3
	s_cmp_lg_u64 vcc, 0
	s_subb_u32 s7, s3, 0
	v_cmp_le_u32_e32 vcc, s33, v3
	s_cmp_eq_u32 s3, 0
	v_cndmask_b32_e64 v5, 0, -1, vcc
	s_cselect_b64 vcc, -1, 0
	v_cndmask_b32_e32 v5, -1, v5, vcc
	v_mov_b32_e32 v6, s3
	v_mov_b32_e32 v7, s7
	v_cmp_ne_u32_e32 vcc, 0, v5
	v_cndmask_b32_e32 v5, v6, v7, vcc
	v_cndmask_b32_e32 v3, v3, v4, vcc
	v_cmp_le_u32_e32 vcc, s33, v2
	s_cmp_eq_u32 s0, 0
	v_cndmask_b32_e64 v4, 0, -1, vcc
	s_cselect_b64 vcc, -1, 0
	v_cndmask_b32_e32 v4, -1, v4, vcc
	v_cmp_ne_u32_e32 vcc, 0, v4
	v_mov_b32_e32 v6, s0
	v_cndmask_b32_e32 v2, v2, v3, vcc
	v_cndmask_b32_e32 v4, v6, v5, vcc
	v_xor_b32_e32 v2, s2, v2
	v_xor_b32_e32 v3, s2, v4
	v_mov_b32_e32 v4, s2
	v_subrev_co_u32_e32 v2, vcc, s2, v2
	v_subb_co_u32_e32 v3, vcc, v3, v4, vcc
	s_cbranch_execnz .LBB69_158
.LBB69_157:                             ;   in Loop: Header=BB69_17 Depth=1
	v_cvt_f32_u32_e32 v2, s33
	s_sub_i32 s0, 0, s33
	v_rcp_iflag_f32_e32 v2, v2
	v_mul_f32_e32 v2, 0x4f7ffffe, v2
	v_cvt_u32_f32_e32 v2, v2
	v_mul_lo_u32 v3, s0, v2
	v_mul_hi_u32 v3, v2, v3
	v_add_u32_e32 v2, v2, v3
	v_mul_hi_u32 v2, s6, v2
	v_mul_lo_u32 v2, v2, s33
	v_sub_u32_e32 v2, s6, v2
	v_subrev_u32_e32 v3, s33, v2
	v_cmp_le_u32_e32 vcc, s33, v2
	v_cndmask_b32_e32 v2, v2, v3, vcc
	v_subrev_u32_e32 v3, s33, v2
	v_cmp_le_u32_e32 vcc, s33, v2
	v_cndmask_b32_e32 v12, v2, v3, vcc
	v_pk_mov_b32 v[2:3], v[12:13], v[12:13] op_sel:[0,1]
.LBB69_158:                             ;   in Loop: Header=BB69_17 Depth=1
	v_mov_b32_e32 v4, s1
	v_sub_co_u32_e32 v2, vcc, s6, v2
	v_subb_co_u32_e32 v3, vcc, v4, v3, vcc
	v_cmp_gt_i64_e32 vcc, v[2:3], v[0:1]
	s_mov_b64 s[0:1], 0
                                        ; implicit-def: $vgpr48
	s_and_saveexec_b64 s[2:3], vcc
	s_cbranch_execz .LBB69_167
; %bb.159:                              ;   in Loop: Header=BB69_17 Depth=1
	v_mov_b32_e32 v6, v35
	v_pk_mov_b32 v[4:5], v[0:1], v[0:1] op_sel:[0,1]
                                        ; implicit-def: $sgpr8_sgpr9
	s_branch .LBB69_161
.LBB69_160:                             ;   in Loop: Header=BB69_161 Depth=2
	s_or_b64 exec, exec, s[6:7]
	s_waitcnt lgkmcnt(0)
	s_barrier
	ds_read_b32 v7, v13 offset:3072
	v_add_co_u32_e64 v4, s[6:7], s33, v4
	v_add_u32_e32 v6, s61, v6
	s_waitcnt lgkmcnt(0)
	v_and_b32_e32 v8, 0x7fff, v7
	v_cmp_ne_u16_e32 vcc, 0, v8
	v_mov_b32_e32 v8, s26
	v_addc_co_u32_e64 v5, s[6:7], v5, v8, s[6:7]
	v_cmp_ge_i64_e64 s[6:7], v[4:5], v[2:3]
	s_or_b64 s[6:7], vcc, s[6:7]
	s_and_b64 s[6:7], exec, s[6:7]
	s_or_b64 s[0:1], s[6:7], s[0:1]
	s_andn2_b64 s[6:7], s[8:9], exec
	s_and_b64 s[8:9], vcc, exec
	s_or_b64 s[8:9], s[6:7], s[8:9]
	s_barrier
	s_andn2_b64 exec, exec, s[0:1]
	s_cbranch_execz .LBB69_166
.LBB69_161:                             ;   Parent Loop BB69_17 Depth=1
                                        ; =>  This Inner Loop Header: Depth=2
	v_cmp_gt_i64_e32 vcc, s[24:25], v[4:5]
	v_mov_b32_e32 v7, 0
	s_and_saveexec_b64 s[6:7], vcc
	s_cbranch_execz .LBB69_163
; %bb.162:                              ;   in Loop: Header=BB69_161 Depth=2
	ds_read_u16 v7, v6
.LBB69_163:                             ;   in Loop: Header=BB69_161 Depth=2
	s_or_b64 exec, exec, s[6:7]
	s_and_saveexec_b64 s[6:7], vcc
	s_cbranch_execz .LBB69_160
; %bb.164:                              ;   in Loop: Header=BB69_161 Depth=2
	s_waitcnt lgkmcnt(0)
	v_cmp_lt_i16_e32 vcc, -1, v7
	v_cndmask_b32_e32 v8, v43, v44, vcc
	v_lshlrev_b32_e32 v9, 16, v7
	v_xor_b32_sdwa v8, v8, v7 dst_sel:DWORD dst_unused:UNUSED_PAD src0_sel:DWORD src1_sel:WORD_0
	v_cmp_o_f32_e32 vcc, v9, v9
	v_cndmask_b32_e32 v8, v43, v8, vcc
	v_and_b32_e32 v8, s92, v8
	v_cmp_eq_u32_e32 vcc, s93, v8
	s_and_b64 exec, exec, vcc
	s_cbranch_execz .LBB69_160
; %bb.165:                              ;   in Loop: Header=BB69_161 Depth=2
	v_perm_b32 v7, v7, s27, v47
	ds_write_b32 v13, v7 offset:3072
	s_branch .LBB69_160
.LBB69_166:                             ;   in Loop: Header=BB69_17 Depth=1
	s_or_b64 exec, exec, s[0:1]
	v_lshrrev_b32_e32 v48, 16, v7
	s_and_b64 s[0:1], s[8:9], exec
.LBB69_167:                             ;   in Loop: Header=BB69_17 Depth=1
	s_or_b64 exec, exec, s[2:3]
	s_mov_b64 s[22:23], -1
	s_mov_b64 s[20:21], 0
	s_mov_b64 s[18:19], 0
.LBB69_168:                             ;   in Loop: Header=BB69_17 Depth=1
	s_mov_b64 s[2:3], 0
                                        ; implicit-def: $sgpr45
	s_and_saveexec_b64 s[24:25], s[0:1]
	s_cbranch_execz .LBB69_279
; %bb.169:                              ;   in Loop: Header=BB69_17 Depth=1
	s_xor_b64 s[0:1], s[30:31], -1
	s_andn2_b64 vcc, exec, s[0:1]
	s_mov_b32 s45, 1
	s_cbranch_vccnz .LBB69_180
; %bb.170:                              ;   in Loop: Header=BB69_17 Depth=1
	v_pk_mov_b32 v[2:3], s[28:29], s[28:29] op_sel:[0,1]
	v_cmp_gt_i64_e32 vcc, s[54:55], v[2:3]
	s_mov_b64 s[0:1], -1
                                        ; implicit-def: $sgpr45
                                        ; implicit-def: $sgpr2
                                        ; implicit-def: $sgpr3
	s_cbranch_vccnz .LBB69_176
; %bb.171:                              ;   in Loop: Header=BB69_17 Depth=1
	ds_read_b64 v[2:3], v13 offset:5120
	s_waitcnt lgkmcnt(0)
	v_cmp_ne_u64_e32 vcc, 0, v[2:3]
	s_cbranch_vccnz .LBB69_175
; %bb.172:                              ;   in Loop: Header=BB69_17 Depth=1
	s_mov_b64 s[0:1], exec
	v_readlane_b32 s2, v55, 12
	v_readlane_b32 s3, v55, 13
	s_and_b64 s[2:3], s[0:1], s[2:3]
	s_mov_b64 exec, s[2:3]
	s_cbranch_execz .LBB69_174
; %bb.173:                              ;   in Loop: Header=BB69_17 Depth=1
	v_pk_mov_b32 v[2:3], s[28:29], s[28:29] op_sel:[0,1]
	ds_write_b64 v13, v[2:3] offset:5128
.LBB69_174:                             ;   in Loop: Header=BB69_17 Depth=1
	s_or_b64 exec, exec, s[0:1]
	s_waitcnt lgkmcnt(0)
	s_barrier
.LBB69_175:                             ;   in Loop: Header=BB69_17 Depth=1
	s_lshl_b32 s0, 1, s40
	s_and_b32 s1, s93, s41
	s_or_b32 s2, s1, s0
	s_or_b32 s3, s92, s44
	s_mov_b64 s[0:1], 0
	s_mov_b32 s45, 8
.LBB69_176:                             ;   in Loop: Header=BB69_17 Depth=1
	s_andn2_b64 vcc, exec, s[0:1]
	s_cbranch_vccnz .LBB69_178
; %bb.177:                              ;   in Loop: Header=BB69_17 Depth=1
	s_sub_u32 s54, s54, s28
	s_subb_u32 s55, s55, s29
	s_mov_b64 s[0:1], -1
	s_mov_b32 s45, 0
	s_mov_b32 s2, s93
	;; [unrolled: 1-line block ×3, first 2 shown]
.LBB69_178:                             ;   in Loop: Header=BB69_17 Depth=1
	s_mov_b32 s92, s3
	s_mov_b32 s93, s2
	s_andn2_b64 vcc, exec, s[0:1]
	s_mov_b64 s[2:3], -1
	s_cbranch_vccz .LBB69_181
.LBB69_179:                             ;   in Loop: Header=BB69_17 Depth=1
                                        ; implicit-def: $sgpr30_sgpr31
                                        ; implicit-def: $sgpr34_sgpr35
                                        ; implicit-def: $sgpr28_sgpr29
	s_branch .LBB69_278
.LBB69_180:                             ;   in Loop: Header=BB69_17 Depth=1
	s_mov_b64 s[54:55], 1
	s_mov_b64 s[2:3], -1
	s_cbranch_execnz .LBB69_179
.LBB69_181:                             ;   in Loop: Header=BB69_17 Depth=1
	s_cmp_eq_u64 s[16:17], 1
	s_cselect_b64 s[0:1], -1, 0
	s_cmp_eq_u64 s[54:55], 1
	s_cselect_b64 s[2:3], -1, 0
	s_and_b64 s[38:39], s[0:1], s[2:3]
	s_mov_b64 s[0:1], -1
	s_and_b64 vcc, exec, s[38:39]
	s_cbranch_vccz .LBB69_196
; %bb.182:                              ;   in Loop: Header=BB69_17 Depth=1
	ds_read_b64 v[2:3], v13 offset:5120
	s_waitcnt lgkmcnt(0)
	s_barrier
	v_readfirstlane_b32 s36, v2
	v_readfirstlane_b32 s37, v3
	s_mov_b64 s[0:1], exec
	v_readlane_b32 s2, v55, 24
	v_readlane_b32 s3, v55, 25
	s_and_b64 s[2:3], s[0:1], s[2:3]
	s_mov_b64 exec, s[2:3]
	s_cbranch_execz .LBB69_184
; %bb.183:                              ;   in Loop: Header=BB69_17 Depth=1
	ds_write_b16 v36, v13
.LBB69_184:                             ;   in Loop: Header=BB69_17 Depth=1
	s_or_b64 exec, exec, s[0:1]
	s_lshl_b32 s0, 2, s40
	s_and_b32 s1, s93, s41
	s_or_b32 s93, s1, s0
	v_cmp_gt_i64_e64 s[0:1], s[36:37], 0
	s_or_b32 s92, s92, s44
	s_and_b64 vcc, exec, s[0:1]
	s_waitcnt lgkmcnt(0)
	s_barrier
	s_cbranch_vccnz .LBB69_199
; %bb.185:                              ;   in Loop: Header=BB69_17 Depth=1
	s_mov_b32 s90, s83
	s_cmp_lg_u64 s[90:91], 0
	s_cbranch_scc0 .LBB69_244
; %bb.186:                              ;   in Loop: Header=BB69_17 Depth=1
	v_cvt_f32_u32_e32 v2, s33
	s_sub_u32 s0, 0, s33
	s_subb_u32 s1, 0, 0
	v_mac_f32_e32 v2, 0x4f800000, v45
	v_rcp_f32_e32 v2, v2
	v_mul_f32_e32 v2, 0x5f7ffffc, v2
	v_mul_f32_e32 v3, 0x2f800000, v2
	v_trunc_f32_e32 v3, v3
	v_mac_f32_e32 v2, 0xcf800000, v3
	v_cvt_u32_f32_e32 v3, v3
	v_cvt_u32_f32_e32 v2, v2
	v_readfirstlane_b32 s2, v3
	v_readfirstlane_b32 s3, v2
	s_mul_i32 s6, s0, s2
	s_mul_hi_u32 s8, s0, s3
	s_mul_i32 s7, s1, s3
	s_add_i32 s6, s8, s6
	s_mul_i32 s9, s0, s3
	s_add_i32 s6, s6, s7
	s_mul_hi_u32 s8, s3, s9
	s_mul_hi_u32 s7, s3, s6
	s_mul_i32 s3, s3, s6
	s_add_u32 s3, s8, s3
	s_addc_u32 s7, 0, s7
	s_mul_hi_u32 s28, s2, s9
	s_mul_i32 s9, s2, s9
	s_add_u32 s3, s3, s9
	s_mul_hi_u32 s8, s2, s6
	s_addc_u32 s3, s7, s28
	s_addc_u32 s7, s8, 0
	s_mul_i32 s6, s2, s6
	s_add_u32 s3, s3, s6
	s_addc_u32 s6, 0, s7
	v_add_co_u32_e32 v2, vcc, s3, v2
	s_cmp_lg_u64 vcc, 0
	s_addc_u32 s2, s2, s6
	v_readfirstlane_b32 s6, v2
	s_mul_i32 s3, s0, s2
	s_mul_hi_u32 s7, s0, s6
	s_add_i32 s3, s7, s3
	s_mul_i32 s1, s1, s6
	s_add_i32 s3, s3, s1
	s_mul_i32 s0, s0, s6
	s_mul_hi_u32 s7, s2, s0
	s_mul_i32 s8, s2, s0
	s_mul_i32 s28, s6, s3
	s_mul_hi_u32 s0, s6, s0
	s_mul_hi_u32 s9, s6, s3
	s_add_u32 s0, s0, s28
	s_addc_u32 s6, 0, s9
	s_add_u32 s0, s0, s8
	s_mul_hi_u32 s1, s2, s3
	s_addc_u32 s0, s6, s7
	s_addc_u32 s1, s1, 0
	s_mul_i32 s3, s2, s3
	s_add_u32 s0, s0, s3
	s_addc_u32 s1, 0, s1
	v_add_co_u32_e32 v2, vcc, s0, v2
	s_cmp_lg_u64 vcc, 0
	s_addc_u32 s6, s2, s1
	s_ashr_i32 s0, s91, 31
	v_readlane_b32 s2, v55, 33
	s_add_u32 s2, s2, s0
	s_mov_b32 s1, s0
	s_addc_u32 s3, s91, s0
	s_xor_b64 s[2:3], s[2:3], s[0:1]
	v_readfirstlane_b32 s8, v2
	s_mul_i32 s7, s2, s6
	s_mul_hi_u32 s9, s2, s8
	s_mul_hi_u32 s1, s2, s6
	s_add_u32 s7, s9, s7
	s_addc_u32 s1, 0, s1
	s_mul_hi_u32 s28, s3, s8
	s_mul_i32 s8, s3, s8
	s_add_u32 s7, s7, s8
	s_mul_hi_u32 s9, s3, s6
	s_addc_u32 s1, s1, s28
	s_addc_u32 s7, s9, 0
	s_mul_i32 s6, s3, s6
	s_add_u32 s1, s1, s6
	s_addc_u32 s6, 0, s7
	s_mul_hi_u32 s7, s33, s1
	s_mul_i32 s1, s33, s1
	s_mul_i32 s6, s33, s6
	v_mov_b32_e32 v2, s1
	s_add_i32 s7, s7, s6
	v_sub_co_u32_e32 v2, vcc, s2, v2
	s_cmp_lg_u64 vcc, 0
	s_subb_u32 s1, s3, s7
	v_subrev_co_u32_e32 v3, vcc, s33, v2
	s_cmp_lg_u64 vcc, 0
	s_subb_u32 s2, s1, 0
	v_subrev_co_u32_e32 v4, vcc, s33, v3
	s_cmp_lg_u64 vcc, 0
	s_subb_u32 s3, s2, 0
	v_cmp_le_u32_e32 vcc, s33, v3
	s_cmp_eq_u32 s2, 0
	v_cndmask_b32_e64 v5, 0, -1, vcc
	s_cselect_b64 vcc, -1, 0
	v_cndmask_b32_e32 v5, -1, v5, vcc
	v_mov_b32_e32 v6, s2
	v_mov_b32_e32 v7, s3
	v_cmp_ne_u32_e32 vcc, 0, v5
	v_cndmask_b32_e32 v5, v6, v7, vcc
	v_cndmask_b32_e32 v3, v3, v4, vcc
	v_cmp_le_u32_e32 vcc, s33, v2
	s_cmp_eq_u32 s1, 0
	v_cndmask_b32_e64 v4, 0, -1, vcc
	s_cselect_b64 vcc, -1, 0
	v_cndmask_b32_e32 v4, -1, v4, vcc
	v_cmp_ne_u32_e32 vcc, 0, v4
	v_mov_b32_e32 v6, s1
	v_cndmask_b32_e32 v2, v2, v3, vcc
	v_cndmask_b32_e32 v4, v6, v5, vcc
	v_xor_b32_e32 v2, s0, v2
	v_xor_b32_e32 v3, s0, v4
	v_mov_b32_e32 v4, s0
	v_subrev_co_u32_e32 v2, vcc, s0, v2
	v_subb_co_u32_e32 v3, vcc, v3, v4, vcc
	s_cbranch_execnz .LBB69_188
.LBB69_187:                             ;   in Loop: Header=BB69_17 Depth=1
	v_cvt_f32_u32_e32 v2, s33
	s_sub_i32 s0, 0, s33
	v_rcp_iflag_f32_e32 v2, v2
	v_mul_f32_e32 v2, 0x4f7ffffe, v2
	v_cvt_u32_f32_e32 v2, v2
	v_mul_lo_u32 v3, s0, v2
	v_mul_hi_u32 v3, v2, v3
	v_add_u32_e32 v2, v2, v3
	v_readlane_b32 s0, v55, 33
	v_mul_hi_u32 v2, s0, v2
	v_mul_lo_u32 v2, v2, s33
	v_sub_u32_e32 v2, s0, v2
	v_subrev_u32_e32 v3, s33, v2
	v_cmp_le_u32_e32 vcc, s33, v2
	v_cndmask_b32_e32 v2, v2, v3, vcc
	v_subrev_u32_e32 v3, s33, v2
	v_cmp_le_u32_e32 vcc, s33, v2
	v_cndmask_b32_e32 v12, v2, v3, vcc
	v_pk_mov_b32 v[2:3], v[12:13], v[12:13] op_sel:[0,1]
.LBB69_188:                             ;   in Loop: Header=BB69_17 Depth=1
	v_readlane_b32 s0, v55, 33
	v_mov_b32_e32 v4, s91
	v_sub_co_u32_e32 v2, vcc, s0, v2
	v_subb_co_u32_e32 v3, vcc, v4, v3, vcc
	v_cmp_gt_i64_e32 vcc, v[2:3], v[0:1]
	s_mov_b64 s[0:1], 0
                                        ; implicit-def: $vgpr48
	s_and_saveexec_b64 s[2:3], vcc
	s_cbranch_execz .LBB69_201
; %bb.189:                              ;   in Loop: Header=BB69_17 Depth=1
	v_pk_mov_b32 v[4:5], v[10:11], v[10:11] op_sel:[0,1]
	v_pk_mov_b32 v[6:7], v[0:1], v[0:1] op_sel:[0,1]
                                        ; implicit-def: $sgpr8_sgpr9
	s_branch .LBB69_191
.LBB69_190:                             ;   in Loop: Header=BB69_191 Depth=2
	s_or_b64 exec, exec, s[6:7]
	s_waitcnt lgkmcnt(0)
	s_barrier
	s_waitcnt vmcnt(0)
	ds_read_b32 v8, v13 offset:3072
	v_add_co_u32_e64 v6, s[6:7], s33, v6
	s_waitcnt lgkmcnt(0)
	s_barrier
	v_and_b32_e32 v9, 0x7fff, v8
	v_cmp_ne_u16_e32 vcc, 0, v9
	v_mov_b32_e32 v9, s26
	v_addc_co_u32_e64 v7, s[6:7], v7, v9, s[6:7]
	v_cmp_ge_i64_e64 s[6:7], v[6:7], v[2:3]
	s_or_b64 s[28:29], vcc, s[6:7]
	v_mov_b32_e32 v9, s81
	v_add_co_u32_e64 v4, s[6:7], s80, v4
	v_addc_co_u32_e64 v5, s[6:7], v5, v9, s[6:7]
	s_and_b64 s[6:7], exec, s[28:29]
	s_or_b64 s[0:1], s[6:7], s[0:1]
	s_andn2_b64 s[6:7], s[8:9], exec
	s_and_b64 s[8:9], vcc, exec
	s_or_b64 s[8:9], s[6:7], s[8:9]
	s_andn2_b64 exec, exec, s[0:1]
	s_cbranch_execz .LBB69_200
.LBB69_191:                             ;   Parent Loop BB69_17 Depth=1
                                        ; =>  This Inner Loop Header: Depth=2
	v_cmp_gt_i64_e32 vcc, s[52:53], v[6:7]
	v_mov_b32_e32 v8, 0
	s_and_saveexec_b64 s[6:7], vcc
	s_cbranch_execz .LBB69_193
; %bb.192:                              ;   in Loop: Header=BB69_191 Depth=2
	global_load_ushort v8, v[4:5], off
.LBB69_193:                             ;   in Loop: Header=BB69_191 Depth=2
	s_or_b64 exec, exec, s[6:7]
	s_and_saveexec_b64 s[6:7], vcc
	s_cbranch_execz .LBB69_190
; %bb.194:                              ;   in Loop: Header=BB69_191 Depth=2
	s_waitcnt vmcnt(0)
	v_cmp_lt_i16_e32 vcc, -1, v8
	v_cndmask_b32_e32 v9, v43, v44, vcc
	v_lshlrev_b32_e32 v12, 16, v8
	v_xor_b32_sdwa v9, v9, v8 dst_sel:DWORD dst_unused:UNUSED_PAD src0_sel:DWORD src1_sel:WORD_0
	v_cmp_o_f32_e32 vcc, v12, v12
	v_cndmask_b32_e32 v9, v43, v9, vcc
	v_and_b32_e32 v9, s92, v9
	v_cmp_eq_u32_e32 vcc, s93, v9
	s_and_b64 exec, exec, vcc
	s_cbranch_execz .LBB69_190
; %bb.195:                              ;   in Loop: Header=BB69_191 Depth=2
	v_perm_b32 v8, v8, s27, v47
	ds_write_b32 v13, v8 offset:3072
	s_branch .LBB69_190
.LBB69_196:                             ;   in Loop: Header=BB69_17 Depth=1
                                        ; implicit-def: $sgpr28_sgpr29
                                        ; implicit-def: $sgpr34_sgpr35
                                        ; implicit-def: $sgpr30_sgpr31
	s_branch .LBB69_215
.LBB69_197:                             ;   in Loop: Header=BB69_17 Depth=1
                                        ; implicit-def: $vgpr2_vgpr3
	s_branch .LBB69_140
.LBB69_198:                             ;   in Loop: Header=BB69_17 Depth=1
                                        ; implicit-def: $vgpr2_vgpr3
	s_branch .LBB69_157
.LBB69_199:                             ;   in Loop: Header=BB69_17 Depth=1
	s_mov_b64 s[28:29], -1
	s_mov_b64 s[0:1], 0
                                        ; implicit-def: $sgpr30_sgpr31
                                        ; implicit-def: $vgpr48
	s_mov_b64 s[34:35], s[28:29]
	s_cbranch_execnz .LBB69_202
	s_branch .LBB69_215
.LBB69_200:                             ;   in Loop: Header=BB69_17 Depth=1
	s_or_b64 exec, exec, s[0:1]
	v_lshrrev_b32_e32 v48, 16, v8
	s_and_b64 s[0:1], s[8:9], exec
.LBB69_201:                             ;   in Loop: Header=BB69_17 Depth=1
	s_or_b64 exec, exec, s[2:3]
	s_mov_b64 s[30:31], -1
	s_mov_b64 s[28:29], 0
	s_mov_b64 s[34:35], s[28:29]
	s_branch .LBB69_215
.LBB69_202:                             ;   in Loop: Header=BB69_17 Depth=1
	v_readlane_b32 s0, v55, 32
	s_add_u32 s6, s0, s36
	v_readlane_b32 s0, v55, 34
	s_addc_u32 s1, s0, s37
	s_mov_b32 s0, s83
	s_cmp_lg_u64 s[0:1], 0
	s_cbranch_scc0 .LBB69_245
; %bb.203:                              ;   in Loop: Header=BB69_17 Depth=1
	v_cvt_f32_u32_e32 v2, s33
	s_sub_u32 s0, 0, s33
	s_subb_u32 s2, 0, 0
	v_mac_f32_e32 v2, 0x4f800000, v45
	v_rcp_f32_e32 v2, v2
	v_mul_f32_e32 v2, 0x5f7ffffc, v2
	v_mul_f32_e32 v3, 0x2f800000, v2
	v_trunc_f32_e32 v3, v3
	v_mac_f32_e32 v2, 0xcf800000, v3
	v_cvt_u32_f32_e32 v3, v3
	v_cvt_u32_f32_e32 v2, v2
	v_readfirstlane_b32 s3, v3
	v_readfirstlane_b32 s7, v2
	s_mul_i32 s8, s0, s3
	s_mul_hi_u32 s28, s0, s7
	s_mul_i32 s9, s2, s7
	s_add_i32 s8, s28, s8
	s_mul_i32 s29, s0, s7
	s_add_i32 s8, s8, s9
	s_mul_hi_u32 s28, s7, s29
	s_mul_hi_u32 s9, s7, s8
	s_mul_i32 s7, s7, s8
	s_add_u32 s7, s28, s7
	s_addc_u32 s9, 0, s9
	s_mul_hi_u32 s30, s3, s29
	s_mul_i32 s29, s3, s29
	s_add_u32 s7, s7, s29
	s_mul_hi_u32 s28, s3, s8
	s_addc_u32 s7, s9, s30
	s_addc_u32 s9, s28, 0
	s_mul_i32 s8, s3, s8
	s_add_u32 s7, s7, s8
	s_addc_u32 s8, 0, s9
	v_add_co_u32_e32 v2, vcc, s7, v2
	s_cmp_lg_u64 vcc, 0
	s_addc_u32 s3, s3, s8
	v_readfirstlane_b32 s8, v2
	s_mul_i32 s7, s0, s3
	s_mul_hi_u32 s9, s0, s8
	s_add_i32 s7, s9, s7
	s_mul_i32 s2, s2, s8
	s_add_i32 s7, s7, s2
	s_mul_i32 s0, s0, s8
	s_mul_hi_u32 s9, s3, s0
	s_mul_i32 s28, s3, s0
	s_mul_i32 s30, s8, s7
	s_mul_hi_u32 s0, s8, s0
	s_mul_hi_u32 s29, s8, s7
	s_add_u32 s0, s0, s30
	s_addc_u32 s8, 0, s29
	s_add_u32 s0, s0, s28
	s_mul_hi_u32 s2, s3, s7
	s_addc_u32 s0, s8, s9
	s_addc_u32 s2, s2, 0
	s_mul_i32 s7, s3, s7
	s_add_u32 s0, s0, s7
	s_addc_u32 s2, 0, s2
	v_add_co_u32_e32 v2, vcc, s0, v2
	s_cmp_lg_u64 vcc, 0
	s_addc_u32 s0, s3, s2
	s_ashr_i32 s2, s1, 31
	s_add_u32 s8, s6, s2
	s_mov_b32 s3, s2
	s_addc_u32 s9, s1, s2
	s_xor_b64 s[8:9], s[8:9], s[2:3]
	v_readfirstlane_b32 s28, v2
	s_mul_i32 s7, s8, s0
	s_mul_hi_u32 s29, s8, s28
	s_mul_hi_u32 s3, s8, s0
	s_add_u32 s7, s29, s7
	s_addc_u32 s3, 0, s3
	s_mul_hi_u32 s30, s9, s28
	s_mul_i32 s28, s9, s28
	s_add_u32 s7, s7, s28
	s_mul_hi_u32 s29, s9, s0
	s_addc_u32 s3, s3, s30
	s_addc_u32 s7, s29, 0
	s_mul_i32 s0, s9, s0
	s_add_u32 s0, s3, s0
	s_addc_u32 s3, 0, s7
	s_mul_hi_u32 s7, s33, s0
	s_mul_i32 s0, s33, s0
	s_mul_i32 s3, s33, s3
	v_mov_b32_e32 v2, s0
	s_add_i32 s7, s7, s3
	v_sub_co_u32_e32 v2, vcc, s8, v2
	s_cmp_lg_u64 vcc, 0
	s_subb_u32 s0, s9, s7
	v_subrev_co_u32_e32 v3, vcc, s33, v2
	s_cmp_lg_u64 vcc, 0
	s_subb_u32 s3, s0, 0
	v_subrev_co_u32_e32 v4, vcc, s33, v3
	s_cmp_lg_u64 vcc, 0
	s_subb_u32 s7, s3, 0
	v_cmp_le_u32_e32 vcc, s33, v3
	s_cmp_eq_u32 s3, 0
	v_cndmask_b32_e64 v5, 0, -1, vcc
	s_cselect_b64 vcc, -1, 0
	v_cndmask_b32_e32 v5, -1, v5, vcc
	v_mov_b32_e32 v6, s3
	v_mov_b32_e32 v7, s7
	v_cmp_ne_u32_e32 vcc, 0, v5
	v_cndmask_b32_e32 v5, v6, v7, vcc
	v_cndmask_b32_e32 v3, v3, v4, vcc
	v_cmp_le_u32_e32 vcc, s33, v2
	s_cmp_eq_u32 s0, 0
	v_cndmask_b32_e64 v4, 0, -1, vcc
	s_cselect_b64 vcc, -1, 0
	v_cndmask_b32_e32 v4, -1, v4, vcc
	v_cmp_ne_u32_e32 vcc, 0, v4
	v_mov_b32_e32 v6, s0
	v_cndmask_b32_e32 v2, v2, v3, vcc
	v_cndmask_b32_e32 v4, v6, v5, vcc
	v_xor_b32_e32 v2, s2, v2
	v_xor_b32_e32 v3, s2, v4
	v_mov_b32_e32 v4, s2
	v_subrev_co_u32_e32 v2, vcc, s2, v2
	v_subb_co_u32_e32 v3, vcc, v3, v4, vcc
	s_cbranch_execnz .LBB69_205
.LBB69_204:                             ;   in Loop: Header=BB69_17 Depth=1
	v_cvt_f32_u32_e32 v2, s33
	s_sub_i32 s0, 0, s33
	v_rcp_iflag_f32_e32 v2, v2
	v_mul_f32_e32 v2, 0x4f7ffffe, v2
	v_cvt_u32_f32_e32 v2, v2
	v_mul_lo_u32 v3, s0, v2
	v_mul_hi_u32 v3, v2, v3
	v_add_u32_e32 v2, v2, v3
	v_mul_hi_u32 v2, s6, v2
	v_mul_lo_u32 v2, v2, s33
	v_sub_u32_e32 v2, s6, v2
	v_subrev_u32_e32 v3, s33, v2
	v_cmp_le_u32_e32 vcc, s33, v2
	v_cndmask_b32_e32 v2, v2, v3, vcc
	v_subrev_u32_e32 v3, s33, v2
	v_cmp_le_u32_e32 vcc, s33, v2
	v_cndmask_b32_e32 v12, v2, v3, vcc
	v_pk_mov_b32 v[2:3], v[12:13], v[12:13] op_sel:[0,1]
.LBB69_205:                             ;   in Loop: Header=BB69_17 Depth=1
	v_mov_b32_e32 v4, s1
	v_sub_co_u32_e32 v2, vcc, s6, v2
	v_subb_co_u32_e32 v3, vcc, v4, v3, vcc
	v_cmp_gt_i64_e32 vcc, v[2:3], v[0:1]
	s_mov_b64 s[0:1], 0
                                        ; implicit-def: $vgpr48
	s_and_saveexec_b64 s[2:3], vcc
	s_cbranch_execz .LBB69_214
; %bb.206:                              ;   in Loop: Header=BB69_17 Depth=1
	v_mov_b32_e32 v6, v35
	v_pk_mov_b32 v[4:5], v[0:1], v[0:1] op_sel:[0,1]
                                        ; implicit-def: $sgpr8_sgpr9
	s_branch .LBB69_208
.LBB69_207:                             ;   in Loop: Header=BB69_208 Depth=2
	s_or_b64 exec, exec, s[6:7]
	s_waitcnt lgkmcnt(0)
	s_barrier
	ds_read_b32 v7, v13 offset:3072
	v_add_co_u32_e64 v4, s[6:7], s33, v4
	v_add_u32_e32 v6, s61, v6
	s_waitcnt lgkmcnt(0)
	v_and_b32_e32 v8, 0x7fff, v7
	v_cmp_ne_u16_e32 vcc, 0, v8
	v_mov_b32_e32 v8, s26
	v_addc_co_u32_e64 v5, s[6:7], v5, v8, s[6:7]
	v_cmp_ge_i64_e64 s[6:7], v[4:5], v[2:3]
	s_or_b64 s[6:7], vcc, s[6:7]
	s_and_b64 s[6:7], exec, s[6:7]
	s_or_b64 s[0:1], s[6:7], s[0:1]
	s_andn2_b64 s[6:7], s[8:9], exec
	s_and_b64 s[8:9], vcc, exec
	s_or_b64 s[8:9], s[6:7], s[8:9]
	s_barrier
	s_andn2_b64 exec, exec, s[0:1]
	s_cbranch_execz .LBB69_213
.LBB69_208:                             ;   Parent Loop BB69_17 Depth=1
                                        ; =>  This Inner Loop Header: Depth=2
	v_cmp_gt_i64_e32 vcc, s[36:37], v[4:5]
	v_mov_b32_e32 v7, 0
	s_and_saveexec_b64 s[6:7], vcc
	s_cbranch_execz .LBB69_210
; %bb.209:                              ;   in Loop: Header=BB69_208 Depth=2
	ds_read_u16 v7, v6
.LBB69_210:                             ;   in Loop: Header=BB69_208 Depth=2
	s_or_b64 exec, exec, s[6:7]
	s_and_saveexec_b64 s[6:7], vcc
	s_cbranch_execz .LBB69_207
; %bb.211:                              ;   in Loop: Header=BB69_208 Depth=2
	s_waitcnt lgkmcnt(0)
	v_cmp_lt_i16_e32 vcc, -1, v7
	v_cndmask_b32_e32 v8, v43, v44, vcc
	v_lshlrev_b32_e32 v9, 16, v7
	v_xor_b32_sdwa v8, v8, v7 dst_sel:DWORD dst_unused:UNUSED_PAD src0_sel:DWORD src1_sel:WORD_0
	v_cmp_o_f32_e32 vcc, v9, v9
	v_cndmask_b32_e32 v8, v43, v8, vcc
	v_and_b32_e32 v8, s92, v8
	v_cmp_eq_u32_e32 vcc, s93, v8
	s_and_b64 exec, exec, vcc
	s_cbranch_execz .LBB69_207
; %bb.212:                              ;   in Loop: Header=BB69_208 Depth=2
	v_perm_b32 v7, v7, s27, v47
	ds_write_b32 v13, v7 offset:3072
	s_branch .LBB69_207
.LBB69_213:                             ;   in Loop: Header=BB69_17 Depth=1
	s_or_b64 exec, exec, s[0:1]
	v_lshrrev_b32_e32 v48, 16, v7
	s_and_b64 s[0:1], s[8:9], exec
.LBB69_214:                             ;   in Loop: Header=BB69_17 Depth=1
	s_or_b64 exec, exec, s[2:3]
	s_mov_b64 s[34:35], -1
	s_mov_b64 s[28:29], 0
	s_mov_b64 s[30:31], 0
.LBB69_215:                             ;   in Loop: Header=BB69_17 Depth=1
	s_mov_b64 s[2:3], 0
                                        ; implicit-def: $sgpr45
	s_and_saveexec_b64 s[36:37], s[0:1]
	s_cbranch_execz .LBB69_277
; %bb.216:                              ;   in Loop: Header=BB69_17 Depth=1
	s_xor_b64 s[0:1], s[38:39], -1
	s_andn2_b64 vcc, exec, s[0:1]
	s_mov_b32 s45, 1
	s_cbranch_vccnz .LBB69_227
; %bb.217:                              ;   in Loop: Header=BB69_17 Depth=1
	v_pk_mov_b32 v[2:3], s[16:17], s[16:17] op_sel:[0,1]
	v_cmp_gt_i64_e32 vcc, s[54:55], v[2:3]
	s_mov_b64 s[0:1], -1
                                        ; implicit-def: $sgpr45
                                        ; implicit-def: $sgpr2
                                        ; implicit-def: $sgpr3
	s_cbranch_vccnz .LBB69_223
; %bb.218:                              ;   in Loop: Header=BB69_17 Depth=1
	ds_read_b64 v[2:3], v13 offset:5120
	s_waitcnt lgkmcnt(0)
	v_cmp_ne_u64_e32 vcc, 0, v[2:3]
	s_cbranch_vccnz .LBB69_222
; %bb.219:                              ;   in Loop: Header=BB69_17 Depth=1
	s_mov_b64 s[0:1], exec
	v_readlane_b32 s2, v55, 12
	v_readlane_b32 s3, v55, 13
	s_and_b64 s[2:3], s[0:1], s[2:3]
	s_mov_b64 exec, s[2:3]
	s_cbranch_execz .LBB69_221
; %bb.220:                              ;   in Loop: Header=BB69_17 Depth=1
	v_pk_mov_b32 v[2:3], s[16:17], s[16:17] op_sel:[0,1]
	ds_write_b64 v13, v[2:3] offset:5128
.LBB69_221:                             ;   in Loop: Header=BB69_17 Depth=1
	s_or_b64 exec, exec, s[0:1]
	s_waitcnt lgkmcnt(0)
	s_barrier
.LBB69_222:                             ;   in Loop: Header=BB69_17 Depth=1
	s_lshl_b32 s0, 2, s40
	s_and_b32 s1, s93, s41
	s_or_b32 s2, s1, s0
	s_or_b32 s3, s92, s44
	s_mov_b64 s[0:1], 0
	s_mov_b32 s45, 8
.LBB69_223:                             ;   in Loop: Header=BB69_17 Depth=1
	s_andn2_b64 vcc, exec, s[0:1]
	s_cbranch_vccnz .LBB69_225
; %bb.224:                              ;   in Loop: Header=BB69_17 Depth=1
	s_sub_u32 s54, s54, s16
	s_subb_u32 s55, s55, s17
	s_mov_b64 s[0:1], -1
	s_mov_b32 s45, 0
	s_mov_b32 s2, s93
	;; [unrolled: 1-line block ×3, first 2 shown]
.LBB69_225:                             ;   in Loop: Header=BB69_17 Depth=1
	s_mov_b32 s92, s3
	s_mov_b32 s93, s2
	s_andn2_b64 vcc, exec, s[0:1]
	s_mov_b64 s[40:41], -1
	s_cbranch_vccz .LBB69_228
.LBB69_226:                             ;   in Loop: Header=BB69_17 Depth=1
                                        ; implicit-def: $sgpr0_sgpr1
                                        ; implicit-def: $sgpr6_sgpr7
                                        ; implicit-def: $sgpr2_sgpr3
	s_branch .LBB69_276
.LBB69_227:                             ;   in Loop: Header=BB69_17 Depth=1
	s_mov_b64 s[54:55], 1
	s_mov_b64 s[40:41], -1
	s_cbranch_execnz .LBB69_226
.LBB69_228:                             ;   in Loop: Header=BB69_17 Depth=1
	s_cmp_eq_u64 s[10:11], 1
	s_cselect_b64 s[0:1], -1, 0
	s_cmp_eq_u64 s[54:55], 1
	s_cselect_b64 s[2:3], -1, 0
	s_and_b64 s[16:17], s[0:1], s[2:3]
	s_mov_b64 s[8:9], -1
	s_and_b64 vcc, exec, s[16:17]
	s_cbranch_vccz .LBB69_243
; %bb.229:                              ;   in Loop: Header=BB69_17 Depth=1
	ds_read_b64 v[2:3], v13 offset:5120
	s_waitcnt lgkmcnt(0)
	s_barrier
	v_readfirstlane_b32 s38, v2
	v_readfirstlane_b32 s39, v3
	s_mov_b64 s[0:1], exec
	v_readlane_b32 s2, v55, 24
	v_readlane_b32 s3, v55, 25
	s_and_b64 s[2:3], s[0:1], s[2:3]
	s_mov_b64 exec, s[2:3]
	s_cbranch_execz .LBB69_231
; %bb.230:                              ;   in Loop: Header=BB69_17 Depth=1
	ds_write_b16 v36, v13
.LBB69_231:                             ;   in Loop: Header=BB69_17 Depth=1
	s_or_b64 exec, exec, s[0:1]
	v_cmp_gt_i64_e64 s[0:1], s[38:39], 0
	s_or_b32 s93, s93, s44
	s_or_b32 s92, s92, s44
	s_and_b64 vcc, exec, s[0:1]
	s_waitcnt lgkmcnt(0)
	s_barrier
	s_cbranch_vccnz .LBB69_246
; %bb.232:                              ;   in Loop: Header=BB69_17 Depth=1
	s_mov_b32 s90, s83
	s_cmp_lg_u64 s[90:91], 0
	s_cbranch_scc0 .LBB69_282
; %bb.233:                              ;   in Loop: Header=BB69_17 Depth=1
	v_cvt_f32_u32_e32 v2, s33
	s_sub_u32 s0, 0, s33
	s_subb_u32 s1, 0, 0
	v_mac_f32_e32 v2, 0x4f800000, v45
	v_rcp_f32_e32 v2, v2
	v_mul_f32_e32 v2, 0x5f7ffffc, v2
	v_mul_f32_e32 v3, 0x2f800000, v2
	v_trunc_f32_e32 v3, v3
	v_mac_f32_e32 v2, 0xcf800000, v3
	v_cvt_u32_f32_e32 v3, v3
	v_cvt_u32_f32_e32 v2, v2
	v_readfirstlane_b32 s2, v3
	v_readfirstlane_b32 s3, v2
	s_mul_i32 s6, s0, s2
	s_mul_hi_u32 s8, s0, s3
	s_mul_i32 s7, s1, s3
	s_add_i32 s6, s8, s6
	s_mul_i32 s9, s0, s3
	s_add_i32 s6, s6, s7
	s_mul_hi_u32 s8, s3, s9
	s_mul_hi_u32 s7, s3, s6
	s_mul_i32 s3, s3, s6
	s_add_u32 s3, s8, s3
	s_addc_u32 s7, 0, s7
	s_mul_hi_u32 s40, s2, s9
	s_mul_i32 s9, s2, s9
	s_add_u32 s3, s3, s9
	s_mul_hi_u32 s8, s2, s6
	s_addc_u32 s3, s7, s40
	s_addc_u32 s7, s8, 0
	s_mul_i32 s6, s2, s6
	s_add_u32 s3, s3, s6
	s_addc_u32 s6, 0, s7
	v_add_co_u32_e32 v2, vcc, s3, v2
	s_cmp_lg_u64 vcc, 0
	s_addc_u32 s2, s2, s6
	v_readfirstlane_b32 s6, v2
	s_mul_i32 s3, s0, s2
	s_mul_hi_u32 s7, s0, s6
	s_add_i32 s3, s7, s3
	s_mul_i32 s1, s1, s6
	s_add_i32 s3, s3, s1
	s_mul_i32 s0, s0, s6
	s_mul_hi_u32 s7, s2, s0
	s_mul_i32 s8, s2, s0
	s_mul_i32 s40, s6, s3
	s_mul_hi_u32 s0, s6, s0
	s_mul_hi_u32 s9, s6, s3
	s_add_u32 s0, s0, s40
	s_addc_u32 s6, 0, s9
	s_add_u32 s0, s0, s8
	s_mul_hi_u32 s1, s2, s3
	s_addc_u32 s0, s6, s7
	s_addc_u32 s1, s1, 0
	s_mul_i32 s3, s2, s3
	s_add_u32 s0, s0, s3
	s_addc_u32 s1, 0, s1
	v_add_co_u32_e32 v2, vcc, s0, v2
	s_cmp_lg_u64 vcc, 0
	s_addc_u32 s6, s2, s1
	s_ashr_i32 s0, s91, 31
	v_readlane_b32 s2, v55, 33
	s_add_u32 s2, s2, s0
	s_mov_b32 s1, s0
	s_addc_u32 s3, s91, s0
	s_xor_b64 s[2:3], s[2:3], s[0:1]
	v_readfirstlane_b32 s8, v2
	s_mul_i32 s7, s2, s6
	s_mul_hi_u32 s9, s2, s8
	s_mul_hi_u32 s1, s2, s6
	s_add_u32 s7, s9, s7
	s_addc_u32 s1, 0, s1
	s_mul_hi_u32 s40, s3, s8
	s_mul_i32 s8, s3, s8
	s_add_u32 s7, s7, s8
	s_mul_hi_u32 s9, s3, s6
	s_addc_u32 s1, s1, s40
	s_addc_u32 s7, s9, 0
	s_mul_i32 s6, s3, s6
	s_add_u32 s1, s1, s6
	s_addc_u32 s6, 0, s7
	s_mul_hi_u32 s7, s33, s1
	s_mul_i32 s1, s33, s1
	s_mul_i32 s6, s33, s6
	v_mov_b32_e32 v2, s1
	s_add_i32 s7, s7, s6
	v_sub_co_u32_e32 v2, vcc, s2, v2
	s_cmp_lg_u64 vcc, 0
	s_subb_u32 s1, s3, s7
	v_subrev_co_u32_e32 v3, vcc, s33, v2
	s_cmp_lg_u64 vcc, 0
	s_subb_u32 s2, s1, 0
	v_subrev_co_u32_e32 v4, vcc, s33, v3
	s_cmp_lg_u64 vcc, 0
	s_subb_u32 s3, s2, 0
	v_cmp_le_u32_e32 vcc, s33, v3
	s_cmp_eq_u32 s2, 0
	v_cndmask_b32_e64 v5, 0, -1, vcc
	s_cselect_b64 vcc, -1, 0
	v_cndmask_b32_e32 v5, -1, v5, vcc
	v_mov_b32_e32 v6, s2
	v_mov_b32_e32 v7, s3
	v_cmp_ne_u32_e32 vcc, 0, v5
	v_cndmask_b32_e32 v5, v6, v7, vcc
	v_cndmask_b32_e32 v3, v3, v4, vcc
	v_cmp_le_u32_e32 vcc, s33, v2
	s_cmp_eq_u32 s1, 0
	v_cndmask_b32_e64 v4, 0, -1, vcc
	s_cselect_b64 vcc, -1, 0
	v_cndmask_b32_e32 v4, -1, v4, vcc
	v_cmp_ne_u32_e32 vcc, 0, v4
	v_mov_b32_e32 v6, s1
	v_cndmask_b32_e32 v2, v2, v3, vcc
	v_cndmask_b32_e32 v4, v6, v5, vcc
	v_xor_b32_e32 v2, s0, v2
	v_xor_b32_e32 v3, s0, v4
	v_mov_b32_e32 v4, s0
	v_subrev_co_u32_e32 v2, vcc, s0, v2
	v_subb_co_u32_e32 v3, vcc, v3, v4, vcc
	s_cbranch_execnz .LBB69_235
.LBB69_234:                             ;   in Loop: Header=BB69_17 Depth=1
	v_cvt_f32_u32_e32 v2, s33
	s_sub_i32 s0, 0, s33
	v_rcp_iflag_f32_e32 v2, v2
	v_mul_f32_e32 v2, 0x4f7ffffe, v2
	v_cvt_u32_f32_e32 v2, v2
	v_mul_lo_u32 v3, s0, v2
	v_mul_hi_u32 v3, v2, v3
	v_add_u32_e32 v2, v2, v3
	v_readlane_b32 s0, v55, 33
	v_mul_hi_u32 v2, s0, v2
	v_mul_lo_u32 v2, v2, s33
	v_sub_u32_e32 v2, s0, v2
	v_subrev_u32_e32 v3, s33, v2
	v_cmp_le_u32_e32 vcc, s33, v2
	v_cndmask_b32_e32 v2, v2, v3, vcc
	v_subrev_u32_e32 v3, s33, v2
	v_cmp_le_u32_e32 vcc, s33, v2
	v_cndmask_b32_e32 v12, v2, v3, vcc
	v_pk_mov_b32 v[2:3], v[12:13], v[12:13] op_sel:[0,1]
.LBB69_235:                             ;   in Loop: Header=BB69_17 Depth=1
	v_readlane_b32 s0, v55, 33
	v_mov_b32_e32 v4, s91
	v_sub_co_u32_e32 v2, vcc, s0, v2
	v_subb_co_u32_e32 v3, vcc, v4, v3, vcc
	v_cmp_gt_i64_e32 vcc, v[2:3], v[0:1]
	s_mov_b64 s[8:9], 0
                                        ; implicit-def: $vgpr48
	s_and_saveexec_b64 s[0:1], vcc
	s_cbranch_execz .LBB69_248
; %bb.236:                              ;   in Loop: Header=BB69_17 Depth=1
	s_mov_b64 s[2:3], 0
	v_pk_mov_b32 v[4:5], v[10:11], v[10:11] op_sel:[0,1]
	v_pk_mov_b32 v[6:7], v[0:1], v[0:1] op_sel:[0,1]
                                        ; implicit-def: $sgpr8_sgpr9
	s_branch .LBB69_238
.LBB69_237:                             ;   in Loop: Header=BB69_238 Depth=2
	s_or_b64 exec, exec, s[6:7]
	s_waitcnt lgkmcnt(0)
	s_barrier
	s_waitcnt vmcnt(0)
	ds_read_b32 v8, v13 offset:3072
	v_add_co_u32_e64 v6, s[6:7], s33, v6
	s_waitcnt lgkmcnt(0)
	s_barrier
	v_and_b32_e32 v9, 0x7fff, v8
	v_cmp_ne_u16_e32 vcc, 0, v9
	v_mov_b32_e32 v9, s26
	v_addc_co_u32_e64 v7, s[6:7], v7, v9, s[6:7]
	v_cmp_ge_i64_e64 s[6:7], v[6:7], v[2:3]
	s_or_b64 s[40:41], vcc, s[6:7]
	v_mov_b32_e32 v9, s81
	v_add_co_u32_e64 v4, s[6:7], s80, v4
	v_addc_co_u32_e64 v5, s[6:7], v5, v9, s[6:7]
	s_and_b64 s[6:7], exec, s[40:41]
	s_or_b64 s[2:3], s[6:7], s[2:3]
	s_andn2_b64 s[6:7], s[8:9], exec
	s_and_b64 s[8:9], vcc, exec
	s_or_b64 s[8:9], s[6:7], s[8:9]
	s_andn2_b64 exec, exec, s[2:3]
	s_cbranch_execz .LBB69_247
.LBB69_238:                             ;   Parent Loop BB69_17 Depth=1
                                        ; =>  This Inner Loop Header: Depth=2
	v_cmp_gt_i64_e32 vcc, s[52:53], v[6:7]
	v_mov_b32_e32 v8, 0
	s_and_saveexec_b64 s[6:7], vcc
	s_cbranch_execz .LBB69_240
; %bb.239:                              ;   in Loop: Header=BB69_238 Depth=2
	global_load_ushort v8, v[4:5], off
.LBB69_240:                             ;   in Loop: Header=BB69_238 Depth=2
	s_or_b64 exec, exec, s[6:7]
	s_and_saveexec_b64 s[6:7], vcc
	s_cbranch_execz .LBB69_237
; %bb.241:                              ;   in Loop: Header=BB69_238 Depth=2
	s_waitcnt vmcnt(0)
	v_cmp_lt_i16_e32 vcc, -1, v8
	v_cndmask_b32_e32 v9, v43, v44, vcc
	v_lshlrev_b32_e32 v12, 16, v8
	v_xor_b32_sdwa v9, v9, v8 dst_sel:DWORD dst_unused:UNUSED_PAD src0_sel:DWORD src1_sel:WORD_0
	v_cmp_o_f32_e32 vcc, v12, v12
	v_cndmask_b32_e32 v9, v43, v9, vcc
	v_and_b32_e32 v9, s92, v9
	v_cmp_eq_u32_e32 vcc, s93, v9
	s_and_b64 exec, exec, vcc
	s_cbranch_execz .LBB69_237
; %bb.242:                              ;   in Loop: Header=BB69_238 Depth=2
	v_perm_b32 v8, v8, s27, v47
	ds_write_b32 v13, v8 offset:3072
	s_branch .LBB69_237
.LBB69_243:                             ;   in Loop: Header=BB69_17 Depth=1
                                        ; implicit-def: $sgpr0_sgpr1
                                        ; implicit-def: $sgpr6_sgpr7
                                        ; implicit-def: $sgpr2_sgpr3
	s_branch .LBB69_262
.LBB69_244:                             ;   in Loop: Header=BB69_17 Depth=1
                                        ; implicit-def: $vgpr2_vgpr3
	s_branch .LBB69_187
.LBB69_245:                             ;   in Loop: Header=BB69_17 Depth=1
                                        ; implicit-def: $vgpr2_vgpr3
	s_branch .LBB69_204
.LBB69_246:                             ;   in Loop: Header=BB69_17 Depth=1
	s_mov_b64 s[0:1], -1
	s_mov_b64 s[8:9], 0
                                        ; implicit-def: $sgpr2_sgpr3
                                        ; implicit-def: $vgpr48
	s_mov_b64 s[6:7], s[0:1]
	s_cbranch_execnz .LBB69_249
	s_branch .LBB69_262
.LBB69_247:                             ;   in Loop: Header=BB69_17 Depth=1
	s_or_b64 exec, exec, s[2:3]
	v_lshrrev_b32_e32 v48, 16, v8
	s_and_b64 s[8:9], s[8:9], exec
.LBB69_248:                             ;   in Loop: Header=BB69_17 Depth=1
	s_or_b64 exec, exec, s[0:1]
	s_mov_b64 s[2:3], -1
	s_mov_b64 s[0:1], 0
	s_mov_b64 s[6:7], s[0:1]
	s_branch .LBB69_262
.LBB69_249:                             ;   in Loop: Header=BB69_17 Depth=1
	v_readlane_b32 s0, v55, 32
	s_add_u32 s6, s0, s38
	v_readlane_b32 s0, v55, 34
	s_addc_u32 s1, s0, s39
	s_mov_b32 s0, s83
	s_cmp_lg_u64 s[0:1], 0
	s_cbranch_scc0 .LBB69_283
; %bb.250:                              ;   in Loop: Header=BB69_17 Depth=1
	v_cvt_f32_u32_e32 v2, s33
	s_sub_u32 s0, 0, s33
	s_subb_u32 s2, 0, 0
	v_mac_f32_e32 v2, 0x4f800000, v45
	v_rcp_f32_e32 v2, v2
	v_mul_f32_e32 v2, 0x5f7ffffc, v2
	v_mul_f32_e32 v3, 0x2f800000, v2
	v_trunc_f32_e32 v3, v3
	v_mac_f32_e32 v2, 0xcf800000, v3
	v_cvt_u32_f32_e32 v3, v3
	v_cvt_u32_f32_e32 v2, v2
	v_readfirstlane_b32 s3, v3
	v_readfirstlane_b32 s7, v2
	s_mul_i32 s8, s0, s3
	s_mul_hi_u32 s40, s0, s7
	s_mul_i32 s9, s2, s7
	s_add_i32 s8, s40, s8
	s_mul_i32 s41, s0, s7
	s_add_i32 s8, s8, s9
	s_mul_hi_u32 s40, s7, s41
	s_mul_hi_u32 s9, s7, s8
	s_mul_i32 s7, s7, s8
	s_add_u32 s7, s40, s7
	s_addc_u32 s9, 0, s9
	s_mul_hi_u32 s42, s3, s41
	s_mul_i32 s41, s3, s41
	s_add_u32 s7, s7, s41
	s_mul_hi_u32 s40, s3, s8
	s_addc_u32 s7, s9, s42
	s_addc_u32 s9, s40, 0
	s_mul_i32 s8, s3, s8
	s_add_u32 s7, s7, s8
	s_addc_u32 s8, 0, s9
	v_add_co_u32_e32 v2, vcc, s7, v2
	s_cmp_lg_u64 vcc, 0
	s_addc_u32 s3, s3, s8
	v_readfirstlane_b32 s8, v2
	s_mul_i32 s7, s0, s3
	s_mul_hi_u32 s9, s0, s8
	s_add_i32 s7, s9, s7
	s_mul_i32 s2, s2, s8
	s_add_i32 s7, s7, s2
	s_mul_i32 s0, s0, s8
	s_mul_hi_u32 s9, s3, s0
	s_mul_i32 s40, s3, s0
	s_mul_i32 s42, s8, s7
	s_mul_hi_u32 s0, s8, s0
	s_mul_hi_u32 s41, s8, s7
	s_add_u32 s0, s0, s42
	s_addc_u32 s8, 0, s41
	s_add_u32 s0, s0, s40
	s_mul_hi_u32 s2, s3, s7
	s_addc_u32 s0, s8, s9
	s_addc_u32 s2, s2, 0
	s_mul_i32 s7, s3, s7
	s_add_u32 s0, s0, s7
	s_addc_u32 s2, 0, s2
	v_add_co_u32_e32 v2, vcc, s0, v2
	s_cmp_lg_u64 vcc, 0
	s_addc_u32 s0, s3, s2
	s_ashr_i32 s2, s1, 31
	s_add_u32 s8, s6, s2
	s_mov_b32 s3, s2
	s_addc_u32 s9, s1, s2
	s_xor_b64 s[8:9], s[8:9], s[2:3]
	v_readfirstlane_b32 s40, v2
	s_mul_i32 s7, s8, s0
	s_mul_hi_u32 s41, s8, s40
	s_mul_hi_u32 s3, s8, s0
	s_add_u32 s7, s41, s7
	s_addc_u32 s3, 0, s3
	s_mul_hi_u32 s42, s9, s40
	s_mul_i32 s40, s9, s40
	s_add_u32 s7, s7, s40
	s_mul_hi_u32 s41, s9, s0
	s_addc_u32 s3, s3, s42
	s_addc_u32 s7, s41, 0
	s_mul_i32 s0, s9, s0
	s_add_u32 s0, s3, s0
	s_addc_u32 s3, 0, s7
	s_mul_hi_u32 s7, s33, s0
	s_mul_i32 s0, s33, s0
	s_mul_i32 s3, s33, s3
	v_mov_b32_e32 v2, s0
	s_add_i32 s7, s7, s3
	v_sub_co_u32_e32 v2, vcc, s8, v2
	s_cmp_lg_u64 vcc, 0
	s_subb_u32 s0, s9, s7
	v_subrev_co_u32_e32 v3, vcc, s33, v2
	s_cmp_lg_u64 vcc, 0
	s_subb_u32 s3, s0, 0
	v_subrev_co_u32_e32 v4, vcc, s33, v3
	s_cmp_lg_u64 vcc, 0
	s_subb_u32 s7, s3, 0
	v_cmp_le_u32_e32 vcc, s33, v3
	s_cmp_eq_u32 s3, 0
	v_cndmask_b32_e64 v5, 0, -1, vcc
	s_cselect_b64 vcc, -1, 0
	v_cndmask_b32_e32 v5, -1, v5, vcc
	v_mov_b32_e32 v6, s3
	v_mov_b32_e32 v7, s7
	v_cmp_ne_u32_e32 vcc, 0, v5
	v_cndmask_b32_e32 v5, v6, v7, vcc
	v_cndmask_b32_e32 v3, v3, v4, vcc
	v_cmp_le_u32_e32 vcc, s33, v2
	s_cmp_eq_u32 s0, 0
	v_cndmask_b32_e64 v4, 0, -1, vcc
	s_cselect_b64 vcc, -1, 0
	v_cndmask_b32_e32 v4, -1, v4, vcc
	v_cmp_ne_u32_e32 vcc, 0, v4
	v_mov_b32_e32 v6, s0
	v_cndmask_b32_e32 v2, v2, v3, vcc
	v_cndmask_b32_e32 v4, v6, v5, vcc
	v_xor_b32_e32 v2, s2, v2
	v_xor_b32_e32 v3, s2, v4
	v_mov_b32_e32 v4, s2
	v_subrev_co_u32_e32 v2, vcc, s2, v2
	v_subb_co_u32_e32 v3, vcc, v3, v4, vcc
	s_cbranch_execnz .LBB69_252
.LBB69_251:                             ;   in Loop: Header=BB69_17 Depth=1
	v_cvt_f32_u32_e32 v2, s33
	s_sub_i32 s0, 0, s33
	v_rcp_iflag_f32_e32 v2, v2
	v_mul_f32_e32 v2, 0x4f7ffffe, v2
	v_cvt_u32_f32_e32 v2, v2
	v_mul_lo_u32 v3, s0, v2
	v_mul_hi_u32 v3, v2, v3
	v_add_u32_e32 v2, v2, v3
	v_mul_hi_u32 v2, s6, v2
	v_mul_lo_u32 v2, v2, s33
	v_sub_u32_e32 v2, s6, v2
	v_subrev_u32_e32 v3, s33, v2
	v_cmp_le_u32_e32 vcc, s33, v2
	v_cndmask_b32_e32 v2, v2, v3, vcc
	v_subrev_u32_e32 v3, s33, v2
	v_cmp_le_u32_e32 vcc, s33, v2
	v_cndmask_b32_e32 v12, v2, v3, vcc
	v_pk_mov_b32 v[2:3], v[12:13], v[12:13] op_sel:[0,1]
.LBB69_252:                             ;   in Loop: Header=BB69_17 Depth=1
	v_mov_b32_e32 v4, s1
	v_sub_co_u32_e32 v2, vcc, s6, v2
	v_subb_co_u32_e32 v3, vcc, v4, v3, vcc
	v_cmp_gt_i64_e32 vcc, v[2:3], v[0:1]
	s_mov_b64 s[8:9], 0
                                        ; implicit-def: $vgpr48
	s_and_saveexec_b64 s[0:1], vcc
	s_cbranch_execz .LBB69_261
; %bb.253:                              ;   in Loop: Header=BB69_17 Depth=1
	s_mov_b64 s[2:3], 0
	v_mov_b32_e32 v6, v35
	v_pk_mov_b32 v[4:5], v[0:1], v[0:1] op_sel:[0,1]
                                        ; implicit-def: $sgpr8_sgpr9
	s_branch .LBB69_255
.LBB69_254:                             ;   in Loop: Header=BB69_255 Depth=2
	s_or_b64 exec, exec, s[6:7]
	s_waitcnt lgkmcnt(0)
	s_barrier
	ds_read_b32 v7, v13 offset:3072
	v_add_co_u32_e64 v4, s[6:7], s33, v4
	v_add_u32_e32 v6, s61, v6
	s_waitcnt lgkmcnt(0)
	v_and_b32_e32 v8, 0x7fff, v7
	v_cmp_ne_u16_e32 vcc, 0, v8
	v_mov_b32_e32 v8, s26
	v_addc_co_u32_e64 v5, s[6:7], v5, v8, s[6:7]
	v_cmp_ge_i64_e64 s[6:7], v[4:5], v[2:3]
	s_or_b64 s[6:7], vcc, s[6:7]
	s_and_b64 s[6:7], exec, s[6:7]
	s_or_b64 s[2:3], s[6:7], s[2:3]
	s_andn2_b64 s[6:7], s[8:9], exec
	s_and_b64 s[8:9], vcc, exec
	s_or_b64 s[8:9], s[6:7], s[8:9]
	s_barrier
	s_andn2_b64 exec, exec, s[2:3]
	s_cbranch_execz .LBB69_260
.LBB69_255:                             ;   Parent Loop BB69_17 Depth=1
                                        ; =>  This Inner Loop Header: Depth=2
	v_cmp_gt_i64_e32 vcc, s[38:39], v[4:5]
	v_mov_b32_e32 v7, 0
	s_and_saveexec_b64 s[6:7], vcc
	s_cbranch_execz .LBB69_257
; %bb.256:                              ;   in Loop: Header=BB69_255 Depth=2
	ds_read_u16 v7, v6
.LBB69_257:                             ;   in Loop: Header=BB69_255 Depth=2
	s_or_b64 exec, exec, s[6:7]
	s_and_saveexec_b64 s[6:7], vcc
	s_cbranch_execz .LBB69_254
; %bb.258:                              ;   in Loop: Header=BB69_255 Depth=2
	s_waitcnt lgkmcnt(0)
	v_cmp_lt_i16_e32 vcc, -1, v7
	v_cndmask_b32_e32 v8, v43, v44, vcc
	v_lshlrev_b32_e32 v9, 16, v7
	v_xor_b32_sdwa v8, v8, v7 dst_sel:DWORD dst_unused:UNUSED_PAD src0_sel:DWORD src1_sel:WORD_0
	v_cmp_o_f32_e32 vcc, v9, v9
	v_cndmask_b32_e32 v8, v43, v8, vcc
	v_and_b32_e32 v8, s92, v8
	v_cmp_eq_u32_e32 vcc, s93, v8
	s_and_b64 exec, exec, vcc
	s_cbranch_execz .LBB69_254
; %bb.259:                              ;   in Loop: Header=BB69_255 Depth=2
	v_perm_b32 v7, v7, s27, v47
	ds_write_b32 v13, v7 offset:3072
	s_branch .LBB69_254
.LBB69_260:                             ;   in Loop: Header=BB69_17 Depth=1
	s_or_b64 exec, exec, s[2:3]
	v_lshrrev_b32_e32 v48, 16, v7
	s_and_b64 s[8:9], s[8:9], exec
.LBB69_261:                             ;   in Loop: Header=BB69_17 Depth=1
	s_or_b64 exec, exec, s[0:1]
	s_mov_b64 s[6:7], -1
	s_mov_b64 s[0:1], 0
	s_mov_b64 s[2:3], 0
.LBB69_262:                             ;   in Loop: Header=BB69_17 Depth=1
	s_mov_b64 s[40:41], 0
                                        ; implicit-def: $sgpr45
                                        ; implicit-def: $sgpr42_sgpr43
	s_and_saveexec_b64 s[38:39], s[8:9]
	s_cbranch_execz .LBB69_275
; %bb.263:                              ;   in Loop: Header=BB69_17 Depth=1
	s_xor_b64 s[8:9], s[16:17], -1
	s_mov_b64 s[42:43], 1
	s_andn2_b64 vcc, exec, s[8:9]
	s_mov_b32 s45, 1
	s_cbranch_vccnz .LBB69_274
; %bb.264:                              ;   in Loop: Header=BB69_17 Depth=1
	v_pk_mov_b32 v[2:3], s[10:11], s[10:11] op_sel:[0,1]
	v_cmp_gt_i64_e32 vcc, s[54:55], v[2:3]
	s_cbranch_vccnz .LBB69_270
; %bb.265:                              ;   in Loop: Header=BB69_17 Depth=1
	ds_read_b64 v[2:3], v13 offset:5120
	s_waitcnt lgkmcnt(0)
	v_cmp_ne_u64_e32 vcc, 0, v[2:3]
	s_cbranch_vccnz .LBB69_269
; %bb.266:                              ;   in Loop: Header=BB69_17 Depth=1
	s_mov_b64 s[8:9], exec
	v_readlane_b32 s16, v55, 12
	v_readlane_b32 s17, v55, 13
	s_and_b64 s[16:17], s[8:9], s[16:17]
	s_mov_b64 exec, s[16:17]
	s_cbranch_execz .LBB69_268
; %bb.267:                              ;   in Loop: Header=BB69_17 Depth=1
	v_pk_mov_b32 v[2:3], s[10:11], s[10:11] op_sel:[0,1]
	ds_write_b64 v13, v[2:3] offset:5128
.LBB69_268:                             ;   in Loop: Header=BB69_17 Depth=1
	s_or_b64 exec, exec, s[8:9]
	s_waitcnt lgkmcnt(0)
	s_barrier
.LBB69_269:                             ;   in Loop: Header=BB69_17 Depth=1
	s_or_b32 s16, s93, s44
	s_or_b32 s17, s92, s44
	s_mov_b64 s[8:9], 0
	s_mov_b32 s45, 8
	s_branch .LBB69_271
.LBB69_270:                             ;   in Loop: Header=BB69_17 Depth=1
	s_mov_b64 s[8:9], -1
                                        ; implicit-def: $sgpr45
                                        ; implicit-def: $sgpr16
                                        ; implicit-def: $sgpr17
.LBB69_271:                             ;   in Loop: Header=BB69_17 Depth=1
	s_andn2_b64 vcc, exec, s[8:9]
	s_cbranch_vccnz .LBB69_273
; %bb.272:                              ;   in Loop: Header=BB69_17 Depth=1
	s_sub_u32 s54, s54, s10
	s_subb_u32 s55, s55, s11
	s_mov_b32 s45, 8
	s_mov_b32 s16, s93
	;; [unrolled: 1-line block ×3, first 2 shown]
.LBB69_273:                             ;   in Loop: Header=BB69_17 Depth=1
	s_mov_b64 s[42:43], s[54:55]
	s_mov_b32 s93, s16
	s_mov_b32 s92, s17
.LBB69_274:                             ;   in Loop: Header=BB69_17 Depth=1
	s_mov_b64 s[40:41], exec
.LBB69_275:                             ;   in Loop: Header=BB69_17 Depth=1
	s_or_b64 exec, exec, s[38:39]
	s_mov_b64 s[54:55], s[42:43]
.LBB69_276:                             ;   in Loop: Header=BB69_17 Depth=1
	s_andn2_b64 s[8:9], s[28:29], exec
	s_and_b64 s[0:1], s[0:1], exec
	s_or_b64 s[28:29], s[8:9], s[0:1]
	s_andn2_b64 s[0:1], s[34:35], exec
	s_and_b64 s[6:7], s[6:7], exec
	s_or_b64 s[34:35], s[0:1], s[6:7]
	;; [unrolled: 3-line block ×3, first 2 shown]
	s_and_b64 s[2:3], s[40:41], exec
.LBB69_277:                             ;   in Loop: Header=BB69_17 Depth=1
	s_or_b64 exec, exec, s[36:37]
.LBB69_278:                             ;   in Loop: Header=BB69_17 Depth=1
	s_andn2_b64 s[0:1], s[20:21], exec
	s_and_b64 s[6:7], s[28:29], exec
	s_or_b64 s[20:21], s[0:1], s[6:7]
	s_andn2_b64 s[0:1], s[22:23], exec
	s_and_b64 s[6:7], s[34:35], exec
	s_or_b64 s[22:23], s[0:1], s[6:7]
	;; [unrolled: 3-line block ×3, first 2 shown]
	s_and_b64 s[2:3], s[2:3], exec
.LBB69_279:                             ;   in Loop: Header=BB69_17 Depth=1
	s_or_b64 exec, exec, s[24:25]
	s_and_saveexec_b64 s[0:1], s[2:3]
	s_xor_b64 s[0:1], exec, s[0:1]
	s_cbranch_execz .LBB69_15
.LBB69_280:                             ;   in Loop: Header=BB69_17 Depth=1
	s_and_b32 s2, s45, -9
	s_cmp_eq_u32 s2, 0
	s_cbranch_scc1 .LBB69_13
; %bb.281:                              ;   in Loop: Header=BB69_17 Depth=1
	s_mov_b64 s[2:3], -1
                                        ; implicit-def: $sgpr92
                                        ; implicit-def: $sgpr86
                                        ; implicit-def: $sgpr87
	s_mov_b64 s[6:7], -1
	s_branch .LBB69_14
.LBB69_282:                             ;   in Loop: Header=BB69_17 Depth=1
                                        ; implicit-def: $vgpr2_vgpr3
	s_branch .LBB69_234
.LBB69_283:                             ;   in Loop: Header=BB69_17 Depth=1
                                        ; implicit-def: $vgpr2_vgpr3
	s_branch .LBB69_251
.LBB69_284:
	s_or_b64 exec, exec, s[62:63]
	s_xor_b64 s[4:5], s[70:71], -1
	s_xor_b64 s[0:1], s[66:67], -1
	;; [unrolled: 1-line block ×3, first 2 shown]
	s_mov_b64 s[2:3], 0
	s_and_saveexec_b64 s[8:9], s[0:1]
	s_xor_b64 s[0:1], exec, s[8:9]
	s_cbranch_execnz .LBB69_289
; %bb.285:
	s_andn2_saveexec_b64 s[0:1], s[0:1]
	s_cbranch_execnz .LBB69_314
.LBB69_286:
	s_or_b64 exec, exec, s[0:1]
	s_and_saveexec_b64 s[0:1], s[2:3]
.LBB69_287:
	; divergent unreachable
.LBB69_288:
	s_endpgm
.LBB69_289:
	s_and_saveexec_b64 s[2:3], s[4:5]
	s_xor_b64 s[4:5], exec, s[2:3]
	s_cbranch_execz .LBB69_312
; %bb.290:
	s_and_saveexec_b64 s[2:3], s[6:7]
	s_xor_b64 s[2:3], exec, s[2:3]
; %bb.291:
	v_and_b32_e32 v3, 0x8000, v2
	v_mov_b32_e32 v4, 0x8000
	v_mov_b32_e32 v5, 0xffff
	v_cmp_eq_u32_e32 vcc, 0, v3
	v_cndmask_b32_e32 v3, v4, v5, vcc
	v_xor_b32_e32 v48, v3, v2
; %bb.292:
	s_or_b64 exec, exec, s[2:3]
	s_mov_b64 s[2:3], exec
	v_readlane_b32 s6, v55, 12
	v_readlane_b32 s7, v55, 13
	;; [unrolled: 1-line block ×3, first 2 shown]
	s_and_b64 s[6:7], s[2:3], s[6:7]
	v_readlane_b32 s28, v55, 22
	v_readlane_b32 s31, v55, 7
	;; [unrolled: 1-line block ×3, first 2 shown]
	s_mov_b64 exec, s[6:7]
	s_cbranch_execz .LBB69_294
; %bb.293:
	v_mov_b32_e32 v2, 0
	v_mov_b32_e32 v3, s52
	ds_write_b32 v2, v3 offset:5140
.LBB69_294:
	s_or_b64 exec, exec, s[2:3]
	s_waitcnt lgkmcnt(0)
	s_barrier
	s_mov_b64 s[6:7], exec
	v_readlane_b32 s2, v55, 28
	v_readlane_b32 s3, v55, 29
	s_and_b64 s[2:3], s[6:7], s[2:3]
	s_mov_b64 exec, s[2:3]
	s_cbranch_execz .LBB69_309
; %bb.295:
	v_mov_b32_e32 v2, 0
	ds_read_b32 v4, v2 offset:5140
	v_lshlrev_b32_e32 v6, 16, v48
	v_cmp_u_f32_e32 vcc, v6, v6
	s_mov_b64 s[8:9], 0
	s_xor_b64 s[10:11], vcc, -1
	s_waitcnt lgkmcnt(0)
	v_ashrrev_i32_e32 v5, 31, v4
                                        ; implicit-def: $sgpr12_sgpr13
                                        ; implicit-def: $sgpr14_sgpr15
                                        ; implicit-def: $sgpr16_sgpr17
	s_branch .LBB69_298
.LBB69_296:                             ;   in Loop: Header=BB69_298 Depth=1
	s_or_b64 exec, exec, s[22:23]
	s_andn2_b64 s[16:17], s[16:17], exec
	s_and_b64 s[2:3], s[2:3], exec
	s_or_b64 s[16:17], s[16:17], s[2:3]
	s_andn2_b64 s[2:3], s[14:15], exec
	s_and_b64 s[14:15], s[20:21], exec
	s_or_b64 s[14:15], s[2:3], s[14:15]
.LBB69_297:                             ;   in Loop: Header=BB69_298 Depth=1
	s_or_b64 exec, exec, s[18:19]
	s_and_b64 s[2:3], exec, s[14:15]
	s_or_b64 s[8:9], s[2:3], s[8:9]
	s_andn2_b64 s[2:3], s[12:13], exec
	s_and_b64 s[12:13], s[16:17], exec
	s_or_b64 s[12:13], s[2:3], s[12:13]
	s_andn2_b64 exec, exec, s[8:9]
	s_cbranch_execz .LBB69_304
.LBB69_298:                             ; =>This Inner Loop Header: Depth=1
	v_pk_mov_b32 v[2:3], v[0:1], v[0:1] op_sel:[0,1]
	v_cmp_lt_i64_e32 vcc, v[2:3], v[4:5]
	s_or_b64 s[16:17], s[16:17], exec
	s_or_b64 s[14:15], s[14:15], exec
                                        ; implicit-def: $vgpr0_vgpr1
	s_and_saveexec_b64 s[18:19], vcc
	s_cbranch_execz .LBB69_297
; %bb.299:                              ;   in Loop: Header=BB69_298 Depth=1
	global_load_ushort v0, v[10:11], off
	s_mov_b64 s[20:21], -1
	s_waitcnt vmcnt(0)
	v_lshlrev_b32_e32 v0, 16, v0
	v_cmp_o_f32_e64 s[2:3], v0, v0
	v_cmp_neq_f32_e32 vcc, v0, v6
	s_or_b64 s[2:3], s[10:11], s[2:3]
	s_and_b64 s[24:25], vcc, s[2:3]
	s_mov_b64 s[2:3], 0
                                        ; implicit-def: $vgpr0_vgpr1
	s_and_saveexec_b64 s[22:23], s[24:25]
	s_cbranch_execz .LBB69_296
; %bb.300:                              ;   in Loop: Header=BB69_298 Depth=1
	v_mov_b32_e32 v1, s26
	v_add_co_u32_e32 v0, vcc, s33, v2
	v_addc_co_u32_e32 v1, vcc, v3, v1, vcc
	v_mov_b32_e32 v3, s81
	v_add_co_u32_e32 v10, vcc, s80, v10
	v_addc_co_u32_e32 v11, vcc, v11, v3, vcc
	v_cmp_le_i64_e32 vcc, s[52:53], v[0:1]
	s_mov_b64 s[2:3], exec
	s_orn2_b64 s[20:21], vcc, exec
	s_branch .LBB69_296
.LBB69_301:
                                        ; implicit-def: $sgpr16_sgpr17
	s_branch .LBB69_3
.LBB69_302:
                                        ; implicit-def: $sgpr0_sgpr1
                                        ; kill: killed $sgpr0_sgpr1
	s_branch .LBB69_6
.LBB69_303:
                                        ; implicit-def: $sgpr0_sgpr1
                                        ; kill: killed $sgpr0_sgpr1
	s_load_dwordx2 s[0:1], s[4:5], 0x0
	s_branch .LBB69_9
.LBB69_304:
	s_or_b64 exec, exec, s[8:9]
	s_xor_b64 s[2:3], s[12:13], -1
	s_and_saveexec_b64 s[8:9], s[2:3]
	s_xor_b64 s[8:9], exec, s[8:9]
	s_cbranch_execz .LBB69_309
; %bb.305:
	s_mov_b64 s[2:3], exec
	s_brev_b32 s8, -2
.LBB69_306:                             ; =>This Inner Loop Header: Depth=1
	s_ff1_i32_b64 s9, s[2:3]
	v_readlane_b32 s12, v2, s9
	s_lshl_b64 s[10:11], 1, s9
	s_min_i32 s8, s8, s12
	s_andn2_b64 s[2:3], s[2:3], s[10:11]
	s_cmp_lg_u64 s[2:3], 0
	s_cbranch_scc1 .LBB69_306
; %bb.307:
	v_mbcnt_lo_u32_b32 v0, exec_lo, 0
	v_mbcnt_hi_u32_b32 v0, exec_hi, v0
	v_cmp_eq_u32_e32 vcc, 0, v0
	s_and_saveexec_b64 s[2:3], vcc
	s_xor_b64 s[2:3], exec, s[2:3]
	s_cbranch_execz .LBB69_309
; %bb.308:
	v_mov_b32_e32 v0, 0
	v_mov_b32_e32 v1, s8
	ds_min_i32 v0, v1 offset:5140
.LBB69_309:
	s_or_b64 exec, exec, s[6:7]
	s_waitcnt lgkmcnt(0)
	s_barrier
	s_mov_b64 s[2:3], exec
	v_readlane_b32 s6, v55, 12
	v_readlane_b32 s7, v55, 13
	v_readlane_b32 s8, v55, 0
	s_and_b64 s[6:7], s[2:3], s[6:7]
	v_readlane_b32 s9, v55, 1
	s_mov_b64 exec, s[6:7]
	s_cbranch_execz .LBB69_311
; %bb.310:
	v_readlane_b32 s10, v55, 2
	v_readlane_b32 s11, v55, 3
	s_mul_i32 s6, s10, s9
	s_mul_hi_u32 s7, s10, s8
	s_add_i32 s6, s7, s6
	s_mul_i32 s7, s11, s8
	s_add_i32 s6, s6, s7
	s_mul_i32 s7, s10, s8
	v_readlane_b32 s12, v55, 18
	s_sub_u32 s8, s28, s7
	v_readlane_b32 s14, v55, 20
	v_readlane_b32 s15, v55, 21
	s_subb_u32 s6, 0, s6
	s_mul_i32 s7, s8, s15
	s_mul_hi_u32 s9, s8, s14
	v_readlane_b32 s13, v55, 19
	s_add_i32 s7, s9, s7
	s_mul_i32 s6, s6, s14
	s_add_i32 s7, s7, s6
	s_mul_i32 s6, s8, s14
	s_mul_i32 s8, s10, s13
	s_mul_hi_u32 s9, s10, s12
	s_add_i32 s8, s9, s8
	s_mul_i32 s9, s11, s12
	v_readlane_b32 s14, v55, 4
	s_add_i32 s9, s8, s9
	s_mul_i32 s8, s10, s12
	v_readlane_b32 s15, v55, 5
	s_mul_i32 s10, s14, s31
	s_mul_hi_u32 s11, s14, s30
	s_add_i32 s10, s11, s10
	s_mul_i32 s11, s15, s30
	s_add_i32 s10, s10, s11
	s_mul_i32 s11, s14, s30
	v_readlane_b32 s16, v55, 14
	s_sub_u32 s12, s28, s11
	v_readlane_b32 s18, v55, 16
	v_readlane_b32 s19, v55, 17
	s_subb_u32 s10, 0, s10
	s_mul_i32 s11, s12, s19
	s_mul_hi_u32 s13, s12, s18
	v_readlane_b32 s17, v55, 15
	s_add_i32 s11, s13, s11
	s_mul_i32 s10, s10, s18
	s_add_i32 s11, s11, s10
	s_mul_i32 s10, s12, s18
	s_mul_i32 s12, s14, s17
	s_mul_hi_u32 s13, s14, s16
	s_add_i32 s12, s13, s12
	s_mul_i32 s13, s15, s16
	s_add_i32 s13, s12, s13
	s_mul_i32 s12, s14, s16
	s_lshl_b64 s[8:9], s[8:9], 1
	v_readlane_b32 s14, v55, 10
	v_readlane_b32 s15, v55, 11
	s_add_u32 s8, s14, s8
	s_addc_u32 s9, s15, s9
	s_lshl_b64 s[6:7], s[6:7], 1
	v_mov_b32_e32 v2, 0
	s_add_u32 s6, s8, s6
	ds_read_b32 v0, v2 offset:5140
	s_addc_u32 s7, s9, s7
	s_lshl_b64 s[8:9], s[12:13], 3
	v_readlane_b32 s12, v55, 8
	v_readlane_b32 s13, v55, 9
	s_add_u32 s12, s12, s8
	s_addc_u32 s13, s13, s9
	s_lshl_b64 s[8:9], s[10:11], 3
	s_add_u32 s8, s12, s8
	s_addc_u32 s9, s13, s9
	s_waitcnt lgkmcnt(0)
	v_ashrrev_i32_e32 v1, 31, v0
	global_store_dwordx2 v2, v[0:1], s[8:9]
	global_store_short v2, v48, s[6:7]
.LBB69_311:
	s_or_b64 exec, exec, s[2:3]
.LBB69_312:
	s_or_saveexec_b64 s[2:3], s[4:5]
	s_mov_b64 s[4:5], 0
	s_xor_b64 exec, exec, s[2:3]
	s_cbranch_execnz .LBB69_315
.LBB69_313:
	s_or_b64 exec, exec, s[2:3]
	s_and_b64 s[2:3], s[4:5], exec
	s_andn2_saveexec_b64 s[0:1], s[0:1]
	s_cbranch_execz .LBB69_286
.LBB69_314:
	s_or_b64 s[2:3], s[2:3], exec
	s_trap 2
	s_or_b64 exec, exec, s[0:1]
	s_and_saveexec_b64 s[0:1], s[2:3]
	s_cbranch_execnz .LBB69_287
	s_branch .LBB69_288
.LBB69_315:
	s_mov_b64 s[4:5], exec
	s_trap 2
	s_branch .LBB69_313
	.section	.rodata,"a",@progbits
	.p2align	6, 0x0
	.amdhsa_kernel _ZN2at6native12_GLOBAL__N_114gatherKthValueIN3c108BFloat16ElLi2EEEvNS_4cuda6detail10TensorInfoIKT_T0_EESA_SA_SA_SA_NS7_IS8_SA_EENS7_IlSA_EE
		.amdhsa_group_segment_fixed_size 5144
		.amdhsa_private_segment_fixed_size 0
		.amdhsa_kernarg_size 1536
		.amdhsa_user_sgpr_count 6
		.amdhsa_user_sgpr_private_segment_buffer 1
		.amdhsa_user_sgpr_dispatch_ptr 0
		.amdhsa_user_sgpr_queue_ptr 0
		.amdhsa_user_sgpr_kernarg_segment_ptr 1
		.amdhsa_user_sgpr_dispatch_id 0
		.amdhsa_user_sgpr_flat_scratch_init 0
		.amdhsa_user_sgpr_kernarg_preload_length 0
		.amdhsa_user_sgpr_kernarg_preload_offset 0
		.amdhsa_user_sgpr_private_segment_size 0
		.amdhsa_uses_dynamic_stack 0
		.amdhsa_system_sgpr_private_segment_wavefront_offset 0
		.amdhsa_system_sgpr_workgroup_id_x 1
		.amdhsa_system_sgpr_workgroup_id_y 1
		.amdhsa_system_sgpr_workgroup_id_z 1
		.amdhsa_system_sgpr_workgroup_info 0
		.amdhsa_system_vgpr_workitem_id 0
		.amdhsa_next_free_vgpr 56
		.amdhsa_next_free_sgpr 96
		.amdhsa_accum_offset 56
		.amdhsa_reserve_vcc 1
		.amdhsa_reserve_flat_scratch 0
		.amdhsa_float_round_mode_32 0
		.amdhsa_float_round_mode_16_64 0
		.amdhsa_float_denorm_mode_32 3
		.amdhsa_float_denorm_mode_16_64 3
		.amdhsa_dx10_clamp 1
		.amdhsa_ieee_mode 1
		.amdhsa_fp16_overflow 0
		.amdhsa_tg_split 0
		.amdhsa_exception_fp_ieee_invalid_op 0
		.amdhsa_exception_fp_denorm_src 0
		.amdhsa_exception_fp_ieee_div_zero 0
		.amdhsa_exception_fp_ieee_overflow 0
		.amdhsa_exception_fp_ieee_underflow 0
		.amdhsa_exception_fp_ieee_inexact 0
		.amdhsa_exception_int_div_zero 0
	.end_amdhsa_kernel
	.section	.text._ZN2at6native12_GLOBAL__N_114gatherKthValueIN3c108BFloat16ElLi2EEEvNS_4cuda6detail10TensorInfoIKT_T0_EESA_SA_SA_SA_NS7_IS8_SA_EENS7_IlSA_EE,"axG",@progbits,_ZN2at6native12_GLOBAL__N_114gatherKthValueIN3c108BFloat16ElLi2EEEvNS_4cuda6detail10TensorInfoIKT_T0_EESA_SA_SA_SA_NS7_IS8_SA_EENS7_IlSA_EE,comdat
.Lfunc_end69:
	.size	_ZN2at6native12_GLOBAL__N_114gatherKthValueIN3c108BFloat16ElLi2EEEvNS_4cuda6detail10TensorInfoIKT_T0_EESA_SA_SA_SA_NS7_IS8_SA_EENS7_IlSA_EE, .Lfunc_end69-_ZN2at6native12_GLOBAL__N_114gatherKthValueIN3c108BFloat16ElLi2EEEvNS_4cuda6detail10TensorInfoIKT_T0_EESA_SA_SA_SA_NS7_IS8_SA_EENS7_IlSA_EE
                                        ; -- End function
	.section	.AMDGPU.csdata,"",@progbits
; Kernel info:
; codeLenInByte = 19048
; NumSgprs: 100
; NumVgprs: 56
; NumAgprs: 0
; TotalNumVgprs: 56
; ScratchSize: 0
; MemoryBound: 0
; FloatMode: 240
; IeeeMode: 1
; LDSByteSize: 5144 bytes/workgroup (compile time only)
; SGPRBlocks: 12
; VGPRBlocks: 6
; NumSGPRsForWavesPerEU: 100
; NumVGPRsForWavesPerEU: 56
; AccumOffset: 56
; Occupancy: 8
; WaveLimiterHint : 1
; COMPUTE_PGM_RSRC2:SCRATCH_EN: 0
; COMPUTE_PGM_RSRC2:USER_SGPR: 6
; COMPUTE_PGM_RSRC2:TRAP_HANDLER: 0
; COMPUTE_PGM_RSRC2:TGID_X_EN: 1
; COMPUTE_PGM_RSRC2:TGID_Y_EN: 1
; COMPUTE_PGM_RSRC2:TGID_Z_EN: 1
; COMPUTE_PGM_RSRC2:TIDIG_COMP_CNT: 0
; COMPUTE_PGM_RSRC3_GFX90A:ACCUM_OFFSET: 13
; COMPUTE_PGM_RSRC3_GFX90A:TG_SPLIT: 0
	.section	.text._ZN2at6native12_GLOBAL__N_114gatherKthValueIN3c108BFloat16ElLi3EEEvNS_4cuda6detail10TensorInfoIKT_T0_EESA_SA_SA_SA_NS7_IS8_SA_EENS7_IlSA_EE,"axG",@progbits,_ZN2at6native12_GLOBAL__N_114gatherKthValueIN3c108BFloat16ElLi3EEEvNS_4cuda6detail10TensorInfoIKT_T0_EESA_SA_SA_SA_NS7_IS8_SA_EENS7_IlSA_EE,comdat
	.globl	_ZN2at6native12_GLOBAL__N_114gatherKthValueIN3c108BFloat16ElLi3EEEvNS_4cuda6detail10TensorInfoIKT_T0_EESA_SA_SA_SA_NS7_IS8_SA_EENS7_IlSA_EE ; -- Begin function _ZN2at6native12_GLOBAL__N_114gatherKthValueIN3c108BFloat16ElLi3EEEvNS_4cuda6detail10TensorInfoIKT_T0_EESA_SA_SA_SA_NS7_IS8_SA_EENS7_IlSA_EE
	.p2align	8
	.type	_ZN2at6native12_GLOBAL__N_114gatherKthValueIN3c108BFloat16ElLi3EEEvNS_4cuda6detail10TensorInfoIKT_T0_EESA_SA_SA_SA_NS7_IS8_SA_EENS7_IlSA_EE,@function
_ZN2at6native12_GLOBAL__N_114gatherKthValueIN3c108BFloat16ElLi3EEEvNS_4cuda6detail10TensorInfoIKT_T0_EESA_SA_SA_SA_NS7_IS8_SA_EENS7_IlSA_EE: ; @_ZN2at6native12_GLOBAL__N_114gatherKthValueIN3c108BFloat16ElLi3EEEvNS_4cuda6detail10TensorInfoIKT_T0_EESA_SA_SA_SA_NS7_IS8_SA_EENS7_IlSA_EE
; %bb.0:
	s_load_dwordx8 s[52:59], s[4:5], 0x1a0
	s_load_dwordx2 s[18:19], s[4:5], 0x500
	s_add_u32 s16, s4, 0x500
	s_addc_u32 s17, s5, 0
	s_mov_b32 s39, 0
	s_waitcnt lgkmcnt(0)
	v_mov_b32_e32 v2, s56
	s_mul_i32 s0, s19, s8
	s_add_i32 s0, s0, s7
	s_mul_i32 s0, s0, s18
	v_mov_b32_e32 v3, s57
	s_add_i32 s38, s0, s6
	v_cmp_ge_i64_e32 vcc, s[38:39], v[2:3]
	s_cbranch_vccnz .LBB70_304
; %bb.1:
	s_load_dwordx4 s[8:11], s[4:5], 0x10
	s_mov_b32 s0, s39
	s_waitcnt lgkmcnt(0)
	s_mov_b32 s1, s11
	s_cmp_lg_u64 s[0:1], 0
	s_cbranch_scc0 .LBB70_18
; %bb.2:
	s_ashr_i32 s2, s11, 31
	s_add_u32 s0, s10, s2
	s_mov_b32 s3, s2
	s_addc_u32 s1, s11, s2
	s_xor_b64 s[14:15], s[0:1], s[2:3]
	v_cvt_f32_u32_e32 v1, s14
	v_cvt_f32_u32_e32 v2, s15
	s_sub_u32 s0, 0, s14
	s_subb_u32 s1, 0, s15
	v_madmk_f32 v1, v2, 0x4f800000, v1
	v_rcp_f32_e32 v1, v1
	v_mul_f32_e32 v1, 0x5f7ffffc, v1
	v_mul_f32_e32 v2, 0x2f800000, v1
	v_trunc_f32_e32 v2, v2
	v_madmk_f32 v1, v2, 0xcf800000, v1
	v_cvt_u32_f32_e32 v2, v2
	v_cvt_u32_f32_e32 v1, v1
	v_readfirstlane_b32 s7, v2
	v_readfirstlane_b32 s19, v1
	s_mul_i32 s20, s0, s7
	s_mul_hi_u32 s22, s0, s19
	s_mul_i32 s21, s1, s19
	s_add_i32 s20, s22, s20
	s_add_i32 s20, s20, s21
	s_mul_i32 s23, s0, s19
	s_mul_hi_u32 s21, s19, s20
	s_mul_i32 s22, s19, s20
	s_mul_hi_u32 s19, s19, s23
	s_add_u32 s19, s19, s22
	s_addc_u32 s21, 0, s21
	s_mul_hi_u32 s24, s7, s23
	s_mul_i32 s23, s7, s23
	s_add_u32 s19, s19, s23
	s_mul_hi_u32 s22, s7, s20
	s_addc_u32 s19, s21, s24
	s_addc_u32 s21, s22, 0
	s_mul_i32 s20, s7, s20
	s_add_u32 s19, s19, s20
	s_addc_u32 s20, 0, s21
	v_add_co_u32_e32 v1, vcc, s19, v1
	s_cmp_lg_u64 vcc, 0
	s_addc_u32 s7, s7, s20
	v_readfirstlane_b32 s20, v1
	s_mul_i32 s19, s0, s7
	s_mul_hi_u32 s21, s0, s20
	s_add_i32 s19, s21, s19
	s_mul_i32 s1, s1, s20
	s_add_i32 s19, s19, s1
	s_mul_i32 s0, s0, s20
	s_mul_hi_u32 s21, s7, s0
	s_mul_i32 s22, s7, s0
	s_mul_i32 s24, s20, s19
	s_mul_hi_u32 s0, s20, s0
	s_mul_hi_u32 s23, s20, s19
	s_add_u32 s0, s0, s24
	s_addc_u32 s20, 0, s23
	s_add_u32 s0, s0, s22
	s_mul_hi_u32 s1, s7, s19
	s_addc_u32 s0, s20, s21
	s_addc_u32 s1, s1, 0
	s_mul_i32 s19, s7, s19
	s_add_u32 s0, s0, s19
	s_addc_u32 s1, 0, s1
	v_add_co_u32_e32 v1, vcc, s0, v1
	s_cmp_lg_u64 vcc, 0
	s_addc_u32 s7, s7, s1
	s_ashr_i32 s20, 0, 31
	s_add_u32 s0, s38, s20
	s_mov_b32 s21, s20
	s_addc_u32 s1, 0, s20
	s_xor_b64 s[22:23], s[0:1], s[20:21]
	v_readfirstlane_b32 s19, v1
	s_mul_i32 s1, s22, s7
	s_mul_hi_u32 s24, s22, s19
	s_mul_hi_u32 s0, s22, s7
	s_add_u32 s1, s24, s1
	s_addc_u32 s0, 0, s0
	s_mul_hi_u32 s25, s23, s19
	s_mul_i32 s19, s23, s19
	s_add_u32 s1, s1, s19
	s_mul_hi_u32 s24, s23, s7
	s_addc_u32 s0, s0, s25
	s_addc_u32 s1, s24, 0
	s_mul_i32 s7, s23, s7
	s_add_u32 s7, s0, s7
	s_addc_u32 s19, 0, s1
	s_mul_i32 s0, s14, s19
	s_mul_hi_u32 s1, s14, s7
	s_add_i32 s0, s1, s0
	s_mul_i32 s1, s15, s7
	s_add_i32 s24, s0, s1
	s_mul_i32 s1, s14, s7
	v_mov_b32_e32 v1, s1
	s_sub_i32 s0, s23, s24
	v_sub_co_u32_e32 v1, vcc, s22, v1
	s_cmp_lg_u64 vcc, 0
	s_subb_u32 s22, s0, s15
	v_subrev_co_u32_e64 v2, s[0:1], s14, v1
	s_cmp_lg_u64 s[0:1], 0
	s_subb_u32 s0, s22, 0
	s_cmp_ge_u32 s0, s15
	v_readfirstlane_b32 s22, v2
	s_cselect_b32 s1, -1, 0
	s_cmp_ge_u32 s22, s14
	s_cselect_b32 s22, -1, 0
	s_cmp_eq_u32 s0, s15
	s_cselect_b32 s0, s22, s1
	s_add_u32 s1, s7, 1
	s_addc_u32 s22, s19, 0
	s_add_u32 s25, s7, 2
	s_addc_u32 s26, s19, 0
	s_cmp_lg_u32 s0, 0
	s_cselect_b32 s0, s25, s1
	s_cselect_b32 s1, s26, s22
	s_cmp_lg_u64 vcc, 0
	s_subb_u32 s22, s23, s24
	s_cmp_ge_u32 s22, s15
	v_readfirstlane_b32 s24, v1
	s_cselect_b32 s23, -1, 0
	s_cmp_ge_u32 s24, s14
	s_cselect_b32 s14, -1, 0
	s_cmp_eq_u32 s22, s15
	s_cselect_b32 s14, s14, s23
	s_cmp_lg_u32 s14, 0
	s_cselect_b32 s1, s1, s19
	s_cselect_b32 s0, s0, s7
	s_xor_b64 s[2:3], s[20:21], s[2:3]
	s_xor_b64 s[0:1], s[0:1], s[2:3]
	s_sub_u32 s2, s0, s2
	s_subb_u32 s3, s1, s3
	s_cbranch_execnz .LBB70_4
.LBB70_3:
	v_cvt_f32_u32_e32 v1, s10
	s_sub_i32 s0, 0, s10
	s_mov_b32 s3, 0
	v_rcp_iflag_f32_e32 v1, v1
	v_mul_f32_e32 v1, 0x4f7ffffe, v1
	v_cvt_u32_f32_e32 v1, v1
	v_readfirstlane_b32 s1, v1
	s_mul_i32 s0, s0, s1
	s_mul_hi_u32 s0, s1, s0
	s_add_i32 s1, s1, s0
	s_mul_hi_u32 s0, s38, s1
	s_mul_i32 s2, s0, s10
	s_sub_i32 s2, s38, s2
	s_add_i32 s1, s0, 1
	s_sub_i32 s7, s2, s10
	s_cmp_ge_u32 s2, s10
	s_cselect_b32 s0, s1, s0
	s_cselect_b32 s2, s7, s2
	s_add_i32 s1, s0, 1
	s_cmp_ge_u32 s2, s10
	s_cselect_b32 s2, s1, s0
.LBB70_4:
	s_or_b64 s[0:1], s[2:3], s[8:9]
	s_mov_b32 s0, 0
	s_cmp_lg_u64 s[0:1], 0
	s_cbranch_scc0 .LBB70_19
; %bb.5:
	s_ashr_i32 s14, s9, 31
	s_add_u32 s0, s8, s14
	s_mov_b32 s15, s14
	s_addc_u32 s1, s9, s14
	s_xor_b64 s[20:21], s[0:1], s[14:15]
	v_cvt_f32_u32_e32 v1, s20
	v_cvt_f32_u32_e32 v2, s21
	s_sub_u32 s0, 0, s20
	s_subb_u32 s1, 0, s21
	v_madmk_f32 v1, v2, 0x4f800000, v1
	v_rcp_f32_e32 v1, v1
	v_mul_f32_e32 v1, 0x5f7ffffc, v1
	v_mul_f32_e32 v2, 0x2f800000, v1
	v_trunc_f32_e32 v2, v2
	v_madmk_f32 v1, v2, 0xcf800000, v1
	v_cvt_u32_f32_e32 v2, v2
	v_cvt_u32_f32_e32 v1, v1
	v_readfirstlane_b32 s7, v2
	v_readfirstlane_b32 s19, v1
	s_mul_i32 s22, s0, s7
	s_mul_hi_u32 s24, s0, s19
	s_mul_i32 s23, s1, s19
	s_add_i32 s22, s24, s22
	s_add_i32 s22, s22, s23
	s_mul_i32 s25, s0, s19
	s_mul_hi_u32 s23, s19, s22
	s_mul_i32 s24, s19, s22
	s_mul_hi_u32 s19, s19, s25
	s_add_u32 s19, s19, s24
	s_addc_u32 s23, 0, s23
	s_mul_hi_u32 s26, s7, s25
	s_mul_i32 s25, s7, s25
	s_add_u32 s19, s19, s25
	s_mul_hi_u32 s24, s7, s22
	s_addc_u32 s19, s23, s26
	s_addc_u32 s23, s24, 0
	s_mul_i32 s22, s7, s22
	s_add_u32 s19, s19, s22
	s_addc_u32 s22, 0, s23
	v_add_co_u32_e32 v1, vcc, s19, v1
	s_cmp_lg_u64 vcc, 0
	s_addc_u32 s7, s7, s22
	v_readfirstlane_b32 s22, v1
	s_mul_i32 s19, s0, s7
	s_mul_hi_u32 s23, s0, s22
	s_add_i32 s19, s23, s19
	s_mul_i32 s1, s1, s22
	s_add_i32 s19, s19, s1
	s_mul_i32 s0, s0, s22
	s_mul_hi_u32 s23, s7, s0
	s_mul_i32 s24, s7, s0
	s_mul_i32 s26, s22, s19
	s_mul_hi_u32 s0, s22, s0
	s_mul_hi_u32 s25, s22, s19
	s_add_u32 s0, s0, s26
	s_addc_u32 s22, 0, s25
	s_add_u32 s0, s0, s24
	s_mul_hi_u32 s1, s7, s19
	s_addc_u32 s0, s22, s23
	s_addc_u32 s1, s1, 0
	s_mul_i32 s19, s7, s19
	s_add_u32 s0, s0, s19
	s_addc_u32 s1, 0, s1
	v_add_co_u32_e32 v1, vcc, s0, v1
	s_cmp_lg_u64 vcc, 0
	s_addc_u32 s7, s7, s1
	s_ashr_i32 s22, s3, 31
	s_add_u32 s0, s2, s22
	s_mov_b32 s23, s22
	s_addc_u32 s1, s3, s22
	s_xor_b64 s[24:25], s[0:1], s[22:23]
	v_readfirstlane_b32 s19, v1
	s_mul_i32 s1, s24, s7
	s_mul_hi_u32 s26, s24, s19
	s_mul_hi_u32 s0, s24, s7
	s_add_u32 s1, s26, s1
	s_addc_u32 s0, 0, s0
	s_mul_hi_u32 s27, s25, s19
	s_mul_i32 s19, s25, s19
	s_add_u32 s1, s1, s19
	s_mul_hi_u32 s26, s25, s7
	s_addc_u32 s0, s0, s27
	s_addc_u32 s1, s26, 0
	s_mul_i32 s7, s25, s7
	s_add_u32 s7, s0, s7
	s_addc_u32 s19, 0, s1
	s_mul_i32 s0, s20, s19
	s_mul_hi_u32 s1, s20, s7
	s_add_i32 s0, s1, s0
	s_mul_i32 s1, s21, s7
	s_add_i32 s26, s0, s1
	s_mul_i32 s1, s20, s7
	v_mov_b32_e32 v1, s1
	s_sub_i32 s0, s25, s26
	v_sub_co_u32_e32 v1, vcc, s24, v1
	s_cmp_lg_u64 vcc, 0
	s_subb_u32 s24, s0, s21
	v_subrev_co_u32_e64 v2, s[0:1], s20, v1
	s_cmp_lg_u64 s[0:1], 0
	s_subb_u32 s0, s24, 0
	s_cmp_ge_u32 s0, s21
	v_readfirstlane_b32 s24, v2
	s_cselect_b32 s1, -1, 0
	s_cmp_ge_u32 s24, s20
	s_cselect_b32 s24, -1, 0
	s_cmp_eq_u32 s0, s21
	s_cselect_b32 s0, s24, s1
	s_add_u32 s1, s7, 1
	s_addc_u32 s24, s19, 0
	s_add_u32 s27, s7, 2
	s_addc_u32 s28, s19, 0
	s_cmp_lg_u32 s0, 0
	s_cselect_b32 s0, s27, s1
	s_cselect_b32 s1, s28, s24
	s_cmp_lg_u64 vcc, 0
	s_subb_u32 s24, s25, s26
	s_cmp_ge_u32 s24, s21
	v_readfirstlane_b32 s26, v1
	s_cselect_b32 s25, -1, 0
	s_cmp_ge_u32 s26, s20
	s_cselect_b32 s20, -1, 0
	s_cmp_eq_u32 s24, s21
	s_cselect_b32 s20, s20, s25
	s_cmp_lg_u32 s20, 0
	s_cselect_b32 s1, s1, s19
	s_cselect_b32 s0, s0, s7
	s_xor_b64 s[14:15], s[22:23], s[14:15]
	s_xor_b64 s[0:1], s[0:1], s[14:15]
	s_sub_u32 s20, s0, s14
	s_subb_u32 s21, s1, s15
	s_load_dwordx4 s[28:31], s[4:5], 0x1d0
	s_cbranch_execnz .LBB70_7
.LBB70_6:
	v_cvt_f32_u32_e32 v1, s8
	s_sub_i32 s0, 0, s8
	s_mov_b32 s21, 0
	v_rcp_iflag_f32_e32 v1, v1
	v_mul_f32_e32 v1, 0x4f7ffffe, v1
	v_cvt_u32_f32_e32 v1, v1
	v_readfirstlane_b32 s1, v1
	s_mul_i32 s0, s0, s1
	s_mul_hi_u32 s0, s1, s0
	s_add_i32 s1, s1, s0
	s_mul_hi_u32 s0, s2, s1
	s_mul_i32 s7, s0, s8
	s_sub_i32 s7, s2, s7
	s_add_i32 s1, s0, 1
	s_sub_i32 s12, s7, s8
	s_cmp_ge_u32 s7, s8
	s_cselect_b32 s0, s1, s0
	s_cselect_b32 s7, s12, s7
	s_add_i32 s1, s0, 1
	s_cmp_ge_u32 s7, s8
	s_cselect_b32 s20, s1, s0
.LBB70_7:
                                        ; implicit-def: $vgpr57 : SGPR spill to VGPR lane
	s_waitcnt lgkmcnt(0)
	s_mov_b32 s1, s31
	v_writelane_b32 v57, s28, 0
	s_mov_b32 s0, 0
	v_writelane_b32 v57, s29, 1
	s_cmp_lg_u64 s[0:1], 0
	v_writelane_b32 v57, s30, 2
	v_writelane_b32 v57, s31, 3
	s_cbranch_scc0 .LBB70_20
; %bb.8:
	s_ashr_i32 s12, s31, 31
	s_add_u32 s0, s30, s12
	s_mov_b32 s13, s12
	s_addc_u32 s1, s31, s12
	s_xor_b64 s[22:23], s[0:1], s[12:13]
	v_cvt_f32_u32_e32 v1, s22
	v_cvt_f32_u32_e32 v2, s23
	s_sub_u32 s0, 0, s22
	s_subb_u32 s1, 0, s23
	v_madmk_f32 v1, v2, 0x4f800000, v1
	v_rcp_f32_e32 v1, v1
	v_mul_f32_e32 v1, 0x5f7ffffc, v1
	v_mul_f32_e32 v2, 0x2f800000, v1
	v_trunc_f32_e32 v2, v2
	v_madmk_f32 v1, v2, 0xcf800000, v1
	v_cvt_u32_f32_e32 v2, v2
	v_cvt_u32_f32_e32 v1, v1
	v_readfirstlane_b32 s7, v2
	v_readfirstlane_b32 s19, v1
	s_mul_i32 s24, s0, s7
	s_mul_hi_u32 s26, s0, s19
	s_mul_i32 s25, s1, s19
	s_add_i32 s24, s26, s24
	s_add_i32 s24, s24, s25
	s_mul_i32 s27, s0, s19
	s_mul_hi_u32 s25, s19, s24
	s_mul_i32 s26, s19, s24
	s_mul_hi_u32 s19, s19, s27
	s_add_u32 s19, s19, s26
	s_addc_u32 s25, 0, s25
	s_mul_hi_u32 s28, s7, s27
	s_mul_i32 s27, s7, s27
	s_add_u32 s19, s19, s27
	s_mul_hi_u32 s26, s7, s24
	s_addc_u32 s19, s25, s28
	s_addc_u32 s25, s26, 0
	s_mul_i32 s24, s7, s24
	s_add_u32 s19, s19, s24
	s_addc_u32 s24, 0, s25
	v_add_co_u32_e32 v1, vcc, s19, v1
	s_cmp_lg_u64 vcc, 0
	s_addc_u32 s7, s7, s24
	v_readfirstlane_b32 s24, v1
	s_mul_i32 s19, s0, s7
	s_mul_hi_u32 s25, s0, s24
	s_add_i32 s19, s25, s19
	s_mul_i32 s1, s1, s24
	s_add_i32 s19, s19, s1
	s_mul_i32 s0, s0, s24
	s_mul_hi_u32 s25, s7, s0
	s_mul_i32 s26, s7, s0
	s_mul_i32 s28, s24, s19
	s_mul_hi_u32 s0, s24, s0
	s_mul_hi_u32 s27, s24, s19
	s_add_u32 s0, s0, s28
	s_addc_u32 s24, 0, s27
	s_add_u32 s0, s0, s26
	s_mul_hi_u32 s1, s7, s19
	s_addc_u32 s0, s24, s25
	s_addc_u32 s1, s1, 0
	s_mul_i32 s19, s7, s19
	s_add_u32 s0, s0, s19
	s_addc_u32 s1, 0, s1
	v_add_co_u32_e32 v1, vcc, s0, v1
	s_cmp_lg_u64 vcc, 0
	s_addc_u32 s7, s7, s1
	s_ashr_i32 s24, 0, 31
	s_add_u32 s0, s38, s24
	s_mov_b32 s25, s24
	s_addc_u32 s1, 0, s24
	s_xor_b64 s[26:27], s[0:1], s[24:25]
	v_readfirstlane_b32 s19, v1
	s_mul_i32 s1, s26, s7
	s_mul_hi_u32 s28, s26, s19
	s_mul_hi_u32 s0, s26, s7
	s_add_u32 s1, s28, s1
	s_addc_u32 s0, 0, s0
	s_mul_hi_u32 s29, s27, s19
	s_mul_i32 s19, s27, s19
	s_add_u32 s1, s1, s19
	s_mul_hi_u32 s28, s27, s7
	s_addc_u32 s0, s0, s29
	s_addc_u32 s1, s28, 0
	s_mul_i32 s7, s27, s7
	s_add_u32 s7, s0, s7
	s_addc_u32 s19, 0, s1
	s_mul_i32 s0, s22, s19
	s_mul_hi_u32 s1, s22, s7
	s_add_i32 s0, s1, s0
	s_mul_i32 s1, s23, s7
	s_add_i32 s28, s0, s1
	s_mul_i32 s1, s22, s7
	v_mov_b32_e32 v1, s1
	s_sub_i32 s0, s27, s28
	v_sub_co_u32_e32 v1, vcc, s26, v1
	s_cmp_lg_u64 vcc, 0
	s_subb_u32 s26, s0, s23
	v_subrev_co_u32_e64 v2, s[0:1], s22, v1
	s_cmp_lg_u64 s[0:1], 0
	s_subb_u32 s0, s26, 0
	s_cmp_ge_u32 s0, s23
	v_readfirstlane_b32 s26, v2
	s_cselect_b32 s1, -1, 0
	s_cmp_ge_u32 s26, s22
	s_cselect_b32 s26, -1, 0
	s_cmp_eq_u32 s0, s23
	s_cselect_b32 s0, s26, s1
	s_add_u32 s1, s7, 1
	s_addc_u32 s26, s19, 0
	s_add_u32 s29, s7, 2
	s_addc_u32 s30, s19, 0
	s_cmp_lg_u32 s0, 0
	s_cselect_b32 s0, s29, s1
	s_cselect_b32 s1, s30, s26
	s_cmp_lg_u64 vcc, 0
	s_subb_u32 s26, s27, s28
	s_cmp_ge_u32 s26, s23
	v_readfirstlane_b32 s28, v1
	s_cselect_b32 s27, -1, 0
	s_cmp_ge_u32 s28, s22
	s_cselect_b32 s22, -1, 0
	s_cmp_eq_u32 s26, s23
	s_cselect_b32 s22, s22, s27
	s_load_dwordx4 s[28:31], s[4:5], 0x1d0
	s_cmp_lg_u32 s22, 0
	s_cselect_b32 s1, s1, s19
	s_cselect_b32 s0, s0, s7
	s_xor_b64 s[12:13], s[24:25], s[12:13]
	s_xor_b64 s[0:1], s[0:1], s[12:13]
	s_sub_u32 s0, s0, s12
	s_subb_u32 s1, s1, s13
	s_cbranch_execnz .LBB70_10
.LBB70_9:
	s_waitcnt lgkmcnt(0)
	v_cvt_f32_u32_e32 v1, s30
	s_sub_i32 s0, 0, s30
	s_mov_b32 s13, 0
	v_rcp_iflag_f32_e32 v1, v1
	v_mul_f32_e32 v1, 0x4f7ffffe, v1
	v_cvt_u32_f32_e32 v1, v1
	v_readfirstlane_b32 s1, v1
	s_mul_i32 s0, s0, s1
	s_mul_hi_u32 s0, s1, s0
	s_add_i32 s1, s1, s0
	s_mul_hi_u32 s0, s38, s1
	s_mul_i32 s7, s0, s30
	s_sub_i32 s7, s38, s7
	s_add_i32 s1, s0, 1
	s_sub_i32 s12, s7, s30
	s_cmp_ge_u32 s7, s30
	s_cselect_b32 s0, s1, s0
	s_cselect_b32 s7, s12, s7
	s_add_i32 s1, s0, 1
	s_cmp_ge_u32 s7, s30
	s_cselect_b32 s12, s1, s0
	s_mov_b64 s[0:1], s[12:13]
.LBB70_10:
	s_waitcnt lgkmcnt(0)
	s_mov_b64 s[30:31], s[0:1]
	s_or_b64 s[0:1], s[0:1], s[28:29]
	s_mov_b32 s0, 0
	s_cmp_lg_u64 s[0:1], 0
	v_writelane_b32 v57, s30, 4
	v_writelane_b32 v57, s31, 5
	s_cbranch_scc0 .LBB70_21
; %bb.11:
	s_ashr_i32 s14, s29, 31
	s_add_u32 s0, s28, s14
	s_mov_b32 s15, s14
	s_addc_u32 s1, s29, s14
	s_xor_b64 s[22:23], s[0:1], s[14:15]
	v_cvt_f32_u32_e32 v1, s22
	v_cvt_f32_u32_e32 v2, s23
	s_sub_u32 s0, 0, s22
	s_subb_u32 s1, 0, s23
	v_madmk_f32 v1, v2, 0x4f800000, v1
	v_rcp_f32_e32 v1, v1
	v_mul_f32_e32 v1, 0x5f7ffffc, v1
	v_mul_f32_e32 v2, 0x2f800000, v1
	v_trunc_f32_e32 v2, v2
	v_madmk_f32 v1, v2, 0xcf800000, v1
	v_cvt_u32_f32_e32 v2, v2
	v_cvt_u32_f32_e32 v1, v1
	v_readfirstlane_b32 s7, v2
	v_readfirstlane_b32 s19, v1
	s_mul_i32 s24, s0, s7
	s_mul_hi_u32 s26, s0, s19
	s_mul_i32 s25, s1, s19
	s_add_i32 s24, s26, s24
	s_add_i32 s24, s24, s25
	s_mul_i32 s27, s0, s19
	s_mul_hi_u32 s25, s19, s24
	s_mul_i32 s26, s19, s24
	s_mul_hi_u32 s19, s19, s27
	s_add_u32 s19, s19, s26
	s_addc_u32 s25, 0, s25
	s_mul_hi_u32 s28, s7, s27
	s_mul_i32 s27, s7, s27
	s_add_u32 s19, s19, s27
	s_mul_hi_u32 s26, s7, s24
	s_addc_u32 s19, s25, s28
	s_addc_u32 s25, s26, 0
	s_mul_i32 s24, s7, s24
	s_add_u32 s19, s19, s24
	s_addc_u32 s24, 0, s25
	v_add_co_u32_e32 v1, vcc, s19, v1
	s_cmp_lg_u64 vcc, 0
	s_addc_u32 s7, s7, s24
	v_readfirstlane_b32 s24, v1
	s_mul_i32 s19, s0, s7
	s_mul_hi_u32 s25, s0, s24
	s_add_i32 s19, s25, s19
	s_mul_i32 s1, s1, s24
	s_add_i32 s19, s19, s1
	s_mul_i32 s0, s0, s24
	s_mul_hi_u32 s25, s7, s0
	s_mul_i32 s26, s7, s0
	s_mul_i32 s28, s24, s19
	s_mul_hi_u32 s0, s24, s0
	s_mul_hi_u32 s27, s24, s19
	s_add_u32 s0, s0, s28
	s_addc_u32 s24, 0, s27
	s_add_u32 s0, s0, s26
	s_mul_hi_u32 s1, s7, s19
	s_addc_u32 s0, s24, s25
	s_addc_u32 s1, s1, 0
	s_mul_i32 s19, s7, s19
	s_add_u32 s0, s0, s19
	s_addc_u32 s1, 0, s1
	v_add_co_u32_e32 v1, vcc, s0, v1
	s_cmp_lg_u64 vcc, 0
	s_addc_u32 s7, s7, s1
	s_ashr_i32 s24, s31, 31
	s_add_u32 s0, s30, s24
	s_mov_b32 s25, s24
	s_addc_u32 s1, s31, s24
	s_xor_b64 s[26:27], s[0:1], s[24:25]
	v_readfirstlane_b32 s19, v1
	s_mul_i32 s1, s26, s7
	s_mul_hi_u32 s28, s26, s19
	s_mul_hi_u32 s0, s26, s7
	s_add_u32 s1, s28, s1
	s_addc_u32 s0, 0, s0
	s_mul_hi_u32 s29, s27, s19
	s_mul_i32 s19, s27, s19
	s_add_u32 s1, s1, s19
	s_mul_hi_u32 s28, s27, s7
	s_addc_u32 s0, s0, s29
	s_addc_u32 s1, s28, 0
	s_mul_i32 s7, s27, s7
	s_add_u32 s7, s0, s7
	s_addc_u32 s19, 0, s1
	s_mul_i32 s0, s22, s19
	s_mul_hi_u32 s1, s22, s7
	s_add_i32 s0, s1, s0
	s_mul_i32 s1, s23, s7
	s_add_i32 s28, s0, s1
	s_mul_i32 s1, s22, s7
	v_mov_b32_e32 v1, s1
	s_sub_i32 s0, s27, s28
	v_sub_co_u32_e32 v1, vcc, s26, v1
	s_cmp_lg_u64 vcc, 0
	s_subb_u32 s26, s0, s23
	v_subrev_co_u32_e64 v2, s[0:1], s22, v1
	s_cmp_lg_u64 s[0:1], 0
	s_subb_u32 s0, s26, 0
	s_cmp_ge_u32 s0, s23
	v_readfirstlane_b32 s26, v2
	s_cselect_b32 s1, -1, 0
	s_cmp_ge_u32 s26, s22
	s_cselect_b32 s26, -1, 0
	s_cmp_eq_u32 s0, s23
	s_cselect_b32 s0, s26, s1
	s_add_u32 s1, s7, 1
	s_addc_u32 s26, s19, 0
	s_add_u32 s29, s7, 2
	s_addc_u32 s30, s19, 0
	s_cmp_lg_u32 s0, 0
	s_cselect_b32 s0, s29, s1
	s_cselect_b32 s1, s30, s26
	s_cmp_lg_u64 vcc, 0
	s_subb_u32 s26, s27, s28
	s_cmp_ge_u32 s26, s23
	v_readfirstlane_b32 s28, v1
	s_cselect_b32 s27, -1, 0
	s_cmp_ge_u32 s28, s22
	s_cselect_b32 s22, -1, 0
	s_cmp_eq_u32 s26, s23
	s_cselect_b32 s22, s22, s27
	s_load_dwordx4 s[28:31], s[4:5], 0x1d0
	s_cmp_lg_u32 s22, 0
	s_cselect_b32 s1, s1, s19
	s_cselect_b32 s0, s0, s7
	s_xor_b64 s[14:15], s[24:25], s[14:15]
	s_xor_b64 s[0:1], s[0:1], s[14:15]
	s_sub_u32 s34, s0, s14
	s_subb_u32 s35, s1, s15
	s_load_dwordx4 s[40:43], s[4:5], 0x370
	s_cbranch_execnz .LBB70_13
.LBB70_12:
	s_waitcnt lgkmcnt(0)
	v_cvt_f32_u32_e32 v1, s28
	s_sub_i32 s0, 0, s28
	v_readlane_b32 s12, v57, 4
	s_mov_b32 s35, 0
	v_rcp_iflag_f32_e32 v1, v1
	v_readlane_b32 s13, v57, 5
	v_mul_f32_e32 v1, 0x4f7ffffe, v1
	v_cvt_u32_f32_e32 v1, v1
	v_readfirstlane_b32 s1, v1
	s_mul_i32 s0, s0, s1
	s_mul_hi_u32 s0, s1, s0
	s_add_i32 s1, s1, s0
	s_mul_hi_u32 s0, s12, s1
	s_mul_i32 s7, s0, s28
	s_sub_i32 s7, s12, s7
	s_add_i32 s1, s0, 1
	s_sub_i32 s12, s7, s28
	s_cmp_ge_u32 s7, s28
	s_cselect_b32 s0, s1, s0
	s_cselect_b32 s7, s12, s7
	s_add_i32 s1, s0, 1
	s_cmp_ge_u32 s7, s28
	s_cselect_b32 s34, s1, s0
.LBB70_13:
	s_mov_b32 s0, 0
	s_waitcnt lgkmcnt(0)
	s_mov_b32 s1, s43
	s_cmp_lg_u64 s[0:1], 0
	s_cbranch_scc0 .LBB70_22
; %bb.14:
	s_ashr_i32 s12, s43, 31
	s_add_u32 s0, s42, s12
	s_mov_b32 s13, s12
	s_addc_u32 s1, s43, s12
	s_xor_b64 s[22:23], s[0:1], s[12:13]
	v_cvt_f32_u32_e32 v1, s22
	v_cvt_f32_u32_e32 v2, s23
	s_sub_u32 s0, 0, s22
	s_subb_u32 s1, 0, s23
	v_madmk_f32 v1, v2, 0x4f800000, v1
	v_rcp_f32_e32 v1, v1
	v_mul_f32_e32 v1, 0x5f7ffffc, v1
	v_mul_f32_e32 v2, 0x2f800000, v1
	v_trunc_f32_e32 v2, v2
	v_madmk_f32 v1, v2, 0xcf800000, v1
	v_cvt_u32_f32_e32 v2, v2
	v_cvt_u32_f32_e32 v1, v1
	v_readfirstlane_b32 s7, v2
	v_readfirstlane_b32 s19, v1
	s_mul_i32 s24, s0, s7
	s_mul_hi_u32 s26, s0, s19
	s_mul_i32 s25, s1, s19
	s_add_i32 s24, s26, s24
	s_add_i32 s24, s24, s25
	s_mul_i32 s27, s0, s19
	s_mul_hi_u32 s25, s19, s24
	s_mul_i32 s26, s19, s24
	s_mul_hi_u32 s19, s19, s27
	s_add_u32 s19, s19, s26
	s_addc_u32 s25, 0, s25
	s_mul_hi_u32 s28, s7, s27
	s_mul_i32 s27, s7, s27
	s_add_u32 s19, s19, s27
	s_mul_hi_u32 s26, s7, s24
	s_addc_u32 s19, s25, s28
	s_addc_u32 s25, s26, 0
	s_mul_i32 s24, s7, s24
	s_add_u32 s19, s19, s24
	s_addc_u32 s24, 0, s25
	v_add_co_u32_e32 v1, vcc, s19, v1
	s_cmp_lg_u64 vcc, 0
	s_addc_u32 s7, s7, s24
	v_readfirstlane_b32 s24, v1
	s_mul_i32 s19, s0, s7
	s_mul_hi_u32 s25, s0, s24
	s_add_i32 s19, s25, s19
	s_mul_i32 s1, s1, s24
	s_add_i32 s19, s19, s1
	s_mul_i32 s0, s0, s24
	s_mul_hi_u32 s25, s7, s0
	s_mul_i32 s26, s7, s0
	s_mul_i32 s28, s24, s19
	s_mul_hi_u32 s0, s24, s0
	s_mul_hi_u32 s27, s24, s19
	s_add_u32 s0, s0, s28
	s_addc_u32 s24, 0, s27
	s_add_u32 s0, s0, s26
	s_mul_hi_u32 s1, s7, s19
	s_addc_u32 s0, s24, s25
	s_addc_u32 s1, s1, 0
	s_mul_i32 s19, s7, s19
	s_add_u32 s0, s0, s19
	s_addc_u32 s1, 0, s1
	v_add_co_u32_e32 v1, vcc, s0, v1
	s_cmp_lg_u64 vcc, 0
	s_addc_u32 s7, s7, s1
	s_ashr_i32 s24, 0, 31
	s_add_u32 s0, s38, s24
	s_mov_b32 s25, s24
	s_addc_u32 s1, 0, s24
	s_xor_b64 s[26:27], s[0:1], s[24:25]
	v_readfirstlane_b32 s19, v1
	s_mul_i32 s1, s26, s7
	s_mul_hi_u32 s28, s26, s19
	s_mul_hi_u32 s0, s26, s7
	s_add_u32 s1, s28, s1
	s_addc_u32 s0, 0, s0
	s_mul_hi_u32 s29, s27, s19
	s_mul_i32 s19, s27, s19
	s_add_u32 s1, s1, s19
	s_mul_hi_u32 s28, s27, s7
	s_addc_u32 s0, s0, s29
	s_addc_u32 s1, s28, 0
	s_mul_i32 s7, s27, s7
	s_add_u32 s7, s0, s7
	s_addc_u32 s19, 0, s1
	s_mul_i32 s0, s22, s19
	s_mul_hi_u32 s1, s22, s7
	s_add_i32 s0, s1, s0
	s_mul_i32 s1, s23, s7
	s_add_i32 s28, s0, s1
	s_mul_i32 s1, s22, s7
	v_mov_b32_e32 v1, s1
	s_sub_i32 s0, s27, s28
	v_sub_co_u32_e32 v1, vcc, s26, v1
	s_cmp_lg_u64 vcc, 0
	s_subb_u32 s26, s0, s23
	v_subrev_co_u32_e64 v2, s[0:1], s22, v1
	s_cmp_lg_u64 s[0:1], 0
	s_subb_u32 s0, s26, 0
	s_cmp_ge_u32 s0, s23
	v_readfirstlane_b32 s26, v2
	s_cselect_b32 s1, -1, 0
	s_cmp_ge_u32 s26, s22
	s_cselect_b32 s26, -1, 0
	s_cmp_eq_u32 s0, s23
	s_cselect_b32 s0, s26, s1
	s_add_u32 s1, s7, 1
	s_addc_u32 s26, s19, 0
	s_add_u32 s29, s7, 2
	s_addc_u32 s30, s19, 0
	s_cmp_lg_u32 s0, 0
	s_cselect_b32 s0, s29, s1
	s_cselect_b32 s1, s30, s26
	s_cmp_lg_u64 vcc, 0
	s_subb_u32 s26, s27, s28
	s_cmp_ge_u32 s26, s23
	v_readfirstlane_b32 s28, v1
	s_cselect_b32 s27, -1, 0
	s_cmp_ge_u32 s28, s22
	s_cselect_b32 s22, -1, 0
	s_cmp_eq_u32 s26, s23
	s_cselect_b32 s22, s22, s27
	s_cmp_lg_u32 s22, 0
	s_cselect_b32 s1, s1, s19
	s_cselect_b32 s0, s0, s7
	s_xor_b64 s[12:13], s[24:25], s[12:13]
	s_xor_b64 s[0:1], s[0:1], s[12:13]
	s_sub_u32 s44, s0, s12
	s_subb_u32 s45, s1, s13
	s_cbranch_execnz .LBB70_16
.LBB70_15:
	v_cvt_f32_u32_e32 v1, s42
	s_sub_i32 s0, 0, s42
	s_mov_b32 s45, 0
	v_rcp_iflag_f32_e32 v1, v1
	v_mul_f32_e32 v1, 0x4f7ffffe, v1
	v_cvt_u32_f32_e32 v1, v1
	v_readfirstlane_b32 s1, v1
	s_mul_i32 s0, s0, s1
	s_mul_hi_u32 s0, s1, s0
	s_add_i32 s1, s1, s0
	s_mul_hi_u32 s0, s38, s1
	s_mul_i32 s7, s0, s42
	s_sub_i32 s7, s38, s7
	s_add_i32 s1, s0, 1
	s_sub_i32 s12, s7, s42
	s_cmp_ge_u32 s7, s42
	s_cselect_b32 s0, s1, s0
	s_cselect_b32 s7, s12, s7
	s_add_i32 s1, s0, 1
	s_cmp_ge_u32 s7, s42
	s_cselect_b32 s44, s1, s0
.LBB70_16:
	s_load_dwordx2 s[22:23], s[4:5], 0xe0
	s_load_dwordx4 s[12:15], s[4:5], 0xd0
	s_or_b64 s[0:1], s[44:45], s[40:41]
	s_mov_b32 s0, 0
	v_writelane_b32 v57, s34, 6
	s_cmp_lg_u64 s[0:1], 0
	v_writelane_b32 v57, s35, 7
	s_cbranch_scc0 .LBB70_23
; %bb.17:
	s_ashr_i32 s26, s41, 31
	s_add_u32 s0, s40, s26
	s_mov_b32 s27, s26
	s_addc_u32 s1, s41, s26
	s_xor_b64 s[28:29], s[0:1], s[26:27]
	v_cvt_f32_u32_e32 v1, s28
	v_cvt_f32_u32_e32 v2, s29
	s_sub_u32 s0, 0, s28
	s_subb_u32 s1, 0, s29
	s_mov_b64 s[24:25], 0
	v_madmk_f32 v1, v2, 0x4f800000, v1
	v_rcp_f32_e32 v1, v1
	v_mul_f32_e32 v1, 0x5f7ffffc, v1
	v_mul_f32_e32 v2, 0x2f800000, v1
	v_trunc_f32_e32 v2, v2
	v_madmk_f32 v1, v2, 0xcf800000, v1
	v_cvt_u32_f32_e32 v2, v2
	v_cvt_u32_f32_e32 v1, v1
	v_readfirstlane_b32 s7, v2
	v_readfirstlane_b32 s19, v1
	s_mul_i32 s30, s0, s7
	s_mul_hi_u32 s33, s0, s19
	s_mul_i32 s31, s1, s19
	s_add_i32 s30, s33, s30
	s_add_i32 s30, s30, s31
	s_mul_i32 s34, s0, s19
	s_mul_hi_u32 s31, s19, s30
	s_mul_i32 s33, s19, s30
	s_mul_hi_u32 s19, s19, s34
	s_add_u32 s19, s19, s33
	s_addc_u32 s31, 0, s31
	s_mul_hi_u32 s35, s7, s34
	s_mul_i32 s34, s7, s34
	s_add_u32 s19, s19, s34
	s_mul_hi_u32 s33, s7, s30
	s_addc_u32 s19, s31, s35
	s_addc_u32 s31, s33, 0
	s_mul_i32 s30, s7, s30
	s_add_u32 s19, s19, s30
	s_addc_u32 s30, 0, s31
	v_add_co_u32_e32 v1, vcc, s19, v1
	s_cmp_lg_u64 vcc, 0
	s_addc_u32 s7, s7, s30
	v_readfirstlane_b32 s30, v1
	s_mul_i32 s19, s0, s7
	s_mul_hi_u32 s31, s0, s30
	s_add_i32 s19, s31, s19
	s_mul_i32 s1, s1, s30
	s_add_i32 s19, s19, s1
	s_mul_i32 s0, s0, s30
	s_mul_hi_u32 s31, s7, s0
	s_mul_i32 s33, s7, s0
	s_mul_i32 s35, s30, s19
	s_mul_hi_u32 s0, s30, s0
	s_mul_hi_u32 s34, s30, s19
	s_add_u32 s0, s0, s35
	s_addc_u32 s30, 0, s34
	s_add_u32 s0, s0, s33
	s_mul_hi_u32 s1, s7, s19
	s_addc_u32 s0, s30, s31
	s_addc_u32 s1, s1, 0
	s_mul_i32 s19, s7, s19
	s_add_u32 s0, s0, s19
	s_addc_u32 s1, 0, s1
	v_add_co_u32_e32 v1, vcc, s0, v1
	s_cmp_lg_u64 vcc, 0
	s_addc_u32 s7, s7, s1
	s_ashr_i32 s30, s45, 31
	s_add_u32 s0, s44, s30
	s_mov_b32 s31, s30
	s_addc_u32 s1, s45, s30
	s_xor_b64 s[34:35], s[0:1], s[30:31]
	v_readfirstlane_b32 s19, v1
	s_mul_i32 s1, s34, s7
	s_mul_hi_u32 s33, s34, s19
	s_mul_hi_u32 s0, s34, s7
	s_add_u32 s1, s33, s1
	s_addc_u32 s0, 0, s0
	s_mul_hi_u32 s36, s35, s19
	s_mul_i32 s19, s35, s19
	s_add_u32 s1, s1, s19
	s_mul_hi_u32 s33, s35, s7
	s_addc_u32 s0, s0, s36
	s_addc_u32 s1, s33, 0
	s_mul_i32 s7, s35, s7
	s_add_u32 s7, s0, s7
	s_addc_u32 s19, 0, s1
	s_mul_i32 s0, s28, s19
	s_mul_hi_u32 s1, s28, s7
	s_add_i32 s0, s1, s0
	s_mul_i32 s1, s29, s7
	s_add_i32 s33, s0, s1
	s_mul_i32 s1, s28, s7
	v_mov_b32_e32 v1, s1
	s_sub_i32 s0, s35, s33
	v_sub_co_u32_e32 v1, vcc, s34, v1
	s_cmp_lg_u64 vcc, 0
	s_subb_u32 s34, s0, s29
	v_subrev_co_u32_e64 v2, s[0:1], s28, v1
	s_cmp_lg_u64 s[0:1], 0
	s_subb_u32 s0, s34, 0
	s_cmp_ge_u32 s0, s29
	v_readfirstlane_b32 s34, v2
	s_cselect_b32 s1, -1, 0
	s_cmp_ge_u32 s34, s28
	s_cselect_b32 s34, -1, 0
	s_cmp_eq_u32 s0, s29
	s_cselect_b32 s0, s34, s1
	s_add_u32 s1, s7, 1
	s_addc_u32 s34, s19, 0
	s_add_u32 s36, s7, 2
	s_addc_u32 s37, s19, 0
	s_cmp_lg_u32 s0, 0
	s_cselect_b32 s0, s36, s1
	s_cselect_b32 s1, s37, s34
	s_cmp_lg_u64 vcc, 0
	s_subb_u32 s33, s35, s33
	s_cmp_ge_u32 s33, s29
	v_readfirstlane_b32 s35, v1
	s_cselect_b32 s34, -1, 0
	s_cmp_ge_u32 s35, s28
	s_cselect_b32 s28, -1, 0
	s_cmp_eq_u32 s33, s29
	s_cselect_b32 s28, s28, s34
	s_cmp_lg_u32 s28, 0
	s_cselect_b32 s1, s1, s19
	s_cselect_b32 s0, s0, s7
	s_xor_b64 s[26:27], s[30:31], s[26:27]
	s_xor_b64 s[0:1], s[0:1], s[26:27]
	s_sub_u32 s0, s0, s26
	s_subb_u32 s1, s1, s27
	v_writelane_b32 v57, s0, 20
	v_writelane_b32 v57, s1, 21
	s_branch .LBB70_24
.LBB70_18:
                                        ; implicit-def: $sgpr2_sgpr3
	s_branch .LBB70_3
.LBB70_19:
                                        ; implicit-def: $sgpr20_sgpr21
	s_load_dwordx4 s[28:31], s[4:5], 0x1d0
	s_branch .LBB70_6
.LBB70_20:
                                        ; implicit-def: $sgpr0_sgpr1
	s_branch .LBB70_9
.LBB70_21:
                                        ; implicit-def: $sgpr34_sgpr35
	s_load_dwordx4 s[40:43], s[4:5], 0x370
	s_branch .LBB70_12
.LBB70_22:
                                        ; implicit-def: $sgpr44_sgpr45
	s_branch .LBB70_15
.LBB70_23:
	s_mov_b64 s[24:25], -1
                                        ; implicit-def: $sgpr0_sgpr1
                                        ; kill: killed $sgpr0_sgpr1
.LBB70_24:
	s_load_dwordx2 s[0:1], s[4:5], 0x440
	s_load_dwordx4 s[28:31], s[4:5], 0x430
	s_andn2_b64 vcc, exec, s[24:25]
	s_waitcnt lgkmcnt(0)
	v_writelane_b32 v57, s0, 8
	v_writelane_b32 v57, s1, 9
	s_load_dwordx2 s[0:1], s[4:5], 0x2a0
	v_writelane_b32 v57, s28, 10
	v_writelane_b32 v57, s29, 11
	;; [unrolled: 1-line block ×4, first 2 shown]
	s_load_dwordx4 s[28:31], s[4:5], 0x290
	s_waitcnt lgkmcnt(0)
	v_writelane_b32 v57, s0, 14
	v_writelane_b32 v57, s1, 15
	s_load_dwordx2 s[0:1], s[4:5], 0x0
	v_writelane_b32 v57, s28, 16
	v_writelane_b32 v57, s29, 17
	;; [unrolled: 1-line block ×4, first 2 shown]
	s_cbranch_vccnz .LBB70_26
; %bb.25:
	v_cvt_f32_u32_e32 v1, s40
	s_sub_i32 s7, 0, s40
	s_mov_b32 s27, 0
	v_rcp_iflag_f32_e32 v1, v1
	v_mul_f32_e32 v1, 0x4f7ffffe, v1
	v_cvt_u32_f32_e32 v1, v1
	v_readfirstlane_b32 s19, v1
	s_mul_i32 s7, s7, s19
	s_mul_hi_u32 s7, s19, s7
	s_add_i32 s19, s19, s7
	s_mul_hi_u32 s7, s44, s19
	s_mul_i32 s24, s7, s40
	s_sub_i32 s24, s44, s24
	s_add_i32 s19, s7, 1
	s_sub_i32 s25, s24, s40
	s_cmp_ge_u32 s24, s40
	s_cselect_b32 s7, s19, s7
	s_cselect_b32 s24, s25, s24
	s_add_i32 s19, s7, 1
	s_cmp_ge_u32 s24, s40
	s_cselect_b32 s26, s19, s7
	v_writelane_b32 v57, s26, 20
	v_writelane_b32 v57, s27, 21
.LBB70_26:
	v_writelane_b32 v57, s44, 22
	v_writelane_b32 v57, s45, 23
	s_load_dwordx2 s[24:25], s[4:5], 0x360
	v_writelane_b32 v57, s40, 24
	v_writelane_b32 v57, s41, 25
	s_load_dwordx2 s[4:5], s[4:5], 0x1c0
	v_writelane_b32 v57, s42, 26
	v_writelane_b32 v57, s43, 27
	s_waitcnt lgkmcnt(0)
	v_writelane_b32 v57, s24, 28
	v_writelane_b32 v57, s25, 29
	;; [unrolled: 1-line block ×3, first 2 shown]
	s_mov_b32 s93, 0
	v_writelane_b32 v57, s5, 31
	v_cmp_eq_u32_e64 s[24:25], 0, v0
	s_mov_b64 s[4:5], exec
	v_writelane_b32 v57, s24, 32
	v_writelane_b32 v57, s25, 33
	s_and_b64 s[24:25], s[4:5], s[24:25]
	s_mov_b64 exec, s[24:25]
	s_cbranch_execz .LBB70_28
; %bb.27:
	v_mov_b32_e32 v2, 0
	v_mov_b32_e32 v4, s52
	;; [unrolled: 1-line block ×4, first 2 shown]
	ds_write_b32 v2, v2 offset:5136
	ds_write_b128 v2, v[2:5] offset:5120
.LBB70_28:
	s_or_b64 exec, exec, s[4:5]
	s_mul_i32 s4, s20, s9
	s_mul_hi_u32 s5, s20, s8
	s_add_i32 s4, s5, s4
	s_mul_i32 s5, s21, s8
	s_add_i32 s4, s4, s5
	s_mul_i32 s5, s20, s8
	s_sub_u32 s7, s2, s5
	s_subb_u32 s4, s3, s4
	s_mul_i32 s5, s7, s15
	s_mul_hi_u32 s8, s7, s14
	s_add_i32 s5, s8, s5
	s_mul_i32 s4, s4, s14
	s_add_i32 s5, s5, s4
	s_mul_i32 s4, s7, s14
	s_mul_i32 s7, s20, s13
	s_mul_hi_u32 s8, s20, s12
	s_add_i32 s7, s8, s7
	s_mul_i32 s8, s21, s12
	s_add_i32 s9, s7, s8
	s_mul_i32 s7, s2, s11
	s_mul_hi_u32 s11, s2, s10
	s_add_i32 s7, s11, s7
	s_mul_i32 s3, s3, s10
	s_add_i32 s7, s7, s3
	s_mul_i32 s2, s2, s10
	s_mov_b32 s10, s38
	v_writelane_b32 v57, s10, 34
	s_sub_u32 s2, s38, s2
	v_writelane_b32 v57, s11, 35
	s_subb_u32 s3, 0, s7
	s_mul_i32 s7, s2, s23
	s_mul_hi_u32 s10, s2, s22
	s_mul_i32 s8, s20, s12
	s_add_i32 s7, s10, s7
	s_mul_i32 s3, s3, s22
	s_add_i32 s3, s7, s3
	s_lshl_b64 s[8:9], s[8:9], 1
	s_add_u32 s7, s0, s8
	s_addc_u32 s12, s1, s9
	s_lshl_b64 s[10:11], s[4:5], 1
	s_mul_i32 s2, s2, s22
	s_add_u32 s4, s7, s10
	v_mbcnt_lo_u32_b32 v1, -1, 0
	s_addc_u32 s5, s12, s11
	s_lshl_b64 s[12:13], s[2:3], 1
	v_mbcnt_hi_u32_b32 v36, -1, v1
	s_add_u32 s14, s4, s12
	v_cmp_gt_u32_e32 vcc, 64, v0
	v_cmp_gt_i32_e64 s[2:3], 4, v36
	s_addc_u32 s15, s5, s13
	s_and_b64 s[46:47], vcc, s[2:3]
	v_cmp_gt_u32_e64 s[2:3], 2, v0
	v_mov_b32_e32 v2, 0x600
	v_writelane_b32 v57, s2, 36
	v_mov_b32_e32 v3, 0
	v_writelane_b32 v57, s3, 37
	v_cmp_gt_i64_e64 s[2:3], s[52:53], v[2:3]
	v_writelane_b32 v57, s2, 38
	v_writelane_b32 v57, s3, 39
	v_mad_u64_u32 v[2:3], s[2:3], v0, s58, 0
	v_mov_b32_e32 v13, 0
	v_mov_b32_e32 v4, v3
	;; [unrolled: 1-line block ×3, first 2 shown]
	v_mad_u64_u32 v[4:5], s[2:3], v0, s59, v[4:5]
	v_mov_b32_e32 v6, s15
	v_writelane_b32 v57, s14, 40
	v_writelane_b32 v57, s15, 41
	v_cmp_gt_i64_e64 s[2:3], s[52:53], v[0:1]
	v_writelane_b32 v57, s2, 42
	s_waitcnt lgkmcnt(0)
	s_barrier
	v_writelane_b32 v57, s3, 43
	s_load_dword s2, s[16:17], 0xc
	v_mov_b32_e32 v3, v4
	v_lshlrev_b64 v[4:5], 1, v[2:3]
	v_add_co_u32_e32 v14, vcc, s14, v4
	s_waitcnt lgkmcnt(0)
	s_and_b32 s33, s2, 0xffff
	s_bfe_u32 s3, s2, 0xa0006
	v_cmp_gt_u16_e64 s[14:15], s2, 63
	v_writelane_b32 v57, s14, 44
	s_add_u32 s2, s33, -1
	v_writelane_b32 v57, s15, 45
	s_addc_u32 s7, 0, -1
	v_writelane_b32 v57, s2, 46
	s_add_u32 s2, s2, s52
	s_addc_u32 s91, s7, s53
	s_cmp_lt_u32 s6, s18
	v_writelane_b32 v57, s2, 47
	s_cselect_b32 s2, 12, 18
	s_add_u32 s68, s16, s2
	s_addc_u32 s69, s17, 0
	s_add_i32 s2, s3, -1
	s_bfe_u32 s6, s33, 0x30006
	s_cmp_gt_u32 s2, 6
	v_writelane_b32 v57, s7, 48
	s_cselect_b64 s[14:15], -1, 0
	v_writelane_b32 v57, s14, 49
	s_and_b32 s82, s3, 0x3f8
	v_writelane_b32 v57, s15, 50
	s_cmp_lg_u32 s6, 0
	v_writelane_b32 v57, s6, 51
	s_cselect_b64 s[2:3], -1, 0
	v_writelane_b32 v57, s2, 52
	v_writelane_b32 v57, s3, 53
	s_add_u32 s2, s8, s12
	v_addc_co_u32_e32 v15, vcc, v6, v5, vcc
	v_lshrrev_b32_e32 v6, 4, v0
	s_addc_u32 s3, s9, s13
	v_and_b32_e32 v39, 60, v6
	v_lshlrev_b32_e32 v6, 2, v36
	s_add_u32 s2, s2, s10
	v_and_b32_e32 v40, 0x100, v6
	v_lshlrev_b64 v[6:7], v36, -1
	s_addc_u32 s3, s3, s11
	v_lshlrev_b32_e32 v41, 3, v0
	v_not_b32_e32 v19, v7
	s_add_u32 s2, s0, s2
	v_or_b32_e32 v7, 6, v41
	s_addc_u32 s3, s1, s3
	v_mad_u64_u32 v[20:21], s[0:1], s58, v7, 0
	v_not_b32_e32 v18, v6
	v_mov_b32_e32 v6, v21
	v_mad_u64_u32 v[6:7], s[0:1], s59, v7, v[6:7]
	s_lshl_b64 s[0:1], s[58:59], 3
	v_writelane_b32 v57, s0, 54
	v_or_b32_e32 v7, 4, v41
	v_writelane_b32 v57, s1, 55
	v_mad_u64_u32 v[22:23], s[0:1], s58, v7, 0
	v_mov_b32_e32 v21, v6
	v_mov_b32_e32 v6, v23
	v_mad_u64_u32 v[6:7], s[0:1], s59, v7, v[6:7]
	v_or_b32_e32 v7, 2, v41
	v_mad_u64_u32 v[24:25], s[0:1], s58, v7, 0
	v_mov_b32_e32 v23, v6
	v_mov_b32_e32 v6, v25
	v_lshlrev_b64 v[26:27], 3, v[2:3]
	v_mov_b32_e32 v2, s53
	v_add_co_u32_e32 v42, vcc, s52, v0
	v_mad_u64_u32 v[6:7], s[0:1], s59, v7, v[6:7]
	v_addc_co_u32_e32 v43, vcc, 0, v2, vcc
	v_mov_b32_e32 v2, 0xc00
	v_lshl_or_b32 v44, v36, 3, v2
	v_mov_b32_e32 v2, s3
	v_writelane_b32 v57, s2, 56
	s_mul_i32 s0, s59, s33
	s_mul_hi_u32 s1, s58, s33
	v_lshlrev_b32_e32 v37, 1, v0
	v_writelane_b32 v57, s3, 57
	v_add_co_u32_e32 v10, vcc, s2, v4
	s_add_i32 s1, s1, s0
	s_mul_i32 s0, s58, s33
	v_cmp_eq_u32_e64 s[4:5], 0, v36
	v_add_u32_e32 v38, 0xc00, v37
	v_lshlrev_b32_e32 v16, 2, v0
	v_mov_b32_e32 v17, v13
	s_mov_b32 s26, s93
	s_lshl_b64 s[78:79], s[58:59], 1
	v_mov_b32_e32 v25, v6
	v_addc_co_u32_e32 v11, vcc, v2, v5, vcc
	s_lshl_b64 s[94:95], s[0:1], 1
	s_lshl_b32 s83, s33, 1
	s_mov_b32 s86, 14
	s_mov_b64 s[60:61], 0
	s_movk_i32 s27, 0x3f80
	v_mov_b32_e32 v45, 0xffff
	v_mov_b32_e32 v46, 0x8000
	v_cvt_f32_ubyte0_e32 v47, 0
	v_mov_b32_e32 v48, -1
	v_mov_b32_e32 v49, 0x5040100
	v_mov_b32_e32 v50, 0
	s_mov_b32 s87, 0
	s_mov_b32 s89, 0
	;; [unrolled: 1-line block ×3, first 2 shown]
	v_writelane_b32 v57, s46, 58
                                        ; implicit-def: $sgpr62_sgpr63
                                        ; implicit-def: $sgpr66_sgpr67
                                        ; implicit-def: $sgpr64_sgpr65
                                        ; implicit-def: $sgpr76_sgpr77
                                        ; implicit-def: $sgpr80_sgpr81
                                        ; implicit-def: $sgpr70_sgpr71
	v_writelane_b32 v57, s47, 59
	s_branch .LBB70_33
.LBB70_29:                              ;   in Loop: Header=BB70_33 Depth=1
	s_xor_b32 s87, s87, 1
	s_add_i32 s8, s86, -2
	s_cmp_eq_u32 s86, 0
	s_mov_b64 s[2:3], 0
	s_cselect_b64 s[6:7], -1, 0
	s_mov_b32 s86, s8
.LBB70_30:                              ;   in Loop: Header=BB70_33 Depth=1
	s_andn2_b64 s[8:9], s[20:21], exec
	s_and_b64 s[2:3], s[2:3], exec
	s_or_b64 s[20:21], s[8:9], s[2:3]
	s_andn2_b64 s[22:23], s[22:23], exec
	s_andn2_b64 s[18:19], s[18:19], exec
	s_orn2_b64 s[14:15], s[6:7], exec
.LBB70_31:                              ;   in Loop: Header=BB70_33 Depth=1
	s_or_b64 exec, exec, s[0:1]
	s_andn2_b64 s[0:1], s[70:71], exec
	s_and_b64 s[2:3], s[20:21], exec
	s_or_b64 s[70:71], s[0:1], s[2:3]
	s_andn2_b64 s[0:1], s[80:81], exec
	s_and_b64 s[2:3], s[22:23], exec
	s_or_b64 s[80:81], s[0:1], s[2:3]
	;; [unrolled: 3-line block ×3, first 2 shown]
	s_orn2_b64 s[18:19], s[14:15], exec
.LBB70_32:                              ;   in Loop: Header=BB70_33 Depth=1
	s_or_b64 exec, exec, s[12:13]
	s_and_b64 s[0:1], exec, s[18:19]
	s_or_b64 s[60:61], s[0:1], s[60:61]
	s_andn2_b64 s[0:1], s[64:65], exec
	s_and_b64 s[2:3], s[70:71], exec
	s_or_b64 s[64:65], s[0:1], s[2:3]
	s_andn2_b64 s[0:1], s[66:67], exec
	s_and_b64 s[2:3], s[80:81], exec
	;; [unrolled: 3-line block ×3, first 2 shown]
	v_mov_b32_e32 v2, s89
	s_or_b64 s[62:63], s[0:1], s[2:3]
	s_andn2_b64 exec, exec, s[60:61]
	s_cbranch_execz .LBB70_300
.LBB70_33:                              ; =>This Loop Header: Depth=1
                                        ;     Child Loop BB70_38 Depth 2
                                        ;     Child Loop BB70_57 Depth 2
	;; [unrolled: 1-line block ×16, first 2 shown]
	ds_read_b128 v[2:5], v13 offset:5120
	s_waitcnt lgkmcnt(0)
	v_readfirstlane_b32 s73, v3
	v_readfirstlane_b32 s72, v2
	v_cmp_gt_i64_e64 s[0:1], s[72:73], 0
	s_and_b64 vcc, exec, s[0:1]
	s_cbranch_vccnz .LBB70_64
; %bb.34:                               ;   in Loop: Header=BB70_33 Depth=1
	v_readlane_b32 s0, v57, 38
	v_readlane_b32 s1, v57, 39
	s_and_b64 vcc, exec, s[0:1]
	s_cbranch_vccz .LBB70_46
; %bb.35:                               ;   in Loop: Header=BB70_33 Depth=1
	s_mov_b64 s[0:1], 0x601
	v_cmp_gt_i64_e32 vcc, s[0:1], v[4:5]
	s_mov_b64 s[0:1], 0
	s_mov_b64 s[2:3], 0
	s_cbranch_vccz .LBB70_51
; %bb.36:                               ;   in Loop: Header=BB70_33 Depth=1
	global_load_ushort v6, v13, s[68:69]
	global_load_ushort v7, v[14:15], off
	v_readlane_b32 s2, v57, 56
	v_readlane_b32 s3, v57, 57
	v_pk_mov_b32 v[2:3], s[2:3], s[2:3] op_sel:[0,1]
	s_mov_b64 s[2:3], 0
	s_waitcnt vmcnt(1)
	v_readfirstlane_b32 s6, v6
	s_and_b32 s6, 0xffff, s6
	v_add_u32_e32 v5, s6, v0
	s_mul_i32 s8, s79, s6
	s_mul_hi_u32 s9, s78, s6
	s_mul_i32 s16, s78, s6
	v_mad_u64_u32 v[2:3], s[6:7], s78, v5, v[2:3]
	v_mov_b32_e32 v4, v3
	v_mad_u64_u32 v[4:5], s[6:7], s79, v5, v[4:5]
	s_add_i32 s17, s9, s8
	v_mov_b32_e32 v3, v4
	v_pk_mov_b32 v[4:5], v[0:1], v[0:1] op_sel:[0,1]
	s_branch .LBB70_38
.LBB70_37:                              ;   in Loop: Header=BB70_38 Depth=2
	s_or_b64 exec, exec, s[6:7]
	v_mov_b32_e32 v7, s17
	v_add_co_u32_e32 v2, vcc, s16, v2
	v_addc_co_u32_e32 v3, vcc, v3, v7, vcc
	v_mov_b32_e32 v7, v8
	s_andn2_b64 exec, exec, s[2:3]
	s_cbranch_execz .LBB70_47
.LBB70_38:                              ;   Parent Loop BB70_33 Depth=1
                                        ; =>  This Inner Loop Header: Depth=2
	v_add_co_u32_sdwa v4, vcc, v4, v6 dst_sel:DWORD dst_unused:UNUSED_PAD src0_sel:DWORD src1_sel:WORD_0
	v_addc_co_u32_e32 v5, vcc, 0, v5, vcc
	v_cmp_gt_i64_e64 s[6:7], s[52:53], v[4:5]
	v_cmp_le_i64_e32 vcc, s[52:53], v[4:5]
	s_waitcnt lgkmcnt(0)
	v_mov_b32_e32 v9, 0
	v_mov_b32_e32 v8, 0
	s_and_saveexec_b64 s[8:9], s[6:7]
	s_cbranch_execz .LBB70_40
; %bb.39:                               ;   in Loop: Header=BB70_38 Depth=2
	global_load_ushort v8, v[2:3], off
.LBB70_40:                              ;   in Loop: Header=BB70_38 Depth=2
	s_or_b64 exec, exec, s[8:9]
	s_waitcnt vmcnt(0)
	v_cmp_lt_i16_e64 s[6:7], -1, v7
	v_cndmask_b32_e64 v12, v45, v46, s[6:7]
	v_lshlrev_b32_e32 v28, 16, v7
	v_xor_b32_sdwa v12, v12, v7 dst_sel:DWORD dst_unused:UNUSED_PAD src0_sel:DWORD src1_sel:WORD_0
	v_cmp_o_f32_e64 s[6:7], v28, v28
	v_cndmask_b32_e64 v12, v45, v12, s[6:7]
	v_and_b32_e32 v12, s88, v12
	v_cmp_eq_u32_e64 s[10:11], s89, v12
	s_cmp_lg_u64 s[10:11], 0
	s_cselect_b64 s[6:7], -1, 0
	s_and_b64 s[6:7], s[4:5], s[6:7]
	s_and_saveexec_b64 s[8:9], s[6:7]
	s_cbranch_execz .LBB70_44
; %bb.41:                               ;   in Loop: Header=BB70_38 Depth=2
	s_mov_b64 s[14:15], exec
	v_mbcnt_lo_u32_b32 v9, s14, 0
	v_mbcnt_hi_u32_b32 v9, s15, v9
	s_bcnt1_i32_b64 s18, s[10:11]
	v_cmp_eq_u32_e64 s[6:7], 0, v9
                                        ; implicit-def: $vgpr12
	s_and_saveexec_b64 s[12:13], s[6:7]
	s_cbranch_execz .LBB70_43
; %bb.42:                               ;   in Loop: Header=BB70_38 Depth=2
	s_bcnt1_i32_b64 s6, s[14:15]
	s_mul_i32 s6, s18, s6
	v_mov_b32_e32 v12, s6
	ds_add_rtn_u32 v12, v13, v12 offset:5136
.LBB70_43:                              ;   in Loop: Header=BB70_38 Depth=2
	s_or_b64 exec, exec, s[12:13]
	s_waitcnt lgkmcnt(0)
	v_readfirstlane_b32 s6, v12
	v_mov_b32_e32 v12, s6
	v_mad_u32_u24 v9, s18, v9, v12
.LBB70_44:                              ;   in Loop: Header=BB70_38 Depth=2
	s_or_b64 exec, exec, s[8:9]
	ds_bpermute_b32 v9, v40, v9
	s_and_b64 s[6:7], exec, vcc
	s_or_b64 s[2:3], s[6:7], s[2:3]
	s_and_saveexec_b64 s[6:7], s[10:11]
	s_cbranch_execz .LBB70_37
; %bb.45:                               ;   in Loop: Header=BB70_38 Depth=2
	v_and_b32_e32 v28, s10, v18
	v_and_b32_e32 v12, s11, v19
	v_bcnt_u32_b32 v28, v28, 0
	v_bcnt_u32_b32 v12, v12, v28
	v_lshlrev_b32_e32 v12, 1, v12
	s_waitcnt lgkmcnt(0)
	v_lshl_add_u32 v9, v9, 1, v12
	ds_write_b16 v9, v7
	s_branch .LBB70_37
.LBB70_46:                              ;   in Loop: Header=BB70_33 Depth=1
	s_mov_b64 s[0:1], -1
	s_mov_b64 s[2:3], 0
	s_branch .LBB70_50
.LBB70_47:                              ;   in Loop: Header=BB70_33 Depth=1
	s_or_b64 exec, exec, s[2:3]
	s_waitcnt lgkmcnt(0)
	s_barrier
	s_mov_b64 s[2:3], exec
	v_readlane_b32 s6, v57, 32
	v_readlane_b32 s7, v57, 33
	s_and_b64 s[6:7], s[2:3], s[6:7]
	s_mov_b64 exec, s[6:7]
	s_cbranch_execz .LBB70_49
; %bb.48:                               ;   in Loop: Header=BB70_33 Depth=1
	ds_read_b32 v2, v13 offset:5136
	s_waitcnt lgkmcnt(0)
	v_ashrrev_i32_e32 v3, 31, v2
	ds_write_b64 v13, v[2:3] offset:5120
.LBB70_49:                              ;   in Loop: Header=BB70_33 Depth=1
	s_or_b64 exec, exec, s[2:3]
	s_waitcnt lgkmcnt(0)
	s_barrier
	s_mov_b64 s[2:3], -1
.LBB70_50:                              ;   in Loop: Header=BB70_33 Depth=1
                                        ; implicit-def: $sgpr72_sgpr73
.LBB70_51:                              ;   in Loop: Header=BB70_33 Depth=1
	s_and_b64 vcc, exec, s[0:1]
	s_cbranch_vccz .LBB70_62
; %bb.52:                               ;   in Loop: Header=BB70_33 Depth=1
	v_mov_b32_e32 v6, 0
	s_mov_b64 s[0:1], exec
	v_readlane_b32 s2, v57, 42
	v_readlane_b32 s3, v57, 43
	s_and_b64 s[2:3], s[0:1], s[2:3]
	s_mov_b64 exec, s[2:3]
	s_cbranch_execz .LBB70_54
; %bb.53:                               ;   in Loop: Header=BB70_33 Depth=1
	global_load_ushort v6, v[14:15], off
.LBB70_54:                              ;   in Loop: Header=BB70_33 Depth=1
	s_or_b64 exec, exec, s[0:1]
	s_mov_b64 s[0:1], exec
	v_readlane_b32 s2, v57, 42
	v_readlane_b32 s3, v57, 43
	s_and_b64 s[2:3], s[0:1], s[2:3]
	s_mov_b64 exec, s[2:3]
	s_cbranch_execz .LBB70_59
; %bb.55:                               ;   in Loop: Header=BB70_33 Depth=1
	global_load_ushort v7, v13, s[68:69]
	v_readlane_b32 s2, v57, 56
	v_readlane_b32 s3, v57, 57
	v_pk_mov_b32 v[2:3], s[2:3], s[2:3] op_sel:[0,1]
	s_mov_b64 s[2:3], 0
	v_mov_b32_e32 v8, v37
	s_waitcnt vmcnt(0)
	v_readfirstlane_b32 s6, v7
	s_and_b32 s6, 0xffff, s6
	v_add_u32_e32 v5, s6, v0
	s_lshl_b32 s10, s6, 1
	s_mul_i32 s8, s79, s6
	s_mul_hi_u32 s9, s78, s6
	s_mul_i32 s11, s78, s6
	v_mad_u64_u32 v[2:3], s[6:7], s78, v5, v[2:3]
	v_mov_b32_e32 v4, v3
	v_mad_u64_u32 v[4:5], s[6:7], s79, v5, v[4:5]
	s_add_i32 s12, s9, s8
	v_mov_b32_e32 v3, v4
	v_pk_mov_b32 v[4:5], v[0:1], v[0:1] op_sel:[0,1]
	s_branch .LBB70_57
.LBB70_56:                              ;   in Loop: Header=BB70_57 Depth=2
	s_or_b64 exec, exec, s[8:9]
	s_and_b64 s[6:7], exec, vcc
	ds_write_b16 v8, v6
	v_mov_b32_e32 v6, s12
	v_add_co_u32_e32 v2, vcc, s11, v2
	s_or_b64 s[2:3], s[6:7], s[2:3]
	v_add_u32_e32 v8, s10, v8
	v_addc_co_u32_e32 v3, vcc, v3, v6, vcc
	s_waitcnt vmcnt(0)
	v_mov_b32_e32 v6, v9
	s_andn2_b64 exec, exec, s[2:3]
	s_cbranch_execz .LBB70_59
.LBB70_57:                              ;   Parent Loop BB70_33 Depth=1
                                        ; =>  This Inner Loop Header: Depth=2
	v_add_co_u32_sdwa v4, vcc, v4, v7 dst_sel:DWORD dst_unused:UNUSED_PAD src0_sel:DWORD src1_sel:WORD_0
	v_addc_co_u32_e32 v5, vcc, 0, v5, vcc
	v_cmp_gt_i64_e64 s[6:7], s[52:53], v[4:5]
	v_cmp_le_i64_e32 vcc, s[52:53], v[4:5]
	v_mov_b32_e32 v9, 0
	s_and_saveexec_b64 s[8:9], s[6:7]
	s_cbranch_execz .LBB70_56
; %bb.58:                               ;   in Loop: Header=BB70_57 Depth=2
	global_load_ushort v9, v[2:3], off
	s_branch .LBB70_56
.LBB70_59:                              ;   in Loop: Header=BB70_33 Depth=1
	s_or_b64 exec, exec, s[0:1]
	s_waitcnt lgkmcnt(0)
	s_barrier
	s_mov_b64 s[0:1], exec
	v_readlane_b32 s2, v57, 32
	v_readlane_b32 s3, v57, 33
	s_and_b64 s[2:3], s[0:1], s[2:3]
	s_mov_b64 exec, s[2:3]
	s_cbranch_execz .LBB70_61
; %bb.60:                               ;   in Loop: Header=BB70_33 Depth=1
	v_pk_mov_b32 v[2:3], s[52:53], s[52:53] op_sel:[0,1]
	ds_write_b64 v13, v[2:3] offset:5120
.LBB70_61:                              ;   in Loop: Header=BB70_33 Depth=1
	s_or_b64 exec, exec, s[0:1]
	s_mov_b64 s[2:3], -1
	s_waitcnt lgkmcnt(0)
	s_barrier
                                        ; implicit-def: $sgpr72_sgpr73
.LBB70_62:                              ;   in Loop: Header=BB70_33 Depth=1
	s_and_b64 vcc, exec, s[2:3]
	s_cbranch_vccz .LBB70_64
; %bb.63:                               ;   in Loop: Header=BB70_33 Depth=1
	ds_read_b64 v[2:3], v13 offset:5120
	s_waitcnt lgkmcnt(0)
	v_readfirstlane_b32 s72, v2
.LBB70_64:                              ;   in Loop: Header=BB70_33 Depth=1
	s_cmp_lt_i32 s72, 1
	s_cbranch_scc0 .LBB70_79
; %bb.65:                               ;   in Loop: Header=BB70_33 Depth=1
	global_load_ushort v2, v13, s[68:69]
	s_mov_b32 s0, s93
	s_waitcnt vmcnt(0)
	v_readfirstlane_b32 s1, v2
	s_and_b32 s1, 0xffff, s1
	s_lshl_b32 s73, s1, 2
	s_mov_b32 s1, s53
	s_cmp_lg_u64 s[0:1], 0
	s_cbranch_scc0 .LBB70_99
; %bb.66:                               ;   in Loop: Header=BB70_33 Depth=1
	v_cvt_f32_u32_e32 v3, s73
	s_sub_u32 s0, 0, s73
	s_subb_u32 s1, 0, 0
	v_mac_f32_e32 v3, 0x4f800000, v47
	v_rcp_f32_e32 v3, v3
	v_mul_f32_e32 v3, 0x5f7ffffc, v3
	v_mul_f32_e32 v4, 0x2f800000, v3
	v_trunc_f32_e32 v4, v4
	v_mac_f32_e32 v3, 0xcf800000, v4
	v_cvt_u32_f32_e32 v4, v4
	v_cvt_u32_f32_e32 v3, v3
	v_readfirstlane_b32 s2, v4
	v_readfirstlane_b32 s3, v3
	s_mul_i32 s6, s0, s2
	s_mul_hi_u32 s8, s0, s3
	s_mul_i32 s7, s1, s3
	s_add_i32 s6, s8, s6
	s_mul_i32 s9, s0, s3
	s_add_i32 s6, s6, s7
	s_mul_hi_u32 s8, s3, s9
	s_mul_hi_u32 s7, s3, s6
	s_mul_i32 s3, s3, s6
	s_add_u32 s3, s8, s3
	s_addc_u32 s7, 0, s7
	s_mul_hi_u32 s10, s2, s9
	s_mul_i32 s9, s2, s9
	s_add_u32 s3, s3, s9
	s_mul_hi_u32 s8, s2, s6
	s_addc_u32 s3, s7, s10
	s_addc_u32 s7, s8, 0
	s_mul_i32 s6, s2, s6
	s_add_u32 s3, s3, s6
	s_addc_u32 s6, 0, s7
	v_add_co_u32_e32 v3, vcc, s3, v3
	s_cmp_lg_u64 vcc, 0
	s_addc_u32 s2, s2, s6
	v_readfirstlane_b32 s6, v3
	s_mul_i32 s3, s0, s2
	s_mul_hi_u32 s7, s0, s6
	s_add_i32 s3, s7, s3
	s_mul_i32 s1, s1, s6
	s_add_i32 s3, s3, s1
	s_mul_i32 s0, s0, s6
	s_mul_hi_u32 s7, s2, s0
	s_mul_i32 s8, s2, s0
	s_mul_i32 s10, s6, s3
	s_mul_hi_u32 s0, s6, s0
	s_mul_hi_u32 s9, s6, s3
	s_add_u32 s0, s0, s10
	s_addc_u32 s6, 0, s9
	s_add_u32 s0, s0, s8
	s_mul_hi_u32 s1, s2, s3
	s_addc_u32 s0, s6, s7
	s_addc_u32 s1, s1, 0
	s_mul_i32 s3, s2, s3
	s_add_u32 s0, s0, s3
	s_addc_u32 s1, 0, s1
	v_add_co_u32_e32 v3, vcc, s0, v3
	s_cmp_lg_u64 vcc, 0
	s_addc_u32 s6, s2, s1
	s_ashr_i32 s0, s53, 31
	s_add_u32 s2, s52, s0
	s_mov_b32 s1, s0
	s_addc_u32 s3, s53, s0
	s_xor_b64 s[2:3], s[2:3], s[0:1]
	v_readfirstlane_b32 s8, v3
	s_mul_i32 s7, s2, s6
	s_mul_hi_u32 s9, s2, s8
	s_mul_hi_u32 s1, s2, s6
	s_add_u32 s7, s9, s7
	s_addc_u32 s1, 0, s1
	s_mul_hi_u32 s10, s3, s8
	s_mul_i32 s8, s3, s8
	s_add_u32 s7, s7, s8
	s_mul_hi_u32 s9, s3, s6
	s_addc_u32 s1, s1, s10
	s_addc_u32 s7, s9, 0
	s_mul_i32 s6, s3, s6
	s_add_u32 s1, s1, s6
	s_addc_u32 s6, 0, s7
	s_mul_hi_u32 s7, s73, s1
	s_mul_i32 s1, s73, s1
	s_mul_i32 s6, s73, s6
	v_mov_b32_e32 v3, s1
	s_add_i32 s7, s7, s6
	v_sub_co_u32_e32 v3, vcc, s2, v3
	s_cmp_lg_u64 vcc, 0
	s_subb_u32 s1, s3, s7
	v_subrev_co_u32_e32 v4, vcc, s73, v3
	s_cmp_lg_u64 vcc, 0
	s_subb_u32 s2, s1, 0
	v_subrev_co_u32_e32 v5, vcc, s73, v4
	s_cmp_lg_u64 vcc, 0
	s_subb_u32 s3, s2, 0
	v_cmp_le_u32_e32 vcc, s73, v4
	s_cmp_eq_u32 s2, 0
	v_cndmask_b32_e64 v6, 0, -1, vcc
	s_cselect_b64 vcc, -1, 0
	v_cndmask_b32_e32 v6, -1, v6, vcc
	v_mov_b32_e32 v7, s2
	v_mov_b32_e32 v8, s3
	v_cmp_ne_u32_e32 vcc, 0, v6
	v_cndmask_b32_e32 v6, v7, v8, vcc
	v_cndmask_b32_e32 v4, v4, v5, vcc
	v_cmp_le_u32_e32 vcc, s73, v3
	s_cmp_eq_u32 s1, 0
	v_cndmask_b32_e64 v5, 0, -1, vcc
	s_cselect_b64 vcc, -1, 0
	v_cndmask_b32_e32 v5, -1, v5, vcc
	v_cmp_ne_u32_e32 vcc, 0, v5
	v_mov_b32_e32 v7, s1
	v_cndmask_b32_e32 v3, v3, v4, vcc
	v_cndmask_b32_e32 v5, v7, v6, vcc
	v_xor_b32_e32 v3, s0, v3
	v_xor_b32_e32 v4, s0, v5
	v_mov_b32_e32 v5, s0
	v_subrev_co_u32_e32 v28, vcc, s0, v3
	v_subb_co_u32_e32 v29, vcc, v4, v5, vcc
	s_cbranch_execnz .LBB70_68
.LBB70_67:                              ;   in Loop: Header=BB70_33 Depth=1
	v_cvt_f32_u32_e32 v3, s73
	s_sub_i32 s0, 0, s73
	v_rcp_iflag_f32_e32 v3, v3
	v_mul_f32_e32 v3, 0x4f7ffffe, v3
	v_cvt_u32_f32_e32 v3, v3
	v_mul_lo_u32 v4, s0, v3
	v_mul_hi_u32 v4, v3, v4
	v_add_u32_e32 v3, v3, v4
	v_mul_hi_u32 v3, s52, v3
	v_mul_lo_u32 v3, v3, s73
	v_sub_u32_e32 v3, s52, v3
	v_subrev_u32_e32 v4, s73, v3
	v_cmp_le_u32_e32 vcc, s73, v3
	v_cndmask_b32_e32 v3, v3, v4, vcc
	v_subrev_u32_e32 v4, s73, v3
	v_cmp_le_u32_e32 vcc, s73, v3
	v_cndmask_b32_e32 v12, v3, v4, vcc
	v_pk_mov_b32 v[28:29], v[12:13], v[12:13] op_sel:[0,1]
.LBB70_68:                              ;   in Loop: Header=BB70_33 Depth=1
	v_and_b32_e32 v12, 0xffff, v2
	v_mov_b32_e32 v2, s53
	v_sub_co_u32_e32 v30, vcc, s52, v28
	v_subb_co_u32_e32 v31, vcc, v2, v29, vcc
	v_pk_mov_b32 v[2:3], 0, 0
	v_cmp_gt_i64_e32 vcc, v[30:31], v[16:17]
	s_mov_b64 s[0:1], 0
	v_pk_mov_b32 v[4:5], v[2:3], v[2:3] op_sel:[0,1]
	v_pk_mov_b32 v[6:7], v[2:3], v[2:3] op_sel:[0,1]
	;; [unrolled: 1-line block ×3, first 2 shown]
	s_and_saveexec_b64 s[56:57], vcc
	s_cbranch_execz .LBB70_72
; %bb.69:                               ;   in Loop: Header=BB70_33 Depth=1
	v_readlane_b32 s2, v57, 54
	v_readlane_b32 s3, v57, 55
	v_mul_lo_u32 v2, s3, v12
	v_mul_hi_u32 v3, s2, v12
	v_mul_lo_u32 v52, s2, v12
	v_readlane_b32 s2, v57, 40
	v_readlane_b32 s3, v57, 41
	s_and_b32 s90, s86, 0xfe
	v_add_u32_e32 v51, v3, v2
	v_pk_mov_b32 v[32:33], s[2:3], s[2:3] op_sel:[0,1]
	s_mov_b64 s[8:9], 0
	s_mov_b64 s[84:85], 0
	;; [unrolled: 1-line block ×4, first 2 shown]
	v_pk_mov_b32 v[34:35], v[16:17], v[16:17] op_sel:[0,1]
.LBB70_70:                              ;   Parent Loop BB70_33 Depth=1
                                        ; =>  This Inner Loop Header: Depth=2
	v_add_co_u32_e32 v2, vcc, v32, v26
	v_addc_co_u32_e32 v3, vcc, v33, v27, vcc
	v_add_co_u32_e32 v4, vcc, v32, v24
	v_addc_co_u32_e32 v5, vcc, v33, v25, vcc
	;; [unrolled: 2-line block ×4, first 2 shown]
	global_load_ushort v2, v[2:3], off
	s_nop 0
	global_load_ushort v3, v[4:5], off
	s_nop 0
	global_load_ushort v4, v[6:7], off
	global_load_ushort v5, v[8:9], off
	v_add_co_u32_e32 v34, vcc, s73, v34
	v_addc_co_u32_e32 v35, vcc, 0, v35, vcc
	v_add_co_u32_e32 v32, vcc, v32, v52
	v_addc_co_u32_e32 v33, vcc, v33, v51, vcc
	v_cmp_ge_i64_e32 vcc, v[34:35], v[30:31]
	s_waitcnt vmcnt(3)
	v_cmp_lt_i16_e64 s[6:7], -1, v2
	v_cndmask_b32_e64 v53, v45, v46, s[6:7]
	s_waitcnt vmcnt(2)
	v_cmp_lt_i16_e64 s[6:7], -1, v3
	v_lshlrev_b32_e32 v6, 16, v2
	v_cndmask_b32_e64 v54, v45, v46, s[6:7]
	s_waitcnt vmcnt(1)
	v_cmp_lt_i16_e64 s[6:7], -1, v4
	v_lshlrev_b32_e32 v7, 16, v3
	v_cndmask_b32_e64 v55, v45, v46, s[6:7]
	s_waitcnt vmcnt(0)
	v_cmp_lt_i16_e64 s[6:7], -1, v5
	v_xor_b32_sdwa v2, v53, v2 dst_sel:DWORD dst_unused:UNUSED_PAD src0_sel:DWORD src1_sel:WORD_0
	v_cmp_o_f32_e64 s[14:15], v6, v6
	v_lshlrev_b32_e32 v8, 16, v4
	v_cndmask_b32_e64 v56, v45, v46, s[6:7]
	v_xor_b32_sdwa v3, v54, v3 dst_sel:DWORD dst_unused:UNUSED_PAD src0_sel:DWORD src1_sel:WORD_0
	v_cmp_o_f32_e64 s[6:7], v7, v7
	v_cndmask_b32_e64 v2, v45, v2, s[14:15]
	v_lshlrev_b32_e32 v9, 16, v5
	v_xor_b32_sdwa v4, v55, v4 dst_sel:DWORD dst_unused:UNUSED_PAD src0_sel:DWORD src1_sel:WORD_0
	v_cmp_o_f32_e64 s[10:11], v8, v8
	v_cndmask_b32_e64 v3, v45, v3, s[6:7]
	v_and_b32_e32 v6, s88, v2
	v_bfe_u32 v2, v2, s90, 2
	v_xor_b32_sdwa v5, v56, v5 dst_sel:DWORD dst_unused:UNUSED_PAD src0_sel:DWORD src1_sel:WORD_0
	v_cmp_o_f32_e64 s[12:13], v9, v9
	v_cndmask_b32_e64 v4, v45, v4, s[10:11]
	v_and_b32_e32 v7, s88, v3
	v_bfe_u32 v3, v3, s90, 2
	v_cmp_eq_u32_e64 s[16:17], s89, v6
	v_cmp_eq_u32_e64 s[6:7], 0, v2
	v_cndmask_b32_e64 v5, v45, v5, s[12:13]
	v_and_b32_e32 v8, s88, v4
	v_bfe_u32 v4, v4, s90, 2
	v_cmp_eq_u32_e64 s[14:15], s89, v7
	v_cmp_eq_u32_e64 s[28:29], 0, v3
	s_and_b64 s[6:7], s[16:17], s[6:7]
	v_and_b32_e32 v9, s88, v5
	v_bfe_u32 v5, v5, s90, 2
	v_cmp_eq_u32_e64 s[12:13], s89, v8
	v_cmp_eq_u32_e64 s[30:31], 0, v4
	;; [unrolled: 1-line block ×5, first 2 shown]
	v_cndmask_b32_e64 v2, 0, 1, s[6:7]
	s_and_b64 s[6:7], s[14:15], s[28:29]
	v_cmp_eq_u32_e64 s[10:11], s89, v9
	v_cmp_eq_u32_e64 s[34:35], 0, v5
	;; [unrolled: 1-line block ×5, first 2 shown]
	v_cndmask_b32_e64 v3, 0, 1, s[6:7]
	s_and_b64 s[6:7], s[12:13], s[30:31]
	v_cmp_eq_u32_e64 s[40:41], 1, v4
	v_cmp_eq_u32_e64 s[48:49], 2, v4
	;; [unrolled: 1-line block ×3, first 2 shown]
	v_cndmask_b32_e64 v4, 0, 1, s[6:7]
	s_and_b64 s[6:7], s[10:11], s[34:35]
	v_cmp_eq_u32_e64 s[42:43], 1, v5
	v_cmp_eq_u32_e64 s[50:51], 2, v5
	;; [unrolled: 1-line block ×3, first 2 shown]
	v_cndmask_b32_e64 v5, 0, 1, s[6:7]
	v_cmp_ne_u32_e64 s[6:7], 0, v2
	v_cmp_ne_u32_e64 s[28:29], 0, v3
	v_cmp_ne_u32_e64 s[30:31], 0, v4
	v_cmp_ne_u32_e64 s[34:35], 0, v5
	s_bcnt1_i32_b64 s6, s[6:7]
	s_bcnt1_i32_b64 s7, s[28:29]
	s_bcnt1_i32_b64 s28, s[30:31]
	s_bcnt1_i32_b64 s29, s[34:35]
	s_add_u32 s6, s6, s74
	s_addc_u32 s30, 0, s75
	s_add_u32 s6, s6, s7
	s_addc_u32 s7, s30, 0
	s_add_u32 s6, s6, s28
	s_addc_u32 s7, s7, 0
	s_add_u32 s74, s6, s29
	s_addc_u32 s75, s7, 0
	s_and_b64 s[6:7], s[16:17], s[36:37]
	v_cndmask_b32_e64 v4, 0, 1, s[6:7]
	s_and_b64 s[6:7], s[14:15], s[38:39]
	v_cndmask_b32_e64 v5, 0, 1, s[6:7]
	s_and_b64 s[6:7], s[12:13], s[40:41]
	v_cndmask_b32_e64 v6, 0, 1, s[6:7]
	s_and_b64 s[6:7], s[10:11], s[42:43]
	v_cndmask_b32_e64 v7, 0, 1, s[6:7]
	v_cmp_ne_u32_e64 s[6:7], 0, v4
	v_cmp_ne_u32_e64 s[28:29], 0, v5
	v_cmp_ne_u32_e64 s[30:31], 0, v6
	v_cmp_ne_u32_e64 s[34:35], 0, v7
	s_bcnt1_i32_b64 s6, s[6:7]
	s_bcnt1_i32_b64 s7, s[28:29]
	s_bcnt1_i32_b64 s28, s[30:31]
	s_bcnt1_i32_b64 s29, s[34:35]
	s_add_u32 s2, s6, s2
	s_addc_u32 s3, 0, s3
	s_add_u32 s2, s2, s7
	s_addc_u32 s3, s3, 0
	s_add_u32 s2, s2, s28
	s_addc_u32 s3, s3, 0
	s_add_u32 s2, s2, s29
	s_addc_u32 s3, s3, 0
	s_and_b64 s[6:7], s[16:17], s[44:45]
	v_cndmask_b32_e64 v6, 0, 1, s[6:7]
	s_and_b64 s[6:7], s[14:15], s[46:47]
	v_cndmask_b32_e64 v7, 0, 1, s[6:7]
	s_and_b64 s[6:7], s[12:13], s[48:49]
	v_cndmask_b32_e64 v8, 0, 1, s[6:7]
	s_and_b64 s[6:7], s[10:11], s[50:51]
	v_cndmask_b32_e64 v9, 0, 1, s[6:7]
	v_cmp_ne_u32_e64 s[6:7], 0, v6
	v_cmp_ne_u32_e64 s[28:29], 0, v7
	v_cmp_ne_u32_e64 s[30:31], 0, v8
	v_cmp_ne_u32_e64 s[34:35], 0, v9
	s_bcnt1_i32_b64 s6, s[6:7]
	s_bcnt1_i32_b64 s7, s[28:29]
	s_bcnt1_i32_b64 s28, s[30:31]
	s_bcnt1_i32_b64 s29, s[34:35]
	s_add_u32 s6, s6, s84
	s_addc_u32 s30, 0, s85
	s_add_u32 s6, s6, s7
	s_addc_u32 s7, s30, 0
	s_add_u32 s6, s6, s28
	s_addc_u32 s7, s7, 0
	s_add_u32 s84, s6, s29
	s_addc_u32 s85, s7, 0
	s_and_b64 s[6:7], s[16:17], s[24:25]
	v_cndmask_b32_e64 v8, 0, 1, s[6:7]
	s_and_b64 s[6:7], s[14:15], s[22:23]
	v_cndmask_b32_e64 v9, 0, 1, s[6:7]
	s_and_b64 s[6:7], s[12:13], s[20:21]
	v_cndmask_b32_e64 v53, 0, 1, s[6:7]
	s_and_b64 s[6:7], s[10:11], s[18:19]
	v_cndmask_b32_e64 v54, 0, 1, s[6:7]
	v_cmp_ne_u32_e64 s[6:7], 0, v8
	v_cmp_ne_u32_e64 s[10:11], 0, v9
	;; [unrolled: 1-line block ×4, first 2 shown]
	s_bcnt1_i32_b64 s6, s[6:7]
	s_bcnt1_i32_b64 s7, s[10:11]
	;; [unrolled: 1-line block ×4, first 2 shown]
	s_add_u32 s6, s6, s8
	s_addc_u32 s8, 0, s9
	s_add_u32 s6, s6, s7
	s_addc_u32 s7, s8, 0
	;; [unrolled: 2-line block ×4, first 2 shown]
	v_pk_mov_b32 v[2:3], s[74:75], s[74:75] op_sel:[0,1]
	v_pk_mov_b32 v[4:5], s[2:3], s[2:3] op_sel:[0,1]
	;; [unrolled: 1-line block ×3, first 2 shown]
	s_or_b64 s[0:1], vcc, s[0:1]
	v_pk_mov_b32 v[8:9], s[8:9], s[8:9] op_sel:[0,1]
	s_andn2_b64 exec, exec, s[0:1]
	s_cbranch_execnz .LBB70_70
; %bb.71:                               ;   in Loop: Header=BB70_33 Depth=1
	s_or_b64 exec, exec, s[0:1]
	v_readlane_b32 s46, v57, 58
	v_readlane_b32 s47, v57, 59
.LBB70_72:                              ;   in Loop: Header=BB70_33 Depth=1
	s_or_b64 exec, exec, s[56:57]
	v_add_co_u32_e32 v30, vcc, v30, v0
	v_addc_co_u32_e32 v31, vcc, 0, v31, vcc
	v_cmp_gt_i64_e32 vcc, s[52:53], v[30:31]
	v_mov_b32_e32 v34, 0
	s_and_saveexec_b64 s[0:1], vcc
	s_cbranch_execz .LBB70_74
; %bb.73:                               ;   in Loop: Header=BB70_33 Depth=1
	v_mul_lo_u32 v34, v31, s58
	v_mul_lo_u32 v35, v30, s59
	v_mad_u64_u32 v[32:33], s[2:3], v30, s58, 0
	v_add3_u32 v33, v33, v35, v34
	v_readlane_b32 s2, v57, 40
	v_lshlrev_b64 v[32:33], 1, v[32:33]
	v_readlane_b32 s3, v57, 41
	v_mov_b32_e32 v34, s3
	v_add_co_u32_e64 v32, s[6:7], s2, v32
	v_addc_co_u32_e64 v33, s[6:7], v34, v33, s[6:7]
	global_load_ushort v34, v[32:33], off
.LBB70_74:                              ;   in Loop: Header=BB70_33 Depth=1
	s_or_b64 exec, exec, s[0:1]
	s_and_saveexec_b64 s[0:1], vcc
	s_cbranch_execz .LBB70_81
; %bb.75:                               ;   in Loop: Header=BB70_33 Depth=1
	v_add_co_u32_e32 v32, vcc, v42, v12
	v_addc_co_u32_e32 v33, vcc, 0, v43, vcc
	v_sub_co_u32_e32 v32, vcc, v32, v28
	v_readlane_b32 s2, v57, 56
	v_subb_co_u32_e32 v28, vcc, v33, v29, vcc
	v_readlane_b32 s3, v57, 57
	v_mul_lo_u32 v33, s78, v28
	v_pk_mov_b32 v[28:29], s[2:3], s[2:3] op_sel:[0,1]
	v_mul_lo_u32 v35, s79, v32
	v_mad_u64_u32 v[28:29], s[2:3], s78, v32, v[28:29]
	v_add3_u32 v29, v35, v29, v33
	v_mul_lo_u32 v32, s79, v12
	v_mul_hi_u32 v33, s78, v12
	s_and_b32 s10, s86, 0xfe
	v_add_u32_e32 v32, v33, v32
	v_mul_lo_u32 v33, s78, v12
	s_mov_b64 s[2:3], 0
	s_branch .LBB70_77
.LBB70_76:                              ;   in Loop: Header=BB70_77 Depth=2
	s_or_b64 exec, exec, s[8:9]
	s_and_b64 s[6:7], exec, vcc
	s_waitcnt vmcnt(0)
	v_cmp_lt_i16_e32 vcc, -1, v34
	v_cndmask_b32_e32 v51, v45, v46, vcc
	v_lshlrev_b32_e32 v52, 16, v34
	v_xor_b32_sdwa v34, v51, v34 dst_sel:DWORD dst_unused:UNUSED_PAD src0_sel:DWORD src1_sel:WORD_0
	v_cmp_o_f32_e32 vcc, v52, v52
	v_cndmask_b32_e32 v34, v45, v34, vcc
	v_and_b32_e32 v51, s88, v34
	v_bfe_u32 v34, v34, s10, 2
	s_or_b64 s[2:3], s[6:7], s[2:3]
	v_cmp_eq_u32_e32 vcc, s89, v51
	v_cmp_eq_u32_e64 s[6:7], 0, v34
	s_and_b64 s[6:7], vcc, s[6:7]
	v_cndmask_b32_e64 v51, 0, 1, s[6:7]
	v_cmp_ne_u32_e64 s[6:7], 0, v51
	s_bcnt1_i32_b64 s6, s[6:7]
	v_add_co_u32_e64 v2, s[6:7], s6, v2
	v_addc_co_u32_e64 v3, s[6:7], 0, v3, s[6:7]
	v_cmp_eq_u32_e64 s[6:7], 1, v34
	s_and_b64 s[6:7], vcc, s[6:7]
	v_cndmask_b32_e64 v51, 0, 1, s[6:7]
	v_cmp_ne_u32_e64 s[6:7], 0, v51
	s_bcnt1_i32_b64 s6, s[6:7]
	v_add_co_u32_e64 v4, s[6:7], s6, v4
	v_addc_co_u32_e64 v5, s[6:7], 0, v5, s[6:7]
	;; [unrolled: 7-line block ×3, first 2 shown]
	v_cmp_eq_u32_e64 s[6:7], 3, v34
	s_and_b64 s[6:7], vcc, s[6:7]
	v_cndmask_b32_e64 v34, 0, 1, s[6:7]
	v_cmp_ne_u32_e32 vcc, 0, v34
	s_bcnt1_i32_b64 s6, vcc
	v_add_co_u32_e32 v8, vcc, s6, v8
	v_addc_co_u32_e32 v9, vcc, 0, v9, vcc
	v_add_co_u32_e32 v28, vcc, v28, v33
	v_addc_co_u32_e32 v29, vcc, v29, v32, vcc
	v_mov_b32_e32 v34, v35
	s_andn2_b64 exec, exec, s[2:3]
	s_cbranch_execz .LBB70_80
.LBB70_77:                              ;   Parent Loop BB70_33 Depth=1
                                        ; =>  This Inner Loop Header: Depth=2
	v_add_co_u32_e32 v30, vcc, v30, v12
	v_addc_co_u32_e32 v31, vcc, 0, v31, vcc
	v_cmp_gt_i64_e64 s[6:7], s[52:53], v[30:31]
	v_cmp_le_i64_e32 vcc, s[52:53], v[30:31]
	v_mov_b32_e32 v35, 0
	s_and_saveexec_b64 s[8:9], s[6:7]
	s_cbranch_execz .LBB70_76
; %bb.78:                               ;   in Loop: Header=BB70_77 Depth=2
	global_load_ushort v35, v[28:29], off
	s_branch .LBB70_76
.LBB70_79:                              ;   in Loop: Header=BB70_33 Depth=1
                                        ; implicit-def: $vgpr8_vgpr9
                                        ; implicit-def: $vgpr4_vgpr5
	s_cbranch_execnz .LBB70_82
	s_branch .LBB70_91
.LBB70_80:                              ;   in Loop: Header=BB70_33 Depth=1
	s_or_b64 exec, exec, s[2:3]
.LBB70_81:                              ;   in Loop: Header=BB70_33 Depth=1
	s_or_b64 exec, exec, s[0:1]
	s_branch .LBB70_91
.LBB70_82:                              ;   in Loop: Header=BB70_33 Depth=1
	global_load_ushort v8, v13, s[68:69]
	s_waitcnt vmcnt(0)
	v_readfirstlane_b32 s0, v8
	s_and_b32 s0, 0xffff, s0
	s_lshl_b32 s73, s0, 2
	v_cvt_f32_u32_e32 v2, s73
	s_sub_i32 s2, 0, s73
	s_mov_b64 s[0:1], 0
	v_and_b32_e32 v30, 0xffff, v8
	v_rcp_iflag_f32_e32 v6, v2
	v_pk_mov_b32 v[2:3], 0, 0
	v_pk_mov_b32 v[4:5], v[2:3], v[2:3] op_sel:[0,1]
	v_mul_f32_e32 v6, 0x4f7ffffe, v6
	v_cvt_u32_f32_e32 v9, v6
	v_pk_mov_b32 v[6:7], v[2:3], v[2:3] op_sel:[0,1]
	v_readfirstlane_b32 s3, v9
	s_mul_i32 s2, s2, s3
	s_mul_hi_u32 s2, s3, s2
	s_add_i32 s3, s3, s2
	s_mul_hi_u32 s2, s72, s3
	s_mul_i32 s2, s2, s73
	s_sub_i32 s2, s72, s2
	s_sub_i32 s3, s2, s73
	s_cmp_ge_u32 s2, s73
	s_cselect_b32 s2, s3, s2
	s_sub_i32 s3, s2, s73
	s_cmp_ge_u32 s2, s73
	s_cselect_b32 s2, s3, s2
	s_sub_i32 s92, s72, s2
	v_cmp_gt_u32_e32 vcc, s92, v16
	v_pk_mov_b32 v[8:9], v[2:3], v[2:3] op_sel:[0,1]
	s_and_saveexec_b64 s[2:3], vcc
	s_cbranch_execz .LBB70_86
; %bb.83:                               ;   in Loop: Header=BB70_33 Depth=1
	s_and_b32 s90, s86, 0xfe
	v_lshlrev_b32_e32 v12, 3, v30
	v_mov_b32_e32 v31, v41
	s_mov_b64 s[8:9], 0
	s_mov_b64 s[56:57], 0
	;; [unrolled: 1-line block ×4, first 2 shown]
	v_pk_mov_b32 v[28:29], v[16:17], v[16:17] op_sel:[0,1]
.LBB70_84:                              ;   Parent Loop BB70_33 Depth=1
                                        ; =>  This Inner Loop Header: Depth=2
	ds_read_b64 v[2:3], v31
	v_add_co_u32_e32 v28, vcc, s73, v28
	v_addc_co_u32_e32 v29, vcc, 0, v29, vcc
	s_waitcnt lgkmcnt(0)
	v_cmp_lt_i16_e64 s[6:7], -1, v2
	v_cndmask_b32_e64 v8, v45, v46, s[6:7]
	v_cmp_gt_i16_sdwa s[6:7], v2, v48 src0_sel:WORD_1 src1_sel:DWORD
	v_lshlrev_b32_e32 v4, 16, v2
	v_cndmask_b32_e64 v9, v45, v46, s[6:7]
	v_cmp_lt_i16_e64 s[6:7], -1, v3
	v_and_b32_e32 v5, 0xffff0000, v2
	v_cndmask_b32_e64 v32, v45, v46, s[6:7]
	v_cmp_gt_i16_sdwa s[6:7], v3, v48 src0_sel:WORD_1 src1_sel:DWORD
	v_xor_b32_sdwa v9, v9, v2 dst_sel:DWORD dst_unused:UNUSED_PAD src0_sel:DWORD src1_sel:WORD_1
	v_xor_b32_sdwa v2, v8, v2 dst_sel:DWORD dst_unused:UNUSED_PAD src0_sel:DWORD src1_sel:WORD_0
	v_cmp_o_f32_e64 s[14:15], v4, v4
	v_lshlrev_b32_e32 v6, 16, v3
	v_cndmask_b32_e64 v33, v45, v46, s[6:7]
	v_cmp_o_f32_e64 s[6:7], v5, v5
	v_cndmask_b32_e64 v2, v45, v2, s[14:15]
	v_and_b32_e32 v7, 0xffff0000, v3
	v_xor_b32_sdwa v5, v32, v3 dst_sel:DWORD dst_unused:UNUSED_PAD src0_sel:DWORD src1_sel:WORD_0
	v_cmp_o_f32_e64 s[10:11], v6, v6
	v_cndmask_b32_e64 v4, v45, v9, s[6:7]
	v_and_b32_e32 v6, s88, v2
	v_bfe_u32 v2, v2, s90, 2
	v_xor_b32_sdwa v3, v33, v3 dst_sel:DWORD dst_unused:UNUSED_PAD src0_sel:DWORD src1_sel:WORD_1
	v_cmp_o_f32_e64 s[12:13], v7, v7
	v_cndmask_b32_e64 v5, v45, v5, s[10:11]
	v_and_b32_e32 v7, s88, v4
	v_bfe_u32 v4, v4, s90, 2
	v_cmp_eq_u32_e64 s[16:17], s89, v6
	v_cmp_eq_u32_e64 s[6:7], 0, v2
	v_cndmask_b32_e64 v3, v45, v3, s[12:13]
	v_and_b32_e32 v8, s88, v5
	v_bfe_u32 v5, v5, s90, 2
	v_cmp_eq_u32_e64 s[14:15], s89, v7
	v_cmp_eq_u32_e64 s[28:29], 0, v4
	s_and_b64 s[6:7], s[16:17], s[6:7]
	v_and_b32_e32 v9, s88, v3
	v_bfe_u32 v3, v3, s90, 2
	v_cmp_eq_u32_e64 s[12:13], s89, v8
	v_cmp_eq_u32_e64 s[30:31], 0, v5
	;; [unrolled: 1-line block ×5, first 2 shown]
	v_cndmask_b32_e64 v2, 0, 1, s[6:7]
	s_and_b64 s[6:7], s[14:15], s[28:29]
	v_cmp_eq_u32_e64 s[10:11], s89, v9
	v_cmp_eq_u32_e64 s[34:35], 0, v3
	;; [unrolled: 1-line block ×5, first 2 shown]
	v_cndmask_b32_e64 v3, 0, 1, s[6:7]
	s_and_b64 s[6:7], s[12:13], s[30:31]
	v_cmp_eq_u32_e64 s[38:39], 1, v4
	v_cmp_eq_u32_e64 s[46:47], 2, v4
	;; [unrolled: 1-line block ×3, first 2 shown]
	v_cndmask_b32_e64 v4, 0, 1, s[6:7]
	s_and_b64 s[6:7], s[10:11], s[34:35]
	v_cmp_eq_u32_e64 s[40:41], 1, v5
	v_cmp_eq_u32_e64 s[48:49], 2, v5
	;; [unrolled: 1-line block ×3, first 2 shown]
	v_cndmask_b32_e64 v5, 0, 1, s[6:7]
	v_cmp_ne_u32_e64 s[6:7], 0, v2
	v_cmp_ne_u32_e64 s[28:29], 0, v3
	v_cmp_ne_u32_e64 s[30:31], 0, v4
	v_cmp_ne_u32_e64 s[34:35], 0, v5
	s_bcnt1_i32_b64 s6, s[6:7]
	s_bcnt1_i32_b64 s7, s[28:29]
	s_bcnt1_i32_b64 s28, s[30:31]
	s_bcnt1_i32_b64 s29, s[34:35]
	s_add_u32 s6, s6, s84
	s_addc_u32 s30, 0, s85
	s_add_u32 s6, s6, s7
	s_addc_u32 s7, s30, 0
	s_add_u32 s6, s6, s28
	s_addc_u32 s7, s7, 0
	s_add_u32 s84, s6, s29
	s_addc_u32 s85, s7, 0
	s_and_b64 s[6:7], s[16:17], s[36:37]
	v_cndmask_b32_e64 v4, 0, 1, s[6:7]
	s_and_b64 s[6:7], s[14:15], s[38:39]
	v_cndmask_b32_e64 v5, 0, 1, s[6:7]
	s_and_b64 s[6:7], s[12:13], s[40:41]
	v_cndmask_b32_e64 v6, 0, 1, s[6:7]
	s_and_b64 s[6:7], s[10:11], s[42:43]
	v_cndmask_b32_e64 v7, 0, 1, s[6:7]
	v_cmp_ne_u32_e64 s[6:7], 0, v4
	v_cmp_ne_u32_e64 s[28:29], 0, v5
	v_cmp_ne_u32_e64 s[30:31], 0, v6
	v_cmp_ne_u32_e64 s[34:35], 0, v7
	s_bcnt1_i32_b64 s6, s[6:7]
	s_bcnt1_i32_b64 s7, s[28:29]
	s_bcnt1_i32_b64 s28, s[30:31]
	s_bcnt1_i32_b64 s29, s[34:35]
	s_add_u32 s6, s6, s74
	s_addc_u32 s30, 0, s75
	s_add_u32 s6, s6, s7
	s_addc_u32 s7, s30, 0
	s_add_u32 s6, s6, s28
	s_addc_u32 s7, s7, 0
	s_add_u32 s74, s6, s29
	s_addc_u32 s75, s7, 0
	s_and_b64 s[6:7], s[16:17], s[44:45]
	v_cndmask_b32_e64 v6, 0, 1, s[6:7]
	s_and_b64 s[6:7], s[14:15], s[46:47]
	v_cndmask_b32_e64 v7, 0, 1, s[6:7]
	s_and_b64 s[6:7], s[12:13], s[48:49]
	v_cndmask_b32_e64 v8, 0, 1, s[6:7]
	s_and_b64 s[6:7], s[10:11], s[50:51]
	;; [unrolled: 24-line block ×3, first 2 shown]
	v_cndmask_b32_e64 v33, 0, 1, s[6:7]
	v_cmp_ne_u32_e64 s[6:7], 0, v8
	v_cmp_ne_u32_e64 s[10:11], 0, v9
	;; [unrolled: 1-line block ×4, first 2 shown]
	s_bcnt1_i32_b64 s6, s[6:7]
	s_bcnt1_i32_b64 s7, s[10:11]
	;; [unrolled: 1-line block ×4, first 2 shown]
	s_add_u32 s6, s6, s8
	s_addc_u32 s8, 0, s9
	s_add_u32 s6, s6, s7
	s_addc_u32 s7, s8, 0
	;; [unrolled: 2-line block ×3, first 2 shown]
	s_add_u32 s8, s6, s11
	v_cmp_le_u64_e32 vcc, s[92:93], v[28:29]
	s_addc_u32 s9, s7, 0
	v_add_u32_e32 v31, v31, v12
	v_pk_mov_b32 v[2:3], s[84:85], s[84:85] op_sel:[0,1]
	v_pk_mov_b32 v[4:5], s[74:75], s[74:75] op_sel:[0,1]
	;; [unrolled: 1-line block ×3, first 2 shown]
	s_or_b64 s[0:1], vcc, s[0:1]
	v_pk_mov_b32 v[8:9], s[8:9], s[8:9] op_sel:[0,1]
	s_andn2_b64 exec, exec, s[0:1]
	s_cbranch_execnz .LBB70_84
; %bb.85:                               ;   in Loop: Header=BB70_33 Depth=1
	s_or_b64 exec, exec, s[0:1]
	v_readlane_b32 s46, v57, 58
	v_readlane_b32 s47, v57, 59
.LBB70_86:                              ;   in Loop: Header=BB70_33 Depth=1
	s_or_b64 exec, exec, s[2:3]
	v_add_u32_e32 v12, s92, v0
	v_cmp_gt_u32_e32 vcc, s72, v12
	s_and_saveexec_b64 s[0:1], vcc
	s_cbranch_execz .LBB70_90
; %bb.87:                               ;   in Loop: Header=BB70_33 Depth=1
	s_and_b32 s92, s72, 0x7fffffff
	s_and_b32 s8, s86, 0xfe
	v_lshlrev_b32_e32 v31, 1, v12
	v_lshlrev_b32_e32 v32, 1, v30
	s_mov_b64 s[2:3], 0
	v_pk_mov_b32 v[28:29], v[12:13], v[12:13] op_sel:[0,1]
.LBB70_88:                              ;   Parent Loop BB70_33 Depth=1
                                        ; =>  This Inner Loop Header: Depth=2
	ds_read_u16 v12, v31
	v_add_co_u32_e32 v28, vcc, v28, v30
	v_addc_co_u32_e32 v29, vcc, 0, v29, vcc
	s_waitcnt lgkmcnt(0)
	v_cmp_lt_i16_e64 s[6:7], -1, v12
	v_lshlrev_b32_e32 v33, 16, v12
	v_cndmask_b32_e64 v34, v45, v46, s[6:7]
	v_xor_b32_sdwa v12, v34, v12 dst_sel:DWORD dst_unused:UNUSED_PAD src0_sel:DWORD src1_sel:WORD_0
	v_cmp_o_f32_e64 s[6:7], v33, v33
	v_cndmask_b32_e64 v12, v45, v12, s[6:7]
	v_and_b32_e32 v33, s88, v12
	v_bfe_u32 v12, v12, s8, 2
	v_cmp_eq_u32_e64 s[6:7], s89, v33
	v_cmp_eq_u32_e64 s[10:11], 0, v12
	;; [unrolled: 1-line block ×3, first 2 shown]
	s_and_b64 s[10:11], s[6:7], s[10:11]
	v_cmp_eq_u32_e64 s[14:15], 2, v12
	v_cmp_eq_u32_e64 s[16:17], 3, v12
	v_cndmask_b32_e64 v12, 0, 1, s[10:11]
	s_and_b64 s[10:11], s[6:7], s[12:13]
	v_cndmask_b32_e64 v33, 0, 1, s[10:11]
	s_and_b64 s[10:11], s[6:7], s[14:15]
	s_and_b64 s[6:7], s[6:7], s[16:17]
	v_cndmask_b32_e64 v34, 0, 1, s[10:11]
	v_cndmask_b32_e64 v35, 0, 1, s[6:7]
	v_cmp_ne_u32_e64 s[6:7], 0, v12
	v_cmp_ne_u32_e64 s[10:11], 0, v33
	;; [unrolled: 1-line block ×4, first 2 shown]
	v_cmp_le_u64_e32 vcc, s[92:93], v[28:29]
	s_bcnt1_i32_b64 s6, s[6:7]
	s_bcnt1_i32_b64 s7, s[10:11]
	;; [unrolled: 1-line block ×4, first 2 shown]
	s_or_b64 s[2:3], vcc, s[2:3]
	v_add_co_u32_e32 v2, vcc, s6, v2
	v_addc_co_u32_e32 v3, vcc, 0, v3, vcc
	v_add_co_u32_e32 v4, vcc, s7, v4
	v_addc_co_u32_e32 v5, vcc, 0, v5, vcc
	;; [unrolled: 2-line block ×3, first 2 shown]
	v_add_co_u32_e32 v8, vcc, s10, v8
	v_add_u32_e32 v31, v31, v32
	v_addc_co_u32_e32 v9, vcc, 0, v9, vcc
	s_andn2_b64 exec, exec, s[2:3]
	s_cbranch_execnz .LBB70_88
; %bb.89:                               ;   in Loop: Header=BB70_33 Depth=1
	s_or_b64 exec, exec, s[2:3]
.LBB70_90:                              ;   in Loop: Header=BB70_33 Depth=1
	s_or_b64 exec, exec, s[0:1]
.LBB70_91:                              ;   in Loop: Header=BB70_33 Depth=1
	s_lshl_b32 s2, s87, 6
	s_and_saveexec_b64 s[0:1], s[4:5]
	s_cbranch_execz .LBB70_93
; %bb.92:                               ;   in Loop: Header=BB70_33 Depth=1
	v_or_b32_e32 v12, s2, v39
	v_lshlrev_b32_e32 v12, 3, v12
	ds_write_b128 v12, v[2:5] offset:3072
	s_waitcnt vmcnt(0)
	ds_write_b128 v12, v[6:9] offset:3088
.LBB70_93:                              ;   in Loop: Header=BB70_33 Depth=1
	s_or_b64 exec, exec, s[0:1]
	s_waitcnt lgkmcnt(0)
	s_barrier
	s_and_saveexec_b64 s[0:1], s[46:47]
	s_cbranch_execz .LBB70_105
; %bb.94:                               ;   in Loop: Header=BB70_33 Depth=1
	v_readlane_b32 s6, v57, 44
	v_readlane_b32 s7, v57, 45
	s_andn2_b64 vcc, exec, s[6:7]
	v_pk_mov_b32 v[2:3], 0, 0
	s_cbranch_vccnz .LBB70_104
; %bb.95:                               ;   in Loop: Header=BB70_33 Depth=1
	v_readlane_b32 s6, v57, 49
	v_readlane_b32 s7, v57, 50
	s_andn2_b64 vcc, exec, s[6:7]
	s_cbranch_vccnz .LBB70_100
; %bb.96:                               ;   in Loop: Header=BB70_33 Depth=1
	v_lshl_add_u32 v4, s87, 9, v44
	s_mov_b32 s3, 0
	v_pk_mov_b32 v[2:3], 0, 0
.LBB70_97:                              ;   Parent Loop BB70_33 Depth=1
                                        ; =>  This Inner Loop Header: Depth=2
	s_waitcnt vmcnt(0)
	ds_read2_b64 v[6:9], v4 offset1:4
	ds_read2_b64 v[28:31], v4 offset0:8 offset1:12
	ds_read2_b64 v[32:35], v4 offset0:16 offset1:20
	;; [unrolled: 1-line block ×3, first 2 shown]
	s_add_i32 s3, s3, 8
	s_waitcnt lgkmcnt(3)
	v_add_co_u32_e32 v2, vcc, v6, v2
	v_addc_co_u32_e32 v3, vcc, v7, v3, vcc
	v_add_co_u32_e32 v2, vcc, v8, v2
	v_addc_co_u32_e32 v3, vcc, v9, v3, vcc
	s_waitcnt lgkmcnt(2)
	v_add_co_u32_e32 v2, vcc, v28, v2
	v_addc_co_u32_e32 v3, vcc, v29, v3, vcc
	v_add_co_u32_e32 v2, vcc, v30, v2
	v_addc_co_u32_e32 v3, vcc, v31, v3, vcc
	;; [unrolled: 5-line block ×3, first 2 shown]
	s_waitcnt lgkmcnt(0)
	v_add_co_u32_e32 v2, vcc, v52, v2
	v_addc_co_u32_e32 v3, vcc, v53, v3, vcc
	v_add_co_u32_e32 v2, vcc, v54, v2
	v_add_u32_e32 v4, 0x100, v4
	s_cmp_eq_u32 s82, s3
	v_addc_co_u32_e32 v3, vcc, v55, v3, vcc
	s_cbranch_scc0 .LBB70_97
; %bb.98:                               ;   in Loop: Header=BB70_33 Depth=1
	s_mov_b32 s3, s82
	s_branch .LBB70_101
.LBB70_99:                              ;   in Loop: Header=BB70_33 Depth=1
                                        ; implicit-def: $vgpr28_vgpr29
	s_branch .LBB70_67
.LBB70_100:                             ;   in Loop: Header=BB70_33 Depth=1
	s_mov_b32 s3, 0
	v_pk_mov_b32 v[2:3], 0, 0
.LBB70_101:                             ;   in Loop: Header=BB70_33 Depth=1
	v_readlane_b32 s6, v57, 52
	v_readlane_b32 s7, v57, 53
	s_andn2_b64 vcc, exec, s[6:7]
	s_cbranch_vccnz .LBB70_104
; %bb.102:                              ;   in Loop: Header=BB70_33 Depth=1
	s_lshl_b32 s6, s87, 9
	s_lshl_b32 s3, s3, 5
	s_add_i32 s6, s6, s3
	v_add_u32_e32 v4, s6, v44
	v_readlane_b32 s3, v57, 51
.LBB70_103:                             ;   Parent Loop BB70_33 Depth=1
                                        ; =>  This Inner Loop Header: Depth=2
	s_waitcnt vmcnt(0)
	ds_read_b64 v[6:7], v4
	s_add_i32 s3, s3, -1
	v_add_u32_e32 v4, 32, v4
	s_cmp_lg_u32 s3, 0
	s_waitcnt lgkmcnt(0)
	v_add_co_u32_e32 v2, vcc, v6, v2
	v_addc_co_u32_e32 v3, vcc, v7, v3, vcc
	s_cbranch_scc1 .LBB70_103
.LBB70_104:                             ;   in Loop: Header=BB70_33 Depth=1
	v_add_lshl_u32 v4, s2, v36, 3
	ds_write_b64 v4, v[2:3] offset:3072
.LBB70_105:                             ;   in Loop: Header=BB70_33 Depth=1
	s_or_b64 exec, exec, s[0:1]
	s_lshl_b32 s0, s2, 3
	s_waitcnt vmcnt(0)
	v_mov_b32_e32 v6, s0
	s_waitcnt lgkmcnt(0)
	s_barrier
	ds_read_b128 v[2:5], v6 offset:3072
	ds_read_b128 v[6:9], v6 offset:3088
	s_and_b32 s40, s86, 0xfe
	s_lshl_b32 s44, 3, s40
	s_not_b32 s41, s44
	s_waitcnt lgkmcnt(1)
	v_readfirstlane_b32 s15, v3
	v_readfirstlane_b32 s14, v2
	s_cmp_eq_u64 s[14:15], 1
	s_cselect_b64 s[0:1], -1, 0
	s_cmp_eq_u64 s[54:55], 1
	s_cselect_b64 s[2:3], -1, 0
	s_and_b64 s[20:21], s[0:1], s[2:3]
	v_readfirstlane_b32 s28, v4
	v_readfirstlane_b32 s29, v5
	s_waitcnt lgkmcnt(0)
	v_readfirstlane_b32 s16, v6
	v_readfirstlane_b32 s17, v7
	;; [unrolled: 1-line block ×4, first 2 shown]
	s_mov_b64 s[18:19], -1
	s_and_b64 vcc, exec, s[20:21]
	s_cbranch_vccz .LBB70_120
; %bb.106:                              ;   in Loop: Header=BB70_33 Depth=1
	ds_read_b64 v[2:3], v13 offset:5120
	s_waitcnt lgkmcnt(0)
	s_barrier
	v_readfirstlane_b32 s12, v2
	v_readfirstlane_b32 s13, v3
	s_mov_b64 s[0:1], exec
	v_readlane_b32 s2, v57, 36
	v_readlane_b32 s3, v57, 37
	s_and_b64 s[2:3], s[0:1], s[2:3]
	s_mov_b64 exec, s[2:3]
	s_cbranch_execz .LBB70_108
; %bb.107:                              ;   in Loop: Header=BB70_33 Depth=1
	ds_write_b16 v38, v13
.LBB70_108:                             ;   in Loop: Header=BB70_33 Depth=1
	s_or_b64 exec, exec, s[0:1]
	v_cmp_lt_i64_e64 s[0:1], s[12:13], 1
	s_and_b32 s89, s89, s41
	s_or_b32 s88, s88, s44
	s_and_b64 vcc, exec, s[0:1]
	s_waitcnt lgkmcnt(0)
	s_barrier
	s_cbranch_vccz .LBB70_121
; %bb.109:                              ;   in Loop: Header=BB70_33 Depth=1
	s_mov_b32 s90, s93
	s_cmp_lg_u64 s[90:91], 0
	s_cbranch_scc0 .LBB70_166
; %bb.110:                              ;   in Loop: Header=BB70_33 Depth=1
	v_cvt_f32_u32_e32 v2, s33
	s_sub_u32 s0, 0, s33
	s_subb_u32 s1, 0, 0
	v_mac_f32_e32 v2, 0x4f800000, v47
	v_rcp_f32_e32 v2, v2
	v_mul_f32_e32 v2, 0x5f7ffffc, v2
	v_mul_f32_e32 v3, 0x2f800000, v2
	v_trunc_f32_e32 v3, v3
	v_mac_f32_e32 v2, 0xcf800000, v3
	v_cvt_u32_f32_e32 v3, v3
	v_cvt_u32_f32_e32 v2, v2
	v_readfirstlane_b32 s2, v3
	v_readfirstlane_b32 s3, v2
	s_mul_i32 s6, s0, s2
	s_mul_hi_u32 s8, s0, s3
	s_mul_i32 s7, s1, s3
	s_add_i32 s6, s8, s6
	s_mul_i32 s9, s0, s3
	s_add_i32 s6, s6, s7
	s_mul_hi_u32 s8, s3, s9
	s_mul_hi_u32 s7, s3, s6
	s_mul_i32 s3, s3, s6
	s_add_u32 s3, s8, s3
	s_addc_u32 s7, 0, s7
	s_mul_hi_u32 s22, s2, s9
	s_mul_i32 s9, s2, s9
	s_add_u32 s3, s3, s9
	s_mul_hi_u32 s8, s2, s6
	s_addc_u32 s3, s7, s22
	s_addc_u32 s7, s8, 0
	s_mul_i32 s6, s2, s6
	s_add_u32 s3, s3, s6
	s_addc_u32 s6, 0, s7
	v_add_co_u32_e32 v2, vcc, s3, v2
	s_cmp_lg_u64 vcc, 0
	s_addc_u32 s2, s2, s6
	v_readfirstlane_b32 s6, v2
	s_mul_i32 s3, s0, s2
	s_mul_hi_u32 s7, s0, s6
	s_add_i32 s3, s7, s3
	s_mul_i32 s1, s1, s6
	s_add_i32 s3, s3, s1
	s_mul_i32 s0, s0, s6
	s_mul_hi_u32 s7, s2, s0
	s_mul_i32 s8, s2, s0
	s_mul_i32 s22, s6, s3
	s_mul_hi_u32 s0, s6, s0
	s_mul_hi_u32 s9, s6, s3
	s_add_u32 s0, s0, s22
	s_addc_u32 s6, 0, s9
	s_add_u32 s0, s0, s8
	s_mul_hi_u32 s1, s2, s3
	s_addc_u32 s0, s6, s7
	s_addc_u32 s1, s1, 0
	s_mul_i32 s3, s2, s3
	s_add_u32 s0, s0, s3
	s_addc_u32 s1, 0, s1
	v_add_co_u32_e32 v2, vcc, s0, v2
	s_cmp_lg_u64 vcc, 0
	s_addc_u32 s6, s2, s1
	s_ashr_i32 s0, s91, 31
	v_readlane_b32 s2, v57, 47
	s_add_u32 s2, s2, s0
	s_mov_b32 s1, s0
	s_addc_u32 s3, s91, s0
	s_xor_b64 s[2:3], s[2:3], s[0:1]
	v_readfirstlane_b32 s8, v2
	s_mul_i32 s7, s2, s6
	s_mul_hi_u32 s9, s2, s8
	s_mul_hi_u32 s1, s2, s6
	s_add_u32 s7, s9, s7
	s_addc_u32 s1, 0, s1
	s_mul_hi_u32 s22, s3, s8
	s_mul_i32 s8, s3, s8
	s_add_u32 s7, s7, s8
	s_mul_hi_u32 s9, s3, s6
	s_addc_u32 s1, s1, s22
	s_addc_u32 s7, s9, 0
	s_mul_i32 s6, s3, s6
	s_add_u32 s1, s1, s6
	s_addc_u32 s6, 0, s7
	s_mul_hi_u32 s7, s33, s1
	s_mul_i32 s1, s33, s1
	s_mul_i32 s6, s33, s6
	v_mov_b32_e32 v2, s1
	s_add_i32 s7, s7, s6
	v_sub_co_u32_e32 v2, vcc, s2, v2
	s_cmp_lg_u64 vcc, 0
	s_subb_u32 s1, s3, s7
	v_subrev_co_u32_e32 v3, vcc, s33, v2
	s_cmp_lg_u64 vcc, 0
	s_subb_u32 s2, s1, 0
	v_subrev_co_u32_e32 v4, vcc, s33, v3
	s_cmp_lg_u64 vcc, 0
	s_subb_u32 s3, s2, 0
	v_cmp_le_u32_e32 vcc, s33, v3
	s_cmp_eq_u32 s2, 0
	v_cndmask_b32_e64 v5, 0, -1, vcc
	s_cselect_b64 vcc, -1, 0
	v_cndmask_b32_e32 v5, -1, v5, vcc
	v_mov_b32_e32 v6, s2
	v_mov_b32_e32 v7, s3
	v_cmp_ne_u32_e32 vcc, 0, v5
	v_cndmask_b32_e32 v5, v6, v7, vcc
	v_cndmask_b32_e32 v3, v3, v4, vcc
	v_cmp_le_u32_e32 vcc, s33, v2
	s_cmp_eq_u32 s1, 0
	v_cndmask_b32_e64 v4, 0, -1, vcc
	s_cselect_b64 vcc, -1, 0
	v_cndmask_b32_e32 v4, -1, v4, vcc
	v_cmp_ne_u32_e32 vcc, 0, v4
	v_mov_b32_e32 v6, s1
	v_cndmask_b32_e32 v2, v2, v3, vcc
	v_cndmask_b32_e32 v4, v6, v5, vcc
	v_xor_b32_e32 v2, s0, v2
	v_xor_b32_e32 v3, s0, v4
	v_mov_b32_e32 v4, s0
	v_subrev_co_u32_e32 v2, vcc, s0, v2
	v_subb_co_u32_e32 v3, vcc, v3, v4, vcc
	s_cbranch_execnz .LBB70_112
.LBB70_111:                             ;   in Loop: Header=BB70_33 Depth=1
	v_cvt_f32_u32_e32 v2, s33
	s_sub_i32 s0, 0, s33
	v_rcp_iflag_f32_e32 v2, v2
	v_mul_f32_e32 v2, 0x4f7ffffe, v2
	v_cvt_u32_f32_e32 v2, v2
	v_mul_lo_u32 v3, s0, v2
	v_mul_hi_u32 v3, v2, v3
	v_add_u32_e32 v2, v2, v3
	v_readlane_b32 s0, v57, 47
	v_mul_hi_u32 v2, s0, v2
	v_mul_lo_u32 v2, v2, s33
	v_sub_u32_e32 v2, s0, v2
	v_subrev_u32_e32 v3, s33, v2
	v_cmp_le_u32_e32 vcc, s33, v2
	v_cndmask_b32_e32 v2, v2, v3, vcc
	v_subrev_u32_e32 v3, s33, v2
	v_cmp_le_u32_e32 vcc, s33, v2
	v_cndmask_b32_e32 v12, v2, v3, vcc
	v_pk_mov_b32 v[2:3], v[12:13], v[12:13] op_sel:[0,1]
.LBB70_112:                             ;   in Loop: Header=BB70_33 Depth=1
	v_readlane_b32 s0, v57, 47
	v_mov_b32_e32 v4, s91
	v_sub_co_u32_e32 v2, vcc, s0, v2
	v_subb_co_u32_e32 v3, vcc, v4, v3, vcc
	v_cmp_gt_i64_e32 vcc, v[2:3], v[0:1]
	s_mov_b64 s[0:1], 0
                                        ; implicit-def: $vgpr50
	s_and_saveexec_b64 s[2:3], vcc
	s_cbranch_execz .LBB70_123
; %bb.113:                              ;   in Loop: Header=BB70_33 Depth=1
	v_pk_mov_b32 v[4:5], v[10:11], v[10:11] op_sel:[0,1]
	v_pk_mov_b32 v[6:7], v[0:1], v[0:1] op_sel:[0,1]
                                        ; implicit-def: $sgpr8_sgpr9
	s_branch .LBB70_115
.LBB70_114:                             ;   in Loop: Header=BB70_115 Depth=2
	s_or_b64 exec, exec, s[6:7]
	s_waitcnt lgkmcnt(0)
	s_barrier
	s_waitcnt vmcnt(0)
	ds_read_b32 v8, v13 offset:3072
	v_add_co_u32_e64 v6, s[6:7], s33, v6
	s_waitcnt lgkmcnt(0)
	s_barrier
	v_and_b32_e32 v9, 0x7fff, v8
	v_cmp_ne_u16_e32 vcc, 0, v9
	v_mov_b32_e32 v9, s26
	v_addc_co_u32_e64 v7, s[6:7], v7, v9, s[6:7]
	v_cmp_ge_i64_e64 s[6:7], v[6:7], v[2:3]
	s_or_b64 s[22:23], vcc, s[6:7]
	v_mov_b32_e32 v9, s95
	v_add_co_u32_e64 v4, s[6:7], s94, v4
	v_addc_co_u32_e64 v5, s[6:7], v5, v9, s[6:7]
	s_and_b64 s[6:7], exec, s[22:23]
	s_or_b64 s[0:1], s[6:7], s[0:1]
	s_andn2_b64 s[6:7], s[8:9], exec
	s_and_b64 s[8:9], vcc, exec
	s_or_b64 s[8:9], s[6:7], s[8:9]
	s_andn2_b64 exec, exec, s[0:1]
	s_cbranch_execz .LBB70_122
.LBB70_115:                             ;   Parent Loop BB70_33 Depth=1
                                        ; =>  This Inner Loop Header: Depth=2
	v_cmp_gt_i64_e32 vcc, s[52:53], v[6:7]
	v_mov_b32_e32 v8, 0
	s_and_saveexec_b64 s[6:7], vcc
	s_cbranch_execz .LBB70_117
; %bb.116:                              ;   in Loop: Header=BB70_115 Depth=2
	global_load_ushort v8, v[4:5], off
.LBB70_117:                             ;   in Loop: Header=BB70_115 Depth=2
	s_or_b64 exec, exec, s[6:7]
	s_and_saveexec_b64 s[6:7], vcc
	s_cbranch_execz .LBB70_114
; %bb.118:                              ;   in Loop: Header=BB70_115 Depth=2
	s_waitcnt vmcnt(0)
	v_cmp_lt_i16_e32 vcc, -1, v8
	v_cndmask_b32_e32 v9, v45, v46, vcc
	v_lshlrev_b32_e32 v12, 16, v8
	v_xor_b32_sdwa v9, v9, v8 dst_sel:DWORD dst_unused:UNUSED_PAD src0_sel:DWORD src1_sel:WORD_0
	v_cmp_o_f32_e32 vcc, v12, v12
	v_cndmask_b32_e32 v9, v45, v9, vcc
	v_and_b32_e32 v9, s88, v9
	v_cmp_eq_u32_e32 vcc, s89, v9
	s_and_b64 exec, exec, vcc
	s_cbranch_execz .LBB70_114
; %bb.119:                              ;   in Loop: Header=BB70_115 Depth=2
	v_perm_b32 v8, v8, s27, v49
	ds_write_b32 v13, v8 offset:3072
	s_branch .LBB70_114
.LBB70_120:                             ;   in Loop: Header=BB70_33 Depth=1
	s_mov_b64 s[0:1], -1
                                        ; implicit-def: $sgpr2_sgpr3
                                        ; implicit-def: $sgpr8_sgpr9
                                        ; implicit-def: $sgpr6_sgpr7
	s_branch .LBB70_137
.LBB70_121:                             ;   in Loop: Header=BB70_33 Depth=1
	s_mov_b64 s[2:3], -1
	s_mov_b64 s[0:1], 0
                                        ; implicit-def: $sgpr6_sgpr7
                                        ; implicit-def: $vgpr50
	s_mov_b64 s[8:9], s[2:3]
	s_cbranch_execnz .LBB70_124
	s_branch .LBB70_137
.LBB70_122:                             ;   in Loop: Header=BB70_33 Depth=1
	s_or_b64 exec, exec, s[0:1]
	v_lshrrev_b32_e32 v50, 16, v8
	s_and_b64 s[0:1], s[8:9], exec
.LBB70_123:                             ;   in Loop: Header=BB70_33 Depth=1
	s_or_b64 exec, exec, s[2:3]
	s_mov_b64 s[6:7], -1
	s_mov_b64 s[2:3], 0
	s_mov_b64 s[8:9], s[2:3]
	s_branch .LBB70_137
.LBB70_124:                             ;   in Loop: Header=BB70_33 Depth=1
	v_readlane_b32 s0, v57, 46
	s_add_u32 s6, s0, s12
	v_readlane_b32 s0, v57, 48
	s_addc_u32 s1, s0, s13
	s_mov_b32 s0, s93
	s_cmp_lg_u64 s[0:1], 0
	s_cbranch_scc0 .LBB70_167
; %bb.125:                              ;   in Loop: Header=BB70_33 Depth=1
	v_cvt_f32_u32_e32 v2, s33
	s_sub_u32 s0, 0, s33
	s_subb_u32 s2, 0, 0
	v_mac_f32_e32 v2, 0x4f800000, v47
	v_rcp_f32_e32 v2, v2
	v_mul_f32_e32 v2, 0x5f7ffffc, v2
	v_mul_f32_e32 v3, 0x2f800000, v2
	v_trunc_f32_e32 v3, v3
	v_mac_f32_e32 v2, 0xcf800000, v3
	v_cvt_u32_f32_e32 v3, v3
	v_cvt_u32_f32_e32 v2, v2
	v_readfirstlane_b32 s3, v3
	v_readfirstlane_b32 s7, v2
	s_mul_i32 s8, s0, s3
	s_mul_hi_u32 s22, s0, s7
	s_mul_i32 s9, s2, s7
	s_add_i32 s8, s22, s8
	s_mul_i32 s23, s0, s7
	s_add_i32 s8, s8, s9
	s_mul_hi_u32 s22, s7, s23
	s_mul_hi_u32 s9, s7, s8
	s_mul_i32 s7, s7, s8
	s_add_u32 s7, s22, s7
	s_addc_u32 s9, 0, s9
	s_mul_hi_u32 s24, s3, s23
	s_mul_i32 s23, s3, s23
	s_add_u32 s7, s7, s23
	s_mul_hi_u32 s22, s3, s8
	s_addc_u32 s7, s9, s24
	s_addc_u32 s9, s22, 0
	s_mul_i32 s8, s3, s8
	s_add_u32 s7, s7, s8
	s_addc_u32 s8, 0, s9
	v_add_co_u32_e32 v2, vcc, s7, v2
	s_cmp_lg_u64 vcc, 0
	s_addc_u32 s3, s3, s8
	v_readfirstlane_b32 s8, v2
	s_mul_i32 s7, s0, s3
	s_mul_hi_u32 s9, s0, s8
	s_add_i32 s7, s9, s7
	s_mul_i32 s2, s2, s8
	s_add_i32 s7, s7, s2
	s_mul_i32 s0, s0, s8
	s_mul_hi_u32 s9, s3, s0
	s_mul_i32 s22, s3, s0
	s_mul_i32 s24, s8, s7
	s_mul_hi_u32 s0, s8, s0
	s_mul_hi_u32 s23, s8, s7
	s_add_u32 s0, s0, s24
	s_addc_u32 s8, 0, s23
	s_add_u32 s0, s0, s22
	s_mul_hi_u32 s2, s3, s7
	s_addc_u32 s0, s8, s9
	s_addc_u32 s2, s2, 0
	s_mul_i32 s7, s3, s7
	s_add_u32 s0, s0, s7
	s_addc_u32 s2, 0, s2
	v_add_co_u32_e32 v2, vcc, s0, v2
	s_cmp_lg_u64 vcc, 0
	s_addc_u32 s0, s3, s2
	s_ashr_i32 s2, s1, 31
	s_add_u32 s8, s6, s2
	s_mov_b32 s3, s2
	s_addc_u32 s9, s1, s2
	s_xor_b64 s[8:9], s[8:9], s[2:3]
	v_readfirstlane_b32 s22, v2
	s_mul_i32 s7, s8, s0
	s_mul_hi_u32 s23, s8, s22
	s_mul_hi_u32 s3, s8, s0
	s_add_u32 s7, s23, s7
	s_addc_u32 s3, 0, s3
	s_mul_hi_u32 s24, s9, s22
	s_mul_i32 s22, s9, s22
	s_add_u32 s7, s7, s22
	s_mul_hi_u32 s23, s9, s0
	s_addc_u32 s3, s3, s24
	s_addc_u32 s7, s23, 0
	s_mul_i32 s0, s9, s0
	s_add_u32 s0, s3, s0
	s_addc_u32 s3, 0, s7
	s_mul_hi_u32 s7, s33, s0
	s_mul_i32 s0, s33, s0
	s_mul_i32 s3, s33, s3
	v_mov_b32_e32 v2, s0
	s_add_i32 s7, s7, s3
	v_sub_co_u32_e32 v2, vcc, s8, v2
	s_cmp_lg_u64 vcc, 0
	s_subb_u32 s0, s9, s7
	v_subrev_co_u32_e32 v3, vcc, s33, v2
	s_cmp_lg_u64 vcc, 0
	s_subb_u32 s3, s0, 0
	v_subrev_co_u32_e32 v4, vcc, s33, v3
	s_cmp_lg_u64 vcc, 0
	s_subb_u32 s7, s3, 0
	v_cmp_le_u32_e32 vcc, s33, v3
	s_cmp_eq_u32 s3, 0
	v_cndmask_b32_e64 v5, 0, -1, vcc
	s_cselect_b64 vcc, -1, 0
	v_cndmask_b32_e32 v5, -1, v5, vcc
	v_mov_b32_e32 v6, s3
	v_mov_b32_e32 v7, s7
	v_cmp_ne_u32_e32 vcc, 0, v5
	v_cndmask_b32_e32 v5, v6, v7, vcc
	v_cndmask_b32_e32 v3, v3, v4, vcc
	v_cmp_le_u32_e32 vcc, s33, v2
	s_cmp_eq_u32 s0, 0
	v_cndmask_b32_e64 v4, 0, -1, vcc
	s_cselect_b64 vcc, -1, 0
	v_cndmask_b32_e32 v4, -1, v4, vcc
	v_cmp_ne_u32_e32 vcc, 0, v4
	v_mov_b32_e32 v6, s0
	v_cndmask_b32_e32 v2, v2, v3, vcc
	v_cndmask_b32_e32 v4, v6, v5, vcc
	v_xor_b32_e32 v2, s2, v2
	v_xor_b32_e32 v3, s2, v4
	v_mov_b32_e32 v4, s2
	v_subrev_co_u32_e32 v2, vcc, s2, v2
	v_subb_co_u32_e32 v3, vcc, v3, v4, vcc
	s_cbranch_execnz .LBB70_127
.LBB70_126:                             ;   in Loop: Header=BB70_33 Depth=1
	v_cvt_f32_u32_e32 v2, s33
	s_sub_i32 s0, 0, s33
	v_rcp_iflag_f32_e32 v2, v2
	v_mul_f32_e32 v2, 0x4f7ffffe, v2
	v_cvt_u32_f32_e32 v2, v2
	v_mul_lo_u32 v3, s0, v2
	v_mul_hi_u32 v3, v2, v3
	v_add_u32_e32 v2, v2, v3
	v_mul_hi_u32 v2, s6, v2
	v_mul_lo_u32 v2, v2, s33
	v_sub_u32_e32 v2, s6, v2
	v_subrev_u32_e32 v3, s33, v2
	v_cmp_le_u32_e32 vcc, s33, v2
	v_cndmask_b32_e32 v2, v2, v3, vcc
	v_subrev_u32_e32 v3, s33, v2
	v_cmp_le_u32_e32 vcc, s33, v2
	v_cndmask_b32_e32 v12, v2, v3, vcc
	v_pk_mov_b32 v[2:3], v[12:13], v[12:13] op_sel:[0,1]
.LBB70_127:                             ;   in Loop: Header=BB70_33 Depth=1
	v_mov_b32_e32 v4, s1
	v_sub_co_u32_e32 v2, vcc, s6, v2
	v_subb_co_u32_e32 v3, vcc, v4, v3, vcc
	v_cmp_gt_i64_e32 vcc, v[2:3], v[0:1]
	s_mov_b64 s[0:1], 0
                                        ; implicit-def: $vgpr50
	s_and_saveexec_b64 s[2:3], vcc
	s_cbranch_execz .LBB70_136
; %bb.128:                              ;   in Loop: Header=BB70_33 Depth=1
	v_mov_b32_e32 v6, v37
	v_pk_mov_b32 v[4:5], v[0:1], v[0:1] op_sel:[0,1]
                                        ; implicit-def: $sgpr8_sgpr9
	s_branch .LBB70_130
.LBB70_129:                             ;   in Loop: Header=BB70_130 Depth=2
	s_or_b64 exec, exec, s[6:7]
	s_waitcnt lgkmcnt(0)
	s_barrier
	ds_read_b32 v7, v13 offset:3072
	v_add_co_u32_e64 v4, s[6:7], s33, v4
	v_add_u32_e32 v6, s83, v6
	s_waitcnt lgkmcnt(0)
	v_and_b32_e32 v8, 0x7fff, v7
	v_cmp_ne_u16_e32 vcc, 0, v8
	v_mov_b32_e32 v8, s26
	v_addc_co_u32_e64 v5, s[6:7], v5, v8, s[6:7]
	v_cmp_ge_i64_e64 s[6:7], v[4:5], v[2:3]
	s_or_b64 s[6:7], vcc, s[6:7]
	s_and_b64 s[6:7], exec, s[6:7]
	s_or_b64 s[0:1], s[6:7], s[0:1]
	s_andn2_b64 s[6:7], s[8:9], exec
	s_and_b64 s[8:9], vcc, exec
	s_or_b64 s[8:9], s[6:7], s[8:9]
	s_barrier
	s_andn2_b64 exec, exec, s[0:1]
	s_cbranch_execz .LBB70_135
.LBB70_130:                             ;   Parent Loop BB70_33 Depth=1
                                        ; =>  This Inner Loop Header: Depth=2
	v_cmp_gt_i64_e32 vcc, s[12:13], v[4:5]
	v_mov_b32_e32 v7, 0
	s_and_saveexec_b64 s[6:7], vcc
	s_cbranch_execz .LBB70_132
; %bb.131:                              ;   in Loop: Header=BB70_130 Depth=2
	ds_read_u16 v7, v6
.LBB70_132:                             ;   in Loop: Header=BB70_130 Depth=2
	s_or_b64 exec, exec, s[6:7]
	s_and_saveexec_b64 s[6:7], vcc
	s_cbranch_execz .LBB70_129
; %bb.133:                              ;   in Loop: Header=BB70_130 Depth=2
	s_waitcnt lgkmcnt(0)
	v_cmp_lt_i16_e32 vcc, -1, v7
	v_cndmask_b32_e32 v8, v45, v46, vcc
	v_lshlrev_b32_e32 v9, 16, v7
	v_xor_b32_sdwa v8, v8, v7 dst_sel:DWORD dst_unused:UNUSED_PAD src0_sel:DWORD src1_sel:WORD_0
	v_cmp_o_f32_e32 vcc, v9, v9
	v_cndmask_b32_e32 v8, v45, v8, vcc
	v_and_b32_e32 v8, s88, v8
	v_cmp_eq_u32_e32 vcc, s89, v8
	s_and_b64 exec, exec, vcc
	s_cbranch_execz .LBB70_129
; %bb.134:                              ;   in Loop: Header=BB70_130 Depth=2
	v_perm_b32 v7, v7, s27, v49
	ds_write_b32 v13, v7 offset:3072
	s_branch .LBB70_129
.LBB70_135:                             ;   in Loop: Header=BB70_33 Depth=1
	s_or_b64 exec, exec, s[0:1]
	v_lshrrev_b32_e32 v50, 16, v7
	s_and_b64 s[0:1], s[8:9], exec
.LBB70_136:                             ;   in Loop: Header=BB70_33 Depth=1
	s_or_b64 exec, exec, s[2:3]
	s_mov_b64 s[8:9], -1
	s_mov_b64 s[2:3], 0
	s_mov_b64 s[6:7], 0
.LBB70_137:                             ;   in Loop: Header=BB70_33 Depth=1
	s_andn2_b64 s[12:13], s[70:71], exec
	s_and_b64 s[2:3], s[2:3], exec
	s_or_b64 s[70:71], s[12:13], s[2:3]
	s_andn2_b64 s[2:3], s[80:81], exec
	s_and_b64 s[8:9], s[8:9], exec
	s_or_b64 s[80:81], s[2:3], s[8:9]
	;; [unrolled: 3-line block ×3, first 2 shown]
	s_and_saveexec_b64 s[12:13], s[0:1]
	s_cbranch_execz .LBB70_32
; %bb.138:                              ;   in Loop: Header=BB70_33 Depth=1
	s_xor_b64 s[0:1], s[20:21], -1
	s_andn2_b64 vcc, exec, s[0:1]
	s_mov_b32 s45, 1
	s_cbranch_vccnz .LBB70_149
; %bb.139:                              ;   in Loop: Header=BB70_33 Depth=1
	v_pk_mov_b32 v[2:3], s[14:15], s[14:15] op_sel:[0,1]
	v_cmp_gt_i64_e32 vcc, s[54:55], v[2:3]
	s_mov_b64 s[0:1], -1
                                        ; implicit-def: $sgpr45
                                        ; implicit-def: $sgpr2
                                        ; implicit-def: $sgpr3
	s_cbranch_vccnz .LBB70_145
; %bb.140:                              ;   in Loop: Header=BB70_33 Depth=1
	ds_read_b64 v[2:3], v13 offset:5120
	s_waitcnt lgkmcnt(0)
	v_cmp_ne_u64_e32 vcc, 0, v[2:3]
	s_cbranch_vccnz .LBB70_144
; %bb.141:                              ;   in Loop: Header=BB70_33 Depth=1
	s_mov_b64 s[0:1], exec
	v_readlane_b32 s2, v57, 32
	v_readlane_b32 s3, v57, 33
	s_and_b64 s[2:3], s[0:1], s[2:3]
	s_mov_b64 exec, s[2:3]
	s_cbranch_execz .LBB70_143
; %bb.142:                              ;   in Loop: Header=BB70_33 Depth=1
	v_pk_mov_b32 v[2:3], s[14:15], s[14:15] op_sel:[0,1]
	ds_write_b64 v13, v[2:3] offset:5128
.LBB70_143:                             ;   in Loop: Header=BB70_33 Depth=1
	s_or_b64 exec, exec, s[0:1]
	s_waitcnt lgkmcnt(0)
	s_barrier
.LBB70_144:                             ;   in Loop: Header=BB70_33 Depth=1
	s_and_b32 s2, s89, s41
	s_or_b32 s3, s88, s44
	s_mov_b64 s[0:1], 0
	s_mov_b32 s45, 8
.LBB70_145:                             ;   in Loop: Header=BB70_33 Depth=1
	s_andn2_b64 vcc, exec, s[0:1]
	s_cbranch_vccnz .LBB70_147
; %bb.146:                              ;   in Loop: Header=BB70_33 Depth=1
	s_sub_u32 s54, s54, s14
	s_subb_u32 s55, s55, s15
	s_mov_b64 s[0:1], -1
	s_mov_b32 s45, 0
	s_mov_b32 s2, s89
	;; [unrolled: 1-line block ×3, first 2 shown]
.LBB70_147:                             ;   in Loop: Header=BB70_33 Depth=1
	s_mov_b32 s88, s3
	s_mov_b32 s89, s2
	s_mov_b64 s[14:15], -1
	s_and_b64 vcc, exec, s[0:1]
	s_cbranch_vccnz .LBB70_150
.LBB70_148:                             ;   in Loop: Header=BB70_33 Depth=1
	s_mov_b64 s[2:3], -1
                                        ; implicit-def: $sgpr18_sgpr19
                                        ; implicit-def: $sgpr22_sgpr23
                                        ; implicit-def: $sgpr20_sgpr21
	s_and_saveexec_b64 s[0:1], s[2:3]
	s_xor_b64 s[0:1], exec, s[0:1]
	s_cbranch_execz .LBB70_31
	s_branch .LBB70_296
.LBB70_149:                             ;   in Loop: Header=BB70_33 Depth=1
	s_mov_b64 s[54:55], 1
	s_mov_b64 s[14:15], -1
	s_branch .LBB70_148
.LBB70_150:                             ;   in Loop: Header=BB70_33 Depth=1
	s_cmp_eq_u64 s[28:29], 1
	s_cselect_b64 s[0:1], -1, 0
	s_cmp_eq_u64 s[54:55], 1
	s_cselect_b64 s[2:3], -1, 0
	s_and_b64 s[30:31], s[0:1], s[2:3]
	s_mov_b64 s[0:1], -1
	s_and_b64 vcc, exec, s[30:31]
	s_cbranch_vccz .LBB70_165
; %bb.151:                              ;   in Loop: Header=BB70_33 Depth=1
	ds_read_b64 v[2:3], v13 offset:5120
	s_waitcnt lgkmcnt(0)
	s_barrier
	v_readfirstlane_b32 s24, v2
	v_readfirstlane_b32 s25, v3
	s_mov_b64 s[0:1], exec
	v_readlane_b32 s2, v57, 36
	v_readlane_b32 s3, v57, 37
	s_and_b64 s[2:3], s[0:1], s[2:3]
	s_mov_b64 exec, s[2:3]
	s_cbranch_execz .LBB70_153
; %bb.152:                              ;   in Loop: Header=BB70_33 Depth=1
	ds_write_b16 v38, v13
.LBB70_153:                             ;   in Loop: Header=BB70_33 Depth=1
	s_or_b64 exec, exec, s[0:1]
	s_lshl_b32 s0, 1, s40
	s_and_b32 s1, s89, s41
	s_or_b32 s89, s1, s0
	v_cmp_gt_i64_e64 s[0:1], s[24:25], 0
	s_or_b32 s88, s88, s44
	s_and_b64 vcc, exec, s[0:1]
	s_waitcnt lgkmcnt(0)
	s_barrier
	s_cbranch_vccnz .LBB70_168
; %bb.154:                              ;   in Loop: Header=BB70_33 Depth=1
	s_mov_b32 s90, s93
	s_cmp_lg_u64 s[90:91], 0
	s_cbranch_scc0 .LBB70_213
; %bb.155:                              ;   in Loop: Header=BB70_33 Depth=1
	v_cvt_f32_u32_e32 v2, s33
	s_sub_u32 s0, 0, s33
	s_subb_u32 s1, 0, 0
	v_mac_f32_e32 v2, 0x4f800000, v47
	v_rcp_f32_e32 v2, v2
	v_mul_f32_e32 v2, 0x5f7ffffc, v2
	v_mul_f32_e32 v3, 0x2f800000, v2
	v_trunc_f32_e32 v3, v3
	v_mac_f32_e32 v2, 0xcf800000, v3
	v_cvt_u32_f32_e32 v3, v3
	v_cvt_u32_f32_e32 v2, v2
	v_readfirstlane_b32 s2, v3
	v_readfirstlane_b32 s3, v2
	s_mul_i32 s6, s0, s2
	s_mul_hi_u32 s8, s0, s3
	s_mul_i32 s7, s1, s3
	s_add_i32 s6, s8, s6
	s_mul_i32 s9, s0, s3
	s_add_i32 s6, s6, s7
	s_mul_hi_u32 s8, s3, s9
	s_mul_hi_u32 s7, s3, s6
	s_mul_i32 s3, s3, s6
	s_add_u32 s3, s8, s3
	s_addc_u32 s7, 0, s7
	s_mul_hi_u32 s18, s2, s9
	s_mul_i32 s9, s2, s9
	s_add_u32 s3, s3, s9
	s_mul_hi_u32 s8, s2, s6
	s_addc_u32 s3, s7, s18
	s_addc_u32 s7, s8, 0
	s_mul_i32 s6, s2, s6
	s_add_u32 s3, s3, s6
	s_addc_u32 s6, 0, s7
	v_add_co_u32_e32 v2, vcc, s3, v2
	s_cmp_lg_u64 vcc, 0
	s_addc_u32 s2, s2, s6
	v_readfirstlane_b32 s6, v2
	s_mul_i32 s3, s0, s2
	s_mul_hi_u32 s7, s0, s6
	s_add_i32 s3, s7, s3
	s_mul_i32 s1, s1, s6
	s_add_i32 s3, s3, s1
	s_mul_i32 s0, s0, s6
	s_mul_hi_u32 s7, s2, s0
	s_mul_i32 s8, s2, s0
	s_mul_i32 s18, s6, s3
	s_mul_hi_u32 s0, s6, s0
	s_mul_hi_u32 s9, s6, s3
	s_add_u32 s0, s0, s18
	s_addc_u32 s6, 0, s9
	s_add_u32 s0, s0, s8
	s_mul_hi_u32 s1, s2, s3
	s_addc_u32 s0, s6, s7
	s_addc_u32 s1, s1, 0
	s_mul_i32 s3, s2, s3
	s_add_u32 s0, s0, s3
	s_addc_u32 s1, 0, s1
	v_add_co_u32_e32 v2, vcc, s0, v2
	s_cmp_lg_u64 vcc, 0
	s_addc_u32 s6, s2, s1
	s_ashr_i32 s0, s91, 31
	v_readlane_b32 s2, v57, 47
	s_add_u32 s2, s2, s0
	s_mov_b32 s1, s0
	s_addc_u32 s3, s91, s0
	s_xor_b64 s[2:3], s[2:3], s[0:1]
	v_readfirstlane_b32 s8, v2
	s_mul_i32 s7, s2, s6
	s_mul_hi_u32 s9, s2, s8
	s_mul_hi_u32 s1, s2, s6
	s_add_u32 s7, s9, s7
	s_addc_u32 s1, 0, s1
	s_mul_hi_u32 s18, s3, s8
	s_mul_i32 s8, s3, s8
	s_add_u32 s7, s7, s8
	s_mul_hi_u32 s9, s3, s6
	s_addc_u32 s1, s1, s18
	s_addc_u32 s7, s9, 0
	s_mul_i32 s6, s3, s6
	s_add_u32 s1, s1, s6
	s_addc_u32 s6, 0, s7
	s_mul_hi_u32 s7, s33, s1
	s_mul_i32 s1, s33, s1
	s_mul_i32 s6, s33, s6
	v_mov_b32_e32 v2, s1
	s_add_i32 s7, s7, s6
	v_sub_co_u32_e32 v2, vcc, s2, v2
	s_cmp_lg_u64 vcc, 0
	s_subb_u32 s1, s3, s7
	v_subrev_co_u32_e32 v3, vcc, s33, v2
	s_cmp_lg_u64 vcc, 0
	s_subb_u32 s2, s1, 0
	v_subrev_co_u32_e32 v4, vcc, s33, v3
	s_cmp_lg_u64 vcc, 0
	s_subb_u32 s3, s2, 0
	v_cmp_le_u32_e32 vcc, s33, v3
	s_cmp_eq_u32 s2, 0
	v_cndmask_b32_e64 v5, 0, -1, vcc
	s_cselect_b64 vcc, -1, 0
	v_cndmask_b32_e32 v5, -1, v5, vcc
	v_mov_b32_e32 v6, s2
	v_mov_b32_e32 v7, s3
	v_cmp_ne_u32_e32 vcc, 0, v5
	v_cndmask_b32_e32 v5, v6, v7, vcc
	v_cndmask_b32_e32 v3, v3, v4, vcc
	v_cmp_le_u32_e32 vcc, s33, v2
	s_cmp_eq_u32 s1, 0
	v_cndmask_b32_e64 v4, 0, -1, vcc
	s_cselect_b64 vcc, -1, 0
	v_cndmask_b32_e32 v4, -1, v4, vcc
	v_cmp_ne_u32_e32 vcc, 0, v4
	v_mov_b32_e32 v6, s1
	v_cndmask_b32_e32 v2, v2, v3, vcc
	v_cndmask_b32_e32 v4, v6, v5, vcc
	v_xor_b32_e32 v2, s0, v2
	v_xor_b32_e32 v3, s0, v4
	v_mov_b32_e32 v4, s0
	v_subrev_co_u32_e32 v2, vcc, s0, v2
	v_subb_co_u32_e32 v3, vcc, v3, v4, vcc
	s_cbranch_execnz .LBB70_157
.LBB70_156:                             ;   in Loop: Header=BB70_33 Depth=1
	v_cvt_f32_u32_e32 v2, s33
	s_sub_i32 s0, 0, s33
	v_rcp_iflag_f32_e32 v2, v2
	v_mul_f32_e32 v2, 0x4f7ffffe, v2
	v_cvt_u32_f32_e32 v2, v2
	v_mul_lo_u32 v3, s0, v2
	v_mul_hi_u32 v3, v2, v3
	v_add_u32_e32 v2, v2, v3
	v_readlane_b32 s0, v57, 47
	v_mul_hi_u32 v2, s0, v2
	v_mul_lo_u32 v2, v2, s33
	v_sub_u32_e32 v2, s0, v2
	v_subrev_u32_e32 v3, s33, v2
	v_cmp_le_u32_e32 vcc, s33, v2
	v_cndmask_b32_e32 v2, v2, v3, vcc
	v_subrev_u32_e32 v3, s33, v2
	v_cmp_le_u32_e32 vcc, s33, v2
	v_cndmask_b32_e32 v12, v2, v3, vcc
	v_pk_mov_b32 v[2:3], v[12:13], v[12:13] op_sel:[0,1]
.LBB70_157:                             ;   in Loop: Header=BB70_33 Depth=1
	v_readlane_b32 s0, v57, 47
	v_mov_b32_e32 v4, s91
	v_sub_co_u32_e32 v2, vcc, s0, v2
	v_subb_co_u32_e32 v3, vcc, v4, v3, vcc
	v_cmp_gt_i64_e32 vcc, v[2:3], v[0:1]
	s_mov_b64 s[0:1], 0
                                        ; implicit-def: $vgpr50
	s_and_saveexec_b64 s[2:3], vcc
	s_cbranch_execz .LBB70_170
; %bb.158:                              ;   in Loop: Header=BB70_33 Depth=1
	v_pk_mov_b32 v[4:5], v[10:11], v[10:11] op_sel:[0,1]
	v_pk_mov_b32 v[6:7], v[0:1], v[0:1] op_sel:[0,1]
                                        ; implicit-def: $sgpr8_sgpr9
	s_branch .LBB70_160
.LBB70_159:                             ;   in Loop: Header=BB70_160 Depth=2
	s_or_b64 exec, exec, s[6:7]
	s_waitcnt lgkmcnt(0)
	s_barrier
	s_waitcnt vmcnt(0)
	ds_read_b32 v8, v13 offset:3072
	v_add_co_u32_e64 v6, s[6:7], s33, v6
	s_waitcnt lgkmcnt(0)
	s_barrier
	v_and_b32_e32 v9, 0x7fff, v8
	v_cmp_ne_u16_e32 vcc, 0, v9
	v_mov_b32_e32 v9, s26
	v_addc_co_u32_e64 v7, s[6:7], v7, v9, s[6:7]
	v_cmp_ge_i64_e64 s[6:7], v[6:7], v[2:3]
	s_or_b64 s[18:19], vcc, s[6:7]
	v_mov_b32_e32 v9, s95
	v_add_co_u32_e64 v4, s[6:7], s94, v4
	v_addc_co_u32_e64 v5, s[6:7], v5, v9, s[6:7]
	s_and_b64 s[6:7], exec, s[18:19]
	s_or_b64 s[0:1], s[6:7], s[0:1]
	s_andn2_b64 s[6:7], s[8:9], exec
	s_and_b64 s[8:9], vcc, exec
	s_or_b64 s[8:9], s[6:7], s[8:9]
	s_andn2_b64 exec, exec, s[0:1]
	s_cbranch_execz .LBB70_169
.LBB70_160:                             ;   Parent Loop BB70_33 Depth=1
                                        ; =>  This Inner Loop Header: Depth=2
	v_cmp_gt_i64_e32 vcc, s[52:53], v[6:7]
	v_mov_b32_e32 v8, 0
	s_and_saveexec_b64 s[6:7], vcc
	s_cbranch_execz .LBB70_162
; %bb.161:                              ;   in Loop: Header=BB70_160 Depth=2
	global_load_ushort v8, v[4:5], off
.LBB70_162:                             ;   in Loop: Header=BB70_160 Depth=2
	s_or_b64 exec, exec, s[6:7]
	s_and_saveexec_b64 s[6:7], vcc
	s_cbranch_execz .LBB70_159
; %bb.163:                              ;   in Loop: Header=BB70_160 Depth=2
	s_waitcnt vmcnt(0)
	v_cmp_lt_i16_e32 vcc, -1, v8
	v_cndmask_b32_e32 v9, v45, v46, vcc
	v_lshlrev_b32_e32 v12, 16, v8
	v_xor_b32_sdwa v9, v9, v8 dst_sel:DWORD dst_unused:UNUSED_PAD src0_sel:DWORD src1_sel:WORD_0
	v_cmp_o_f32_e32 vcc, v12, v12
	v_cndmask_b32_e32 v9, v45, v9, vcc
	v_and_b32_e32 v9, s88, v9
	v_cmp_eq_u32_e32 vcc, s89, v9
	s_and_b64 exec, exec, vcc
	s_cbranch_execz .LBB70_159
; %bb.164:                              ;   in Loop: Header=BB70_160 Depth=2
	v_perm_b32 v8, v8, s27, v49
	ds_write_b32 v13, v8 offset:3072
	s_branch .LBB70_159
.LBB70_165:                             ;   in Loop: Header=BB70_33 Depth=1
                                        ; implicit-def: $sgpr20_sgpr21
                                        ; implicit-def: $sgpr22_sgpr23
                                        ; implicit-def: $sgpr18_sgpr19
	s_branch .LBB70_184
.LBB70_166:                             ;   in Loop: Header=BB70_33 Depth=1
                                        ; implicit-def: $vgpr2_vgpr3
	s_branch .LBB70_111
.LBB70_167:                             ;   in Loop: Header=BB70_33 Depth=1
                                        ; implicit-def: $vgpr2_vgpr3
	s_branch .LBB70_126
.LBB70_168:                             ;   in Loop: Header=BB70_33 Depth=1
	s_mov_b64 s[20:21], -1
	s_mov_b64 s[0:1], 0
                                        ; implicit-def: $sgpr18_sgpr19
                                        ; implicit-def: $vgpr50
	s_mov_b64 s[22:23], s[20:21]
	s_cbranch_execnz .LBB70_171
	s_branch .LBB70_184
.LBB70_169:                             ;   in Loop: Header=BB70_33 Depth=1
	s_or_b64 exec, exec, s[0:1]
	v_lshrrev_b32_e32 v50, 16, v8
	s_and_b64 s[0:1], s[8:9], exec
.LBB70_170:                             ;   in Loop: Header=BB70_33 Depth=1
	s_or_b64 exec, exec, s[2:3]
	s_mov_b64 s[18:19], -1
	s_mov_b64 s[20:21], 0
	s_mov_b64 s[22:23], s[20:21]
	s_branch .LBB70_184
.LBB70_171:                             ;   in Loop: Header=BB70_33 Depth=1
	v_readlane_b32 s0, v57, 46
	s_add_u32 s6, s0, s24
	v_readlane_b32 s0, v57, 48
	s_addc_u32 s1, s0, s25
	s_mov_b32 s0, s93
	s_cmp_lg_u64 s[0:1], 0
	s_cbranch_scc0 .LBB70_214
; %bb.172:                              ;   in Loop: Header=BB70_33 Depth=1
	v_cvt_f32_u32_e32 v2, s33
	s_sub_u32 s0, 0, s33
	s_subb_u32 s2, 0, 0
	v_mac_f32_e32 v2, 0x4f800000, v47
	v_rcp_f32_e32 v2, v2
	v_mul_f32_e32 v2, 0x5f7ffffc, v2
	v_mul_f32_e32 v3, 0x2f800000, v2
	v_trunc_f32_e32 v3, v3
	v_mac_f32_e32 v2, 0xcf800000, v3
	v_cvt_u32_f32_e32 v3, v3
	v_cvt_u32_f32_e32 v2, v2
	v_readfirstlane_b32 s3, v3
	v_readfirstlane_b32 s7, v2
	s_mul_i32 s8, s0, s3
	s_mul_hi_u32 s18, s0, s7
	s_mul_i32 s9, s2, s7
	s_add_i32 s8, s18, s8
	s_mul_i32 s19, s0, s7
	s_add_i32 s8, s8, s9
	s_mul_hi_u32 s18, s7, s19
	s_mul_hi_u32 s9, s7, s8
	s_mul_i32 s7, s7, s8
	s_add_u32 s7, s18, s7
	s_addc_u32 s9, 0, s9
	s_mul_hi_u32 s20, s3, s19
	s_mul_i32 s19, s3, s19
	s_add_u32 s7, s7, s19
	s_mul_hi_u32 s18, s3, s8
	s_addc_u32 s7, s9, s20
	s_addc_u32 s9, s18, 0
	s_mul_i32 s8, s3, s8
	s_add_u32 s7, s7, s8
	s_addc_u32 s8, 0, s9
	v_add_co_u32_e32 v2, vcc, s7, v2
	s_cmp_lg_u64 vcc, 0
	s_addc_u32 s3, s3, s8
	v_readfirstlane_b32 s8, v2
	s_mul_i32 s7, s0, s3
	s_mul_hi_u32 s9, s0, s8
	s_add_i32 s7, s9, s7
	s_mul_i32 s2, s2, s8
	s_add_i32 s7, s7, s2
	s_mul_i32 s0, s0, s8
	s_mul_hi_u32 s9, s3, s0
	s_mul_i32 s18, s3, s0
	s_mul_i32 s20, s8, s7
	s_mul_hi_u32 s0, s8, s0
	s_mul_hi_u32 s19, s8, s7
	s_add_u32 s0, s0, s20
	s_addc_u32 s8, 0, s19
	s_add_u32 s0, s0, s18
	s_mul_hi_u32 s2, s3, s7
	s_addc_u32 s0, s8, s9
	s_addc_u32 s2, s2, 0
	s_mul_i32 s7, s3, s7
	s_add_u32 s0, s0, s7
	s_addc_u32 s2, 0, s2
	v_add_co_u32_e32 v2, vcc, s0, v2
	s_cmp_lg_u64 vcc, 0
	s_addc_u32 s0, s3, s2
	s_ashr_i32 s2, s1, 31
	s_add_u32 s8, s6, s2
	s_mov_b32 s3, s2
	s_addc_u32 s9, s1, s2
	s_xor_b64 s[8:9], s[8:9], s[2:3]
	v_readfirstlane_b32 s18, v2
	s_mul_i32 s7, s8, s0
	s_mul_hi_u32 s19, s8, s18
	s_mul_hi_u32 s3, s8, s0
	s_add_u32 s7, s19, s7
	s_addc_u32 s3, 0, s3
	s_mul_hi_u32 s20, s9, s18
	s_mul_i32 s18, s9, s18
	s_add_u32 s7, s7, s18
	s_mul_hi_u32 s19, s9, s0
	s_addc_u32 s3, s3, s20
	s_addc_u32 s7, s19, 0
	s_mul_i32 s0, s9, s0
	s_add_u32 s0, s3, s0
	s_addc_u32 s3, 0, s7
	s_mul_hi_u32 s7, s33, s0
	s_mul_i32 s0, s33, s0
	s_mul_i32 s3, s33, s3
	v_mov_b32_e32 v2, s0
	s_add_i32 s7, s7, s3
	v_sub_co_u32_e32 v2, vcc, s8, v2
	s_cmp_lg_u64 vcc, 0
	s_subb_u32 s0, s9, s7
	v_subrev_co_u32_e32 v3, vcc, s33, v2
	s_cmp_lg_u64 vcc, 0
	s_subb_u32 s3, s0, 0
	v_subrev_co_u32_e32 v4, vcc, s33, v3
	s_cmp_lg_u64 vcc, 0
	s_subb_u32 s7, s3, 0
	v_cmp_le_u32_e32 vcc, s33, v3
	s_cmp_eq_u32 s3, 0
	v_cndmask_b32_e64 v5, 0, -1, vcc
	s_cselect_b64 vcc, -1, 0
	v_cndmask_b32_e32 v5, -1, v5, vcc
	v_mov_b32_e32 v6, s3
	v_mov_b32_e32 v7, s7
	v_cmp_ne_u32_e32 vcc, 0, v5
	v_cndmask_b32_e32 v5, v6, v7, vcc
	v_cndmask_b32_e32 v3, v3, v4, vcc
	v_cmp_le_u32_e32 vcc, s33, v2
	s_cmp_eq_u32 s0, 0
	v_cndmask_b32_e64 v4, 0, -1, vcc
	s_cselect_b64 vcc, -1, 0
	v_cndmask_b32_e32 v4, -1, v4, vcc
	v_cmp_ne_u32_e32 vcc, 0, v4
	v_mov_b32_e32 v6, s0
	v_cndmask_b32_e32 v2, v2, v3, vcc
	v_cndmask_b32_e32 v4, v6, v5, vcc
	v_xor_b32_e32 v2, s2, v2
	v_xor_b32_e32 v3, s2, v4
	v_mov_b32_e32 v4, s2
	v_subrev_co_u32_e32 v2, vcc, s2, v2
	v_subb_co_u32_e32 v3, vcc, v3, v4, vcc
	s_cbranch_execnz .LBB70_174
.LBB70_173:                             ;   in Loop: Header=BB70_33 Depth=1
	v_cvt_f32_u32_e32 v2, s33
	s_sub_i32 s0, 0, s33
	v_rcp_iflag_f32_e32 v2, v2
	v_mul_f32_e32 v2, 0x4f7ffffe, v2
	v_cvt_u32_f32_e32 v2, v2
	v_mul_lo_u32 v3, s0, v2
	v_mul_hi_u32 v3, v2, v3
	v_add_u32_e32 v2, v2, v3
	v_mul_hi_u32 v2, s6, v2
	v_mul_lo_u32 v2, v2, s33
	v_sub_u32_e32 v2, s6, v2
	v_subrev_u32_e32 v3, s33, v2
	v_cmp_le_u32_e32 vcc, s33, v2
	v_cndmask_b32_e32 v2, v2, v3, vcc
	v_subrev_u32_e32 v3, s33, v2
	v_cmp_le_u32_e32 vcc, s33, v2
	v_cndmask_b32_e32 v12, v2, v3, vcc
	v_pk_mov_b32 v[2:3], v[12:13], v[12:13] op_sel:[0,1]
.LBB70_174:                             ;   in Loop: Header=BB70_33 Depth=1
	v_mov_b32_e32 v4, s1
	v_sub_co_u32_e32 v2, vcc, s6, v2
	v_subb_co_u32_e32 v3, vcc, v4, v3, vcc
	v_cmp_gt_i64_e32 vcc, v[2:3], v[0:1]
	s_mov_b64 s[0:1], 0
                                        ; implicit-def: $vgpr50
	s_and_saveexec_b64 s[2:3], vcc
	s_cbranch_execz .LBB70_183
; %bb.175:                              ;   in Loop: Header=BB70_33 Depth=1
	v_mov_b32_e32 v6, v37
	v_pk_mov_b32 v[4:5], v[0:1], v[0:1] op_sel:[0,1]
                                        ; implicit-def: $sgpr8_sgpr9
	s_branch .LBB70_177
.LBB70_176:                             ;   in Loop: Header=BB70_177 Depth=2
	s_or_b64 exec, exec, s[6:7]
	s_waitcnt lgkmcnt(0)
	s_barrier
	ds_read_b32 v7, v13 offset:3072
	v_add_co_u32_e64 v4, s[6:7], s33, v4
	v_add_u32_e32 v6, s83, v6
	s_waitcnt lgkmcnt(0)
	v_and_b32_e32 v8, 0x7fff, v7
	v_cmp_ne_u16_e32 vcc, 0, v8
	v_mov_b32_e32 v8, s26
	v_addc_co_u32_e64 v5, s[6:7], v5, v8, s[6:7]
	v_cmp_ge_i64_e64 s[6:7], v[4:5], v[2:3]
	s_or_b64 s[6:7], vcc, s[6:7]
	s_and_b64 s[6:7], exec, s[6:7]
	s_or_b64 s[0:1], s[6:7], s[0:1]
	s_andn2_b64 s[6:7], s[8:9], exec
	s_and_b64 s[8:9], vcc, exec
	s_or_b64 s[8:9], s[6:7], s[8:9]
	s_barrier
	s_andn2_b64 exec, exec, s[0:1]
	s_cbranch_execz .LBB70_182
.LBB70_177:                             ;   Parent Loop BB70_33 Depth=1
                                        ; =>  This Inner Loop Header: Depth=2
	v_cmp_gt_i64_e32 vcc, s[24:25], v[4:5]
	v_mov_b32_e32 v7, 0
	s_and_saveexec_b64 s[6:7], vcc
	s_cbranch_execz .LBB70_179
; %bb.178:                              ;   in Loop: Header=BB70_177 Depth=2
	ds_read_u16 v7, v6
.LBB70_179:                             ;   in Loop: Header=BB70_177 Depth=2
	s_or_b64 exec, exec, s[6:7]
	s_and_saveexec_b64 s[6:7], vcc
	s_cbranch_execz .LBB70_176
; %bb.180:                              ;   in Loop: Header=BB70_177 Depth=2
	s_waitcnt lgkmcnt(0)
	v_cmp_lt_i16_e32 vcc, -1, v7
	v_cndmask_b32_e32 v8, v45, v46, vcc
	v_lshlrev_b32_e32 v9, 16, v7
	v_xor_b32_sdwa v8, v8, v7 dst_sel:DWORD dst_unused:UNUSED_PAD src0_sel:DWORD src1_sel:WORD_0
	v_cmp_o_f32_e32 vcc, v9, v9
	v_cndmask_b32_e32 v8, v45, v8, vcc
	v_and_b32_e32 v8, s88, v8
	v_cmp_eq_u32_e32 vcc, s89, v8
	s_and_b64 exec, exec, vcc
	s_cbranch_execz .LBB70_176
; %bb.181:                              ;   in Loop: Header=BB70_177 Depth=2
	v_perm_b32 v7, v7, s27, v49
	ds_write_b32 v13, v7 offset:3072
	s_branch .LBB70_176
.LBB70_182:                             ;   in Loop: Header=BB70_33 Depth=1
	s_or_b64 exec, exec, s[0:1]
	v_lshrrev_b32_e32 v50, 16, v7
	s_and_b64 s[0:1], s[8:9], exec
.LBB70_183:                             ;   in Loop: Header=BB70_33 Depth=1
	s_or_b64 exec, exec, s[2:3]
	s_mov_b64 s[22:23], -1
	s_mov_b64 s[20:21], 0
	s_mov_b64 s[18:19], 0
.LBB70_184:                             ;   in Loop: Header=BB70_33 Depth=1
	s_mov_b64 s[2:3], 0
                                        ; implicit-def: $sgpr45
	s_and_saveexec_b64 s[24:25], s[0:1]
	s_cbranch_execz .LBB70_295
; %bb.185:                              ;   in Loop: Header=BB70_33 Depth=1
	s_xor_b64 s[0:1], s[30:31], -1
	s_andn2_b64 vcc, exec, s[0:1]
	s_mov_b32 s45, 1
	s_cbranch_vccnz .LBB70_196
; %bb.186:                              ;   in Loop: Header=BB70_33 Depth=1
	v_pk_mov_b32 v[2:3], s[28:29], s[28:29] op_sel:[0,1]
	v_cmp_gt_i64_e32 vcc, s[54:55], v[2:3]
	s_mov_b64 s[0:1], -1
                                        ; implicit-def: $sgpr45
                                        ; implicit-def: $sgpr2
                                        ; implicit-def: $sgpr3
	s_cbranch_vccnz .LBB70_192
; %bb.187:                              ;   in Loop: Header=BB70_33 Depth=1
	ds_read_b64 v[2:3], v13 offset:5120
	s_waitcnt lgkmcnt(0)
	v_cmp_ne_u64_e32 vcc, 0, v[2:3]
	s_cbranch_vccnz .LBB70_191
; %bb.188:                              ;   in Loop: Header=BB70_33 Depth=1
	s_mov_b64 s[0:1], exec
	v_readlane_b32 s2, v57, 32
	v_readlane_b32 s3, v57, 33
	s_and_b64 s[2:3], s[0:1], s[2:3]
	s_mov_b64 exec, s[2:3]
	s_cbranch_execz .LBB70_190
; %bb.189:                              ;   in Loop: Header=BB70_33 Depth=1
	v_pk_mov_b32 v[2:3], s[28:29], s[28:29] op_sel:[0,1]
	ds_write_b64 v13, v[2:3] offset:5128
.LBB70_190:                             ;   in Loop: Header=BB70_33 Depth=1
	s_or_b64 exec, exec, s[0:1]
	s_waitcnt lgkmcnt(0)
	s_barrier
.LBB70_191:                             ;   in Loop: Header=BB70_33 Depth=1
	s_lshl_b32 s0, 1, s40
	s_and_b32 s1, s89, s41
	s_or_b32 s2, s1, s0
	s_or_b32 s3, s88, s44
	s_mov_b64 s[0:1], 0
	s_mov_b32 s45, 8
.LBB70_192:                             ;   in Loop: Header=BB70_33 Depth=1
	s_andn2_b64 vcc, exec, s[0:1]
	s_cbranch_vccnz .LBB70_194
; %bb.193:                              ;   in Loop: Header=BB70_33 Depth=1
	s_sub_u32 s54, s54, s28
	s_subb_u32 s55, s55, s29
	s_mov_b64 s[0:1], -1
	s_mov_b32 s45, 0
	s_mov_b32 s2, s89
	;; [unrolled: 1-line block ×3, first 2 shown]
.LBB70_194:                             ;   in Loop: Header=BB70_33 Depth=1
	s_mov_b32 s88, s3
	s_mov_b32 s89, s2
	s_andn2_b64 vcc, exec, s[0:1]
	s_mov_b64 s[2:3], -1
	s_cbranch_vccz .LBB70_197
.LBB70_195:                             ;   in Loop: Header=BB70_33 Depth=1
                                        ; implicit-def: $sgpr30_sgpr31
                                        ; implicit-def: $sgpr34_sgpr35
                                        ; implicit-def: $sgpr28_sgpr29
	s_branch .LBB70_294
.LBB70_196:                             ;   in Loop: Header=BB70_33 Depth=1
	s_mov_b64 s[54:55], 1
	s_mov_b64 s[2:3], -1
	s_cbranch_execnz .LBB70_195
.LBB70_197:                             ;   in Loop: Header=BB70_33 Depth=1
	s_cmp_eq_u64 s[16:17], 1
	s_cselect_b64 s[0:1], -1, 0
	s_cmp_eq_u64 s[54:55], 1
	s_cselect_b64 s[2:3], -1, 0
	s_and_b64 s[38:39], s[0:1], s[2:3]
	s_mov_b64 s[0:1], -1
	s_and_b64 vcc, exec, s[38:39]
	s_cbranch_vccz .LBB70_212
; %bb.198:                              ;   in Loop: Header=BB70_33 Depth=1
	ds_read_b64 v[2:3], v13 offset:5120
	s_waitcnt lgkmcnt(0)
	s_barrier
	v_readfirstlane_b32 s36, v2
	v_readfirstlane_b32 s37, v3
	s_mov_b64 s[0:1], exec
	v_readlane_b32 s2, v57, 36
	v_readlane_b32 s3, v57, 37
	s_and_b64 s[2:3], s[0:1], s[2:3]
	s_mov_b64 exec, s[2:3]
	s_cbranch_execz .LBB70_200
; %bb.199:                              ;   in Loop: Header=BB70_33 Depth=1
	ds_write_b16 v38, v13
.LBB70_200:                             ;   in Loop: Header=BB70_33 Depth=1
	s_or_b64 exec, exec, s[0:1]
	s_lshl_b32 s0, 2, s40
	s_and_b32 s1, s89, s41
	s_or_b32 s89, s1, s0
	v_cmp_gt_i64_e64 s[0:1], s[36:37], 0
	s_or_b32 s88, s88, s44
	s_and_b64 vcc, exec, s[0:1]
	s_waitcnt lgkmcnt(0)
	s_barrier
	s_cbranch_vccnz .LBB70_215
; %bb.201:                              ;   in Loop: Header=BB70_33 Depth=1
	s_mov_b32 s90, s93
	s_cmp_lg_u64 s[90:91], 0
	s_cbranch_scc0 .LBB70_260
; %bb.202:                              ;   in Loop: Header=BB70_33 Depth=1
	v_cvt_f32_u32_e32 v2, s33
	s_sub_u32 s0, 0, s33
	s_subb_u32 s1, 0, 0
	v_mac_f32_e32 v2, 0x4f800000, v47
	v_rcp_f32_e32 v2, v2
	v_mul_f32_e32 v2, 0x5f7ffffc, v2
	v_mul_f32_e32 v3, 0x2f800000, v2
	v_trunc_f32_e32 v3, v3
	v_mac_f32_e32 v2, 0xcf800000, v3
	v_cvt_u32_f32_e32 v3, v3
	v_cvt_u32_f32_e32 v2, v2
	v_readfirstlane_b32 s2, v3
	v_readfirstlane_b32 s3, v2
	s_mul_i32 s6, s0, s2
	s_mul_hi_u32 s8, s0, s3
	s_mul_i32 s7, s1, s3
	s_add_i32 s6, s8, s6
	s_mul_i32 s9, s0, s3
	s_add_i32 s6, s6, s7
	s_mul_hi_u32 s8, s3, s9
	s_mul_hi_u32 s7, s3, s6
	s_mul_i32 s3, s3, s6
	s_add_u32 s3, s8, s3
	s_addc_u32 s7, 0, s7
	s_mul_hi_u32 s28, s2, s9
	s_mul_i32 s9, s2, s9
	s_add_u32 s3, s3, s9
	s_mul_hi_u32 s8, s2, s6
	s_addc_u32 s3, s7, s28
	s_addc_u32 s7, s8, 0
	s_mul_i32 s6, s2, s6
	s_add_u32 s3, s3, s6
	s_addc_u32 s6, 0, s7
	v_add_co_u32_e32 v2, vcc, s3, v2
	s_cmp_lg_u64 vcc, 0
	s_addc_u32 s2, s2, s6
	v_readfirstlane_b32 s6, v2
	s_mul_i32 s3, s0, s2
	s_mul_hi_u32 s7, s0, s6
	s_add_i32 s3, s7, s3
	s_mul_i32 s1, s1, s6
	s_add_i32 s3, s3, s1
	s_mul_i32 s0, s0, s6
	s_mul_hi_u32 s7, s2, s0
	s_mul_i32 s8, s2, s0
	s_mul_i32 s28, s6, s3
	s_mul_hi_u32 s0, s6, s0
	s_mul_hi_u32 s9, s6, s3
	s_add_u32 s0, s0, s28
	s_addc_u32 s6, 0, s9
	s_add_u32 s0, s0, s8
	s_mul_hi_u32 s1, s2, s3
	s_addc_u32 s0, s6, s7
	s_addc_u32 s1, s1, 0
	s_mul_i32 s3, s2, s3
	s_add_u32 s0, s0, s3
	s_addc_u32 s1, 0, s1
	v_add_co_u32_e32 v2, vcc, s0, v2
	s_cmp_lg_u64 vcc, 0
	s_addc_u32 s6, s2, s1
	s_ashr_i32 s0, s91, 31
	v_readlane_b32 s2, v57, 47
	s_add_u32 s2, s2, s0
	s_mov_b32 s1, s0
	s_addc_u32 s3, s91, s0
	s_xor_b64 s[2:3], s[2:3], s[0:1]
	v_readfirstlane_b32 s8, v2
	s_mul_i32 s7, s2, s6
	s_mul_hi_u32 s9, s2, s8
	s_mul_hi_u32 s1, s2, s6
	s_add_u32 s7, s9, s7
	s_addc_u32 s1, 0, s1
	s_mul_hi_u32 s28, s3, s8
	s_mul_i32 s8, s3, s8
	s_add_u32 s7, s7, s8
	s_mul_hi_u32 s9, s3, s6
	s_addc_u32 s1, s1, s28
	s_addc_u32 s7, s9, 0
	s_mul_i32 s6, s3, s6
	s_add_u32 s1, s1, s6
	s_addc_u32 s6, 0, s7
	s_mul_hi_u32 s7, s33, s1
	s_mul_i32 s1, s33, s1
	s_mul_i32 s6, s33, s6
	v_mov_b32_e32 v2, s1
	s_add_i32 s7, s7, s6
	v_sub_co_u32_e32 v2, vcc, s2, v2
	s_cmp_lg_u64 vcc, 0
	s_subb_u32 s1, s3, s7
	v_subrev_co_u32_e32 v3, vcc, s33, v2
	s_cmp_lg_u64 vcc, 0
	s_subb_u32 s2, s1, 0
	v_subrev_co_u32_e32 v4, vcc, s33, v3
	s_cmp_lg_u64 vcc, 0
	s_subb_u32 s3, s2, 0
	v_cmp_le_u32_e32 vcc, s33, v3
	s_cmp_eq_u32 s2, 0
	v_cndmask_b32_e64 v5, 0, -1, vcc
	s_cselect_b64 vcc, -1, 0
	v_cndmask_b32_e32 v5, -1, v5, vcc
	v_mov_b32_e32 v6, s2
	v_mov_b32_e32 v7, s3
	v_cmp_ne_u32_e32 vcc, 0, v5
	v_cndmask_b32_e32 v5, v6, v7, vcc
	v_cndmask_b32_e32 v3, v3, v4, vcc
	v_cmp_le_u32_e32 vcc, s33, v2
	s_cmp_eq_u32 s1, 0
	v_cndmask_b32_e64 v4, 0, -1, vcc
	s_cselect_b64 vcc, -1, 0
	v_cndmask_b32_e32 v4, -1, v4, vcc
	v_cmp_ne_u32_e32 vcc, 0, v4
	v_mov_b32_e32 v6, s1
	v_cndmask_b32_e32 v2, v2, v3, vcc
	v_cndmask_b32_e32 v4, v6, v5, vcc
	v_xor_b32_e32 v2, s0, v2
	v_xor_b32_e32 v3, s0, v4
	v_mov_b32_e32 v4, s0
	v_subrev_co_u32_e32 v2, vcc, s0, v2
	v_subb_co_u32_e32 v3, vcc, v3, v4, vcc
	s_cbranch_execnz .LBB70_204
.LBB70_203:                             ;   in Loop: Header=BB70_33 Depth=1
	v_cvt_f32_u32_e32 v2, s33
	s_sub_i32 s0, 0, s33
	v_rcp_iflag_f32_e32 v2, v2
	v_mul_f32_e32 v2, 0x4f7ffffe, v2
	v_cvt_u32_f32_e32 v2, v2
	v_mul_lo_u32 v3, s0, v2
	v_mul_hi_u32 v3, v2, v3
	v_add_u32_e32 v2, v2, v3
	v_readlane_b32 s0, v57, 47
	v_mul_hi_u32 v2, s0, v2
	v_mul_lo_u32 v2, v2, s33
	v_sub_u32_e32 v2, s0, v2
	v_subrev_u32_e32 v3, s33, v2
	v_cmp_le_u32_e32 vcc, s33, v2
	v_cndmask_b32_e32 v2, v2, v3, vcc
	v_subrev_u32_e32 v3, s33, v2
	v_cmp_le_u32_e32 vcc, s33, v2
	v_cndmask_b32_e32 v12, v2, v3, vcc
	v_pk_mov_b32 v[2:3], v[12:13], v[12:13] op_sel:[0,1]
.LBB70_204:                             ;   in Loop: Header=BB70_33 Depth=1
	v_readlane_b32 s0, v57, 47
	v_mov_b32_e32 v4, s91
	v_sub_co_u32_e32 v2, vcc, s0, v2
	v_subb_co_u32_e32 v3, vcc, v4, v3, vcc
	v_cmp_gt_i64_e32 vcc, v[2:3], v[0:1]
	s_mov_b64 s[0:1], 0
                                        ; implicit-def: $vgpr50
	s_and_saveexec_b64 s[2:3], vcc
	s_cbranch_execz .LBB70_217
; %bb.205:                              ;   in Loop: Header=BB70_33 Depth=1
	v_pk_mov_b32 v[4:5], v[10:11], v[10:11] op_sel:[0,1]
	v_pk_mov_b32 v[6:7], v[0:1], v[0:1] op_sel:[0,1]
                                        ; implicit-def: $sgpr8_sgpr9
	s_branch .LBB70_207
.LBB70_206:                             ;   in Loop: Header=BB70_207 Depth=2
	s_or_b64 exec, exec, s[6:7]
	s_waitcnt lgkmcnt(0)
	s_barrier
	s_waitcnt vmcnt(0)
	ds_read_b32 v8, v13 offset:3072
	v_add_co_u32_e64 v6, s[6:7], s33, v6
	s_waitcnt lgkmcnt(0)
	s_barrier
	v_and_b32_e32 v9, 0x7fff, v8
	v_cmp_ne_u16_e32 vcc, 0, v9
	v_mov_b32_e32 v9, s26
	v_addc_co_u32_e64 v7, s[6:7], v7, v9, s[6:7]
	v_cmp_ge_i64_e64 s[6:7], v[6:7], v[2:3]
	s_or_b64 s[28:29], vcc, s[6:7]
	v_mov_b32_e32 v9, s95
	v_add_co_u32_e64 v4, s[6:7], s94, v4
	v_addc_co_u32_e64 v5, s[6:7], v5, v9, s[6:7]
	s_and_b64 s[6:7], exec, s[28:29]
	s_or_b64 s[0:1], s[6:7], s[0:1]
	s_andn2_b64 s[6:7], s[8:9], exec
	s_and_b64 s[8:9], vcc, exec
	s_or_b64 s[8:9], s[6:7], s[8:9]
	s_andn2_b64 exec, exec, s[0:1]
	s_cbranch_execz .LBB70_216
.LBB70_207:                             ;   Parent Loop BB70_33 Depth=1
                                        ; =>  This Inner Loop Header: Depth=2
	v_cmp_gt_i64_e32 vcc, s[52:53], v[6:7]
	v_mov_b32_e32 v8, 0
	s_and_saveexec_b64 s[6:7], vcc
	s_cbranch_execz .LBB70_209
; %bb.208:                              ;   in Loop: Header=BB70_207 Depth=2
	global_load_ushort v8, v[4:5], off
.LBB70_209:                             ;   in Loop: Header=BB70_207 Depth=2
	s_or_b64 exec, exec, s[6:7]
	s_and_saveexec_b64 s[6:7], vcc
	s_cbranch_execz .LBB70_206
; %bb.210:                              ;   in Loop: Header=BB70_207 Depth=2
	s_waitcnt vmcnt(0)
	v_cmp_lt_i16_e32 vcc, -1, v8
	v_cndmask_b32_e32 v9, v45, v46, vcc
	v_lshlrev_b32_e32 v12, 16, v8
	v_xor_b32_sdwa v9, v9, v8 dst_sel:DWORD dst_unused:UNUSED_PAD src0_sel:DWORD src1_sel:WORD_0
	v_cmp_o_f32_e32 vcc, v12, v12
	v_cndmask_b32_e32 v9, v45, v9, vcc
	v_and_b32_e32 v9, s88, v9
	v_cmp_eq_u32_e32 vcc, s89, v9
	s_and_b64 exec, exec, vcc
	s_cbranch_execz .LBB70_206
; %bb.211:                              ;   in Loop: Header=BB70_207 Depth=2
	v_perm_b32 v8, v8, s27, v49
	ds_write_b32 v13, v8 offset:3072
	s_branch .LBB70_206
.LBB70_212:                             ;   in Loop: Header=BB70_33 Depth=1
                                        ; implicit-def: $sgpr28_sgpr29
                                        ; implicit-def: $sgpr34_sgpr35
                                        ; implicit-def: $sgpr30_sgpr31
	s_branch .LBB70_231
.LBB70_213:                             ;   in Loop: Header=BB70_33 Depth=1
                                        ; implicit-def: $vgpr2_vgpr3
	s_branch .LBB70_156
.LBB70_214:                             ;   in Loop: Header=BB70_33 Depth=1
                                        ; implicit-def: $vgpr2_vgpr3
	s_branch .LBB70_173
.LBB70_215:                             ;   in Loop: Header=BB70_33 Depth=1
	s_mov_b64 s[28:29], -1
	s_mov_b64 s[0:1], 0
                                        ; implicit-def: $sgpr30_sgpr31
                                        ; implicit-def: $vgpr50
	s_mov_b64 s[34:35], s[28:29]
	s_cbranch_execnz .LBB70_218
	s_branch .LBB70_231
.LBB70_216:                             ;   in Loop: Header=BB70_33 Depth=1
	s_or_b64 exec, exec, s[0:1]
	v_lshrrev_b32_e32 v50, 16, v8
	s_and_b64 s[0:1], s[8:9], exec
.LBB70_217:                             ;   in Loop: Header=BB70_33 Depth=1
	s_or_b64 exec, exec, s[2:3]
	s_mov_b64 s[30:31], -1
	s_mov_b64 s[28:29], 0
	s_mov_b64 s[34:35], s[28:29]
	s_branch .LBB70_231
.LBB70_218:                             ;   in Loop: Header=BB70_33 Depth=1
	v_readlane_b32 s0, v57, 46
	s_add_u32 s6, s0, s36
	v_readlane_b32 s0, v57, 48
	s_addc_u32 s1, s0, s37
	s_mov_b32 s0, s93
	s_cmp_lg_u64 s[0:1], 0
	s_cbranch_scc0 .LBB70_261
; %bb.219:                              ;   in Loop: Header=BB70_33 Depth=1
	v_cvt_f32_u32_e32 v2, s33
	s_sub_u32 s0, 0, s33
	s_subb_u32 s2, 0, 0
	v_mac_f32_e32 v2, 0x4f800000, v47
	v_rcp_f32_e32 v2, v2
	v_mul_f32_e32 v2, 0x5f7ffffc, v2
	v_mul_f32_e32 v3, 0x2f800000, v2
	v_trunc_f32_e32 v3, v3
	v_mac_f32_e32 v2, 0xcf800000, v3
	v_cvt_u32_f32_e32 v3, v3
	v_cvt_u32_f32_e32 v2, v2
	v_readfirstlane_b32 s3, v3
	v_readfirstlane_b32 s7, v2
	s_mul_i32 s8, s0, s3
	s_mul_hi_u32 s28, s0, s7
	s_mul_i32 s9, s2, s7
	s_add_i32 s8, s28, s8
	s_mul_i32 s29, s0, s7
	s_add_i32 s8, s8, s9
	s_mul_hi_u32 s28, s7, s29
	s_mul_hi_u32 s9, s7, s8
	s_mul_i32 s7, s7, s8
	s_add_u32 s7, s28, s7
	s_addc_u32 s9, 0, s9
	s_mul_hi_u32 s30, s3, s29
	s_mul_i32 s29, s3, s29
	s_add_u32 s7, s7, s29
	s_mul_hi_u32 s28, s3, s8
	s_addc_u32 s7, s9, s30
	s_addc_u32 s9, s28, 0
	s_mul_i32 s8, s3, s8
	s_add_u32 s7, s7, s8
	s_addc_u32 s8, 0, s9
	v_add_co_u32_e32 v2, vcc, s7, v2
	s_cmp_lg_u64 vcc, 0
	s_addc_u32 s3, s3, s8
	v_readfirstlane_b32 s8, v2
	s_mul_i32 s7, s0, s3
	s_mul_hi_u32 s9, s0, s8
	s_add_i32 s7, s9, s7
	s_mul_i32 s2, s2, s8
	s_add_i32 s7, s7, s2
	s_mul_i32 s0, s0, s8
	s_mul_hi_u32 s9, s3, s0
	s_mul_i32 s28, s3, s0
	s_mul_i32 s30, s8, s7
	s_mul_hi_u32 s0, s8, s0
	s_mul_hi_u32 s29, s8, s7
	s_add_u32 s0, s0, s30
	s_addc_u32 s8, 0, s29
	s_add_u32 s0, s0, s28
	s_mul_hi_u32 s2, s3, s7
	s_addc_u32 s0, s8, s9
	s_addc_u32 s2, s2, 0
	s_mul_i32 s7, s3, s7
	s_add_u32 s0, s0, s7
	s_addc_u32 s2, 0, s2
	v_add_co_u32_e32 v2, vcc, s0, v2
	s_cmp_lg_u64 vcc, 0
	s_addc_u32 s0, s3, s2
	s_ashr_i32 s2, s1, 31
	s_add_u32 s8, s6, s2
	s_mov_b32 s3, s2
	s_addc_u32 s9, s1, s2
	s_xor_b64 s[8:9], s[8:9], s[2:3]
	v_readfirstlane_b32 s28, v2
	s_mul_i32 s7, s8, s0
	s_mul_hi_u32 s29, s8, s28
	s_mul_hi_u32 s3, s8, s0
	s_add_u32 s7, s29, s7
	s_addc_u32 s3, 0, s3
	s_mul_hi_u32 s30, s9, s28
	s_mul_i32 s28, s9, s28
	s_add_u32 s7, s7, s28
	s_mul_hi_u32 s29, s9, s0
	s_addc_u32 s3, s3, s30
	s_addc_u32 s7, s29, 0
	s_mul_i32 s0, s9, s0
	s_add_u32 s0, s3, s0
	s_addc_u32 s3, 0, s7
	s_mul_hi_u32 s7, s33, s0
	s_mul_i32 s0, s33, s0
	s_mul_i32 s3, s33, s3
	v_mov_b32_e32 v2, s0
	s_add_i32 s7, s7, s3
	v_sub_co_u32_e32 v2, vcc, s8, v2
	s_cmp_lg_u64 vcc, 0
	s_subb_u32 s0, s9, s7
	v_subrev_co_u32_e32 v3, vcc, s33, v2
	s_cmp_lg_u64 vcc, 0
	s_subb_u32 s3, s0, 0
	v_subrev_co_u32_e32 v4, vcc, s33, v3
	s_cmp_lg_u64 vcc, 0
	s_subb_u32 s7, s3, 0
	v_cmp_le_u32_e32 vcc, s33, v3
	s_cmp_eq_u32 s3, 0
	v_cndmask_b32_e64 v5, 0, -1, vcc
	s_cselect_b64 vcc, -1, 0
	v_cndmask_b32_e32 v5, -1, v5, vcc
	v_mov_b32_e32 v6, s3
	v_mov_b32_e32 v7, s7
	v_cmp_ne_u32_e32 vcc, 0, v5
	v_cndmask_b32_e32 v5, v6, v7, vcc
	v_cndmask_b32_e32 v3, v3, v4, vcc
	v_cmp_le_u32_e32 vcc, s33, v2
	s_cmp_eq_u32 s0, 0
	v_cndmask_b32_e64 v4, 0, -1, vcc
	s_cselect_b64 vcc, -1, 0
	v_cndmask_b32_e32 v4, -1, v4, vcc
	v_cmp_ne_u32_e32 vcc, 0, v4
	v_mov_b32_e32 v6, s0
	v_cndmask_b32_e32 v2, v2, v3, vcc
	v_cndmask_b32_e32 v4, v6, v5, vcc
	v_xor_b32_e32 v2, s2, v2
	v_xor_b32_e32 v3, s2, v4
	v_mov_b32_e32 v4, s2
	v_subrev_co_u32_e32 v2, vcc, s2, v2
	v_subb_co_u32_e32 v3, vcc, v3, v4, vcc
	s_cbranch_execnz .LBB70_221
.LBB70_220:                             ;   in Loop: Header=BB70_33 Depth=1
	v_cvt_f32_u32_e32 v2, s33
	s_sub_i32 s0, 0, s33
	v_rcp_iflag_f32_e32 v2, v2
	v_mul_f32_e32 v2, 0x4f7ffffe, v2
	v_cvt_u32_f32_e32 v2, v2
	v_mul_lo_u32 v3, s0, v2
	v_mul_hi_u32 v3, v2, v3
	v_add_u32_e32 v2, v2, v3
	v_mul_hi_u32 v2, s6, v2
	v_mul_lo_u32 v2, v2, s33
	v_sub_u32_e32 v2, s6, v2
	v_subrev_u32_e32 v3, s33, v2
	v_cmp_le_u32_e32 vcc, s33, v2
	v_cndmask_b32_e32 v2, v2, v3, vcc
	v_subrev_u32_e32 v3, s33, v2
	v_cmp_le_u32_e32 vcc, s33, v2
	v_cndmask_b32_e32 v12, v2, v3, vcc
	v_pk_mov_b32 v[2:3], v[12:13], v[12:13] op_sel:[0,1]
.LBB70_221:                             ;   in Loop: Header=BB70_33 Depth=1
	v_mov_b32_e32 v4, s1
	v_sub_co_u32_e32 v2, vcc, s6, v2
	v_subb_co_u32_e32 v3, vcc, v4, v3, vcc
	v_cmp_gt_i64_e32 vcc, v[2:3], v[0:1]
	s_mov_b64 s[0:1], 0
                                        ; implicit-def: $vgpr50
	s_and_saveexec_b64 s[2:3], vcc
	s_cbranch_execz .LBB70_230
; %bb.222:                              ;   in Loop: Header=BB70_33 Depth=1
	v_mov_b32_e32 v6, v37
	v_pk_mov_b32 v[4:5], v[0:1], v[0:1] op_sel:[0,1]
                                        ; implicit-def: $sgpr8_sgpr9
	s_branch .LBB70_224
.LBB70_223:                             ;   in Loop: Header=BB70_224 Depth=2
	s_or_b64 exec, exec, s[6:7]
	s_waitcnt lgkmcnt(0)
	s_barrier
	ds_read_b32 v7, v13 offset:3072
	v_add_co_u32_e64 v4, s[6:7], s33, v4
	v_add_u32_e32 v6, s83, v6
	s_waitcnt lgkmcnt(0)
	v_and_b32_e32 v8, 0x7fff, v7
	v_cmp_ne_u16_e32 vcc, 0, v8
	v_mov_b32_e32 v8, s26
	v_addc_co_u32_e64 v5, s[6:7], v5, v8, s[6:7]
	v_cmp_ge_i64_e64 s[6:7], v[4:5], v[2:3]
	s_or_b64 s[6:7], vcc, s[6:7]
	s_and_b64 s[6:7], exec, s[6:7]
	s_or_b64 s[0:1], s[6:7], s[0:1]
	s_andn2_b64 s[6:7], s[8:9], exec
	s_and_b64 s[8:9], vcc, exec
	s_or_b64 s[8:9], s[6:7], s[8:9]
	s_barrier
	s_andn2_b64 exec, exec, s[0:1]
	s_cbranch_execz .LBB70_229
.LBB70_224:                             ;   Parent Loop BB70_33 Depth=1
                                        ; =>  This Inner Loop Header: Depth=2
	v_cmp_gt_i64_e32 vcc, s[36:37], v[4:5]
	v_mov_b32_e32 v7, 0
	s_and_saveexec_b64 s[6:7], vcc
	s_cbranch_execz .LBB70_226
; %bb.225:                              ;   in Loop: Header=BB70_224 Depth=2
	ds_read_u16 v7, v6
.LBB70_226:                             ;   in Loop: Header=BB70_224 Depth=2
	s_or_b64 exec, exec, s[6:7]
	s_and_saveexec_b64 s[6:7], vcc
	s_cbranch_execz .LBB70_223
; %bb.227:                              ;   in Loop: Header=BB70_224 Depth=2
	s_waitcnt lgkmcnt(0)
	v_cmp_lt_i16_e32 vcc, -1, v7
	v_cndmask_b32_e32 v8, v45, v46, vcc
	v_lshlrev_b32_e32 v9, 16, v7
	v_xor_b32_sdwa v8, v8, v7 dst_sel:DWORD dst_unused:UNUSED_PAD src0_sel:DWORD src1_sel:WORD_0
	v_cmp_o_f32_e32 vcc, v9, v9
	v_cndmask_b32_e32 v8, v45, v8, vcc
	v_and_b32_e32 v8, s88, v8
	v_cmp_eq_u32_e32 vcc, s89, v8
	s_and_b64 exec, exec, vcc
	s_cbranch_execz .LBB70_223
; %bb.228:                              ;   in Loop: Header=BB70_224 Depth=2
	v_perm_b32 v7, v7, s27, v49
	ds_write_b32 v13, v7 offset:3072
	s_branch .LBB70_223
.LBB70_229:                             ;   in Loop: Header=BB70_33 Depth=1
	s_or_b64 exec, exec, s[0:1]
	v_lshrrev_b32_e32 v50, 16, v7
	s_and_b64 s[0:1], s[8:9], exec
.LBB70_230:                             ;   in Loop: Header=BB70_33 Depth=1
	s_or_b64 exec, exec, s[2:3]
	s_mov_b64 s[34:35], -1
	s_mov_b64 s[28:29], 0
	s_mov_b64 s[30:31], 0
.LBB70_231:                             ;   in Loop: Header=BB70_33 Depth=1
	s_mov_b64 s[2:3], 0
                                        ; implicit-def: $sgpr45
	s_and_saveexec_b64 s[36:37], s[0:1]
	s_cbranch_execz .LBB70_293
; %bb.232:                              ;   in Loop: Header=BB70_33 Depth=1
	s_xor_b64 s[0:1], s[38:39], -1
	s_andn2_b64 vcc, exec, s[0:1]
	s_mov_b32 s45, 1
	s_cbranch_vccnz .LBB70_243
; %bb.233:                              ;   in Loop: Header=BB70_33 Depth=1
	v_pk_mov_b32 v[2:3], s[16:17], s[16:17] op_sel:[0,1]
	v_cmp_gt_i64_e32 vcc, s[54:55], v[2:3]
	s_mov_b64 s[0:1], -1
                                        ; implicit-def: $sgpr45
                                        ; implicit-def: $sgpr2
                                        ; implicit-def: $sgpr3
	s_cbranch_vccnz .LBB70_239
; %bb.234:                              ;   in Loop: Header=BB70_33 Depth=1
	ds_read_b64 v[2:3], v13 offset:5120
	s_waitcnt lgkmcnt(0)
	v_cmp_ne_u64_e32 vcc, 0, v[2:3]
	s_cbranch_vccnz .LBB70_238
; %bb.235:                              ;   in Loop: Header=BB70_33 Depth=1
	s_mov_b64 s[0:1], exec
	v_readlane_b32 s2, v57, 32
	v_readlane_b32 s3, v57, 33
	s_and_b64 s[2:3], s[0:1], s[2:3]
	s_mov_b64 exec, s[2:3]
	s_cbranch_execz .LBB70_237
; %bb.236:                              ;   in Loop: Header=BB70_33 Depth=1
	v_pk_mov_b32 v[2:3], s[16:17], s[16:17] op_sel:[0,1]
	ds_write_b64 v13, v[2:3] offset:5128
.LBB70_237:                             ;   in Loop: Header=BB70_33 Depth=1
	s_or_b64 exec, exec, s[0:1]
	s_waitcnt lgkmcnt(0)
	s_barrier
.LBB70_238:                             ;   in Loop: Header=BB70_33 Depth=1
	s_lshl_b32 s0, 2, s40
	s_and_b32 s1, s89, s41
	s_or_b32 s2, s1, s0
	s_or_b32 s3, s88, s44
	s_mov_b64 s[0:1], 0
	s_mov_b32 s45, 8
.LBB70_239:                             ;   in Loop: Header=BB70_33 Depth=1
	s_andn2_b64 vcc, exec, s[0:1]
	s_cbranch_vccnz .LBB70_241
; %bb.240:                              ;   in Loop: Header=BB70_33 Depth=1
	s_sub_u32 s54, s54, s16
	s_subb_u32 s55, s55, s17
	s_mov_b64 s[0:1], -1
	s_mov_b32 s45, 0
	s_mov_b32 s2, s89
	;; [unrolled: 1-line block ×3, first 2 shown]
.LBB70_241:                             ;   in Loop: Header=BB70_33 Depth=1
	s_mov_b32 s88, s3
	s_mov_b32 s89, s2
	s_andn2_b64 vcc, exec, s[0:1]
	s_mov_b64 s[40:41], -1
	s_cbranch_vccz .LBB70_244
.LBB70_242:                             ;   in Loop: Header=BB70_33 Depth=1
                                        ; implicit-def: $sgpr0_sgpr1
                                        ; implicit-def: $sgpr6_sgpr7
                                        ; implicit-def: $sgpr2_sgpr3
	s_branch .LBB70_292
.LBB70_243:                             ;   in Loop: Header=BB70_33 Depth=1
	s_mov_b64 s[54:55], 1
	s_mov_b64 s[40:41], -1
	s_cbranch_execnz .LBB70_242
.LBB70_244:                             ;   in Loop: Header=BB70_33 Depth=1
	s_cmp_eq_u64 s[10:11], 1
	s_cselect_b64 s[0:1], -1, 0
	s_cmp_eq_u64 s[54:55], 1
	s_cselect_b64 s[2:3], -1, 0
	s_and_b64 s[16:17], s[0:1], s[2:3]
	s_mov_b64 s[8:9], -1
	s_and_b64 vcc, exec, s[16:17]
	s_cbranch_vccz .LBB70_259
; %bb.245:                              ;   in Loop: Header=BB70_33 Depth=1
	ds_read_b64 v[2:3], v13 offset:5120
	s_waitcnt lgkmcnt(0)
	s_barrier
	v_readfirstlane_b32 s38, v2
	v_readfirstlane_b32 s39, v3
	s_mov_b64 s[0:1], exec
	v_readlane_b32 s2, v57, 36
	v_readlane_b32 s3, v57, 37
	s_and_b64 s[2:3], s[0:1], s[2:3]
	s_mov_b64 exec, s[2:3]
	s_cbranch_execz .LBB70_247
; %bb.246:                              ;   in Loop: Header=BB70_33 Depth=1
	ds_write_b16 v38, v13
.LBB70_247:                             ;   in Loop: Header=BB70_33 Depth=1
	s_or_b64 exec, exec, s[0:1]
	v_cmp_gt_i64_e64 s[0:1], s[38:39], 0
	s_or_b32 s89, s89, s44
	s_or_b32 s88, s88, s44
	s_and_b64 vcc, exec, s[0:1]
	s_waitcnt lgkmcnt(0)
	s_barrier
	s_cbranch_vccnz .LBB70_262
; %bb.248:                              ;   in Loop: Header=BB70_33 Depth=1
	s_mov_b32 s90, s93
	s_cmp_lg_u64 s[90:91], 0
	s_cbranch_scc0 .LBB70_298
; %bb.249:                              ;   in Loop: Header=BB70_33 Depth=1
	v_cvt_f32_u32_e32 v2, s33
	s_sub_u32 s0, 0, s33
	s_subb_u32 s1, 0, 0
	v_mac_f32_e32 v2, 0x4f800000, v47
	v_rcp_f32_e32 v2, v2
	v_mul_f32_e32 v2, 0x5f7ffffc, v2
	v_mul_f32_e32 v3, 0x2f800000, v2
	v_trunc_f32_e32 v3, v3
	v_mac_f32_e32 v2, 0xcf800000, v3
	v_cvt_u32_f32_e32 v3, v3
	v_cvt_u32_f32_e32 v2, v2
	v_readfirstlane_b32 s2, v3
	v_readfirstlane_b32 s3, v2
	s_mul_i32 s6, s0, s2
	s_mul_hi_u32 s8, s0, s3
	s_mul_i32 s7, s1, s3
	s_add_i32 s6, s8, s6
	s_mul_i32 s9, s0, s3
	s_add_i32 s6, s6, s7
	s_mul_hi_u32 s8, s3, s9
	s_mul_hi_u32 s7, s3, s6
	s_mul_i32 s3, s3, s6
	s_add_u32 s3, s8, s3
	s_addc_u32 s7, 0, s7
	s_mul_hi_u32 s40, s2, s9
	s_mul_i32 s9, s2, s9
	s_add_u32 s3, s3, s9
	s_mul_hi_u32 s8, s2, s6
	s_addc_u32 s3, s7, s40
	s_addc_u32 s7, s8, 0
	s_mul_i32 s6, s2, s6
	s_add_u32 s3, s3, s6
	s_addc_u32 s6, 0, s7
	v_add_co_u32_e32 v2, vcc, s3, v2
	s_cmp_lg_u64 vcc, 0
	s_addc_u32 s2, s2, s6
	v_readfirstlane_b32 s6, v2
	s_mul_i32 s3, s0, s2
	s_mul_hi_u32 s7, s0, s6
	s_add_i32 s3, s7, s3
	s_mul_i32 s1, s1, s6
	s_add_i32 s3, s3, s1
	s_mul_i32 s0, s0, s6
	s_mul_hi_u32 s7, s2, s0
	s_mul_i32 s8, s2, s0
	s_mul_i32 s40, s6, s3
	s_mul_hi_u32 s0, s6, s0
	s_mul_hi_u32 s9, s6, s3
	s_add_u32 s0, s0, s40
	s_addc_u32 s6, 0, s9
	s_add_u32 s0, s0, s8
	s_mul_hi_u32 s1, s2, s3
	s_addc_u32 s0, s6, s7
	s_addc_u32 s1, s1, 0
	s_mul_i32 s3, s2, s3
	s_add_u32 s0, s0, s3
	s_addc_u32 s1, 0, s1
	v_add_co_u32_e32 v2, vcc, s0, v2
	s_cmp_lg_u64 vcc, 0
	s_addc_u32 s6, s2, s1
	s_ashr_i32 s0, s91, 31
	v_readlane_b32 s2, v57, 47
	s_add_u32 s2, s2, s0
	s_mov_b32 s1, s0
	s_addc_u32 s3, s91, s0
	s_xor_b64 s[2:3], s[2:3], s[0:1]
	v_readfirstlane_b32 s8, v2
	s_mul_i32 s7, s2, s6
	s_mul_hi_u32 s9, s2, s8
	s_mul_hi_u32 s1, s2, s6
	s_add_u32 s7, s9, s7
	s_addc_u32 s1, 0, s1
	s_mul_hi_u32 s40, s3, s8
	s_mul_i32 s8, s3, s8
	s_add_u32 s7, s7, s8
	s_mul_hi_u32 s9, s3, s6
	s_addc_u32 s1, s1, s40
	s_addc_u32 s7, s9, 0
	s_mul_i32 s6, s3, s6
	s_add_u32 s1, s1, s6
	s_addc_u32 s6, 0, s7
	s_mul_hi_u32 s7, s33, s1
	s_mul_i32 s1, s33, s1
	s_mul_i32 s6, s33, s6
	v_mov_b32_e32 v2, s1
	s_add_i32 s7, s7, s6
	v_sub_co_u32_e32 v2, vcc, s2, v2
	s_cmp_lg_u64 vcc, 0
	s_subb_u32 s1, s3, s7
	v_subrev_co_u32_e32 v3, vcc, s33, v2
	s_cmp_lg_u64 vcc, 0
	s_subb_u32 s2, s1, 0
	v_subrev_co_u32_e32 v4, vcc, s33, v3
	s_cmp_lg_u64 vcc, 0
	s_subb_u32 s3, s2, 0
	v_cmp_le_u32_e32 vcc, s33, v3
	s_cmp_eq_u32 s2, 0
	v_cndmask_b32_e64 v5, 0, -1, vcc
	s_cselect_b64 vcc, -1, 0
	v_cndmask_b32_e32 v5, -1, v5, vcc
	v_mov_b32_e32 v6, s2
	v_mov_b32_e32 v7, s3
	v_cmp_ne_u32_e32 vcc, 0, v5
	v_cndmask_b32_e32 v5, v6, v7, vcc
	v_cndmask_b32_e32 v3, v3, v4, vcc
	v_cmp_le_u32_e32 vcc, s33, v2
	s_cmp_eq_u32 s1, 0
	v_cndmask_b32_e64 v4, 0, -1, vcc
	s_cselect_b64 vcc, -1, 0
	v_cndmask_b32_e32 v4, -1, v4, vcc
	v_cmp_ne_u32_e32 vcc, 0, v4
	v_mov_b32_e32 v6, s1
	v_cndmask_b32_e32 v2, v2, v3, vcc
	v_cndmask_b32_e32 v4, v6, v5, vcc
	v_xor_b32_e32 v2, s0, v2
	v_xor_b32_e32 v3, s0, v4
	v_mov_b32_e32 v4, s0
	v_subrev_co_u32_e32 v2, vcc, s0, v2
	v_subb_co_u32_e32 v3, vcc, v3, v4, vcc
	s_cbranch_execnz .LBB70_251
.LBB70_250:                             ;   in Loop: Header=BB70_33 Depth=1
	v_cvt_f32_u32_e32 v2, s33
	s_sub_i32 s0, 0, s33
	v_rcp_iflag_f32_e32 v2, v2
	v_mul_f32_e32 v2, 0x4f7ffffe, v2
	v_cvt_u32_f32_e32 v2, v2
	v_mul_lo_u32 v3, s0, v2
	v_mul_hi_u32 v3, v2, v3
	v_add_u32_e32 v2, v2, v3
	v_readlane_b32 s0, v57, 47
	v_mul_hi_u32 v2, s0, v2
	v_mul_lo_u32 v2, v2, s33
	v_sub_u32_e32 v2, s0, v2
	v_subrev_u32_e32 v3, s33, v2
	v_cmp_le_u32_e32 vcc, s33, v2
	v_cndmask_b32_e32 v2, v2, v3, vcc
	v_subrev_u32_e32 v3, s33, v2
	v_cmp_le_u32_e32 vcc, s33, v2
	v_cndmask_b32_e32 v12, v2, v3, vcc
	v_pk_mov_b32 v[2:3], v[12:13], v[12:13] op_sel:[0,1]
.LBB70_251:                             ;   in Loop: Header=BB70_33 Depth=1
	v_readlane_b32 s0, v57, 47
	v_mov_b32_e32 v4, s91
	v_sub_co_u32_e32 v2, vcc, s0, v2
	v_subb_co_u32_e32 v3, vcc, v4, v3, vcc
	v_cmp_gt_i64_e32 vcc, v[2:3], v[0:1]
	s_mov_b64 s[8:9], 0
                                        ; implicit-def: $vgpr50
	s_and_saveexec_b64 s[0:1], vcc
	s_cbranch_execz .LBB70_264
; %bb.252:                              ;   in Loop: Header=BB70_33 Depth=1
	s_mov_b64 s[2:3], 0
	v_pk_mov_b32 v[4:5], v[10:11], v[10:11] op_sel:[0,1]
	v_pk_mov_b32 v[6:7], v[0:1], v[0:1] op_sel:[0,1]
                                        ; implicit-def: $sgpr8_sgpr9
	s_branch .LBB70_254
.LBB70_253:                             ;   in Loop: Header=BB70_254 Depth=2
	s_or_b64 exec, exec, s[6:7]
	s_waitcnt lgkmcnt(0)
	s_barrier
	s_waitcnt vmcnt(0)
	ds_read_b32 v8, v13 offset:3072
	v_add_co_u32_e64 v6, s[6:7], s33, v6
	s_waitcnt lgkmcnt(0)
	s_barrier
	v_and_b32_e32 v9, 0x7fff, v8
	v_cmp_ne_u16_e32 vcc, 0, v9
	v_mov_b32_e32 v9, s26
	v_addc_co_u32_e64 v7, s[6:7], v7, v9, s[6:7]
	v_cmp_ge_i64_e64 s[6:7], v[6:7], v[2:3]
	s_or_b64 s[40:41], vcc, s[6:7]
	v_mov_b32_e32 v9, s95
	v_add_co_u32_e64 v4, s[6:7], s94, v4
	v_addc_co_u32_e64 v5, s[6:7], v5, v9, s[6:7]
	s_and_b64 s[6:7], exec, s[40:41]
	s_or_b64 s[2:3], s[6:7], s[2:3]
	s_andn2_b64 s[6:7], s[8:9], exec
	s_and_b64 s[8:9], vcc, exec
	s_or_b64 s[8:9], s[6:7], s[8:9]
	s_andn2_b64 exec, exec, s[2:3]
	s_cbranch_execz .LBB70_263
.LBB70_254:                             ;   Parent Loop BB70_33 Depth=1
                                        ; =>  This Inner Loop Header: Depth=2
	v_cmp_gt_i64_e32 vcc, s[52:53], v[6:7]
	v_mov_b32_e32 v8, 0
	s_and_saveexec_b64 s[6:7], vcc
	s_cbranch_execz .LBB70_256
; %bb.255:                              ;   in Loop: Header=BB70_254 Depth=2
	global_load_ushort v8, v[4:5], off
.LBB70_256:                             ;   in Loop: Header=BB70_254 Depth=2
	s_or_b64 exec, exec, s[6:7]
	s_and_saveexec_b64 s[6:7], vcc
	s_cbranch_execz .LBB70_253
; %bb.257:                              ;   in Loop: Header=BB70_254 Depth=2
	s_waitcnt vmcnt(0)
	v_cmp_lt_i16_e32 vcc, -1, v8
	v_cndmask_b32_e32 v9, v45, v46, vcc
	v_lshlrev_b32_e32 v12, 16, v8
	v_xor_b32_sdwa v9, v9, v8 dst_sel:DWORD dst_unused:UNUSED_PAD src0_sel:DWORD src1_sel:WORD_0
	v_cmp_o_f32_e32 vcc, v12, v12
	v_cndmask_b32_e32 v9, v45, v9, vcc
	v_and_b32_e32 v9, s88, v9
	v_cmp_eq_u32_e32 vcc, s89, v9
	s_and_b64 exec, exec, vcc
	s_cbranch_execz .LBB70_253
; %bb.258:                              ;   in Loop: Header=BB70_254 Depth=2
	v_perm_b32 v8, v8, s27, v49
	ds_write_b32 v13, v8 offset:3072
	s_branch .LBB70_253
.LBB70_259:                             ;   in Loop: Header=BB70_33 Depth=1
                                        ; implicit-def: $sgpr0_sgpr1
                                        ; implicit-def: $sgpr6_sgpr7
                                        ; implicit-def: $sgpr2_sgpr3
	s_branch .LBB70_278
.LBB70_260:                             ;   in Loop: Header=BB70_33 Depth=1
                                        ; implicit-def: $vgpr2_vgpr3
	s_branch .LBB70_203
.LBB70_261:                             ;   in Loop: Header=BB70_33 Depth=1
                                        ; implicit-def: $vgpr2_vgpr3
	s_branch .LBB70_220
.LBB70_262:                             ;   in Loop: Header=BB70_33 Depth=1
	s_mov_b64 s[0:1], -1
	s_mov_b64 s[8:9], 0
                                        ; implicit-def: $sgpr2_sgpr3
                                        ; implicit-def: $vgpr50
	s_mov_b64 s[6:7], s[0:1]
	s_cbranch_execnz .LBB70_265
	s_branch .LBB70_278
.LBB70_263:                             ;   in Loop: Header=BB70_33 Depth=1
	s_or_b64 exec, exec, s[2:3]
	v_lshrrev_b32_e32 v50, 16, v8
	s_and_b64 s[8:9], s[8:9], exec
.LBB70_264:                             ;   in Loop: Header=BB70_33 Depth=1
	s_or_b64 exec, exec, s[0:1]
	s_mov_b64 s[2:3], -1
	s_mov_b64 s[0:1], 0
	s_mov_b64 s[6:7], s[0:1]
	s_branch .LBB70_278
.LBB70_265:                             ;   in Loop: Header=BB70_33 Depth=1
	v_readlane_b32 s0, v57, 46
	s_add_u32 s6, s0, s38
	v_readlane_b32 s0, v57, 48
	s_addc_u32 s1, s0, s39
	s_mov_b32 s0, s93
	s_cmp_lg_u64 s[0:1], 0
	s_cbranch_scc0 .LBB70_299
; %bb.266:                              ;   in Loop: Header=BB70_33 Depth=1
	v_cvt_f32_u32_e32 v2, s33
	s_sub_u32 s0, 0, s33
	s_subb_u32 s2, 0, 0
	v_mac_f32_e32 v2, 0x4f800000, v47
	v_rcp_f32_e32 v2, v2
	v_mul_f32_e32 v2, 0x5f7ffffc, v2
	v_mul_f32_e32 v3, 0x2f800000, v2
	v_trunc_f32_e32 v3, v3
	v_mac_f32_e32 v2, 0xcf800000, v3
	v_cvt_u32_f32_e32 v3, v3
	v_cvt_u32_f32_e32 v2, v2
	v_readfirstlane_b32 s3, v3
	v_readfirstlane_b32 s7, v2
	s_mul_i32 s8, s0, s3
	s_mul_hi_u32 s40, s0, s7
	s_mul_i32 s9, s2, s7
	s_add_i32 s8, s40, s8
	s_mul_i32 s41, s0, s7
	s_add_i32 s8, s8, s9
	s_mul_hi_u32 s40, s7, s41
	s_mul_hi_u32 s9, s7, s8
	s_mul_i32 s7, s7, s8
	s_add_u32 s7, s40, s7
	s_addc_u32 s9, 0, s9
	s_mul_hi_u32 s42, s3, s41
	s_mul_i32 s41, s3, s41
	s_add_u32 s7, s7, s41
	s_mul_hi_u32 s40, s3, s8
	s_addc_u32 s7, s9, s42
	s_addc_u32 s9, s40, 0
	s_mul_i32 s8, s3, s8
	s_add_u32 s7, s7, s8
	s_addc_u32 s8, 0, s9
	v_add_co_u32_e32 v2, vcc, s7, v2
	s_cmp_lg_u64 vcc, 0
	s_addc_u32 s3, s3, s8
	v_readfirstlane_b32 s8, v2
	s_mul_i32 s7, s0, s3
	s_mul_hi_u32 s9, s0, s8
	s_add_i32 s7, s9, s7
	s_mul_i32 s2, s2, s8
	s_add_i32 s7, s7, s2
	s_mul_i32 s0, s0, s8
	s_mul_hi_u32 s9, s3, s0
	s_mul_i32 s40, s3, s0
	s_mul_i32 s42, s8, s7
	s_mul_hi_u32 s0, s8, s0
	s_mul_hi_u32 s41, s8, s7
	s_add_u32 s0, s0, s42
	s_addc_u32 s8, 0, s41
	s_add_u32 s0, s0, s40
	s_mul_hi_u32 s2, s3, s7
	s_addc_u32 s0, s8, s9
	s_addc_u32 s2, s2, 0
	s_mul_i32 s7, s3, s7
	s_add_u32 s0, s0, s7
	s_addc_u32 s2, 0, s2
	v_add_co_u32_e32 v2, vcc, s0, v2
	s_cmp_lg_u64 vcc, 0
	s_addc_u32 s0, s3, s2
	s_ashr_i32 s2, s1, 31
	s_add_u32 s8, s6, s2
	s_mov_b32 s3, s2
	s_addc_u32 s9, s1, s2
	s_xor_b64 s[8:9], s[8:9], s[2:3]
	v_readfirstlane_b32 s40, v2
	s_mul_i32 s7, s8, s0
	s_mul_hi_u32 s41, s8, s40
	s_mul_hi_u32 s3, s8, s0
	s_add_u32 s7, s41, s7
	s_addc_u32 s3, 0, s3
	s_mul_hi_u32 s42, s9, s40
	s_mul_i32 s40, s9, s40
	s_add_u32 s7, s7, s40
	s_mul_hi_u32 s41, s9, s0
	s_addc_u32 s3, s3, s42
	s_addc_u32 s7, s41, 0
	s_mul_i32 s0, s9, s0
	s_add_u32 s0, s3, s0
	s_addc_u32 s3, 0, s7
	s_mul_hi_u32 s7, s33, s0
	s_mul_i32 s0, s33, s0
	s_mul_i32 s3, s33, s3
	v_mov_b32_e32 v2, s0
	s_add_i32 s7, s7, s3
	v_sub_co_u32_e32 v2, vcc, s8, v2
	s_cmp_lg_u64 vcc, 0
	s_subb_u32 s0, s9, s7
	v_subrev_co_u32_e32 v3, vcc, s33, v2
	s_cmp_lg_u64 vcc, 0
	s_subb_u32 s3, s0, 0
	v_subrev_co_u32_e32 v4, vcc, s33, v3
	s_cmp_lg_u64 vcc, 0
	s_subb_u32 s7, s3, 0
	v_cmp_le_u32_e32 vcc, s33, v3
	s_cmp_eq_u32 s3, 0
	v_cndmask_b32_e64 v5, 0, -1, vcc
	s_cselect_b64 vcc, -1, 0
	v_cndmask_b32_e32 v5, -1, v5, vcc
	v_mov_b32_e32 v6, s3
	v_mov_b32_e32 v7, s7
	v_cmp_ne_u32_e32 vcc, 0, v5
	v_cndmask_b32_e32 v5, v6, v7, vcc
	v_cndmask_b32_e32 v3, v3, v4, vcc
	v_cmp_le_u32_e32 vcc, s33, v2
	s_cmp_eq_u32 s0, 0
	v_cndmask_b32_e64 v4, 0, -1, vcc
	s_cselect_b64 vcc, -1, 0
	v_cndmask_b32_e32 v4, -1, v4, vcc
	v_cmp_ne_u32_e32 vcc, 0, v4
	v_mov_b32_e32 v6, s0
	v_cndmask_b32_e32 v2, v2, v3, vcc
	v_cndmask_b32_e32 v4, v6, v5, vcc
	v_xor_b32_e32 v2, s2, v2
	v_xor_b32_e32 v3, s2, v4
	v_mov_b32_e32 v4, s2
	v_subrev_co_u32_e32 v2, vcc, s2, v2
	v_subb_co_u32_e32 v3, vcc, v3, v4, vcc
	s_cbranch_execnz .LBB70_268
.LBB70_267:                             ;   in Loop: Header=BB70_33 Depth=1
	v_cvt_f32_u32_e32 v2, s33
	s_sub_i32 s0, 0, s33
	v_rcp_iflag_f32_e32 v2, v2
	v_mul_f32_e32 v2, 0x4f7ffffe, v2
	v_cvt_u32_f32_e32 v2, v2
	v_mul_lo_u32 v3, s0, v2
	v_mul_hi_u32 v3, v2, v3
	v_add_u32_e32 v2, v2, v3
	v_mul_hi_u32 v2, s6, v2
	v_mul_lo_u32 v2, v2, s33
	v_sub_u32_e32 v2, s6, v2
	v_subrev_u32_e32 v3, s33, v2
	v_cmp_le_u32_e32 vcc, s33, v2
	v_cndmask_b32_e32 v2, v2, v3, vcc
	v_subrev_u32_e32 v3, s33, v2
	v_cmp_le_u32_e32 vcc, s33, v2
	v_cndmask_b32_e32 v12, v2, v3, vcc
	v_pk_mov_b32 v[2:3], v[12:13], v[12:13] op_sel:[0,1]
.LBB70_268:                             ;   in Loop: Header=BB70_33 Depth=1
	v_mov_b32_e32 v4, s1
	v_sub_co_u32_e32 v2, vcc, s6, v2
	v_subb_co_u32_e32 v3, vcc, v4, v3, vcc
	v_cmp_gt_i64_e32 vcc, v[2:3], v[0:1]
	s_mov_b64 s[8:9], 0
                                        ; implicit-def: $vgpr50
	s_and_saveexec_b64 s[0:1], vcc
	s_cbranch_execz .LBB70_277
; %bb.269:                              ;   in Loop: Header=BB70_33 Depth=1
	s_mov_b64 s[2:3], 0
	v_mov_b32_e32 v6, v37
	v_pk_mov_b32 v[4:5], v[0:1], v[0:1] op_sel:[0,1]
                                        ; implicit-def: $sgpr8_sgpr9
	s_branch .LBB70_271
.LBB70_270:                             ;   in Loop: Header=BB70_271 Depth=2
	s_or_b64 exec, exec, s[6:7]
	s_waitcnt lgkmcnt(0)
	s_barrier
	ds_read_b32 v7, v13 offset:3072
	v_add_co_u32_e64 v4, s[6:7], s33, v4
	v_add_u32_e32 v6, s83, v6
	s_waitcnt lgkmcnt(0)
	v_and_b32_e32 v8, 0x7fff, v7
	v_cmp_ne_u16_e32 vcc, 0, v8
	v_mov_b32_e32 v8, s26
	v_addc_co_u32_e64 v5, s[6:7], v5, v8, s[6:7]
	v_cmp_ge_i64_e64 s[6:7], v[4:5], v[2:3]
	s_or_b64 s[6:7], vcc, s[6:7]
	s_and_b64 s[6:7], exec, s[6:7]
	s_or_b64 s[2:3], s[6:7], s[2:3]
	s_andn2_b64 s[6:7], s[8:9], exec
	s_and_b64 s[8:9], vcc, exec
	s_or_b64 s[8:9], s[6:7], s[8:9]
	s_barrier
	s_andn2_b64 exec, exec, s[2:3]
	s_cbranch_execz .LBB70_276
.LBB70_271:                             ;   Parent Loop BB70_33 Depth=1
                                        ; =>  This Inner Loop Header: Depth=2
	v_cmp_gt_i64_e32 vcc, s[38:39], v[4:5]
	v_mov_b32_e32 v7, 0
	s_and_saveexec_b64 s[6:7], vcc
	s_cbranch_execz .LBB70_273
; %bb.272:                              ;   in Loop: Header=BB70_271 Depth=2
	ds_read_u16 v7, v6
.LBB70_273:                             ;   in Loop: Header=BB70_271 Depth=2
	s_or_b64 exec, exec, s[6:7]
	s_and_saveexec_b64 s[6:7], vcc
	s_cbranch_execz .LBB70_270
; %bb.274:                              ;   in Loop: Header=BB70_271 Depth=2
	s_waitcnt lgkmcnt(0)
	v_cmp_lt_i16_e32 vcc, -1, v7
	v_cndmask_b32_e32 v8, v45, v46, vcc
	v_lshlrev_b32_e32 v9, 16, v7
	v_xor_b32_sdwa v8, v8, v7 dst_sel:DWORD dst_unused:UNUSED_PAD src0_sel:DWORD src1_sel:WORD_0
	v_cmp_o_f32_e32 vcc, v9, v9
	v_cndmask_b32_e32 v8, v45, v8, vcc
	v_and_b32_e32 v8, s88, v8
	v_cmp_eq_u32_e32 vcc, s89, v8
	s_and_b64 exec, exec, vcc
	s_cbranch_execz .LBB70_270
; %bb.275:                              ;   in Loop: Header=BB70_271 Depth=2
	v_perm_b32 v7, v7, s27, v49
	ds_write_b32 v13, v7 offset:3072
	s_branch .LBB70_270
.LBB70_276:                             ;   in Loop: Header=BB70_33 Depth=1
	s_or_b64 exec, exec, s[2:3]
	v_lshrrev_b32_e32 v50, 16, v7
	s_and_b64 s[8:9], s[8:9], exec
.LBB70_277:                             ;   in Loop: Header=BB70_33 Depth=1
	s_or_b64 exec, exec, s[0:1]
	s_mov_b64 s[6:7], -1
	s_mov_b64 s[0:1], 0
	s_mov_b64 s[2:3], 0
.LBB70_278:                             ;   in Loop: Header=BB70_33 Depth=1
	s_mov_b64 s[40:41], 0
                                        ; implicit-def: $sgpr45
                                        ; implicit-def: $sgpr42_sgpr43
	s_and_saveexec_b64 s[38:39], s[8:9]
	s_cbranch_execz .LBB70_291
; %bb.279:                              ;   in Loop: Header=BB70_33 Depth=1
	s_xor_b64 s[8:9], s[16:17], -1
	s_mov_b64 s[42:43], 1
	s_andn2_b64 vcc, exec, s[8:9]
	s_mov_b32 s45, 1
	s_cbranch_vccnz .LBB70_290
; %bb.280:                              ;   in Loop: Header=BB70_33 Depth=1
	v_pk_mov_b32 v[2:3], s[10:11], s[10:11] op_sel:[0,1]
	v_cmp_gt_i64_e32 vcc, s[54:55], v[2:3]
	s_cbranch_vccnz .LBB70_286
; %bb.281:                              ;   in Loop: Header=BB70_33 Depth=1
	ds_read_b64 v[2:3], v13 offset:5120
	s_waitcnt lgkmcnt(0)
	v_cmp_ne_u64_e32 vcc, 0, v[2:3]
	s_cbranch_vccnz .LBB70_285
; %bb.282:                              ;   in Loop: Header=BB70_33 Depth=1
	s_mov_b64 s[8:9], exec
	v_readlane_b32 s16, v57, 32
	v_readlane_b32 s17, v57, 33
	s_and_b64 s[16:17], s[8:9], s[16:17]
	s_mov_b64 exec, s[16:17]
	s_cbranch_execz .LBB70_284
; %bb.283:                              ;   in Loop: Header=BB70_33 Depth=1
	v_pk_mov_b32 v[2:3], s[10:11], s[10:11] op_sel:[0,1]
	ds_write_b64 v13, v[2:3] offset:5128
.LBB70_284:                             ;   in Loop: Header=BB70_33 Depth=1
	s_or_b64 exec, exec, s[8:9]
	s_waitcnt lgkmcnt(0)
	s_barrier
.LBB70_285:                             ;   in Loop: Header=BB70_33 Depth=1
	s_or_b32 s16, s89, s44
	s_or_b32 s17, s88, s44
	s_mov_b64 s[8:9], 0
	s_mov_b32 s45, 8
	s_branch .LBB70_287
.LBB70_286:                             ;   in Loop: Header=BB70_33 Depth=1
	s_mov_b64 s[8:9], -1
                                        ; implicit-def: $sgpr45
                                        ; implicit-def: $sgpr16
                                        ; implicit-def: $sgpr17
.LBB70_287:                             ;   in Loop: Header=BB70_33 Depth=1
	s_andn2_b64 vcc, exec, s[8:9]
	s_cbranch_vccnz .LBB70_289
; %bb.288:                              ;   in Loop: Header=BB70_33 Depth=1
	s_sub_u32 s54, s54, s10
	s_subb_u32 s55, s55, s11
	s_mov_b32 s45, 8
	s_mov_b32 s16, s89
	;; [unrolled: 1-line block ×3, first 2 shown]
.LBB70_289:                             ;   in Loop: Header=BB70_33 Depth=1
	s_mov_b64 s[42:43], s[54:55]
	s_mov_b32 s89, s16
	s_mov_b32 s88, s17
.LBB70_290:                             ;   in Loop: Header=BB70_33 Depth=1
	s_mov_b64 s[40:41], exec
.LBB70_291:                             ;   in Loop: Header=BB70_33 Depth=1
	s_or_b64 exec, exec, s[38:39]
	s_mov_b64 s[54:55], s[42:43]
.LBB70_292:                             ;   in Loop: Header=BB70_33 Depth=1
	s_andn2_b64 s[8:9], s[28:29], exec
	s_and_b64 s[0:1], s[0:1], exec
	s_or_b64 s[28:29], s[8:9], s[0:1]
	s_andn2_b64 s[0:1], s[34:35], exec
	s_and_b64 s[6:7], s[6:7], exec
	s_or_b64 s[34:35], s[0:1], s[6:7]
	;; [unrolled: 3-line block ×3, first 2 shown]
	s_and_b64 s[2:3], s[40:41], exec
.LBB70_293:                             ;   in Loop: Header=BB70_33 Depth=1
	s_or_b64 exec, exec, s[36:37]
.LBB70_294:                             ;   in Loop: Header=BB70_33 Depth=1
	s_andn2_b64 s[0:1], s[20:21], exec
	s_and_b64 s[6:7], s[28:29], exec
	s_or_b64 s[20:21], s[0:1], s[6:7]
	s_andn2_b64 s[0:1], s[22:23], exec
	s_and_b64 s[6:7], s[34:35], exec
	s_or_b64 s[22:23], s[0:1], s[6:7]
	;; [unrolled: 3-line block ×3, first 2 shown]
	s_and_b64 s[2:3], s[2:3], exec
.LBB70_295:                             ;   in Loop: Header=BB70_33 Depth=1
	s_or_b64 exec, exec, s[24:25]
	s_and_saveexec_b64 s[0:1], s[2:3]
	s_xor_b64 s[0:1], exec, s[0:1]
	s_cbranch_execz .LBB70_31
.LBB70_296:                             ;   in Loop: Header=BB70_33 Depth=1
	s_and_b32 s2, s45, -9
	s_cmp_eq_u32 s2, 0
	s_cbranch_scc1 .LBB70_29
; %bb.297:                              ;   in Loop: Header=BB70_33 Depth=1
	s_mov_b64 s[2:3], -1
                                        ; implicit-def: $sgpr88
                                        ; implicit-def: $sgpr86
                                        ; implicit-def: $sgpr87
	s_mov_b64 s[6:7], -1
	s_branch .LBB70_30
.LBB70_298:                             ;   in Loop: Header=BB70_33 Depth=1
                                        ; implicit-def: $vgpr2_vgpr3
	s_branch .LBB70_250
.LBB70_299:                             ;   in Loop: Header=BB70_33 Depth=1
                                        ; implicit-def: $vgpr2_vgpr3
	s_branch .LBB70_267
.LBB70_300:
	s_or_b64 exec, exec, s[60:61]
	s_xor_b64 s[4:5], s[66:67], -1
	s_xor_b64 s[0:1], s[62:63], -1
	;; [unrolled: 1-line block ×3, first 2 shown]
	s_mov_b64 s[2:3], 0
	s_and_saveexec_b64 s[8:9], s[0:1]
	s_xor_b64 s[0:1], exec, s[8:9]
	s_cbranch_execnz .LBB70_305
; %bb.301:
	s_andn2_saveexec_b64 s[0:1], s[0:1]
	s_cbranch_execnz .LBB70_327
.LBB70_302:
	s_or_b64 exec, exec, s[0:1]
	s_and_saveexec_b64 s[0:1], s[2:3]
.LBB70_303:
	; divergent unreachable
.LBB70_304:
	s_endpgm
.LBB70_305:
	s_and_saveexec_b64 s[2:3], s[4:5]
	s_xor_b64 s[4:5], exec, s[2:3]
	s_cbranch_execz .LBB70_325
; %bb.306:
	s_and_saveexec_b64 s[2:3], s[6:7]
	s_xor_b64 s[2:3], exec, s[2:3]
; %bb.307:
	v_and_b32_e32 v3, 0x8000, v2
	v_mov_b32_e32 v4, 0x8000
	v_mov_b32_e32 v5, 0xffff
	v_cmp_eq_u32_e32 vcc, 0, v3
	v_cndmask_b32_e32 v3, v4, v5, vcc
	v_xor_b32_e32 v50, v3, v2
; %bb.308:
	s_or_b64 exec, exec, s[2:3]
	s_mov_b64 s[2:3], exec
	v_readlane_b32 s6, v57, 32
	v_readlane_b32 s7, v57, 33
	;; [unrolled: 1-line block ×4, first 2 shown]
	s_and_b64 s[6:7], s[2:3], s[6:7]
	v_readlane_b32 s28, v57, 34
	v_readlane_b32 s37, v57, 25
	v_readlane_b32 s38, v57, 26
	v_readlane_b32 s39, v57, 27
	v_readlane_b32 s31, v57, 23
	v_readlane_b32 s29, v57, 35
	s_mov_b64 exec, s[6:7]
	s_cbranch_execz .LBB70_310
; %bb.309:
	v_mov_b32_e32 v2, 0
	v_mov_b32_e32 v3, s52
	ds_write_b32 v2, v3 offset:5140
.LBB70_310:
	s_or_b64 exec, exec, s[2:3]
	s_waitcnt lgkmcnt(0)
	s_barrier
	s_mov_b64 s[6:7], exec
	v_readlane_b32 s2, v57, 42
	v_readlane_b32 s3, v57, 43
	s_and_b64 s[2:3], s[6:7], s[2:3]
	s_mov_b64 exec, s[2:3]
	s_cbranch_execz .LBB70_322
; %bb.311:
	v_mov_b32_e32 v2, 0
	ds_read_b32 v4, v2 offset:5140
	v_lshlrev_b32_e32 v6, 16, v50
	v_cmp_u_f32_e32 vcc, v6, v6
	s_mov_b64 s[8:9], 0
	s_xor_b64 s[10:11], vcc, -1
	s_waitcnt lgkmcnt(0)
	v_ashrrev_i32_e32 v5, 31, v4
                                        ; implicit-def: $sgpr12_sgpr13
                                        ; implicit-def: $sgpr14_sgpr15
                                        ; implicit-def: $sgpr16_sgpr17
	s_branch .LBB70_314
.LBB70_312:                             ;   in Loop: Header=BB70_314 Depth=1
	s_or_b64 exec, exec, s[22:23]
	s_andn2_b64 s[16:17], s[16:17], exec
	s_and_b64 s[2:3], s[2:3], exec
	s_or_b64 s[16:17], s[16:17], s[2:3]
	s_andn2_b64 s[2:3], s[14:15], exec
	s_and_b64 s[14:15], s[20:21], exec
	s_or_b64 s[14:15], s[2:3], s[14:15]
.LBB70_313:                             ;   in Loop: Header=BB70_314 Depth=1
	s_or_b64 exec, exec, s[18:19]
	s_and_b64 s[2:3], exec, s[14:15]
	s_or_b64 s[8:9], s[2:3], s[8:9]
	s_andn2_b64 s[2:3], s[12:13], exec
	s_and_b64 s[12:13], s[16:17], exec
	s_or_b64 s[12:13], s[2:3], s[12:13]
	s_andn2_b64 exec, exec, s[8:9]
	s_cbranch_execz .LBB70_317
.LBB70_314:                             ; =>This Inner Loop Header: Depth=1
	v_pk_mov_b32 v[2:3], v[0:1], v[0:1] op_sel:[0,1]
	v_cmp_lt_i64_e32 vcc, v[2:3], v[4:5]
	s_or_b64 s[16:17], s[16:17], exec
	s_or_b64 s[14:15], s[14:15], exec
                                        ; implicit-def: $vgpr0_vgpr1
	s_and_saveexec_b64 s[18:19], vcc
	s_cbranch_execz .LBB70_313
; %bb.315:                              ;   in Loop: Header=BB70_314 Depth=1
	global_load_ushort v0, v[10:11], off
	s_mov_b64 s[20:21], -1
	s_waitcnt vmcnt(0)
	v_lshlrev_b32_e32 v0, 16, v0
	v_cmp_o_f32_e64 s[2:3], v0, v0
	v_cmp_neq_f32_e32 vcc, v0, v6
	s_or_b64 s[2:3], s[10:11], s[2:3]
	s_and_b64 s[24:25], vcc, s[2:3]
	s_mov_b64 s[2:3], 0
                                        ; implicit-def: $vgpr0_vgpr1
	s_and_saveexec_b64 s[22:23], s[24:25]
	s_cbranch_execz .LBB70_312
; %bb.316:                              ;   in Loop: Header=BB70_314 Depth=1
	v_mov_b32_e32 v1, s26
	v_add_co_u32_e32 v0, vcc, s33, v2
	v_addc_co_u32_e32 v1, vcc, v3, v1, vcc
	v_mov_b32_e32 v3, s95
	v_add_co_u32_e32 v10, vcc, s94, v10
	v_addc_co_u32_e32 v11, vcc, v11, v3, vcc
	v_cmp_le_i64_e32 vcc, s[52:53], v[0:1]
	s_mov_b64 s[2:3], exec
	s_orn2_b64 s[20:21], vcc, exec
	s_branch .LBB70_312
.LBB70_317:
	s_or_b64 exec, exec, s[8:9]
	s_xor_b64 s[2:3], s[12:13], -1
	s_and_saveexec_b64 s[8:9], s[2:3]
	s_xor_b64 s[8:9], exec, s[8:9]
	s_cbranch_execz .LBB70_322
; %bb.318:
	s_mov_b64 s[2:3], exec
	s_brev_b32 s8, -2
.LBB70_319:                             ; =>This Inner Loop Header: Depth=1
	s_ff1_i32_b64 s9, s[2:3]
	v_readlane_b32 s12, v2, s9
	s_lshl_b64 s[10:11], 1, s9
	s_min_i32 s8, s8, s12
	s_andn2_b64 s[2:3], s[2:3], s[10:11]
	s_cmp_lg_u64 s[2:3], 0
	s_cbranch_scc1 .LBB70_319
; %bb.320:
	v_mbcnt_lo_u32_b32 v0, exec_lo, 0
	v_mbcnt_hi_u32_b32 v0, exec_hi, v0
	v_cmp_eq_u32_e32 vcc, 0, v0
	s_and_saveexec_b64 s[2:3], vcc
	s_xor_b64 s[2:3], exec, s[2:3]
	s_cbranch_execz .LBB70_322
; %bb.321:
	v_mov_b32_e32 v0, 0
	v_mov_b32_e32 v1, s8
	ds_min_i32 v0, v1 offset:5140
.LBB70_322:
	s_or_b64 exec, exec, s[6:7]
	s_waitcnt lgkmcnt(0)
	s_barrier
	s_mov_b64 s[2:3], exec
	v_readlane_b32 s6, v57, 32
	v_readlane_b32 s7, v57, 33
	s_and_b64 s[6:7], s[2:3], s[6:7]
	s_mov_b64 exec, s[6:7]
	s_cbranch_execz .LBB70_324
; %bb.323:
	s_mul_i32 s6, s30, s39
	s_mul_hi_u32 s7, s30, s38
	s_add_i32 s6, s7, s6
	s_mul_i32 s7, s31, s38
	s_add_i32 s6, s6, s7
	s_mul_i32 s7, s30, s38
	v_readlane_b32 s10, v57, 8
	s_sub_u32 s8, s28, s7
	v_readlane_b32 s11, v57, 9
	s_subb_u32 s6, 0, s6
	s_mul_i32 s7, s8, s11
	s_mul_hi_u32 s9, s8, s10
	v_readlane_b32 s12, v57, 0
	s_add_i32 s7, s9, s7
	s_mul_i32 s6, s6, s10
	v_readlane_b32 s13, v57, 1
	v_readlane_b32 s18, v57, 6
	s_add_i32 s7, s7, s6
	s_mul_i32 s6, s8, s10
	v_readlane_b32 s19, v57, 7
	s_mul_i32 s8, s18, s13
	s_mul_hi_u32 s9, s18, s12
	s_add_i32 s8, s9, s8
	s_mul_i32 s9, s19, s12
	s_add_i32 s8, s8, s9
	s_mul_i32 s9, s18, s12
	v_readlane_b32 s16, v57, 4
	v_readlane_b32 s20, v57, 16
	;; [unrolled: 1-line block ×3, first 2 shown]
	s_sub_u32 s10, s16, s9
	v_readlane_b32 s22, v57, 18
	v_readlane_b32 s23, v57, 19
	s_subb_u32 s8, s17, s8
	s_mul_i32 s9, s10, s23
	s_mul_hi_u32 s11, s10, s22
	v_readlane_b32 s14, v57, 2
	v_readlane_b32 s15, v57, 3
	;; [unrolled: 1-line block ×3, first 2 shown]
	s_add_i32 s9, s11, s9
	s_mul_i32 s8, s8, s22
	s_add_i32 s9, s9, s8
	s_mul_i32 s8, s10, s22
	s_mul_i32 s10, s18, s21
	s_mul_hi_u32 s11, s18, s20
	s_mul_i32 s12, s16, s15
	s_mul_hi_u32 s13, s16, s14
	s_add_i32 s10, s11, s10
	s_mul_i32 s11, s19, s20
	s_add_i32 s12, s13, s12
	s_mul_i32 s13, s17, s14
	s_add_i32 s11, s10, s11
	s_add_i32 s12, s12, s13
	s_mul_i32 s13, s16, s14
	v_readlane_b32 s16, v57, 14
	s_sub_u32 s14, s28, s13
	v_readlane_b32 s17, v57, 15
	s_subb_u32 s12, 0, s12
	s_mul_i32 s13, s14, s17
	s_mul_hi_u32 s15, s14, s16
	s_mul_i32 s10, s18, s20
	s_add_i32 s13, s15, s13
	s_mul_i32 s12, s12, s16
	v_readlane_b32 s18, v57, 20
	s_add_i32 s13, s13, s12
	s_mul_i32 s12, s14, s16
	v_readlane_b32 s19, v57, 21
	s_mul_i32 s14, s18, s37
	s_mul_hi_u32 s15, s18, s36
	s_add_i32 s14, s15, s14
	s_mul_i32 s15, s19, s36
	s_add_i32 s14, s14, s15
	s_mul_i32 s15, s18, s36
	v_readlane_b32 s20, v57, 10
	s_sub_u32 s16, s30, s15
	v_readlane_b32 s22, v57, 12
	v_readlane_b32 s23, v57, 13
	s_subb_u32 s14, s31, s14
	s_mul_i32 s15, s16, s23
	s_mul_hi_u32 s17, s16, s22
	v_readlane_b32 s21, v57, 11
	s_add_i32 s15, s17, s15
	s_mul_i32 s14, s14, s22
	s_add_i32 s15, s15, s14
	s_mul_i32 s14, s16, s22
	s_mul_i32 s16, s18, s21
	s_mul_hi_u32 s17, s18, s20
	s_add_i32 s16, s17, s16
	s_mul_i32 s17, s19, s20
	s_add_i32 s17, s16, s17
	s_mul_i32 s16, s18, s20
	s_lshl_b64 s[10:11], s[10:11], 1
	v_readlane_b32 s18, v57, 30
	v_readlane_b32 s19, v57, 31
	s_add_u32 s10, s18, s10
	s_addc_u32 s11, s19, s11
	s_lshl_b64 s[8:9], s[8:9], 1
	s_add_u32 s10, s10, s8
	s_addc_u32 s11, s11, s9
	s_lshl_b64 s[8:9], s[12:13], 1
	;; [unrolled: 3-line block ×3, first 2 shown]
	v_readlane_b32 s12, v57, 28
	v_mov_b32_e32 v2, 0
	v_readlane_b32 s13, v57, 29
	s_add_u32 s12, s12, s10
	ds_read_b32 v0, v2 offset:5140
	s_addc_u32 s13, s13, s11
	s_lshl_b64 s[10:11], s[14:15], 3
	s_add_u32 s10, s12, s10
	s_addc_u32 s11, s13, s11
	s_lshl_b64 s[6:7], s[6:7], 3
	s_add_u32 s6, s10, s6
	s_addc_u32 s7, s11, s7
	s_waitcnt lgkmcnt(0)
	v_ashrrev_i32_e32 v1, 31, v0
	global_store_dwordx2 v2, v[0:1], s[6:7]
	global_store_short v2, v50, s[8:9]
.LBB70_324:
	s_or_b64 exec, exec, s[2:3]
.LBB70_325:
	s_or_saveexec_b64 s[2:3], s[4:5]
	s_mov_b64 s[4:5], 0
	s_xor_b64 exec, exec, s[2:3]
	s_cbranch_execnz .LBB70_328
.LBB70_326:
	s_or_b64 exec, exec, s[2:3]
	s_and_b64 s[2:3], s[4:5], exec
	s_andn2_saveexec_b64 s[0:1], s[0:1]
	s_cbranch_execz .LBB70_302
.LBB70_327:
	s_or_b64 s[2:3], s[2:3], exec
	s_trap 2
	s_or_b64 exec, exec, s[0:1]
	s_and_saveexec_b64 s[0:1], s[2:3]
	s_cbranch_execnz .LBB70_303
	s_branch .LBB70_304
.LBB70_328:
	s_mov_b64 s[4:5], exec
	s_trap 2
	s_branch .LBB70_326
	.section	.rodata,"a",@progbits
	.p2align	6, 0x0
	.amdhsa_kernel _ZN2at6native12_GLOBAL__N_114gatherKthValueIN3c108BFloat16ElLi3EEEvNS_4cuda6detail10TensorInfoIKT_T0_EESA_SA_SA_SA_NS7_IS8_SA_EENS7_IlSA_EE
		.amdhsa_group_segment_fixed_size 5144
		.amdhsa_private_segment_fixed_size 0
		.amdhsa_kernarg_size 1536
		.amdhsa_user_sgpr_count 6
		.amdhsa_user_sgpr_private_segment_buffer 1
		.amdhsa_user_sgpr_dispatch_ptr 0
		.amdhsa_user_sgpr_queue_ptr 0
		.amdhsa_user_sgpr_kernarg_segment_ptr 1
		.amdhsa_user_sgpr_dispatch_id 0
		.amdhsa_user_sgpr_flat_scratch_init 0
		.amdhsa_user_sgpr_kernarg_preload_length 0
		.amdhsa_user_sgpr_kernarg_preload_offset 0
		.amdhsa_user_sgpr_private_segment_size 0
		.amdhsa_uses_dynamic_stack 0
		.amdhsa_system_sgpr_private_segment_wavefront_offset 0
		.amdhsa_system_sgpr_workgroup_id_x 1
		.amdhsa_system_sgpr_workgroup_id_y 1
		.amdhsa_system_sgpr_workgroup_id_z 1
		.amdhsa_system_sgpr_workgroup_info 0
		.amdhsa_system_vgpr_workitem_id 0
		.amdhsa_next_free_vgpr 58
		.amdhsa_next_free_sgpr 96
		.amdhsa_accum_offset 60
		.amdhsa_reserve_vcc 1
		.amdhsa_reserve_flat_scratch 0
		.amdhsa_float_round_mode_32 0
		.amdhsa_float_round_mode_16_64 0
		.amdhsa_float_denorm_mode_32 3
		.amdhsa_float_denorm_mode_16_64 3
		.amdhsa_dx10_clamp 1
		.amdhsa_ieee_mode 1
		.amdhsa_fp16_overflow 0
		.amdhsa_tg_split 0
		.amdhsa_exception_fp_ieee_invalid_op 0
		.amdhsa_exception_fp_denorm_src 0
		.amdhsa_exception_fp_ieee_div_zero 0
		.amdhsa_exception_fp_ieee_overflow 0
		.amdhsa_exception_fp_ieee_underflow 0
		.amdhsa_exception_fp_ieee_inexact 0
		.amdhsa_exception_int_div_zero 0
	.end_amdhsa_kernel
	.section	.text._ZN2at6native12_GLOBAL__N_114gatherKthValueIN3c108BFloat16ElLi3EEEvNS_4cuda6detail10TensorInfoIKT_T0_EESA_SA_SA_SA_NS7_IS8_SA_EENS7_IlSA_EE,"axG",@progbits,_ZN2at6native12_GLOBAL__N_114gatherKthValueIN3c108BFloat16ElLi3EEEvNS_4cuda6detail10TensorInfoIKT_T0_EESA_SA_SA_SA_NS7_IS8_SA_EENS7_IlSA_EE,comdat
.Lfunc_end70:
	.size	_ZN2at6native12_GLOBAL__N_114gatherKthValueIN3c108BFloat16ElLi3EEEvNS_4cuda6detail10TensorInfoIKT_T0_EESA_SA_SA_SA_NS7_IS8_SA_EENS7_IlSA_EE, .Lfunc_end70-_ZN2at6native12_GLOBAL__N_114gatherKthValueIN3c108BFloat16ElLi3EEEvNS_4cuda6detail10TensorInfoIKT_T0_EESA_SA_SA_SA_NS7_IS8_SA_EENS7_IlSA_EE
                                        ; -- End function
	.section	.AMDGPU.csdata,"",@progbits
; Kernel info:
; codeLenInByte = 21592
; NumSgprs: 100
; NumVgprs: 58
; NumAgprs: 0
; TotalNumVgprs: 58
; ScratchSize: 0
; MemoryBound: 0
; FloatMode: 240
; IeeeMode: 1
; LDSByteSize: 5144 bytes/workgroup (compile time only)
; SGPRBlocks: 12
; VGPRBlocks: 7
; NumSGPRsForWavesPerEU: 100
; NumVGPRsForWavesPerEU: 58
; AccumOffset: 60
; Occupancy: 8
; WaveLimiterHint : 1
; COMPUTE_PGM_RSRC2:SCRATCH_EN: 0
; COMPUTE_PGM_RSRC2:USER_SGPR: 6
; COMPUTE_PGM_RSRC2:TRAP_HANDLER: 0
; COMPUTE_PGM_RSRC2:TGID_X_EN: 1
; COMPUTE_PGM_RSRC2:TGID_Y_EN: 1
; COMPUTE_PGM_RSRC2:TGID_Z_EN: 1
; COMPUTE_PGM_RSRC2:TIDIG_COMP_CNT: 0
; COMPUTE_PGM_RSRC3_GFX90A:ACCUM_OFFSET: 14
; COMPUTE_PGM_RSRC3_GFX90A:TG_SPLIT: 0
	.section	.text._ZN2at6native12_GLOBAL__N_114gatherKthValueIN3c108BFloat16ElLin1EEEvNS_4cuda6detail10TensorInfoIKT_T0_EESA_SA_SA_SA_NS7_IS8_SA_EENS7_IlSA_EE,"axG",@progbits,_ZN2at6native12_GLOBAL__N_114gatherKthValueIN3c108BFloat16ElLin1EEEvNS_4cuda6detail10TensorInfoIKT_T0_EESA_SA_SA_SA_NS7_IS8_SA_EENS7_IlSA_EE,comdat
	.globl	_ZN2at6native12_GLOBAL__N_114gatherKthValueIN3c108BFloat16ElLin1EEEvNS_4cuda6detail10TensorInfoIKT_T0_EESA_SA_SA_SA_NS7_IS8_SA_EENS7_IlSA_EE ; -- Begin function _ZN2at6native12_GLOBAL__N_114gatherKthValueIN3c108BFloat16ElLin1EEEvNS_4cuda6detail10TensorInfoIKT_T0_EESA_SA_SA_SA_NS7_IS8_SA_EENS7_IlSA_EE
	.p2align	8
	.type	_ZN2at6native12_GLOBAL__N_114gatherKthValueIN3c108BFloat16ElLin1EEEvNS_4cuda6detail10TensorInfoIKT_T0_EESA_SA_SA_SA_NS7_IS8_SA_EENS7_IlSA_EE,@function
_ZN2at6native12_GLOBAL__N_114gatherKthValueIN3c108BFloat16ElLin1EEEvNS_4cuda6detail10TensorInfoIKT_T0_EESA_SA_SA_SA_NS7_IS8_SA_EENS7_IlSA_EE: ; @_ZN2at6native12_GLOBAL__N_114gatherKthValueIN3c108BFloat16ElLin1EEEvNS_4cuda6detail10TensorInfoIKT_T0_EESA_SA_SA_SA_NS7_IS8_SA_EENS7_IlSA_EE
; %bb.0:
	s_load_dwordx8 s[52:59], s[4:5], 0x1a0
	s_load_dwordx2 s[12:13], s[4:5], 0x500
	s_add_u32 s10, s4, 0x500
	s_addc_u32 s11, s5, 0
	s_mov_b32 s9, 0
	s_waitcnt lgkmcnt(0)
	v_mov_b32_e32 v2, s56
	s_mul_i32 s0, s13, s8
	s_add_i32 s0, s0, s7
	s_mul_i32 s0, s0, s12
	v_mov_b32_e32 v3, s57
	s_add_i32 s8, s0, s6
	v_cmp_ge_i64_e32 vcc, s[8:9], v[2:3]
	s_cbranch_vccnz .LBB71_304
; %bb.1:
	s_load_dword s0, s[4:5], 0x198
	s_mov_b64 s[2:3], 0
	s_mov_b64 s[14:15], s[8:9]
	s_waitcnt lgkmcnt(0)
	s_cmp_lt_i32 s0, 2
	s_cbranch_scc1 .LBB71_9
; %bb.2:
	s_mov_b32 s16, 0
	s_add_i32 s7, s0, 1
	s_add_i32 s0, s0, -1
	s_mov_b32 s1, s16
	s_lshl_b64 s[0:1], s[0:1], 3
	s_add_u32 s0, s0, s4
	s_addc_u32 s1, s1, s5
	s_add_u32 s18, s0, 8
	s_addc_u32 s19, s1, 0
	s_mov_b64 s[20:21], s[8:9]
.LBB71_3:                               ; =>This Inner Loop Header: Depth=1
	s_load_dwordx2 s[22:23], s[18:19], 0x0
	s_waitcnt lgkmcnt(0)
	s_or_b64 s[0:1], s[20:21], s[22:23]
	s_mov_b32 s17, s1
	s_cmp_lg_u64 s[16:17], 0
	s_cbranch_scc0 .LBB71_8
; %bb.4:                                ;   in Loop: Header=BB71_3 Depth=1
	s_ashr_i32 s14, s23, 31
	s_add_u32 s0, s22, s14
	s_mov_b32 s15, s14
	s_addc_u32 s1, s23, s14
	s_xor_b64 s[24:25], s[0:1], s[14:15]
	v_cvt_f32_u32_e32 v1, s24
	v_cvt_f32_u32_e32 v2, s25
	s_sub_u32 s0, 0, s24
	s_subb_u32 s1, 0, s25
	v_mac_f32_e32 v1, 0x4f800000, v2
	v_rcp_f32_e32 v1, v1
	v_mul_f32_e32 v1, 0x5f7ffffc, v1
	v_mul_f32_e32 v2, 0x2f800000, v1
	v_trunc_f32_e32 v2, v2
	v_mac_f32_e32 v1, 0xcf800000, v2
	v_cvt_u32_f32_e32 v2, v2
	v_cvt_u32_f32_e32 v1, v1
	v_readfirstlane_b32 s13, v2
	v_readfirstlane_b32 s17, v1
	s_mul_i32 s26, s0, s13
	s_mul_hi_u32 s28, s0, s17
	s_mul_i32 s27, s1, s17
	s_add_i32 s26, s28, s26
	s_add_i32 s26, s26, s27
	s_mul_i32 s29, s0, s17
	s_mul_hi_u32 s27, s17, s26
	s_mul_i32 s28, s17, s26
	s_mul_hi_u32 s17, s17, s29
	s_add_u32 s17, s17, s28
	s_addc_u32 s27, 0, s27
	s_mul_hi_u32 s30, s13, s29
	s_mul_i32 s29, s13, s29
	s_add_u32 s17, s17, s29
	s_mul_hi_u32 s28, s13, s26
	s_addc_u32 s17, s27, s30
	s_addc_u32 s27, s28, 0
	s_mul_i32 s26, s13, s26
	s_add_u32 s17, s17, s26
	s_addc_u32 s26, 0, s27
	v_add_co_u32_e32 v1, vcc, s17, v1
	s_cmp_lg_u64 vcc, 0
	s_addc_u32 s13, s13, s26
	v_readfirstlane_b32 s26, v1
	s_mul_i32 s17, s0, s13
	s_mul_hi_u32 s27, s0, s26
	s_add_i32 s17, s27, s17
	s_mul_i32 s1, s1, s26
	s_add_i32 s17, s17, s1
	s_mul_i32 s0, s0, s26
	s_mul_hi_u32 s27, s13, s0
	s_mul_i32 s28, s13, s0
	s_mul_i32 s30, s26, s17
	s_mul_hi_u32 s0, s26, s0
	s_mul_hi_u32 s29, s26, s17
	s_add_u32 s0, s0, s30
	s_addc_u32 s26, 0, s29
	s_add_u32 s0, s0, s28
	s_mul_hi_u32 s1, s13, s17
	s_addc_u32 s0, s26, s27
	s_addc_u32 s1, s1, 0
	s_mul_i32 s17, s13, s17
	s_add_u32 s0, s0, s17
	s_addc_u32 s1, 0, s1
	v_add_co_u32_e32 v1, vcc, s0, v1
	s_cmp_lg_u64 vcc, 0
	s_addc_u32 s13, s13, s1
	s_ashr_i32 s26, s21, 31
	s_add_u32 s0, s20, s26
	s_mov_b32 s27, s26
	s_addc_u32 s1, s21, s26
	s_xor_b64 s[28:29], s[0:1], s[26:27]
	v_readfirstlane_b32 s17, v1
	s_mul_i32 s1, s28, s13
	s_mul_hi_u32 s30, s28, s17
	s_mul_hi_u32 s0, s28, s13
	s_add_u32 s1, s30, s1
	s_addc_u32 s0, 0, s0
	s_mul_hi_u32 s31, s29, s17
	s_mul_i32 s17, s29, s17
	s_add_u32 s1, s1, s17
	s_mul_hi_u32 s30, s29, s13
	s_addc_u32 s0, s0, s31
	s_addc_u32 s1, s30, 0
	s_mul_i32 s13, s29, s13
	s_add_u32 s13, s0, s13
	s_addc_u32 s17, 0, s1
	s_mul_i32 s0, s24, s17
	s_mul_hi_u32 s1, s24, s13
	s_add_i32 s0, s1, s0
	s_mul_i32 s1, s25, s13
	s_add_i32 s30, s0, s1
	s_mul_i32 s1, s24, s13
	v_mov_b32_e32 v1, s1
	s_sub_i32 s0, s29, s30
	v_sub_co_u32_e32 v1, vcc, s28, v1
	s_cmp_lg_u64 vcc, 0
	s_subb_u32 s28, s0, s25
	v_subrev_co_u32_e64 v2, s[0:1], s24, v1
	s_cmp_lg_u64 s[0:1], 0
	s_subb_u32 s0, s28, 0
	s_cmp_ge_u32 s0, s25
	v_readfirstlane_b32 s28, v2
	s_cselect_b32 s1, -1, 0
	s_cmp_ge_u32 s28, s24
	s_cselect_b32 s28, -1, 0
	s_cmp_eq_u32 s0, s25
	s_cselect_b32 s0, s28, s1
	s_add_u32 s1, s13, 1
	s_addc_u32 s28, s17, 0
	s_add_u32 s31, s13, 2
	s_addc_u32 s33, s17, 0
	s_cmp_lg_u32 s0, 0
	s_cselect_b32 s0, s31, s1
	s_cselect_b32 s1, s33, s28
	s_cmp_lg_u64 vcc, 0
	s_subb_u32 s28, s29, s30
	s_cmp_ge_u32 s28, s25
	v_readfirstlane_b32 s30, v1
	s_cselect_b32 s29, -1, 0
	s_cmp_ge_u32 s30, s24
	s_cselect_b32 s24, -1, 0
	s_cmp_eq_u32 s28, s25
	s_cselect_b32 s24, s24, s29
	s_cmp_lg_u32 s24, 0
	s_cselect_b32 s1, s1, s17
	s_cselect_b32 s0, s0, s13
	s_xor_b64 s[14:15], s[26:27], s[14:15]
	s_xor_b64 s[0:1], s[0:1], s[14:15]
	s_sub_u32 s14, s0, s14
	s_subb_u32 s15, s1, s15
	s_cbranch_execnz .LBB71_6
.LBB71_5:                               ;   in Loop: Header=BB71_3 Depth=1
	v_cvt_f32_u32_e32 v1, s22
	s_sub_i32 s0, 0, s22
	s_mov_b32 s15, s16
	v_rcp_iflag_f32_e32 v1, v1
	v_mul_f32_e32 v1, 0x4f7ffffe, v1
	v_cvt_u32_f32_e32 v1, v1
	v_readfirstlane_b32 s1, v1
	s_mul_i32 s0, s0, s1
	s_mul_hi_u32 s0, s1, s0
	s_add_i32 s1, s1, s0
	s_mul_hi_u32 s0, s20, s1
	s_mul_i32 s13, s0, s22
	s_sub_i32 s13, s20, s13
	s_add_i32 s1, s0, 1
	s_sub_i32 s14, s13, s22
	s_cmp_ge_u32 s13, s22
	s_cselect_b32 s0, s1, s0
	s_cselect_b32 s13, s14, s13
	s_add_i32 s1, s0, 1
	s_cmp_ge_u32 s13, s22
	s_cselect_b32 s14, s1, s0
.LBB71_6:                               ;   in Loop: Header=BB71_3 Depth=1
	s_mul_i32 s0, s14, s23
	s_mul_hi_u32 s1, s14, s22
	s_add_i32 s13, s1, s0
	s_load_dwordx2 s[0:1], s[18:19], 0xc8
	s_mul_i32 s17, s15, s22
	s_add_i32 s13, s13, s17
	s_mul_i32 s17, s14, s22
	s_sub_u32 s17, s20, s17
	s_subb_u32 s13, s21, s13
	s_waitcnt lgkmcnt(0)
	s_mul_i32 s13, s0, s13
	s_mul_hi_u32 s20, s0, s17
	s_add_i32 s13, s20, s13
	s_mul_i32 s1, s1, s17
	s_add_i32 s13, s13, s1
	s_mul_i32 s0, s0, s17
	s_add_u32 s2, s0, s2
	s_addc_u32 s3, s13, s3
	s_add_i32 s7, s7, -1
	s_add_u32 s18, s18, -8
	s_addc_u32 s19, s19, -1
	s_cmp_gt_u32 s7, 2
	s_cbranch_scc0 .LBB71_9
; %bb.7:                                ;   in Loop: Header=BB71_3 Depth=1
	s_mov_b64 s[20:21], s[14:15]
	s_branch .LBB71_3
.LBB71_8:                               ;   in Loop: Header=BB71_3 Depth=1
                                        ; implicit-def: $sgpr14_sgpr15
	s_branch .LBB71_5
.LBB71_9:
	s_load_dword s0, s[4:5], 0x358
	s_load_dwordx2 s[16:17], s[4:5], 0xd0
	s_add_u32 s18, s4, 0x1c0
	s_addc_u32 s19, s5, 0
	s_mov_b64 s[40:41], 0
	s_waitcnt lgkmcnt(0)
	s_cmp_lt_i32 s0, 2
	s_mov_b64 s[28:29], s[8:9]
	s_cbranch_scc1 .LBB71_17
; %bb.10:
	s_mov_b32 s20, 0
	s_add_i32 s7, s0, 1
	s_add_i32 s0, s0, -1
	s_mov_b32 s1, s20
	s_lshl_b64 s[0:1], s[0:1], 3
	s_add_u32 s0, s0, s18
	s_addc_u32 s1, s1, s19
	s_add_u32 s22, s0, 8
	s_addc_u32 s23, s1, 0
	s_mov_b64 s[24:25], s[8:9]
.LBB71_11:                              ; =>This Inner Loop Header: Depth=1
	s_load_dwordx2 s[26:27], s[22:23], 0x0
	s_waitcnt lgkmcnt(0)
	s_or_b64 s[0:1], s[24:25], s[26:27]
	s_mov_b32 s21, s1
	s_cmp_lg_u64 s[20:21], 0
	s_cbranch_scc0 .LBB71_16
; %bb.12:                               ;   in Loop: Header=BB71_11 Depth=1
	s_ashr_i32 s28, s27, 31
	s_add_u32 s0, s26, s28
	s_mov_b32 s29, s28
	s_addc_u32 s1, s27, s28
	s_xor_b64 s[30:31], s[0:1], s[28:29]
	v_cvt_f32_u32_e32 v1, s30
	v_cvt_f32_u32_e32 v2, s31
	s_sub_u32 s0, 0, s30
	s_subb_u32 s1, 0, s31
	v_mac_f32_e32 v1, 0x4f800000, v2
	v_rcp_f32_e32 v1, v1
	v_mul_f32_e32 v1, 0x5f7ffffc, v1
	v_mul_f32_e32 v2, 0x2f800000, v1
	v_trunc_f32_e32 v2, v2
	v_mac_f32_e32 v1, 0xcf800000, v2
	v_cvt_u32_f32_e32 v2, v2
	v_cvt_u32_f32_e32 v1, v1
	v_readfirstlane_b32 s13, v2
	v_readfirstlane_b32 s21, v1
	s_mul_i32 s33, s0, s13
	s_mul_hi_u32 s35, s0, s21
	s_mul_i32 s34, s1, s21
	s_add_i32 s33, s35, s33
	s_add_i32 s33, s33, s34
	s_mul_i32 s36, s0, s21
	s_mul_hi_u32 s34, s21, s33
	s_mul_i32 s35, s21, s33
	s_mul_hi_u32 s21, s21, s36
	s_add_u32 s21, s21, s35
	s_addc_u32 s34, 0, s34
	s_mul_hi_u32 s37, s13, s36
	s_mul_i32 s36, s13, s36
	s_add_u32 s21, s21, s36
	s_mul_hi_u32 s35, s13, s33
	s_addc_u32 s21, s34, s37
	s_addc_u32 s34, s35, 0
	s_mul_i32 s33, s13, s33
	s_add_u32 s21, s21, s33
	s_addc_u32 s33, 0, s34
	v_add_co_u32_e32 v1, vcc, s21, v1
	s_cmp_lg_u64 vcc, 0
	s_addc_u32 s13, s13, s33
	v_readfirstlane_b32 s33, v1
	s_mul_i32 s21, s0, s13
	s_mul_hi_u32 s34, s0, s33
	s_add_i32 s21, s34, s21
	s_mul_i32 s1, s1, s33
	s_add_i32 s21, s21, s1
	s_mul_i32 s0, s0, s33
	s_mul_hi_u32 s34, s13, s0
	s_mul_i32 s35, s13, s0
	s_mul_i32 s37, s33, s21
	s_mul_hi_u32 s0, s33, s0
	s_mul_hi_u32 s36, s33, s21
	s_add_u32 s0, s0, s37
	s_addc_u32 s33, 0, s36
	s_add_u32 s0, s0, s35
	s_mul_hi_u32 s1, s13, s21
	s_addc_u32 s0, s33, s34
	s_addc_u32 s1, s1, 0
	s_mul_i32 s21, s13, s21
	s_add_u32 s0, s0, s21
	s_addc_u32 s1, 0, s1
	v_add_co_u32_e32 v1, vcc, s0, v1
	s_cmp_lg_u64 vcc, 0
	s_addc_u32 s13, s13, s1
	s_ashr_i32 s34, s25, 31
	s_add_u32 s0, s24, s34
	s_mov_b32 s35, s34
	s_addc_u32 s1, s25, s34
	s_xor_b64 s[36:37], s[0:1], s[34:35]
	v_readfirstlane_b32 s21, v1
	s_mul_i32 s1, s36, s13
	s_mul_hi_u32 s33, s36, s21
	s_mul_hi_u32 s0, s36, s13
	s_add_u32 s1, s33, s1
	s_addc_u32 s0, 0, s0
	s_mul_hi_u32 s38, s37, s21
	s_mul_i32 s21, s37, s21
	s_add_u32 s1, s1, s21
	s_mul_hi_u32 s33, s37, s13
	s_addc_u32 s0, s0, s38
	s_addc_u32 s1, s33, 0
	s_mul_i32 s13, s37, s13
	s_add_u32 s13, s0, s13
	s_addc_u32 s21, 0, s1
	s_mul_i32 s0, s30, s21
	s_mul_hi_u32 s1, s30, s13
	s_add_i32 s0, s1, s0
	s_mul_i32 s1, s31, s13
	s_add_i32 s33, s0, s1
	s_mul_i32 s1, s30, s13
	v_mov_b32_e32 v1, s1
	s_sub_i32 s0, s37, s33
	v_sub_co_u32_e32 v1, vcc, s36, v1
	s_cmp_lg_u64 vcc, 0
	s_subb_u32 s36, s0, s31
	v_subrev_co_u32_e64 v2, s[0:1], s30, v1
	s_cmp_lg_u64 s[0:1], 0
	s_subb_u32 s0, s36, 0
	s_cmp_ge_u32 s0, s31
	v_readfirstlane_b32 s36, v2
	s_cselect_b32 s1, -1, 0
	s_cmp_ge_u32 s36, s30
	s_cselect_b32 s36, -1, 0
	s_cmp_eq_u32 s0, s31
	s_cselect_b32 s0, s36, s1
	s_add_u32 s1, s13, 1
	s_addc_u32 s36, s21, 0
	s_add_u32 s38, s13, 2
	s_addc_u32 s39, s21, 0
	s_cmp_lg_u32 s0, 0
	s_cselect_b32 s0, s38, s1
	s_cselect_b32 s1, s39, s36
	s_cmp_lg_u64 vcc, 0
	s_subb_u32 s33, s37, s33
	s_cmp_ge_u32 s33, s31
	v_readfirstlane_b32 s37, v1
	s_cselect_b32 s36, -1, 0
	s_cmp_ge_u32 s37, s30
	s_cselect_b32 s30, -1, 0
	s_cmp_eq_u32 s33, s31
	s_cselect_b32 s30, s30, s36
	s_cmp_lg_u32 s30, 0
	s_cselect_b32 s1, s1, s21
	s_cselect_b32 s0, s0, s13
	s_xor_b64 s[28:29], s[34:35], s[28:29]
	s_xor_b64 s[0:1], s[0:1], s[28:29]
	s_sub_u32 s28, s0, s28
	s_subb_u32 s29, s1, s29
	s_cbranch_execnz .LBB71_14
.LBB71_13:                              ;   in Loop: Header=BB71_11 Depth=1
	v_cvt_f32_u32_e32 v1, s26
	s_sub_i32 s0, 0, s26
	s_mov_b32 s29, s20
	v_rcp_iflag_f32_e32 v1, v1
	v_mul_f32_e32 v1, 0x4f7ffffe, v1
	v_cvt_u32_f32_e32 v1, v1
	v_readfirstlane_b32 s1, v1
	s_mul_i32 s0, s0, s1
	s_mul_hi_u32 s0, s1, s0
	s_add_i32 s1, s1, s0
	s_mul_hi_u32 s0, s24, s1
	s_mul_i32 s13, s0, s26
	s_sub_i32 s13, s24, s13
	s_add_i32 s1, s0, 1
	s_sub_i32 s21, s13, s26
	s_cmp_ge_u32 s13, s26
	s_cselect_b32 s0, s1, s0
	s_cselect_b32 s13, s21, s13
	s_add_i32 s1, s0, 1
	s_cmp_ge_u32 s13, s26
	s_cselect_b32 s28, s1, s0
.LBB71_14:                              ;   in Loop: Header=BB71_11 Depth=1
	s_mul_i32 s0, s28, s27
	s_mul_hi_u32 s1, s28, s26
	s_add_i32 s13, s1, s0
	s_load_dwordx2 s[0:1], s[22:23], 0xc8
	s_mul_i32 s21, s29, s26
	s_add_i32 s13, s13, s21
	s_mul_i32 s21, s28, s26
	s_sub_u32 s21, s24, s21
	s_subb_u32 s13, s25, s13
	s_waitcnt lgkmcnt(0)
	s_mul_i32 s13, s0, s13
	s_mul_hi_u32 s24, s0, s21
	s_add_i32 s13, s24, s13
	s_mul_i32 s1, s1, s21
	s_add_i32 s13, s13, s1
	s_mul_i32 s0, s0, s21
	s_add_u32 s40, s0, s40
	s_addc_u32 s41, s13, s41
	s_add_i32 s7, s7, -1
	s_add_u32 s22, s22, -8
	s_addc_u32 s23, s23, -1
	s_cmp_gt_u32 s7, 2
	s_cbranch_scc0 .LBB71_17
; %bb.15:                               ;   in Loop: Header=BB71_11 Depth=1
	s_mov_b64 s[24:25], s[28:29]
	s_branch .LBB71_11
.LBB71_16:                              ;   in Loop: Header=BB71_11 Depth=1
                                        ; implicit-def: $sgpr28_sgpr29
	s_branch .LBB71_13
.LBB71_17:
                                        ; implicit-def: $vgpr60 : SGPR spill to VGPR lane
	s_load_dword s13, s[4:5], 0x4f8
	s_load_dwordx2 s[0:1], s[18:19], 0xd0
	v_writelane_b32 v60, s28, 0
	v_writelane_b32 v60, s29, 1
	;; [unrolled: 1-line block ×4, first 2 shown]
	s_waitcnt lgkmcnt(0)
	v_writelane_b32 v60, s0, 4
	v_writelane_b32 v60, s1, 5
	s_add_u32 s0, s4, 0x360
	s_addc_u32 s1, s5, 0
	s_cmp_lt_i32 s13, 2
	s_mov_b64 s[62:63], 0
                                        ; kill: killed $sgpr18 killed $sgpr19
	s_cbranch_scc1 .LBB71_25
; %bb.18:
	s_mov_b32 s18, 0
	s_add_i32 s20, s13, -1
	s_mov_b32 s21, s18
	s_add_i32 s7, s13, 1
	s_lshl_b64 s[20:21], s[20:21], 3
	s_add_u32 s0, s20, s0
	s_addc_u32 s1, s21, s1
	s_add_u32 s20, s0, 8
	s_addc_u32 s21, s1, 0
.LBB71_19:                              ; =>This Inner Loop Header: Depth=1
	s_load_dwordx2 s[22:23], s[20:21], 0x0
	s_waitcnt lgkmcnt(0)
	s_or_b64 s[0:1], s[8:9], s[22:23]
	s_mov_b32 s19, s1
	s_cmp_lg_u64 s[18:19], 0
	s_cbranch_scc0 .LBB71_24
; %bb.20:                               ;   in Loop: Header=BB71_19 Depth=1
	s_ashr_i32 s24, s23, 31
	s_add_u32 s0, s22, s24
	s_mov_b32 s25, s24
	s_addc_u32 s1, s23, s24
	s_xor_b64 s[26:27], s[0:1], s[24:25]
	v_cvt_f32_u32_e32 v1, s26
	v_cvt_f32_u32_e32 v2, s27
	s_sub_u32 s0, 0, s26
	s_subb_u32 s1, 0, s27
	v_mac_f32_e32 v1, 0x4f800000, v2
	v_rcp_f32_e32 v1, v1
	v_mul_f32_e32 v1, 0x5f7ffffc, v1
	v_mul_f32_e32 v2, 0x2f800000, v1
	v_trunc_f32_e32 v2, v2
	v_mac_f32_e32 v1, 0xcf800000, v2
	v_cvt_u32_f32_e32 v2, v2
	v_cvt_u32_f32_e32 v1, v1
	v_readfirstlane_b32 s13, v2
	v_readfirstlane_b32 s19, v1
	s_mul_i32 s28, s0, s13
	s_mul_hi_u32 s30, s0, s19
	s_mul_i32 s29, s1, s19
	s_add_i32 s28, s30, s28
	s_add_i32 s28, s28, s29
	s_mul_i32 s31, s0, s19
	s_mul_hi_u32 s29, s19, s28
	s_mul_i32 s30, s19, s28
	s_mul_hi_u32 s19, s19, s31
	s_add_u32 s19, s19, s30
	s_addc_u32 s29, 0, s29
	s_mul_hi_u32 s33, s13, s31
	s_mul_i32 s31, s13, s31
	s_add_u32 s19, s19, s31
	s_mul_hi_u32 s30, s13, s28
	s_addc_u32 s19, s29, s33
	s_addc_u32 s29, s30, 0
	s_mul_i32 s28, s13, s28
	s_add_u32 s19, s19, s28
	s_addc_u32 s28, 0, s29
	v_add_co_u32_e32 v1, vcc, s19, v1
	s_cmp_lg_u64 vcc, 0
	s_addc_u32 s13, s13, s28
	v_readfirstlane_b32 s28, v1
	s_mul_i32 s19, s0, s13
	s_mul_hi_u32 s29, s0, s28
	s_add_i32 s19, s29, s19
	s_mul_i32 s1, s1, s28
	s_add_i32 s19, s19, s1
	s_mul_i32 s0, s0, s28
	s_mul_hi_u32 s29, s13, s0
	s_mul_i32 s30, s13, s0
	s_mul_i32 s33, s28, s19
	s_mul_hi_u32 s0, s28, s0
	s_mul_hi_u32 s31, s28, s19
	s_add_u32 s0, s0, s33
	s_addc_u32 s28, 0, s31
	s_add_u32 s0, s0, s30
	s_mul_hi_u32 s1, s13, s19
	s_addc_u32 s0, s28, s29
	s_addc_u32 s1, s1, 0
	s_mul_i32 s19, s13, s19
	s_add_u32 s0, s0, s19
	s_addc_u32 s1, 0, s1
	v_add_co_u32_e32 v1, vcc, s0, v1
	s_cmp_lg_u64 vcc, 0
	s_addc_u32 s13, s13, s1
	s_ashr_i32 s28, s9, 31
	s_add_u32 s0, s8, s28
	s_mov_b32 s29, s28
	s_addc_u32 s1, s9, s28
	s_xor_b64 s[30:31], s[0:1], s[28:29]
	v_readfirstlane_b32 s19, v1
	s_mul_i32 s1, s30, s13
	s_mul_hi_u32 s33, s30, s19
	s_mul_hi_u32 s0, s30, s13
	s_add_u32 s1, s33, s1
	s_addc_u32 s0, 0, s0
	s_mul_hi_u32 s34, s31, s19
	s_mul_i32 s19, s31, s19
	s_add_u32 s1, s1, s19
	s_mul_hi_u32 s33, s31, s13
	s_addc_u32 s0, s0, s34
	s_addc_u32 s1, s33, 0
	s_mul_i32 s13, s31, s13
	s_add_u32 s13, s0, s13
	s_addc_u32 s19, 0, s1
	s_mul_i32 s0, s26, s19
	s_mul_hi_u32 s1, s26, s13
	s_add_i32 s0, s1, s0
	s_mul_i32 s1, s27, s13
	s_add_i32 s33, s0, s1
	s_mul_i32 s1, s26, s13
	v_mov_b32_e32 v1, s1
	s_sub_i32 s0, s31, s33
	v_sub_co_u32_e32 v1, vcc, s30, v1
	s_cmp_lg_u64 vcc, 0
	s_subb_u32 s30, s0, s27
	v_subrev_co_u32_e64 v2, s[0:1], s26, v1
	s_cmp_lg_u64 s[0:1], 0
	s_subb_u32 s0, s30, 0
	s_cmp_ge_u32 s0, s27
	v_readfirstlane_b32 s30, v2
	s_cselect_b32 s1, -1, 0
	s_cmp_ge_u32 s30, s26
	s_cselect_b32 s30, -1, 0
	s_cmp_eq_u32 s0, s27
	s_cselect_b32 s0, s30, s1
	s_add_u32 s1, s13, 1
	s_addc_u32 s30, s19, 0
	s_add_u32 s34, s13, 2
	s_addc_u32 s35, s19, 0
	s_cmp_lg_u32 s0, 0
	s_cselect_b32 s0, s34, s1
	s_cselect_b32 s1, s35, s30
	s_cmp_lg_u64 vcc, 0
	s_subb_u32 s30, s31, s33
	s_cmp_ge_u32 s30, s27
	v_readfirstlane_b32 s33, v1
	s_cselect_b32 s31, -1, 0
	s_cmp_ge_u32 s33, s26
	s_cselect_b32 s26, -1, 0
	s_cmp_eq_u32 s30, s27
	s_cselect_b32 s26, s26, s31
	s_cmp_lg_u32 s26, 0
	s_cselect_b32 s1, s1, s19
	s_cselect_b32 s0, s0, s13
	s_xor_b64 s[24:25], s[28:29], s[24:25]
	s_xor_b64 s[0:1], s[0:1], s[24:25]
	s_sub_u32 s48, s0, s24
	s_subb_u32 s49, s1, s25
	s_cbranch_execnz .LBB71_22
.LBB71_21:                              ;   in Loop: Header=BB71_19 Depth=1
	v_cvt_f32_u32_e32 v1, s22
	s_sub_i32 s0, 0, s22
	s_mov_b32 s49, s18
	v_rcp_iflag_f32_e32 v1, v1
	v_mul_f32_e32 v1, 0x4f7ffffe, v1
	v_cvt_u32_f32_e32 v1, v1
	v_readfirstlane_b32 s1, v1
	s_mul_i32 s0, s0, s1
	s_mul_hi_u32 s0, s1, s0
	s_add_i32 s1, s1, s0
	s_mul_hi_u32 s0, s8, s1
	s_mul_i32 s13, s0, s22
	s_sub_i32 s13, s8, s13
	s_add_i32 s1, s0, 1
	s_sub_i32 s19, s13, s22
	s_cmp_ge_u32 s13, s22
	s_cselect_b32 s0, s1, s0
	s_cselect_b32 s13, s19, s13
	s_add_i32 s1, s0, 1
	s_cmp_ge_u32 s13, s22
	s_cselect_b32 s48, s1, s0
.LBB71_22:                              ;   in Loop: Header=BB71_19 Depth=1
	s_mul_i32 s0, s48, s23
	s_mul_hi_u32 s1, s48, s22
	s_add_i32 s13, s1, s0
	s_load_dwordx2 s[0:1], s[20:21], 0xc8
	s_mul_i32 s19, s49, s22
	s_add_i32 s13, s13, s19
	s_mul_i32 s19, s48, s22
	s_sub_u32 s8, s8, s19
	s_subb_u32 s9, s9, s13
	s_waitcnt lgkmcnt(0)
	s_mul_i32 s9, s0, s9
	s_mul_hi_u32 s13, s0, s8
	s_add_i32 s9, s13, s9
	s_mul_i32 s1, s1, s8
	s_add_i32 s9, s9, s1
	s_mul_i32 s0, s0, s8
	s_add_u32 s62, s0, s62
	s_addc_u32 s63, s9, s63
	s_add_i32 s7, s7, -1
	s_add_u32 s20, s20, -8
	s_addc_u32 s21, s21, -1
	s_cmp_gt_u32 s7, 2
	s_cbranch_scc0 .LBB71_26
; %bb.23:                               ;   in Loop: Header=BB71_19 Depth=1
	s_mov_b64 s[8:9], s[48:49]
	s_branch .LBB71_19
.LBB71_24:                              ;   in Loop: Header=BB71_19 Depth=1
                                        ; implicit-def: $sgpr48_sgpr49
	s_branch .LBB71_21
.LBB71_25:
	s_mov_b64 s[48:49], s[8:9]
.LBB71_26:
	s_load_dwordx2 s[0:1], s[4:5], 0x0
	s_load_dwordx2 s[8:9], s[4:5], 0x1c0
	s_mov_b32 s77, 0
                                        ; kill: killed $sgpr4 killed $sgpr5
	s_waitcnt lgkmcnt(0)
	v_writelane_b32 v60, s8, 6
	v_writelane_b32 v60, s9, 7
	s_load_dwordx2 s[8:9], s[4:5], 0x430
	s_waitcnt lgkmcnt(0)
	v_writelane_b32 v60, s8, 8
	v_writelane_b32 v60, s9, 9
	s_load_dwordx2 s[8:9], s[4:5], 0x360
	s_waitcnt lgkmcnt(0)
	v_writelane_b32 v60, s8, 10
	v_writelane_b32 v60, s9, 11
	v_cmp_eq_u32_e64 s[8:9], 0, v0
	s_mov_b64 s[4:5], exec
	v_writelane_b32 v60, s8, 12
	v_writelane_b32 v60, s9, 13
	s_and_b64 s[8:9], s[4:5], s[8:9]
	s_mov_b64 exec, s[8:9]
	s_cbranch_execz .LBB71_28
; %bb.27:
	v_mov_b32_e32 v2, 0
	v_mov_b32_e32 v4, s52
	;; [unrolled: 1-line block ×4, first 2 shown]
	ds_write_b32 v2, v2 offset:5136
	ds_write_b128 v2, v[2:5] offset:5120
.LBB71_28:
	s_or_b64 exec, exec, s[4:5]
	s_mul_i32 s4, s16, s15
	s_mul_hi_u32 s5, s16, s14
	s_add_i32 s4, s5, s4
	s_mul_i32 s5, s17, s14
	s_add_i32 s5, s4, s5
	s_mul_i32 s4, s16, s14
	s_lshl_b64 s[8:9], s[4:5], 1
	s_lshl_b64 s[78:79], s[2:3], 1
	s_add_u32 s14, s0, s8
	v_mbcnt_lo_u32_b32 v1, -1, 0
	s_addc_u32 s15, s1, s9
	v_mbcnt_hi_u32_b32 v42, -1, v1
	s_add_u32 s7, s14, s78
	v_cmp_gt_u32_e32 vcc, 64, v0
	v_cmp_gt_i32_e64 s[2:3], 4, v42
	s_addc_u32 s13, s15, s79
	s_and_b64 s[50:51], vcc, s[2:3]
	v_cmp_gt_u32_e64 s[2:3], 2, v0
	v_mov_b32_e32 v2, 0x600
	v_writelane_b32 v60, s2, 14
	v_mov_b32_e32 v3, 0
	v_writelane_b32 v60, s3, 15
	v_cmp_gt_i64_e64 s[2:3], s[52:53], v[2:3]
	v_writelane_b32 v60, s2, 16
	v_writelane_b32 v60, s3, 17
	v_mad_u64_u32 v[2:3], s[2:3], v0, s58, 0
	v_mov_b32_e32 v13, 0
	v_mov_b32_e32 v4, v3
	;; [unrolled: 1-line block ×3, first 2 shown]
	v_mad_u64_u32 v[4:5], s[2:3], v0, s59, v[4:5]
	v_writelane_b32 v60, s13, 18
	v_writelane_b32 v60, s7, 19
	v_cmp_gt_i64_e64 s[2:3], s[52:53], v[0:1]
	v_writelane_b32 v60, s2, 20
	s_waitcnt lgkmcnt(0)
	s_barrier
	v_writelane_b32 v60, s3, 21
	s_load_dword s2, s[10:11], 0xc
	v_mov_b32_e32 v3, v4
	v_lshlrev_b64 v[4:5], 1, v[2:3]
	v_add_co_u32_e32 v14, vcc, s7, v4
	s_waitcnt lgkmcnt(0)
	s_and_b32 s33, s2, 0xffff
	s_bfe_u32 s3, s2, 0xa0006
	v_cmp_gt_u16_e64 s[16:17], s2, 63
	s_add_u32 s2, s33, -1
	s_addc_u32 s7, 0, -1
	s_add_u32 s90, s2, s52
	v_writelane_b32 v60, s16, 22
	s_addc_u32 s87, s7, s53
	v_writelane_b32 v60, s17, 23
	s_cmp_lt_u32 s6, s12
	v_writelane_b32 v60, s2, 24
	s_cselect_b32 s2, 12, 18
	s_add_u32 s68, s10, s2
	s_addc_u32 s69, s11, 0
	s_add_i32 s2, s3, -1
	s_bfe_u32 s6, s33, 0x30006
	s_cmp_gt_u32 s2, 6
	v_writelane_b32 v60, s7, 25
	s_cselect_b64 s[10:11], -1, 0
	v_writelane_b32 v60, s10, 26
	s_and_b32 s57, s3, 0x3f8
	v_writelane_b32 v60, s11, 27
	s_cmp_lg_u32 s6, 0
	v_writelane_b32 v60, s6, 28
	s_cselect_b64 s[2:3], -1, 0
	v_writelane_b32 v60, s2, 29
	v_writelane_b32 v60, s3, 30
	s_add_u32 s2, s8, s78
	s_addc_u32 s3, s9, s79
	v_mov_b32_e32 v6, s13
	s_add_u32 s2, s0, s2
	v_addc_co_u32_e32 v15, vcc, v6, v5, vcc
	v_lshrrev_b32_e32 v6, 4, v0
	s_addc_u32 s3, s1, s3
	v_and_b32_e32 v45, 60, v6
	v_lshlrev_b32_e32 v6, 2, v42
	v_writelane_b32 v60, s2, 31
	v_and_b32_e32 v46, 0x100, v6
	v_lshlrev_b64 v[6:7], v42, -1
	v_writelane_b32 v60, s3, 32
	s_lshl_b64 s[2:3], s[58:59], 1
	v_lshlrev_b32_e32 v47, 3, v0
	v_not_b32_e32 v19, v7
	v_not_b32_e32 v18, v6
	v_writelane_b32 v60, s2, 33
	v_or_b32_e32 v9, 6, v47
	v_pk_mov_b32 v[6:7], s[14:15], s[14:15] op_sel:[0,1]
	v_writelane_b32 v60, s3, 34
	v_mad_u64_u32 v[20:21], s[2:3], s58, v9, v[6:7]
	v_mov_b32_e32 v8, v21
	v_mad_u64_u32 v[8:9], s[2:3], s59, v9, v[8:9]
	s_lshl_b64 s[2:3], s[58:59], 3
	v_writelane_b32 v60, s2, 35
	v_or_b32_e32 v9, 4, v47
	v_writelane_b32 v60, s3, 36
	v_mad_u64_u32 v[22:23], s[2:3], s58, v9, v[6:7]
	v_mov_b32_e32 v21, v8
	v_mov_b32_e32 v8, v23
	v_mad_u64_u32 v[8:9], s[2:3], s59, v9, v[8:9]
	v_mov_b32_e32 v23, v8
	v_or_b32_e32 v8, 2, v47
	v_mad_u64_u32 v[24:25], s[2:3], s58, v8, v[6:7]
	v_mov_b32_e32 v6, v25
	v_mad_u64_u32 v[6:7], s[2:3], s59, v8, v[6:7]
	v_lshlrev_b64 v[2:3], 3, v[2:3]
	v_writelane_b32 v60, s48, 37
	v_mov_b32_e32 v25, v6
	v_mov_b32_e32 v6, s15
	v_add_co_u32_e32 v26, vcc, s14, v2
	s_add_u32 s0, s0, s78
	v_writelane_b32 v60, s49, 38
	v_addc_co_u32_e32 v27, vcc, v6, v3, vcc
	s_addc_u32 s1, s1, s79
	v_writelane_b32 v60, s50, 39
	v_mov_b32_e32 v2, s53
	v_add_co_u32_e32 v48, vcc, s52, v0
	s_add_u32 s0, s0, s8
	v_writelane_b32 v60, s51, 40
	v_addc_co_u32_e32 v49, vcc, 0, v2, vcc
	v_mov_b32_e32 v2, 0xc00
	s_addc_u32 s1, s1, s9
	v_writelane_b32 v60, s68, 41
	v_cmp_eq_u32_e64 s[4:5], 0, v42
	v_lshl_or_b32 v50, v42, 3, v2
	v_mov_b32_e32 v2, s1
	v_add_co_u32_e32 v10, vcc, s0, v4
	s_mul_i32 s0, s59, s33
	s_mul_hi_u32 s1, s58, s33
	v_writelane_b32 v60, s69, 42
	v_lshlrev_b32_e32 v43, 1, v0
	s_add_i32 s1, s1, s0
	s_mul_i32 s0, s58, s33
	v_writelane_b32 v60, s4, 43
	v_add_u32_e32 v44, 0xc00, v43
	v_lshlrev_b32_e32 v16, 2, v0
	v_mov_b32_e32 v17, v13
	s_mov_b32 s84, s77
	v_addc_co_u32_e32 v11, vcc, v2, v5, vcc
	s_lshl_b64 s[74:75], s[0:1], 1
	s_lshl_b32 s94, s33, 1
	s_mov_b32 s80, 14
	s_mov_b64 s[70:71], 0
	s_movk_i32 s66, 0x3f80
	v_mov_b32_e32 v51, 0xffff
	v_mov_b32_e32 v52, 0x8000
	v_cvt_f32_ubyte0_e32 v53, 0
	v_mov_b32_e32 v54, -1
	v_mov_b32_e32 v55, 0x5040100
	v_mov_b32_e32 v56, 0
	s_mov_b32 s85, 0
	s_mov_b32 s60, 0
	;; [unrolled: 1-line block ×3, first 2 shown]
	v_writelane_b32 v60, s5, 44
                                        ; implicit-def: $sgpr36_sgpr37
                                        ; implicit-def: $sgpr34_sgpr35
                                        ; implicit-def: $sgpr38_sgpr39
                                        ; implicit-def: $sgpr42_sgpr43
                                        ; implicit-def: $sgpr0_sgpr1
                                        ; implicit-def: $sgpr88_sgpr89
	v_writelane_b32 v60, s57, 45
	s_branch .LBB71_33
.LBB71_29:                              ;   in Loop: Header=BB71_33 Depth=1
	s_xor_b32 s85, s85, 1
	s_add_i32 s14, s80, -2
	s_cmp_eq_u32 s80, 0
	s_mov_b64 s[6:7], 0
	s_cselect_b64 s[10:11], -1, 0
	s_mov_b32 s80, s14
.LBB71_30:                              ;   in Loop: Header=BB71_33 Depth=1
	s_andn2_b64 s[14:15], s[20:21], exec
	s_and_b64 s[6:7], s[6:7], exec
	s_or_b64 s[20:21], s[14:15], s[6:7]
	s_andn2_b64 s[22:23], s[22:23], exec
	s_andn2_b64 s[18:19], s[18:19], exec
	s_orn2_b64 s[14:15], s[10:11], exec
.LBB71_31:                              ;   in Loop: Header=BB71_33 Depth=1
	s_or_b64 exec, exec, s[2:3]
	s_andn2_b64 s[2:3], s[88:89], exec
	s_and_b64 s[6:7], s[20:21], exec
	s_or_b64 s[88:89], s[2:3], s[6:7]
	s_andn2_b64 s[0:1], s[0:1], exec
	s_and_b64 s[2:3], s[22:23], exec
	s_or_b64 s[0:1], s[0:1], s[2:3]
	;; [unrolled: 3-line block ×3, first 2 shown]
	s_orn2_b64 s[18:19], s[14:15], exec
.LBB71_32:                              ;   in Loop: Header=BB71_33 Depth=1
	s_or_b64 exec, exec, s[12:13]
	s_and_b64 s[2:3], exec, s[18:19]
	s_or_b64 s[70:71], s[2:3], s[70:71]
	s_andn2_b64 s[2:3], s[38:39], exec
	s_and_b64 s[6:7], s[88:89], exec
	s_or_b64 s[38:39], s[2:3], s[6:7]
	s_andn2_b64 s[2:3], s[34:35], exec
	s_and_b64 s[6:7], s[0:1], exec
	;; [unrolled: 3-line block ×3, first 2 shown]
	v_mov_b32_e32 v2, s60
	s_or_b64 s[36:37], s[2:3], s[6:7]
	s_andn2_b64 exec, exec, s[70:71]
	s_cbranch_execz .LBB71_300
.LBB71_33:                              ; =>This Loop Header: Depth=1
                                        ;     Child Loop BB71_38 Depth 2
                                        ;     Child Loop BB71_57 Depth 2
	;; [unrolled: 1-line block ×16, first 2 shown]
	ds_read_b128 v[2:5], v13 offset:5120
	s_waitcnt lgkmcnt(0)
	v_readfirstlane_b32 s83, v3
	v_readfirstlane_b32 s82, v2
	v_cmp_gt_i64_e64 s[2:3], s[82:83], 0
	s_and_b64 vcc, exec, s[2:3]
	s_cbranch_vccnz .LBB71_64
; %bb.34:                               ;   in Loop: Header=BB71_33 Depth=1
	v_readlane_b32 s2, v60, 16
	v_readlane_b32 s3, v60, 17
	s_and_b64 vcc, exec, s[2:3]
	s_cbranch_vccz .LBB71_46
; %bb.35:                               ;   in Loop: Header=BB71_33 Depth=1
	s_mov_b64 s[2:3], 0x601
	v_cmp_gt_i64_e32 vcc, s[2:3], v[4:5]
	s_mov_b64 s[2:3], 0
	s_mov_b64 s[6:7], 0
	s_cbranch_vccz .LBB71_51
; %bb.36:                               ;   in Loop: Header=BB71_33 Depth=1
	global_load_ushort v6, v13, s[68:69]
	global_load_ushort v7, v[14:15], off
	v_readlane_b32 s6, v60, 31
	v_readlane_b32 s7, v60, 32
	v_pk_mov_b32 v[2:3], s[6:7], s[6:7] op_sel:[0,1]
	v_readlane_b32 s14, v60, 33
	v_readlane_b32 s15, v60, 34
	s_mov_b64 s[12:13], 0
	s_waitcnt vmcnt(1)
	v_readfirstlane_b32 s6, v6
	s_and_b32 s6, 0xffff, s6
	v_add_u32_e32 v5, s6, v0
	s_mul_i32 s10, s15, s6
	s_mul_hi_u32 s11, s14, s6
	s_mul_i32 s20, s14, s6
	v_mad_u64_u32 v[2:3], s[6:7], s14, v5, v[2:3]
	v_mov_b32_e32 v4, v3
	v_mad_u64_u32 v[4:5], s[6:7], s15, v5, v[4:5]
	s_add_i32 s21, s11, s10
	v_mov_b32_e32 v3, v4
	v_pk_mov_b32 v[4:5], v[0:1], v[0:1] op_sel:[0,1]
	s_branch .LBB71_38
.LBB71_37:                              ;   in Loop: Header=BB71_38 Depth=2
	s_or_b64 exec, exec, s[6:7]
	v_mov_b32_e32 v7, s21
	v_add_co_u32_e32 v2, vcc, s20, v2
	v_addc_co_u32_e32 v3, vcc, v3, v7, vcc
	v_mov_b32_e32 v7, v8
	s_andn2_b64 exec, exec, s[12:13]
	s_cbranch_execz .LBB71_47
.LBB71_38:                              ;   Parent Loop BB71_33 Depth=1
                                        ; =>  This Inner Loop Header: Depth=2
	v_add_co_u32_sdwa v4, vcc, v4, v6 dst_sel:DWORD dst_unused:UNUSED_PAD src0_sel:DWORD src1_sel:WORD_0
	v_addc_co_u32_e32 v5, vcc, 0, v5, vcc
	v_cmp_gt_i64_e64 s[6:7], s[52:53], v[4:5]
	v_cmp_le_i64_e32 vcc, s[52:53], v[4:5]
	s_waitcnt lgkmcnt(0)
	v_mov_b32_e32 v9, 0
	v_mov_b32_e32 v8, 0
	s_and_saveexec_b64 s[10:11], s[6:7]
	s_cbranch_execz .LBB71_40
; %bb.39:                               ;   in Loop: Header=BB71_38 Depth=2
	global_load_ushort v8, v[2:3], off
.LBB71_40:                              ;   in Loop: Header=BB71_38 Depth=2
	s_or_b64 exec, exec, s[10:11]
	s_waitcnt vmcnt(0)
	v_cmp_lt_i16_e64 s[6:7], -1, v7
	v_cndmask_b32_e64 v12, v51, v52, s[6:7]
	v_lshlrev_b32_e32 v28, 16, v7
	v_xor_b32_sdwa v12, v12, v7 dst_sel:DWORD dst_unused:UNUSED_PAD src0_sel:DWORD src1_sel:WORD_0
	v_cmp_o_f32_e64 s[6:7], v28, v28
	v_cndmask_b32_e64 v12, v51, v12, s[6:7]
	v_and_b32_e32 v12, s95, v12
	v_cmp_eq_u32_e64 s[10:11], s60, v12
	s_cmp_lg_u64 s[10:11], 0
	s_cselect_b64 s[6:7], -1, 0
	s_and_b64 s[6:7], s[4:5], s[6:7]
	s_and_saveexec_b64 s[14:15], s[6:7]
	s_cbranch_execz .LBB71_44
; %bb.41:                               ;   in Loop: Header=BB71_38 Depth=2
	s_mov_b64 s[18:19], exec
	v_mbcnt_lo_u32_b32 v9, s18, 0
	v_mbcnt_hi_u32_b32 v9, s19, v9
	s_bcnt1_i32_b64 s22, s[10:11]
	v_cmp_eq_u32_e64 s[6:7], 0, v9
                                        ; implicit-def: $vgpr12
	s_and_saveexec_b64 s[16:17], s[6:7]
	s_cbranch_execz .LBB71_43
; %bb.42:                               ;   in Loop: Header=BB71_38 Depth=2
	s_bcnt1_i32_b64 s6, s[18:19]
	s_mul_i32 s6, s22, s6
	v_mov_b32_e32 v12, s6
	ds_add_rtn_u32 v12, v13, v12 offset:5136
.LBB71_43:                              ;   in Loop: Header=BB71_38 Depth=2
	s_or_b64 exec, exec, s[16:17]
	s_waitcnt lgkmcnt(0)
	v_readfirstlane_b32 s6, v12
	v_mov_b32_e32 v12, s6
	v_mad_u32_u24 v9, s22, v9, v12
.LBB71_44:                              ;   in Loop: Header=BB71_38 Depth=2
	s_or_b64 exec, exec, s[14:15]
	ds_bpermute_b32 v9, v46, v9
	s_and_b64 s[6:7], exec, vcc
	s_or_b64 s[12:13], s[6:7], s[12:13]
	s_and_saveexec_b64 s[6:7], s[10:11]
	s_cbranch_execz .LBB71_37
; %bb.45:                               ;   in Loop: Header=BB71_38 Depth=2
	v_and_b32_e32 v28, s10, v18
	v_and_b32_e32 v12, s11, v19
	v_bcnt_u32_b32 v28, v28, 0
	v_bcnt_u32_b32 v12, v12, v28
	v_lshlrev_b32_e32 v12, 1, v12
	s_waitcnt lgkmcnt(0)
	v_lshl_add_u32 v9, v9, 1, v12
	ds_write_b16 v9, v7
	s_branch .LBB71_37
.LBB71_46:                              ;   in Loop: Header=BB71_33 Depth=1
	s_mov_b64 s[2:3], -1
	s_mov_b64 s[6:7], 0
	s_branch .LBB71_50
.LBB71_47:                              ;   in Loop: Header=BB71_33 Depth=1
	s_or_b64 exec, exec, s[12:13]
	s_waitcnt lgkmcnt(0)
	s_barrier
	s_mov_b64 s[6:7], exec
	v_readlane_b32 s10, v60, 12
	v_readlane_b32 s11, v60, 13
	s_and_b64 s[10:11], s[6:7], s[10:11]
	s_mov_b64 exec, s[10:11]
	s_cbranch_execz .LBB71_49
; %bb.48:                               ;   in Loop: Header=BB71_33 Depth=1
	ds_read_b32 v2, v13 offset:5136
	s_waitcnt lgkmcnt(0)
	v_ashrrev_i32_e32 v3, 31, v2
	ds_write_b64 v13, v[2:3] offset:5120
.LBB71_49:                              ;   in Loop: Header=BB71_33 Depth=1
	s_or_b64 exec, exec, s[6:7]
	s_waitcnt lgkmcnt(0)
	s_barrier
	s_mov_b64 s[6:7], -1
.LBB71_50:                              ;   in Loop: Header=BB71_33 Depth=1
                                        ; implicit-def: $sgpr82_sgpr83
.LBB71_51:                              ;   in Loop: Header=BB71_33 Depth=1
	s_and_b64 vcc, exec, s[2:3]
	s_cbranch_vccz .LBB71_62
; %bb.52:                               ;   in Loop: Header=BB71_33 Depth=1
	v_mov_b32_e32 v6, 0
	s_mov_b64 s[2:3], exec
	v_readlane_b32 s6, v60, 20
	v_readlane_b32 s7, v60, 21
	s_and_b64 s[6:7], s[2:3], s[6:7]
	s_mov_b64 exec, s[6:7]
	s_cbranch_execz .LBB71_54
; %bb.53:                               ;   in Loop: Header=BB71_33 Depth=1
	global_load_ushort v6, v[14:15], off
.LBB71_54:                              ;   in Loop: Header=BB71_33 Depth=1
	s_or_b64 exec, exec, s[2:3]
	s_mov_b64 s[2:3], exec
	v_readlane_b32 s6, v60, 20
	v_readlane_b32 s7, v60, 21
	s_and_b64 s[6:7], s[2:3], s[6:7]
	s_mov_b64 exec, s[6:7]
	s_cbranch_execz .LBB71_59
; %bb.55:                               ;   in Loop: Header=BB71_33 Depth=1
	global_load_ushort v7, v13, s[68:69]
	v_readlane_b32 s6, v60, 31
	v_readlane_b32 s7, v60, 32
	v_pk_mov_b32 v[2:3], s[6:7], s[6:7] op_sel:[0,1]
	v_readlane_b32 s16, v60, 33
	v_readlane_b32 s17, v60, 34
	s_mov_b64 s[10:11], 0
	v_mov_b32_e32 v8, v43
	s_waitcnt vmcnt(0)
	v_readfirstlane_b32 s6, v7
	s_and_b32 s6, 0xffff, s6
	v_add_u32_e32 v5, s6, v0
	s_lshl_b32 s14, s6, 1
	s_mul_i32 s12, s17, s6
	s_mul_hi_u32 s13, s16, s6
	s_mul_i32 s15, s16, s6
	v_mad_u64_u32 v[2:3], s[6:7], s16, v5, v[2:3]
	v_mov_b32_e32 v4, v3
	v_mad_u64_u32 v[4:5], s[6:7], s17, v5, v[4:5]
	s_add_i32 s16, s13, s12
	v_mov_b32_e32 v3, v4
	v_pk_mov_b32 v[4:5], v[0:1], v[0:1] op_sel:[0,1]
	s_branch .LBB71_57
.LBB71_56:                              ;   in Loop: Header=BB71_57 Depth=2
	s_or_b64 exec, exec, s[12:13]
	s_and_b64 s[6:7], exec, vcc
	ds_write_b16 v8, v6
	v_mov_b32_e32 v6, s16
	v_add_co_u32_e32 v2, vcc, s15, v2
	s_or_b64 s[10:11], s[6:7], s[10:11]
	v_add_u32_e32 v8, s14, v8
	v_addc_co_u32_e32 v3, vcc, v3, v6, vcc
	s_waitcnt vmcnt(0)
	v_mov_b32_e32 v6, v9
	s_andn2_b64 exec, exec, s[10:11]
	s_cbranch_execz .LBB71_59
.LBB71_57:                              ;   Parent Loop BB71_33 Depth=1
                                        ; =>  This Inner Loop Header: Depth=2
	v_add_co_u32_sdwa v4, vcc, v4, v7 dst_sel:DWORD dst_unused:UNUSED_PAD src0_sel:DWORD src1_sel:WORD_0
	v_addc_co_u32_e32 v5, vcc, 0, v5, vcc
	v_cmp_gt_i64_e64 s[6:7], s[52:53], v[4:5]
	v_cmp_le_i64_e32 vcc, s[52:53], v[4:5]
	v_mov_b32_e32 v9, 0
	s_and_saveexec_b64 s[12:13], s[6:7]
	s_cbranch_execz .LBB71_56
; %bb.58:                               ;   in Loop: Header=BB71_57 Depth=2
	global_load_ushort v9, v[2:3], off
	s_branch .LBB71_56
.LBB71_59:                              ;   in Loop: Header=BB71_33 Depth=1
	s_or_b64 exec, exec, s[2:3]
	s_waitcnt lgkmcnt(0)
	s_barrier
	s_mov_b64 s[2:3], exec
	v_readlane_b32 s6, v60, 12
	v_readlane_b32 s7, v60, 13
	s_and_b64 s[6:7], s[2:3], s[6:7]
	s_mov_b64 exec, s[6:7]
	s_cbranch_execz .LBB71_61
; %bb.60:                               ;   in Loop: Header=BB71_33 Depth=1
	v_pk_mov_b32 v[2:3], s[52:53], s[52:53] op_sel:[0,1]
	ds_write_b64 v13, v[2:3] offset:5120
.LBB71_61:                              ;   in Loop: Header=BB71_33 Depth=1
	s_or_b64 exec, exec, s[2:3]
	s_mov_b64 s[6:7], -1
	s_waitcnt lgkmcnt(0)
	s_barrier
                                        ; implicit-def: $sgpr82_sgpr83
.LBB71_62:                              ;   in Loop: Header=BB71_33 Depth=1
	s_and_b64 vcc, exec, s[6:7]
	s_cbranch_vccz .LBB71_64
; %bb.63:                               ;   in Loop: Header=BB71_33 Depth=1
	ds_read_b64 v[2:3], v13 offset:5120
	s_waitcnt lgkmcnt(0)
	v_readfirstlane_b32 s82, v2
.LBB71_64:                              ;   in Loop: Header=BB71_33 Depth=1
	s_cmp_lt_i32 s82, 1
	s_cbranch_scc0 .LBB71_79
; %bb.65:                               ;   in Loop: Header=BB71_33 Depth=1
	global_load_ushort v2, v13, s[68:69]
	s_mov_b32 s2, s77
	s_waitcnt vmcnt(0)
	v_readfirstlane_b32 s3, v2
	s_and_b32 s61, s3, 0xffff
	s_lshl_b32 s76, s61, 2
	s_mov_b32 s3, s53
	s_cmp_lg_u64 s[2:3], 0
	s_cbranch_scc0 .LBB71_99
; %bb.66:                               ;   in Loop: Header=BB71_33 Depth=1
	v_cvt_f32_u32_e32 v2, s76
	s_sub_u32 s2, 0, s76
	s_subb_u32 s3, 0, 0
	v_mac_f32_e32 v2, 0x4f800000, v53
	v_rcp_f32_e32 v2, v2
	v_mul_f32_e32 v2, 0x5f7ffffc, v2
	v_mul_f32_e32 v3, 0x2f800000, v2
	v_trunc_f32_e32 v3, v3
	v_mac_f32_e32 v2, 0xcf800000, v3
	v_cvt_u32_f32_e32 v3, v3
	v_cvt_u32_f32_e32 v2, v2
	v_readfirstlane_b32 s6, v3
	v_readfirstlane_b32 s7, v2
	s_mul_i32 s10, s2, s6
	s_mul_hi_u32 s12, s2, s7
	s_mul_i32 s11, s3, s7
	s_add_i32 s10, s12, s10
	s_mul_i32 s13, s2, s7
	s_add_i32 s10, s10, s11
	s_mul_hi_u32 s12, s7, s13
	s_mul_hi_u32 s11, s7, s10
	s_mul_i32 s7, s7, s10
	s_add_u32 s7, s12, s7
	s_addc_u32 s11, 0, s11
	s_mul_hi_u32 s14, s6, s13
	s_mul_i32 s13, s6, s13
	s_add_u32 s7, s7, s13
	s_mul_hi_u32 s12, s6, s10
	s_addc_u32 s7, s11, s14
	s_addc_u32 s11, s12, 0
	s_mul_i32 s10, s6, s10
	s_add_u32 s7, s7, s10
	s_addc_u32 s10, 0, s11
	v_add_co_u32_e32 v2, vcc, s7, v2
	s_cmp_lg_u64 vcc, 0
	s_addc_u32 s6, s6, s10
	v_readfirstlane_b32 s10, v2
	s_mul_i32 s7, s2, s6
	s_mul_hi_u32 s11, s2, s10
	s_add_i32 s7, s11, s7
	s_mul_i32 s3, s3, s10
	s_add_i32 s7, s7, s3
	s_mul_i32 s2, s2, s10
	s_mul_hi_u32 s11, s6, s2
	s_mul_i32 s12, s6, s2
	s_mul_i32 s14, s10, s7
	s_mul_hi_u32 s2, s10, s2
	s_mul_hi_u32 s13, s10, s7
	s_add_u32 s2, s2, s14
	s_addc_u32 s10, 0, s13
	s_add_u32 s2, s2, s12
	s_mul_hi_u32 s3, s6, s7
	s_addc_u32 s2, s10, s11
	s_addc_u32 s3, s3, 0
	s_mul_i32 s7, s6, s7
	s_add_u32 s2, s2, s7
	s_addc_u32 s3, 0, s3
	v_add_co_u32_e32 v2, vcc, s2, v2
	s_cmp_lg_u64 vcc, 0
	s_addc_u32 s10, s6, s3
	s_ashr_i32 s2, s53, 31
	s_add_u32 s6, s52, s2
	s_mov_b32 s3, s2
	s_addc_u32 s7, s53, s2
	s_xor_b64 s[6:7], s[6:7], s[2:3]
	v_readfirstlane_b32 s12, v2
	s_mul_i32 s11, s6, s10
	s_mul_hi_u32 s13, s6, s12
	s_mul_hi_u32 s3, s6, s10
	s_add_u32 s11, s13, s11
	s_addc_u32 s3, 0, s3
	s_mul_hi_u32 s14, s7, s12
	s_mul_i32 s12, s7, s12
	s_add_u32 s11, s11, s12
	s_mul_hi_u32 s13, s7, s10
	s_addc_u32 s3, s3, s14
	s_addc_u32 s11, s13, 0
	s_mul_i32 s10, s7, s10
	s_add_u32 s3, s3, s10
	s_addc_u32 s10, 0, s11
	s_mul_hi_u32 s11, s76, s3
	s_mul_i32 s3, s76, s3
	s_mul_i32 s10, s76, s10
	v_mov_b32_e32 v2, s3
	s_add_i32 s11, s11, s10
	v_sub_co_u32_e32 v2, vcc, s6, v2
	s_cmp_lg_u64 vcc, 0
	s_subb_u32 s3, s7, s11
	v_subrev_co_u32_e32 v3, vcc, s76, v2
	s_cmp_lg_u64 vcc, 0
	s_subb_u32 s6, s3, 0
	v_subrev_co_u32_e32 v4, vcc, s76, v3
	s_cmp_lg_u64 vcc, 0
	s_subb_u32 s7, s6, 0
	v_cmp_le_u32_e32 vcc, s76, v3
	s_cmp_eq_u32 s6, 0
	v_cndmask_b32_e64 v5, 0, -1, vcc
	s_cselect_b64 vcc, -1, 0
	v_cndmask_b32_e32 v5, -1, v5, vcc
	v_mov_b32_e32 v6, s6
	v_mov_b32_e32 v7, s7
	v_cmp_ne_u32_e32 vcc, 0, v5
	v_cndmask_b32_e32 v5, v6, v7, vcc
	v_cndmask_b32_e32 v3, v3, v4, vcc
	v_cmp_le_u32_e32 vcc, s76, v2
	s_cmp_eq_u32 s3, 0
	v_cndmask_b32_e64 v4, 0, -1, vcc
	s_cselect_b64 vcc, -1, 0
	v_cndmask_b32_e32 v4, -1, v4, vcc
	v_cmp_ne_u32_e32 vcc, 0, v4
	v_mov_b32_e32 v6, s3
	v_cndmask_b32_e32 v2, v2, v3, vcc
	v_cndmask_b32_e32 v4, v6, v5, vcc
	v_xor_b32_e32 v2, s2, v2
	v_xor_b32_e32 v3, s2, v4
	v_mov_b32_e32 v4, s2
	v_subrev_co_u32_e32 v28, vcc, s2, v2
	v_subb_co_u32_e32 v29, vcc, v3, v4, vcc
	s_cbranch_execnz .LBB71_68
.LBB71_67:                              ;   in Loop: Header=BB71_33 Depth=1
	v_cvt_f32_u32_e32 v2, s76
	s_sub_i32 s2, 0, s76
	v_rcp_iflag_f32_e32 v2, v2
	v_mul_f32_e32 v2, 0x4f7ffffe, v2
	v_cvt_u32_f32_e32 v2, v2
	v_mul_lo_u32 v3, s2, v2
	v_mul_hi_u32 v3, v2, v3
	v_add_u32_e32 v2, v2, v3
	v_mul_hi_u32 v2, s52, v2
	v_mul_lo_u32 v2, v2, s76
	v_sub_u32_e32 v2, s52, v2
	v_subrev_u32_e32 v3, s76, v2
	v_cmp_le_u32_e32 vcc, s76, v2
	v_cndmask_b32_e32 v2, v2, v3, vcc
	v_subrev_u32_e32 v3, s76, v2
	v_cmp_le_u32_e32 vcc, s76, v2
	v_cndmask_b32_e32 v12, v2, v3, vcc
	v_pk_mov_b32 v[28:29], v[12:13], v[12:13] op_sel:[0,1]
.LBB71_68:                              ;   in Loop: Header=BB71_33 Depth=1
	v_mov_b32_e32 v2, s53
	v_sub_co_u32_e32 v30, vcc, s52, v28
	v_subb_co_u32_e32 v31, vcc, v2, v29, vcc
	v_pk_mov_b32 v[2:3], 0, 0
	v_cmp_gt_i64_e32 vcc, v[30:31], v[16:17]
	s_mov_b64 s[92:93], 0
	v_pk_mov_b32 v[4:5], v[2:3], v[2:3] op_sel:[0,1]
	v_pk_mov_b32 v[6:7], v[2:3], v[2:3] op_sel:[0,1]
	;; [unrolled: 1-line block ×3, first 2 shown]
	s_and_saveexec_b64 s[2:3], vcc
	s_cbranch_execz .LBB71_72
; %bb.69:                               ;   in Loop: Header=BB71_33 Depth=1
	v_readlane_b32 s10, v60, 35
	v_readlane_b32 s11, v60, 36
	s_mul_i32 s6, s11, s61
	s_mul_hi_u32 s7, s10, s61
	s_mov_b64 s[4:5], s[34:35]
	s_mov_b64 s[56:57], s[38:39]
	s_mov_b64 s[64:65], s[36:37]
	s_mov_b64 s[72:73], s[0:1]
	s_mov_b64 s[8:9], s[42:43]
	s_mov_b32 s1, s87
	s_mov_b32 s91, s80
	s_and_b32 s83, s80, 0xfe
	s_add_i32 s66, s7, s6
	s_mul_i32 s67, s10, s61
	v_pk_mov_b32 v[32:33], v[26:27], v[26:27] op_sel:[0,1]
	v_pk_mov_b32 v[34:35], v[24:25], v[24:25] op_sel:[0,1]
	;; [unrolled: 1-line block ×4, first 2 shown]
	s_mov_b64 s[26:27], 0
	s_mov_b64 s[68:69], 0
	s_mov_b64 s[80:81], 0
	s_mov_b64 s[86:87], 0
	v_pk_mov_b32 v[40:41], v[16:17], v[16:17] op_sel:[0,1]
.LBB71_70:                              ;   Parent Loop BB71_33 Depth=1
                                        ; =>  This Inner Loop Header: Depth=2
	v_mov_b32_e32 v7, s79
	v_add_co_u32_e32 v2, vcc, s78, v34
	v_add_co_u32_e64 v8, s[18:19], s78, v32
	v_add_co_u32_e64 v4, s[10:11], s78, v36
	;; [unrolled: 1-line block ×3, first 2 shown]
	v_addc_co_u32_e64 v9, s[18:19], v33, v7, s[18:19]
	v_addc_co_u32_e32 v3, vcc, v35, v7, vcc
	v_addc_co_u32_e64 v5, vcc, v37, v7, s[10:11]
	v_addc_co_u32_e64 v7, vcc, v39, v7, s[12:13]
	global_load_ushort v8, v[8:9], off
	s_nop 0
	global_load_ushort v2, v[2:3], off
	s_nop 0
	;; [unrolled: 2-line block ×3, first 2 shown]
	global_load_ushort v4, v[6:7], off
	v_mov_b32_e32 v12, s66
	v_add_co_u32_e64 v38, s[6:7], s67, v38
	v_add_co_u32_e64 v36, s[14:15], s67, v36
	;; [unrolled: 1-line block ×4, first 2 shown]
	v_addc_co_u32_e64 v39, vcc, v39, v12, s[6:7]
	v_addc_co_u32_e64 v37, vcc, v37, v12, s[14:15]
	;; [unrolled: 1-line block ×4, first 2 shown]
	v_add_co_u32_e64 v40, s[22:23], s76, v40
	v_addc_co_u32_e64 v41, s[22:23], 0, v41, s[22:23]
	v_cmp_ge_i64_e32 vcc, v[40:41], v[30:31]
	s_waitcnt vmcnt(3)
	v_cmp_lt_i16_e64 s[6:7], -1, v8
	v_cndmask_b32_e64 v12, v51, v52, s[6:7]
	s_waitcnt vmcnt(2)
	v_cmp_lt_i16_e64 s[6:7], -1, v2
	v_cndmask_b32_e64 v57, v51, v52, s[6:7]
	s_waitcnt vmcnt(1)
	v_cmp_lt_i16_e64 s[6:7], -1, v3
	v_lshlrev_b32_e32 v5, 16, v8
	v_lshlrev_b32_e32 v6, 16, v2
	v_cndmask_b32_e64 v58, v51, v52, s[6:7]
	s_waitcnt vmcnt(0)
	v_cmp_lt_i16_e64 s[6:7], -1, v4
	v_cndmask_b32_e64 v59, v51, v52, s[6:7]
	v_cmp_o_f32_e64 s[6:7], v6, v6
	v_xor_b32_sdwa v6, v12, v8 dst_sel:DWORD dst_unused:UNUSED_PAD src0_sel:DWORD src1_sel:WORD_0
	v_cmp_o_f32_e64 s[14:15], v5, v5
	v_lshlrev_b32_e32 v7, 16, v3
	v_xor_b32_sdwa v2, v57, v2 dst_sel:DWORD dst_unused:UNUSED_PAD src0_sel:DWORD src1_sel:WORD_0
	v_cndmask_b32_e64 v5, v51, v6, s[14:15]
	v_lshlrev_b32_e32 v9, 16, v4
	v_xor_b32_sdwa v3, v58, v3 dst_sel:DWORD dst_unused:UNUSED_PAD src0_sel:DWORD src1_sel:WORD_0
	v_cmp_o_f32_e64 s[10:11], v7, v7
	v_cndmask_b32_e64 v2, v51, v2, s[6:7]
	v_and_b32_e32 v6, s95, v5
	v_bfe_u32 v5, v5, s83, 2
	v_xor_b32_sdwa v4, v59, v4 dst_sel:DWORD dst_unused:UNUSED_PAD src0_sel:DWORD src1_sel:WORD_0
	v_cmp_o_f32_e64 s[12:13], v9, v9
	v_cndmask_b32_e64 v3, v51, v3, s[10:11]
	v_and_b32_e32 v7, s95, v2
	v_bfe_u32 v2, v2, s83, 2
	v_cmp_eq_u32_e64 s[16:17], s60, v6
	v_cmp_eq_u32_e64 s[6:7], 0, v5
	v_cndmask_b32_e64 v4, v51, v4, s[12:13]
	v_and_b32_e32 v8, s95, v3
	v_bfe_u32 v3, v3, s83, 2
	v_cmp_eq_u32_e64 s[14:15], s60, v7
	v_cmp_eq_u32_e64 s[28:29], 0, v2
	s_and_b64 s[6:7], s[16:17], s[6:7]
	v_and_b32_e32 v9, s95, v4
	v_bfe_u32 v4, v4, s83, 2
	v_cmp_eq_u32_e64 s[12:13], s60, v8
	v_cmp_eq_u32_e64 s[30:31], 0, v3
	;; [unrolled: 1-line block ×5, first 2 shown]
	v_cndmask_b32_e64 v2, 0, 1, s[6:7]
	s_and_b64 s[6:7], s[14:15], s[28:29]
	v_cmp_eq_u32_e64 s[10:11], s60, v9
	v_cmp_eq_u32_e64 s[34:35], 0, v4
	;; [unrolled: 1-line block ×5, first 2 shown]
	v_cndmask_b32_e64 v3, 0, 1, s[6:7]
	s_and_b64 s[6:7], s[12:13], s[30:31]
	v_cmp_eq_u32_e64 s[42:43], 1, v4
	v_cmp_eq_u32_e64 s[50:51], 2, v4
	;; [unrolled: 1-line block ×3, first 2 shown]
	v_cndmask_b32_e64 v4, 0, 1, s[6:7]
	s_and_b64 s[6:7], s[10:11], s[34:35]
	v_cmp_eq_u32_e64 s[36:37], 1, v5
	v_cmp_eq_u32_e64 s[44:45], 2, v5
	;; [unrolled: 1-line block ×3, first 2 shown]
	v_cndmask_b32_e64 v5, 0, 1, s[6:7]
	v_cmp_ne_u32_e64 s[6:7], 0, v2
	v_cmp_ne_u32_e64 s[28:29], 0, v3
	v_cmp_ne_u32_e64 s[30:31], 0, v4
	v_cmp_ne_u32_e64 s[34:35], 0, v5
	s_bcnt1_i32_b64 s6, s[6:7]
	s_bcnt1_i32_b64 s7, s[28:29]
	s_bcnt1_i32_b64 s28, s[30:31]
	s_bcnt1_i32_b64 s29, s[34:35]
	s_add_u32 s6, s6, s86
	s_addc_u32 s30, 0, s87
	s_add_u32 s6, s6, s7
	s_addc_u32 s7, s30, 0
	s_add_u32 s6, s6, s28
	s_addc_u32 s7, s7, 0
	s_add_u32 s86, s6, s29
	s_addc_u32 s87, s7, 0
	s_and_b64 s[6:7], s[16:17], s[36:37]
	v_cndmask_b32_e64 v4, 0, 1, s[6:7]
	s_and_b64 s[6:7], s[14:15], s[38:39]
	v_cndmask_b32_e64 v5, 0, 1, s[6:7]
	s_and_b64 s[6:7], s[12:13], s[40:41]
	v_cndmask_b32_e64 v6, 0, 1, s[6:7]
	s_and_b64 s[6:7], s[10:11], s[42:43]
	v_cndmask_b32_e64 v7, 0, 1, s[6:7]
	v_cmp_ne_u32_e64 s[6:7], 0, v4
	v_cmp_ne_u32_e64 s[28:29], 0, v5
	v_cmp_ne_u32_e64 s[30:31], 0, v6
	v_cmp_ne_u32_e64 s[34:35], 0, v7
	s_bcnt1_i32_b64 s6, s[6:7]
	s_bcnt1_i32_b64 s7, s[28:29]
	s_bcnt1_i32_b64 s28, s[30:31]
	s_bcnt1_i32_b64 s29, s[34:35]
	s_add_u32 s6, s6, s80
	s_addc_u32 s30, 0, s81
	s_add_u32 s6, s6, s7
	s_addc_u32 s7, s30, 0
	s_add_u32 s6, s6, s28
	s_addc_u32 s7, s7, 0
	s_add_u32 s80, s6, s29
	s_addc_u32 s81, s7, 0
	s_and_b64 s[6:7], s[16:17], s[44:45]
	v_cndmask_b32_e64 v6, 0, 1, s[6:7]
	s_and_b64 s[6:7], s[14:15], s[46:47]
	v_cndmask_b32_e64 v7, 0, 1, s[6:7]
	s_and_b64 s[6:7], s[12:13], s[48:49]
	v_cndmask_b32_e64 v8, 0, 1, s[6:7]
	s_and_b64 s[6:7], s[10:11], s[50:51]
	v_cndmask_b32_e64 v9, 0, 1, s[6:7]
	v_cmp_ne_u32_e64 s[6:7], 0, v6
	v_cmp_ne_u32_e64 s[28:29], 0, v7
	v_cmp_ne_u32_e64 s[30:31], 0, v8
	v_cmp_ne_u32_e64 s[34:35], 0, v9
	s_bcnt1_i32_b64 s6, s[6:7]
	s_bcnt1_i32_b64 s7, s[28:29]
	s_bcnt1_i32_b64 s28, s[30:31]
	s_bcnt1_i32_b64 s29, s[34:35]
	s_add_u32 s6, s6, s68
	s_addc_u32 s30, 0, s69
	s_add_u32 s6, s6, s7
	s_addc_u32 s7, s30, 0
	s_add_u32 s6, s6, s28
	s_addc_u32 s7, s7, 0
	s_add_u32 s68, s6, s29
	s_addc_u32 s69, s7, 0
	s_and_b64 s[6:7], s[16:17], s[24:25]
	v_cndmask_b32_e64 v8, 0, 1, s[6:7]
	s_and_b64 s[6:7], s[14:15], s[22:23]
	v_cndmask_b32_e64 v9, 0, 1, s[6:7]
	s_and_b64 s[6:7], s[12:13], s[20:21]
	v_cndmask_b32_e64 v12, 0, 1, s[6:7]
	s_and_b64 s[6:7], s[10:11], s[18:19]
	v_cndmask_b32_e64 v57, 0, 1, s[6:7]
	v_cmp_ne_u32_e64 s[6:7], 0, v8
	v_cmp_ne_u32_e64 s[10:11], 0, v9
	;; [unrolled: 1-line block ×4, first 2 shown]
	s_bcnt1_i32_b64 s6, s[6:7]
	s_bcnt1_i32_b64 s7, s[10:11]
	;; [unrolled: 1-line block ×4, first 2 shown]
	s_add_u32 s6, s6, s26
	s_addc_u32 s12, 0, s27
	s_add_u32 s6, s6, s7
	s_addc_u32 s7, s12, 0
	;; [unrolled: 2-line block ×4, first 2 shown]
	v_pk_mov_b32 v[2:3], s[86:87], s[86:87] op_sel:[0,1]
	v_pk_mov_b32 v[4:5], s[80:81], s[80:81] op_sel:[0,1]
	v_pk_mov_b32 v[6:7], s[68:69], s[68:69] op_sel:[0,1]
	s_or_b64 s[92:93], vcc, s[92:93]
	v_pk_mov_b32 v[8:9], s[26:27], s[26:27] op_sel:[0,1]
	s_andn2_b64 exec, exec, s[92:93]
	s_cbranch_execnz .LBB71_70
; %bb.71:                               ;   in Loop: Header=BB71_33 Depth=1
	s_or_b64 exec, exec, s[92:93]
	v_readlane_b32 s48, v60, 37
	v_readlane_b32 s50, v60, 39
	;; [unrolled: 1-line block ×3, first 2 shown]
	s_mov_b64 s[34:35], s[4:5]
	v_readlane_b32 s4, v60, 43
	v_readlane_b32 s49, v60, 38
	;; [unrolled: 1-line block ×4, first 2 shown]
	s_movk_i32 s66, 0x3f80
	s_mov_b32 s80, s91
	s_mov_b32 s87, s1
	s_mov_b64 s[42:43], s[8:9]
	s_mov_b64 s[0:1], s[72:73]
	;; [unrolled: 1-line block ×4, first 2 shown]
	v_readlane_b32 s5, v60, 44
	v_readlane_b32 s57, v60, 45
.LBB71_72:                              ;   in Loop: Header=BB71_33 Depth=1
	s_or_b64 exec, exec, s[2:3]
	v_add_co_u32_e32 v30, vcc, v30, v0
	v_addc_co_u32_e32 v31, vcc, 0, v31, vcc
	v_cmp_gt_i64_e32 vcc, s[52:53], v[30:31]
	v_mov_b32_e32 v12, 0
	s_and_saveexec_b64 s[2:3], vcc
	s_cbranch_execz .LBB71_74
; %bb.73:                               ;   in Loop: Header=BB71_33 Depth=1
	v_mul_lo_u32 v12, v31, s58
	v_mul_lo_u32 v34, v30, s59
	v_mad_u64_u32 v[32:33], s[6:7], v30, s58, 0
	v_add3_u32 v33, v33, v34, v12
	v_readlane_b32 s6, v60, 18
	v_lshlrev_b64 v[32:33], 1, v[32:33]
	v_mov_b32_e32 v12, s6
	v_readlane_b32 s6, v60, 19
	v_add_co_u32_e64 v32, s[6:7], s6, v32
	v_addc_co_u32_e64 v33, s[6:7], v12, v33, s[6:7]
	global_load_ushort v12, v[32:33], off
.LBB71_74:                              ;   in Loop: Header=BB71_33 Depth=1
	s_or_b64 exec, exec, s[2:3]
	s_and_saveexec_b64 s[2:3], vcc
	s_cbranch_execz .LBB71_81
; %bb.75:                               ;   in Loop: Header=BB71_33 Depth=1
	v_mov_b32_e32 v32, s77
	v_add_co_u32_e32 v33, vcc, s61, v48
	v_addc_co_u32_e32 v32, vcc, v49, v32, vcc
	v_sub_co_u32_e32 v33, vcc, v33, v28
	v_readlane_b32 s6, v60, 31
	v_subb_co_u32_e32 v28, vcc, v32, v29, vcc
	v_readlane_b32 s10, v60, 33
	v_readlane_b32 s7, v60, 32
	v_mul_lo_u32 v32, s10, v28
	v_pk_mov_b32 v[28:29], s[6:7], s[6:7] op_sel:[0,1]
	v_readlane_b32 s11, v60, 34
	v_mad_u64_u32 v[28:29], s[6:7], s10, v33, v[28:29]
	v_mul_lo_u32 v34, s11, v33
	s_mul_i32 s6, s11, s61
	s_mul_hi_u32 s7, s10, s61
	s_and_b32 s14, s80, 0xfe
	v_add3_u32 v29, v34, v29, v32
	s_add_i32 s15, s7, s6
	s_mul_i32 s16, s10, s61
	s_mov_b64 s[10:11], 0
	s_branch .LBB71_77
.LBB71_76:                              ;   in Loop: Header=BB71_77 Depth=2
	s_or_b64 exec, exec, s[12:13]
	s_and_b64 s[6:7], exec, vcc
	s_waitcnt vmcnt(0)
	v_cmp_lt_i16_e32 vcc, -1, v12
	v_cndmask_b32_e32 v33, v51, v52, vcc
	v_lshlrev_b32_e32 v34, 16, v12
	v_xor_b32_sdwa v12, v33, v12 dst_sel:DWORD dst_unused:UNUSED_PAD src0_sel:DWORD src1_sel:WORD_0
	v_cmp_o_f32_e32 vcc, v34, v34
	v_cndmask_b32_e32 v12, v51, v12, vcc
	v_and_b32_e32 v33, s95, v12
	v_bfe_u32 v12, v12, s14, 2
	s_or_b64 s[10:11], s[6:7], s[10:11]
	v_cmp_eq_u32_e32 vcc, s60, v33
	v_cmp_eq_u32_e64 s[6:7], 0, v12
	s_and_b64 s[6:7], vcc, s[6:7]
	v_cndmask_b32_e64 v33, 0, 1, s[6:7]
	v_cmp_ne_u32_e64 s[6:7], 0, v33
	s_bcnt1_i32_b64 s6, s[6:7]
	v_add_co_u32_e64 v2, s[6:7], s6, v2
	v_addc_co_u32_e64 v3, s[6:7], 0, v3, s[6:7]
	v_cmp_eq_u32_e64 s[6:7], 1, v12
	s_and_b64 s[6:7], vcc, s[6:7]
	v_cndmask_b32_e64 v33, 0, 1, s[6:7]
	v_cmp_ne_u32_e64 s[6:7], 0, v33
	s_bcnt1_i32_b64 s6, s[6:7]
	v_add_co_u32_e64 v4, s[6:7], s6, v4
	v_addc_co_u32_e64 v5, s[6:7], 0, v5, s[6:7]
	;; [unrolled: 7-line block ×3, first 2 shown]
	v_cmp_eq_u32_e64 s[6:7], 3, v12
	s_and_b64 s[6:7], vcc, s[6:7]
	v_cndmask_b32_e64 v12, 0, 1, s[6:7]
	v_cmp_ne_u32_e32 vcc, 0, v12
	s_bcnt1_i32_b64 s6, vcc
	v_add_co_u32_e32 v8, vcc, s6, v8
	v_addc_co_u32_e32 v9, vcc, 0, v9, vcc
	v_mov_b32_e32 v12, s15
	v_add_co_u32_e32 v28, vcc, s16, v28
	v_addc_co_u32_e32 v29, vcc, v29, v12, vcc
	v_mov_b32_e32 v12, v32
	s_andn2_b64 exec, exec, s[10:11]
	s_cbranch_execz .LBB71_80
.LBB71_77:                              ;   Parent Loop BB71_33 Depth=1
                                        ; =>  This Inner Loop Header: Depth=2
	v_mov_b32_e32 v32, s77
	v_add_co_u32_e32 v30, vcc, s61, v30
	v_addc_co_u32_e32 v31, vcc, v31, v32, vcc
	v_cmp_gt_i64_e64 s[6:7], s[52:53], v[30:31]
	v_cmp_le_i64_e32 vcc, s[52:53], v[30:31]
	v_mov_b32_e32 v32, 0
	s_and_saveexec_b64 s[12:13], s[6:7]
	s_cbranch_execz .LBB71_76
; %bb.78:                               ;   in Loop: Header=BB71_77 Depth=2
	global_load_ushort v32, v[28:29], off
	s_branch .LBB71_76
.LBB71_79:                              ;   in Loop: Header=BB71_33 Depth=1
                                        ; implicit-def: $vgpr8_vgpr9
                                        ; implicit-def: $vgpr4_vgpr5
	s_cbranch_execnz .LBB71_82
	s_branch .LBB71_91
.LBB71_80:                              ;   in Loop: Header=BB71_33 Depth=1
	s_or_b64 exec, exec, s[10:11]
.LBB71_81:                              ;   in Loop: Header=BB71_33 Depth=1
	s_or_b64 exec, exec, s[2:3]
	s_branch .LBB71_91
.LBB71_82:                              ;   in Loop: Header=BB71_33 Depth=1
	global_load_ushort v8, v13, s[68:69]
	s_waitcnt vmcnt(0)
	v_readfirstlane_b32 s2, v8
	s_and_b32 s2, 0xffff, s2
	s_lshl_b32 s61, s2, 2
	v_cvt_f32_u32_e32 v2, s61
	s_sub_i32 s6, 0, s61
	s_mov_b64 s[2:3], 0
	v_and_b32_e32 v30, 0xffff, v8
	v_rcp_iflag_f32_e32 v6, v2
	v_pk_mov_b32 v[2:3], 0, 0
	v_pk_mov_b32 v[4:5], v[2:3], v[2:3] op_sel:[0,1]
	v_mul_f32_e32 v6, 0x4f7ffffe, v6
	v_cvt_u32_f32_e32 v9, v6
	v_pk_mov_b32 v[6:7], v[2:3], v[2:3] op_sel:[0,1]
	v_readfirstlane_b32 s7, v9
	s_mul_i32 s6, s6, s7
	s_mul_hi_u32 s6, s7, s6
	s_add_i32 s7, s7, s6
	s_mul_hi_u32 s6, s82, s7
	s_mul_i32 s6, s6, s61
	s_sub_i32 s6, s82, s6
	s_sub_i32 s7, s6, s61
	s_cmp_ge_u32 s6, s61
	s_cselect_b32 s6, s7, s6
	s_sub_i32 s7, s6, s61
	s_cmp_ge_u32 s6, s61
	s_cselect_b32 s6, s7, s6
	s_sub_i32 s76, s82, s6
	v_cmp_gt_u32_e32 vcc, s76, v16
	v_pk_mov_b32 v[8:9], v[2:3], v[2:3] op_sel:[0,1]
	s_and_saveexec_b64 s[26:27], vcc
	s_cbranch_execz .LBB71_86
; %bb.83:                               ;   in Loop: Header=BB71_33 Depth=1
	s_mov_b64 s[56:57], s[88:89]
	s_mov_b64 s[4:5], s[34:35]
	s_mov_b64 s[88:89], s[38:39]
	s_mov_b64 s[64:65], s[36:37]
	s_mov_b64 s[72:73], s[0:1]
	s_mov_b64 s[8:9], s[42:43]
	s_mov_b32 s1, s87
	s_mov_b32 s83, s80
	s_and_b32 s66, s80, 0xfe
	v_lshlrev_b32_e32 v12, 3, v30
	v_mov_b32_e32 v31, v47
	s_mov_b64 s[68:69], 0
	s_mov_b64 s[80:81], 0
	;; [unrolled: 1-line block ×4, first 2 shown]
	v_pk_mov_b32 v[28:29], v[16:17], v[16:17] op_sel:[0,1]
.LBB71_84:                              ;   Parent Loop BB71_33 Depth=1
                                        ; =>  This Inner Loop Header: Depth=2
	ds_read_b64 v[2:3], v31
	v_add_co_u32_e32 v28, vcc, s61, v28
	v_addc_co_u32_e32 v29, vcc, 0, v29, vcc
	s_waitcnt lgkmcnt(0)
	v_cmp_lt_i16_e64 s[6:7], -1, v2
	v_cndmask_b32_e64 v8, v51, v52, s[6:7]
	v_cmp_gt_i16_sdwa s[6:7], v2, v54 src0_sel:WORD_1 src1_sel:DWORD
	v_lshlrev_b32_e32 v4, 16, v2
	v_cndmask_b32_e64 v9, v51, v52, s[6:7]
	v_cmp_lt_i16_e64 s[6:7], -1, v3
	v_and_b32_e32 v5, 0xffff0000, v2
	v_cndmask_b32_e64 v32, v51, v52, s[6:7]
	v_cmp_gt_i16_sdwa s[6:7], v3, v54 src0_sel:WORD_1 src1_sel:DWORD
	v_xor_b32_sdwa v9, v9, v2 dst_sel:DWORD dst_unused:UNUSED_PAD src0_sel:DWORD src1_sel:WORD_1
	v_xor_b32_sdwa v2, v8, v2 dst_sel:DWORD dst_unused:UNUSED_PAD src0_sel:DWORD src1_sel:WORD_0
	v_cmp_o_f32_e64 s[14:15], v4, v4
	v_lshlrev_b32_e32 v6, 16, v3
	v_cndmask_b32_e64 v33, v51, v52, s[6:7]
	v_cmp_o_f32_e64 s[6:7], v5, v5
	v_cndmask_b32_e64 v2, v51, v2, s[14:15]
	v_and_b32_e32 v7, 0xffff0000, v3
	v_xor_b32_sdwa v5, v32, v3 dst_sel:DWORD dst_unused:UNUSED_PAD src0_sel:DWORD src1_sel:WORD_0
	v_cmp_o_f32_e64 s[10:11], v6, v6
	v_cndmask_b32_e64 v4, v51, v9, s[6:7]
	v_and_b32_e32 v6, s95, v2
	v_bfe_u32 v2, v2, s66, 2
	v_xor_b32_sdwa v3, v33, v3 dst_sel:DWORD dst_unused:UNUSED_PAD src0_sel:DWORD src1_sel:WORD_1
	v_cmp_o_f32_e64 s[12:13], v7, v7
	v_cndmask_b32_e64 v5, v51, v5, s[10:11]
	v_and_b32_e32 v7, s95, v4
	v_bfe_u32 v4, v4, s66, 2
	v_cmp_eq_u32_e64 s[16:17], s60, v6
	v_cmp_eq_u32_e64 s[6:7], 0, v2
	v_cndmask_b32_e64 v3, v51, v3, s[12:13]
	v_and_b32_e32 v8, s95, v5
	v_bfe_u32 v5, v5, s66, 2
	v_cmp_eq_u32_e64 s[14:15], s60, v7
	v_cmp_eq_u32_e64 s[28:29], 0, v4
	s_and_b64 s[6:7], s[16:17], s[6:7]
	v_and_b32_e32 v9, s95, v3
	v_bfe_u32 v3, v3, s66, 2
	v_cmp_eq_u32_e64 s[12:13], s60, v8
	v_cmp_eq_u32_e64 s[30:31], 0, v5
	;; [unrolled: 1-line block ×5, first 2 shown]
	v_cndmask_b32_e64 v2, 0, 1, s[6:7]
	s_and_b64 s[6:7], s[14:15], s[28:29]
	v_cmp_eq_u32_e64 s[10:11], s60, v9
	v_cmp_eq_u32_e64 s[34:35], 0, v3
	;; [unrolled: 1-line block ×5, first 2 shown]
	v_cndmask_b32_e64 v3, 0, 1, s[6:7]
	s_and_b64 s[6:7], s[12:13], s[30:31]
	v_cmp_eq_u32_e64 s[38:39], 1, v4
	v_cmp_eq_u32_e64 s[46:47], 2, v4
	;; [unrolled: 1-line block ×3, first 2 shown]
	v_cndmask_b32_e64 v4, 0, 1, s[6:7]
	s_and_b64 s[6:7], s[10:11], s[34:35]
	v_cmp_eq_u32_e64 s[40:41], 1, v5
	v_cmp_eq_u32_e64 s[48:49], 2, v5
	;; [unrolled: 1-line block ×3, first 2 shown]
	v_cndmask_b32_e64 v5, 0, 1, s[6:7]
	v_cmp_ne_u32_e64 s[6:7], 0, v2
	v_cmp_ne_u32_e64 s[28:29], 0, v3
	v_cmp_ne_u32_e64 s[30:31], 0, v4
	v_cmp_ne_u32_e64 s[34:35], 0, v5
	s_bcnt1_i32_b64 s6, s[6:7]
	s_bcnt1_i32_b64 s7, s[28:29]
	s_bcnt1_i32_b64 s28, s[30:31]
	s_bcnt1_i32_b64 s29, s[34:35]
	s_add_u32 s6, s6, s92
	s_addc_u32 s30, 0, s93
	s_add_u32 s6, s6, s7
	s_addc_u32 s7, s30, 0
	s_add_u32 s6, s6, s28
	s_addc_u32 s7, s7, 0
	s_add_u32 s92, s6, s29
	s_addc_u32 s93, s7, 0
	s_and_b64 s[6:7], s[16:17], s[36:37]
	v_cndmask_b32_e64 v4, 0, 1, s[6:7]
	s_and_b64 s[6:7], s[14:15], s[38:39]
	v_cndmask_b32_e64 v5, 0, 1, s[6:7]
	s_and_b64 s[6:7], s[12:13], s[40:41]
	v_cndmask_b32_e64 v6, 0, 1, s[6:7]
	s_and_b64 s[6:7], s[10:11], s[42:43]
	v_cndmask_b32_e64 v7, 0, 1, s[6:7]
	v_cmp_ne_u32_e64 s[6:7], 0, v4
	v_cmp_ne_u32_e64 s[28:29], 0, v5
	v_cmp_ne_u32_e64 s[30:31], 0, v6
	v_cmp_ne_u32_e64 s[34:35], 0, v7
	s_bcnt1_i32_b64 s6, s[6:7]
	s_bcnt1_i32_b64 s7, s[28:29]
	s_bcnt1_i32_b64 s28, s[30:31]
	s_bcnt1_i32_b64 s29, s[34:35]
	s_add_u32 s6, s6, s86
	s_addc_u32 s30, 0, s87
	s_add_u32 s6, s6, s7
	s_addc_u32 s7, s30, 0
	s_add_u32 s6, s6, s28
	s_addc_u32 s7, s7, 0
	s_add_u32 s86, s6, s29
	s_addc_u32 s87, s7, 0
	s_and_b64 s[6:7], s[16:17], s[44:45]
	v_cndmask_b32_e64 v6, 0, 1, s[6:7]
	s_and_b64 s[6:7], s[14:15], s[46:47]
	v_cndmask_b32_e64 v7, 0, 1, s[6:7]
	s_and_b64 s[6:7], s[12:13], s[48:49]
	v_cndmask_b32_e64 v8, 0, 1, s[6:7]
	s_and_b64 s[6:7], s[10:11], s[50:51]
	;; [unrolled: 24-line block ×3, first 2 shown]
	v_cndmask_b32_e64 v33, 0, 1, s[6:7]
	v_cmp_ne_u32_e64 s[6:7], 0, v8
	v_cmp_ne_u32_e64 s[10:11], 0, v9
	;; [unrolled: 1-line block ×4, first 2 shown]
	s_bcnt1_i32_b64 s6, s[6:7]
	s_bcnt1_i32_b64 s7, s[10:11]
	;; [unrolled: 1-line block ×4, first 2 shown]
	s_add_u32 s6, s6, s68
	s_addc_u32 s12, 0, s69
	s_add_u32 s6, s6, s7
	s_addc_u32 s7, s12, 0
	;; [unrolled: 2-line block ×3, first 2 shown]
	s_add_u32 s68, s6, s11
	v_cmp_le_u64_e32 vcc, s[76:77], v[28:29]
	s_addc_u32 s69, s7, 0
	v_add_u32_e32 v31, v31, v12
	v_pk_mov_b32 v[2:3], s[92:93], s[92:93] op_sel:[0,1]
	v_pk_mov_b32 v[4:5], s[86:87], s[86:87] op_sel:[0,1]
	;; [unrolled: 1-line block ×3, first 2 shown]
	s_or_b64 s[2:3], vcc, s[2:3]
	v_pk_mov_b32 v[8:9], s[68:69], s[68:69] op_sel:[0,1]
	s_andn2_b64 exec, exec, s[2:3]
	s_cbranch_execnz .LBB71_84
; %bb.85:                               ;   in Loop: Header=BB71_33 Depth=1
	s_or_b64 exec, exec, s[2:3]
	v_readlane_b32 s48, v60, 37
	v_readlane_b32 s50, v60, 39
	;; [unrolled: 1-line block ×3, first 2 shown]
	s_mov_b64 s[34:35], s[4:5]
	v_readlane_b32 s4, v60, 43
	v_readlane_b32 s49, v60, 38
	;; [unrolled: 1-line block ×4, first 2 shown]
	s_movk_i32 s66, 0x3f80
	s_mov_b32 s80, s83
	s_mov_b32 s87, s1
	s_mov_b64 s[42:43], s[8:9]
	s_mov_b64 s[0:1], s[72:73]
	;; [unrolled: 1-line block ×4, first 2 shown]
	v_readlane_b32 s5, v60, 44
	s_mov_b64 s[88:89], s[56:57]
	v_readlane_b32 s57, v60, 45
.LBB71_86:                              ;   in Loop: Header=BB71_33 Depth=1
	s_or_b64 exec, exec, s[26:27]
	v_add_u32_e32 v12, s76, v0
	v_cmp_gt_u32_e32 vcc, s82, v12
	s_and_saveexec_b64 s[2:3], vcc
	s_cbranch_execz .LBB71_90
; %bb.87:                               ;   in Loop: Header=BB71_33 Depth=1
	s_and_b32 s76, s82, 0x7fffffff
	s_and_b32 s20, s80, 0xfe
	v_lshlrev_b32_e32 v31, 1, v12
	v_lshlrev_b32_e32 v32, 1, v30
	s_mov_b64 s[18:19], 0
	v_pk_mov_b32 v[28:29], v[12:13], v[12:13] op_sel:[0,1]
.LBB71_88:                              ;   Parent Loop BB71_33 Depth=1
                                        ; =>  This Inner Loop Header: Depth=2
	ds_read_u16 v12, v31
	v_add_co_u32_e32 v28, vcc, v28, v30
	v_addc_co_u32_e32 v29, vcc, 0, v29, vcc
	s_waitcnt lgkmcnt(0)
	v_cmp_lt_i16_e64 s[6:7], -1, v12
	v_lshlrev_b32_e32 v33, 16, v12
	v_cndmask_b32_e64 v34, v51, v52, s[6:7]
	v_xor_b32_sdwa v12, v34, v12 dst_sel:DWORD dst_unused:UNUSED_PAD src0_sel:DWORD src1_sel:WORD_0
	v_cmp_o_f32_e64 s[6:7], v33, v33
	v_cndmask_b32_e64 v12, v51, v12, s[6:7]
	v_and_b32_e32 v33, s95, v12
	v_bfe_u32 v12, v12, s20, 2
	v_cmp_eq_u32_e64 s[6:7], s60, v33
	v_cmp_eq_u32_e64 s[10:11], 0, v12
	;; [unrolled: 1-line block ×3, first 2 shown]
	s_and_b64 s[10:11], s[6:7], s[10:11]
	v_cmp_eq_u32_e64 s[14:15], 2, v12
	v_cmp_eq_u32_e64 s[16:17], 3, v12
	v_cndmask_b32_e64 v12, 0, 1, s[10:11]
	s_and_b64 s[10:11], s[6:7], s[12:13]
	v_cndmask_b32_e64 v33, 0, 1, s[10:11]
	s_and_b64 s[10:11], s[6:7], s[14:15]
	s_and_b64 s[6:7], s[6:7], s[16:17]
	v_cndmask_b32_e64 v34, 0, 1, s[10:11]
	v_cndmask_b32_e64 v35, 0, 1, s[6:7]
	v_cmp_ne_u32_e64 s[6:7], 0, v12
	v_cmp_ne_u32_e64 s[10:11], 0, v33
	;; [unrolled: 1-line block ×4, first 2 shown]
	v_cmp_le_u64_e32 vcc, s[76:77], v[28:29]
	s_bcnt1_i32_b64 s6, s[6:7]
	s_bcnt1_i32_b64 s7, s[10:11]
	;; [unrolled: 1-line block ×4, first 2 shown]
	s_or_b64 s[18:19], vcc, s[18:19]
	v_add_co_u32_e32 v2, vcc, s6, v2
	v_addc_co_u32_e32 v3, vcc, 0, v3, vcc
	v_add_co_u32_e32 v4, vcc, s7, v4
	v_addc_co_u32_e32 v5, vcc, 0, v5, vcc
	;; [unrolled: 2-line block ×3, first 2 shown]
	v_add_co_u32_e32 v8, vcc, s11, v8
	v_add_u32_e32 v31, v31, v32
	v_addc_co_u32_e32 v9, vcc, 0, v9, vcc
	s_andn2_b64 exec, exec, s[18:19]
	s_cbranch_execnz .LBB71_88
; %bb.89:                               ;   in Loop: Header=BB71_33 Depth=1
	s_or_b64 exec, exec, s[18:19]
.LBB71_90:                              ;   in Loop: Header=BB71_33 Depth=1
	s_or_b64 exec, exec, s[2:3]
.LBB71_91:                              ;   in Loop: Header=BB71_33 Depth=1
	s_lshl_b32 s6, s85, 6
	s_and_saveexec_b64 s[2:3], s[4:5]
	s_cbranch_execz .LBB71_93
; %bb.92:                               ;   in Loop: Header=BB71_33 Depth=1
	s_waitcnt vmcnt(0)
	v_or_b32_e32 v12, s6, v45
	v_lshlrev_b32_e32 v12, 3, v12
	ds_write_b128 v12, v[2:5] offset:3072
	ds_write_b128 v12, v[6:9] offset:3088
.LBB71_93:                              ;   in Loop: Header=BB71_33 Depth=1
	s_or_b64 exec, exec, s[2:3]
	s_waitcnt lgkmcnt(0)
	s_barrier
	s_and_saveexec_b64 s[2:3], s[50:51]
	s_cbranch_execz .LBB71_105
; %bb.94:                               ;   in Loop: Header=BB71_33 Depth=1
	v_readlane_b32 s10, v60, 22
	v_readlane_b32 s11, v60, 23
	s_andn2_b64 vcc, exec, s[10:11]
	v_pk_mov_b32 v[2:3], 0, 0
	s_cbranch_vccnz .LBB71_104
; %bb.95:                               ;   in Loop: Header=BB71_33 Depth=1
	v_readlane_b32 s10, v60, 26
	v_readlane_b32 s11, v60, 27
	s_andn2_b64 vcc, exec, s[10:11]
	s_cbranch_vccnz .LBB71_100
; %bb.96:                               ;   in Loop: Header=BB71_33 Depth=1
	v_lshl_add_u32 v4, s85, 9, v50
	s_mov_b32 s7, 0
	v_pk_mov_b32 v[2:3], 0, 0
.LBB71_97:                              ;   Parent Loop BB71_33 Depth=1
                                        ; =>  This Inner Loop Header: Depth=2
	s_waitcnt vmcnt(0)
	ds_read2_b64 v[6:9], v4 offset1:4
	ds_read2_b64 v[28:31], v4 offset0:8 offset1:12
	ds_read2_b64 v[32:35], v4 offset0:16 offset1:20
	ds_read2_b64 v[36:39], v4 offset0:24 offset1:28
	s_add_i32 s7, s7, 8
	s_waitcnt lgkmcnt(3)
	v_add_co_u32_e32 v2, vcc, v6, v2
	v_addc_co_u32_e32 v3, vcc, v7, v3, vcc
	v_add_co_u32_e32 v2, vcc, v8, v2
	v_addc_co_u32_e32 v3, vcc, v9, v3, vcc
	s_waitcnt lgkmcnt(2)
	v_add_co_u32_e32 v2, vcc, v28, v2
	v_addc_co_u32_e32 v3, vcc, v29, v3, vcc
	v_add_co_u32_e32 v2, vcc, v30, v2
	v_addc_co_u32_e32 v3, vcc, v31, v3, vcc
	;; [unrolled: 5-line block ×3, first 2 shown]
	s_waitcnt lgkmcnt(0)
	v_add_co_u32_e32 v2, vcc, v36, v2
	v_addc_co_u32_e32 v3, vcc, v37, v3, vcc
	v_add_co_u32_e32 v2, vcc, v38, v2
	v_add_u32_e32 v4, 0x100, v4
	s_cmp_eq_u32 s57, s7
	v_addc_co_u32_e32 v3, vcc, v39, v3, vcc
	s_cbranch_scc0 .LBB71_97
; %bb.98:                               ;   in Loop: Header=BB71_33 Depth=1
	s_mov_b32 s7, s57
	s_branch .LBB71_101
.LBB71_99:                              ;   in Loop: Header=BB71_33 Depth=1
                                        ; implicit-def: $vgpr28_vgpr29
	s_branch .LBB71_67
.LBB71_100:                             ;   in Loop: Header=BB71_33 Depth=1
	s_mov_b32 s7, 0
	v_pk_mov_b32 v[2:3], 0, 0
.LBB71_101:                             ;   in Loop: Header=BB71_33 Depth=1
	v_readlane_b32 s10, v60, 29
	v_readlane_b32 s11, v60, 30
	s_andn2_b64 vcc, exec, s[10:11]
	s_cbranch_vccnz .LBB71_104
; %bb.102:                              ;   in Loop: Header=BB71_33 Depth=1
	s_lshl_b32 s10, s85, 9
	s_lshl_b32 s7, s7, 5
	s_add_i32 s10, s10, s7
	v_add_u32_e32 v4, s10, v50
	v_readlane_b32 s7, v60, 28
.LBB71_103:                             ;   Parent Loop BB71_33 Depth=1
                                        ; =>  This Inner Loop Header: Depth=2
	s_waitcnt vmcnt(0)
	ds_read_b64 v[6:7], v4
	s_add_i32 s7, s7, -1
	v_add_u32_e32 v4, 32, v4
	s_cmp_lg_u32 s7, 0
	s_waitcnt lgkmcnt(0)
	v_add_co_u32_e32 v2, vcc, v6, v2
	v_addc_co_u32_e32 v3, vcc, v7, v3, vcc
	s_cbranch_scc1 .LBB71_103
.LBB71_104:                             ;   in Loop: Header=BB71_33 Depth=1
	v_add_lshl_u32 v4, s6, v42, 3
	ds_write_b64 v4, v[2:3] offset:3072
.LBB71_105:                             ;   in Loop: Header=BB71_33 Depth=1
	s_or_b64 exec, exec, s[2:3]
	s_lshl_b32 s2, s6, 3
	s_waitcnt vmcnt(0)
	v_mov_b32_e32 v6, s2
	s_waitcnt lgkmcnt(0)
	s_barrier
	ds_read_b128 v[2:5], v6 offset:3072
	ds_read_b128 v[6:9], v6 offset:3088
	s_and_b32 s40, s80, 0xfe
	s_lshl_b32 s46, 3, s40
	s_not_b32 s41, s46
	s_waitcnt lgkmcnt(1)
	v_readfirstlane_b32 s15, v3
	v_readfirstlane_b32 s14, v2
	s_cmp_eq_u64 s[14:15], 1
	s_cselect_b64 s[2:3], -1, 0
	s_cmp_eq_u64 s[54:55], 1
	s_cselect_b64 s[6:7], -1, 0
	s_and_b64 s[20:21], s[2:3], s[6:7]
	v_readfirstlane_b32 s28, v4
	v_readfirstlane_b32 s29, v5
	s_waitcnt lgkmcnt(0)
	v_readfirstlane_b32 s16, v6
	v_readfirstlane_b32 s17, v7
	;; [unrolled: 1-line block ×4, first 2 shown]
	s_mov_b64 s[18:19], -1
	s_and_b64 vcc, exec, s[20:21]
	s_cbranch_vccz .LBB71_120
; %bb.106:                              ;   in Loop: Header=BB71_33 Depth=1
	ds_read_b64 v[2:3], v13 offset:5120
	s_waitcnt lgkmcnt(0)
	s_barrier
	v_readfirstlane_b32 s12, v2
	v_readfirstlane_b32 s13, v3
	s_mov_b64 s[2:3], exec
	v_readlane_b32 s6, v60, 14
	v_readlane_b32 s7, v60, 15
	s_and_b64 s[6:7], s[2:3], s[6:7]
	s_mov_b64 exec, s[6:7]
	s_cbranch_execz .LBB71_108
; %bb.107:                              ;   in Loop: Header=BB71_33 Depth=1
	ds_write_b16 v44, v13
.LBB71_108:                             ;   in Loop: Header=BB71_33 Depth=1
	s_or_b64 exec, exec, s[2:3]
	v_cmp_lt_i64_e64 s[2:3], s[12:13], 1
	s_and_b32 s60, s60, s41
	s_or_b32 s95, s95, s46
	s_and_b64 vcc, exec, s[2:3]
	s_waitcnt lgkmcnt(0)
	s_barrier
	s_cbranch_vccz .LBB71_121
; %bb.109:                              ;   in Loop: Header=BB71_33 Depth=1
	s_mov_b32 s86, s77
	s_cmp_lg_u64 s[86:87], 0
	s_cbranch_scc0 .LBB71_166
; %bb.110:                              ;   in Loop: Header=BB71_33 Depth=1
	v_cvt_f32_u32_e32 v2, s33
	s_sub_u32 s2, 0, s33
	s_subb_u32 s3, 0, 0
	v_mac_f32_e32 v2, 0x4f800000, v53
	v_rcp_f32_e32 v2, v2
	v_mul_f32_e32 v2, 0x5f7ffffc, v2
	v_mul_f32_e32 v3, 0x2f800000, v2
	v_trunc_f32_e32 v3, v3
	v_mac_f32_e32 v2, 0xcf800000, v3
	v_cvt_u32_f32_e32 v3, v3
	v_cvt_u32_f32_e32 v2, v2
	v_readfirstlane_b32 s6, v3
	v_readfirstlane_b32 s7, v2
	s_mul_i32 s22, s2, s6
	s_mul_hi_u32 s24, s2, s7
	s_mul_i32 s23, s3, s7
	s_add_i32 s22, s24, s22
	s_mul_i32 s25, s2, s7
	s_add_i32 s22, s22, s23
	s_mul_hi_u32 s24, s7, s25
	s_mul_hi_u32 s23, s7, s22
	s_mul_i32 s7, s7, s22
	s_add_u32 s7, s24, s7
	s_addc_u32 s23, 0, s23
	s_mul_hi_u32 s26, s6, s25
	s_mul_i32 s25, s6, s25
	s_add_u32 s7, s7, s25
	s_mul_hi_u32 s24, s6, s22
	s_addc_u32 s7, s23, s26
	s_addc_u32 s23, s24, 0
	s_mul_i32 s22, s6, s22
	s_add_u32 s7, s7, s22
	s_addc_u32 s22, 0, s23
	v_add_co_u32_e32 v2, vcc, s7, v2
	s_cmp_lg_u64 vcc, 0
	s_addc_u32 s6, s6, s22
	v_readfirstlane_b32 s22, v2
	s_mul_i32 s7, s2, s6
	s_mul_hi_u32 s23, s2, s22
	s_add_i32 s7, s23, s7
	s_mul_i32 s3, s3, s22
	s_add_i32 s7, s7, s3
	s_mul_i32 s2, s2, s22
	s_mul_hi_u32 s23, s6, s2
	s_mul_i32 s24, s6, s2
	s_mul_i32 s26, s22, s7
	s_mul_hi_u32 s2, s22, s2
	s_mul_hi_u32 s25, s22, s7
	s_add_u32 s2, s2, s26
	s_addc_u32 s22, 0, s25
	s_add_u32 s2, s2, s24
	s_mul_hi_u32 s3, s6, s7
	s_addc_u32 s2, s22, s23
	s_addc_u32 s3, s3, 0
	s_mul_i32 s7, s6, s7
	s_add_u32 s2, s2, s7
	s_addc_u32 s3, 0, s3
	v_add_co_u32_e32 v2, vcc, s2, v2
	s_cmp_lg_u64 vcc, 0
	s_addc_u32 s22, s6, s3
	s_ashr_i32 s2, s87, 31
	s_add_u32 s6, s90, s2
	s_mov_b32 s3, s2
	s_addc_u32 s7, s87, s2
	s_xor_b64 s[6:7], s[6:7], s[2:3]
	v_readfirstlane_b32 s24, v2
	s_mul_i32 s23, s6, s22
	s_mul_hi_u32 s25, s6, s24
	s_mul_hi_u32 s3, s6, s22
	s_add_u32 s23, s25, s23
	s_addc_u32 s3, 0, s3
	s_mul_hi_u32 s26, s7, s24
	s_mul_i32 s24, s7, s24
	s_add_u32 s23, s23, s24
	s_mul_hi_u32 s25, s7, s22
	s_addc_u32 s3, s3, s26
	s_addc_u32 s23, s25, 0
	s_mul_i32 s22, s7, s22
	s_add_u32 s3, s3, s22
	s_addc_u32 s22, 0, s23
	s_mul_hi_u32 s23, s33, s3
	s_mul_i32 s3, s33, s3
	s_mul_i32 s22, s33, s22
	v_mov_b32_e32 v2, s3
	s_add_i32 s23, s23, s22
	v_sub_co_u32_e32 v2, vcc, s6, v2
	s_cmp_lg_u64 vcc, 0
	s_subb_u32 s3, s7, s23
	v_subrev_co_u32_e32 v3, vcc, s33, v2
	s_cmp_lg_u64 vcc, 0
	s_subb_u32 s6, s3, 0
	v_subrev_co_u32_e32 v4, vcc, s33, v3
	s_cmp_lg_u64 vcc, 0
	s_subb_u32 s7, s6, 0
	v_cmp_le_u32_e32 vcc, s33, v3
	s_cmp_eq_u32 s6, 0
	v_cndmask_b32_e64 v5, 0, -1, vcc
	s_cselect_b64 vcc, -1, 0
	v_cndmask_b32_e32 v5, -1, v5, vcc
	v_mov_b32_e32 v6, s6
	v_mov_b32_e32 v7, s7
	v_cmp_ne_u32_e32 vcc, 0, v5
	v_cndmask_b32_e32 v5, v6, v7, vcc
	v_cndmask_b32_e32 v3, v3, v4, vcc
	v_cmp_le_u32_e32 vcc, s33, v2
	s_cmp_eq_u32 s3, 0
	v_cndmask_b32_e64 v4, 0, -1, vcc
	s_cselect_b64 vcc, -1, 0
	v_cndmask_b32_e32 v4, -1, v4, vcc
	v_cmp_ne_u32_e32 vcc, 0, v4
	v_mov_b32_e32 v6, s3
	v_cndmask_b32_e32 v2, v2, v3, vcc
	v_cndmask_b32_e32 v4, v6, v5, vcc
	v_xor_b32_e32 v2, s2, v2
	v_xor_b32_e32 v3, s2, v4
	v_mov_b32_e32 v4, s2
	v_subrev_co_u32_e32 v2, vcc, s2, v2
	v_subb_co_u32_e32 v3, vcc, v3, v4, vcc
	s_cbranch_execnz .LBB71_112
.LBB71_111:                             ;   in Loop: Header=BB71_33 Depth=1
	v_cvt_f32_u32_e32 v2, s33
	s_sub_i32 s2, 0, s33
	v_rcp_iflag_f32_e32 v2, v2
	v_mul_f32_e32 v2, 0x4f7ffffe, v2
	v_cvt_u32_f32_e32 v2, v2
	v_mul_lo_u32 v3, s2, v2
	v_mul_hi_u32 v3, v2, v3
	v_add_u32_e32 v2, v2, v3
	v_mul_hi_u32 v2, s90, v2
	v_mul_lo_u32 v2, v2, s33
	v_sub_u32_e32 v2, s90, v2
	v_subrev_u32_e32 v3, s33, v2
	v_cmp_le_u32_e32 vcc, s33, v2
	v_cndmask_b32_e32 v2, v2, v3, vcc
	v_subrev_u32_e32 v3, s33, v2
	v_cmp_le_u32_e32 vcc, s33, v2
	v_cndmask_b32_e32 v12, v2, v3, vcc
	v_pk_mov_b32 v[2:3], v[12:13], v[12:13] op_sel:[0,1]
.LBB71_112:                             ;   in Loop: Header=BB71_33 Depth=1
	v_mov_b32_e32 v4, s87
	v_sub_co_u32_e32 v2, vcc, s90, v2
	v_subb_co_u32_e32 v3, vcc, v4, v3, vcc
	v_cmp_gt_i64_e32 vcc, v[2:3], v[0:1]
	s_mov_b64 s[2:3], 0
                                        ; implicit-def: $vgpr56
	s_and_saveexec_b64 s[22:23], vcc
	s_cbranch_execz .LBB71_123
; %bb.113:                              ;   in Loop: Header=BB71_33 Depth=1
	v_pk_mov_b32 v[4:5], v[10:11], v[10:11] op_sel:[0,1]
	v_pk_mov_b32 v[6:7], v[0:1], v[0:1] op_sel:[0,1]
                                        ; implicit-def: $sgpr24_sgpr25
	s_branch .LBB71_115
.LBB71_114:                             ;   in Loop: Header=BB71_115 Depth=2
	s_or_b64 exec, exec, s[6:7]
	s_waitcnt lgkmcnt(0)
	s_barrier
	s_waitcnt vmcnt(0)
	ds_read_b32 v8, v13 offset:3072
	v_add_co_u32_e64 v6, s[6:7], s33, v6
	s_waitcnt lgkmcnt(0)
	s_barrier
	v_and_b32_e32 v9, 0x7fff, v8
	v_cmp_ne_u16_e32 vcc, 0, v9
	v_mov_b32_e32 v9, s84
	v_addc_co_u32_e64 v7, s[6:7], v7, v9, s[6:7]
	v_cmp_ge_i64_e64 s[6:7], v[6:7], v[2:3]
	s_or_b64 s[26:27], vcc, s[6:7]
	v_mov_b32_e32 v9, s75
	v_add_co_u32_e64 v4, s[6:7], s74, v4
	v_addc_co_u32_e64 v5, s[6:7], v5, v9, s[6:7]
	s_and_b64 s[6:7], exec, s[26:27]
	s_or_b64 s[2:3], s[6:7], s[2:3]
	s_andn2_b64 s[6:7], s[24:25], exec
	s_and_b64 s[24:25], vcc, exec
	s_or_b64 s[24:25], s[6:7], s[24:25]
	s_andn2_b64 exec, exec, s[2:3]
	s_cbranch_execz .LBB71_122
.LBB71_115:                             ;   Parent Loop BB71_33 Depth=1
                                        ; =>  This Inner Loop Header: Depth=2
	v_cmp_gt_i64_e32 vcc, s[52:53], v[6:7]
	v_mov_b32_e32 v8, 0
	s_and_saveexec_b64 s[6:7], vcc
	s_cbranch_execz .LBB71_117
; %bb.116:                              ;   in Loop: Header=BB71_115 Depth=2
	global_load_ushort v8, v[4:5], off
.LBB71_117:                             ;   in Loop: Header=BB71_115 Depth=2
	s_or_b64 exec, exec, s[6:7]
	s_and_saveexec_b64 s[6:7], vcc
	s_cbranch_execz .LBB71_114
; %bb.118:                              ;   in Loop: Header=BB71_115 Depth=2
	s_waitcnt vmcnt(0)
	v_cmp_lt_i16_e32 vcc, -1, v8
	v_cndmask_b32_e32 v9, v51, v52, vcc
	v_lshlrev_b32_e32 v12, 16, v8
	v_xor_b32_sdwa v9, v9, v8 dst_sel:DWORD dst_unused:UNUSED_PAD src0_sel:DWORD src1_sel:WORD_0
	v_cmp_o_f32_e32 vcc, v12, v12
	v_cndmask_b32_e32 v9, v51, v9, vcc
	v_and_b32_e32 v9, s95, v9
	v_cmp_eq_u32_e32 vcc, s60, v9
	s_and_b64 exec, exec, vcc
	s_cbranch_execz .LBB71_114
; %bb.119:                              ;   in Loop: Header=BB71_115 Depth=2
	v_perm_b32 v8, v8, s66, v55
	ds_write_b32 v13, v8 offset:3072
	s_branch .LBB71_114
.LBB71_120:                             ;   in Loop: Header=BB71_33 Depth=1
	s_mov_b64 s[2:3], -1
                                        ; implicit-def: $sgpr6_sgpr7
                                        ; implicit-def: $sgpr24_sgpr25
                                        ; implicit-def: $sgpr22_sgpr23
	s_branch .LBB71_137
.LBB71_121:                             ;   in Loop: Header=BB71_33 Depth=1
	s_mov_b64 s[6:7], -1
	s_mov_b64 s[2:3], 0
                                        ; implicit-def: $sgpr22_sgpr23
                                        ; implicit-def: $vgpr56
	s_mov_b64 s[24:25], s[6:7]
	s_cbranch_execnz .LBB71_124
	s_branch .LBB71_137
.LBB71_122:                             ;   in Loop: Header=BB71_33 Depth=1
	s_or_b64 exec, exec, s[2:3]
	v_lshrrev_b32_e32 v56, 16, v8
	s_and_b64 s[2:3], s[24:25], exec
.LBB71_123:                             ;   in Loop: Header=BB71_33 Depth=1
	s_or_b64 exec, exec, s[22:23]
	s_mov_b64 s[22:23], -1
	s_mov_b64 s[6:7], 0
	s_mov_b64 s[24:25], s[6:7]
	s_branch .LBB71_137
.LBB71_124:                             ;   in Loop: Header=BB71_33 Depth=1
	v_readlane_b32 s2, v60, 24
	s_add_u32 s22, s2, s12
	v_readlane_b32 s2, v60, 25
	s_addc_u32 s3, s2, s13
	s_mov_b32 s2, s77
	s_cmp_lg_u64 s[2:3], 0
	s_cbranch_scc0 .LBB71_167
; %bb.125:                              ;   in Loop: Header=BB71_33 Depth=1
	v_cvt_f32_u32_e32 v2, s33
	s_sub_u32 s2, 0, s33
	s_subb_u32 s6, 0, 0
	v_mac_f32_e32 v2, 0x4f800000, v53
	v_rcp_f32_e32 v2, v2
	v_mul_f32_e32 v2, 0x5f7ffffc, v2
	v_mul_f32_e32 v3, 0x2f800000, v2
	v_trunc_f32_e32 v3, v3
	v_mac_f32_e32 v2, 0xcf800000, v3
	v_cvt_u32_f32_e32 v3, v3
	v_cvt_u32_f32_e32 v2, v2
	v_readfirstlane_b32 s7, v3
	v_readfirstlane_b32 s23, v2
	s_mul_i32 s24, s2, s7
	s_mul_hi_u32 s26, s2, s23
	s_mul_i32 s25, s6, s23
	s_add_i32 s24, s26, s24
	s_mul_i32 s27, s2, s23
	s_add_i32 s24, s24, s25
	s_mul_hi_u32 s26, s23, s27
	s_mul_hi_u32 s25, s23, s24
	s_mul_i32 s23, s23, s24
	s_add_u32 s23, s26, s23
	s_addc_u32 s25, 0, s25
	s_mul_hi_u32 s30, s7, s27
	s_mul_i32 s27, s7, s27
	s_add_u32 s23, s23, s27
	s_mul_hi_u32 s26, s7, s24
	s_addc_u32 s23, s25, s30
	s_addc_u32 s25, s26, 0
	s_mul_i32 s24, s7, s24
	s_add_u32 s23, s23, s24
	s_addc_u32 s24, 0, s25
	v_add_co_u32_e32 v2, vcc, s23, v2
	s_cmp_lg_u64 vcc, 0
	s_addc_u32 s7, s7, s24
	v_readfirstlane_b32 s24, v2
	s_mul_i32 s23, s2, s7
	s_mul_hi_u32 s25, s2, s24
	s_add_i32 s23, s25, s23
	s_mul_i32 s6, s6, s24
	s_add_i32 s23, s23, s6
	s_mul_i32 s2, s2, s24
	s_mul_hi_u32 s25, s7, s2
	s_mul_i32 s26, s7, s2
	s_mul_i32 s30, s24, s23
	s_mul_hi_u32 s2, s24, s2
	s_mul_hi_u32 s27, s24, s23
	s_add_u32 s2, s2, s30
	s_addc_u32 s24, 0, s27
	s_add_u32 s2, s2, s26
	s_mul_hi_u32 s6, s7, s23
	s_addc_u32 s2, s24, s25
	s_addc_u32 s6, s6, 0
	s_mul_i32 s23, s7, s23
	s_add_u32 s2, s2, s23
	s_addc_u32 s6, 0, s6
	v_add_co_u32_e32 v2, vcc, s2, v2
	s_cmp_lg_u64 vcc, 0
	s_addc_u32 s2, s7, s6
	s_ashr_i32 s6, s3, 31
	s_add_u32 s24, s22, s6
	s_mov_b32 s7, s6
	s_addc_u32 s25, s3, s6
	s_xor_b64 s[24:25], s[24:25], s[6:7]
	v_readfirstlane_b32 s26, v2
	s_mul_i32 s23, s24, s2
	s_mul_hi_u32 s27, s24, s26
	s_mul_hi_u32 s7, s24, s2
	s_add_u32 s23, s27, s23
	s_addc_u32 s7, 0, s7
	s_mul_hi_u32 s30, s25, s26
	s_mul_i32 s26, s25, s26
	s_add_u32 s23, s23, s26
	s_mul_hi_u32 s27, s25, s2
	s_addc_u32 s7, s7, s30
	s_addc_u32 s23, s27, 0
	s_mul_i32 s2, s25, s2
	s_add_u32 s2, s7, s2
	s_addc_u32 s7, 0, s23
	s_mul_hi_u32 s23, s33, s2
	s_mul_i32 s2, s33, s2
	s_mul_i32 s7, s33, s7
	v_mov_b32_e32 v2, s2
	s_add_i32 s23, s23, s7
	v_sub_co_u32_e32 v2, vcc, s24, v2
	s_cmp_lg_u64 vcc, 0
	s_subb_u32 s2, s25, s23
	v_subrev_co_u32_e32 v3, vcc, s33, v2
	s_cmp_lg_u64 vcc, 0
	s_subb_u32 s7, s2, 0
	v_subrev_co_u32_e32 v4, vcc, s33, v3
	s_cmp_lg_u64 vcc, 0
	s_subb_u32 s23, s7, 0
	v_cmp_le_u32_e32 vcc, s33, v3
	s_cmp_eq_u32 s7, 0
	v_cndmask_b32_e64 v5, 0, -1, vcc
	s_cselect_b64 vcc, -1, 0
	v_cndmask_b32_e32 v5, -1, v5, vcc
	v_mov_b32_e32 v6, s7
	v_mov_b32_e32 v7, s23
	v_cmp_ne_u32_e32 vcc, 0, v5
	v_cndmask_b32_e32 v5, v6, v7, vcc
	v_cndmask_b32_e32 v3, v3, v4, vcc
	v_cmp_le_u32_e32 vcc, s33, v2
	s_cmp_eq_u32 s2, 0
	v_cndmask_b32_e64 v4, 0, -1, vcc
	s_cselect_b64 vcc, -1, 0
	v_cndmask_b32_e32 v4, -1, v4, vcc
	v_cmp_ne_u32_e32 vcc, 0, v4
	v_mov_b32_e32 v6, s2
	v_cndmask_b32_e32 v2, v2, v3, vcc
	v_cndmask_b32_e32 v4, v6, v5, vcc
	v_xor_b32_e32 v2, s6, v2
	v_xor_b32_e32 v3, s6, v4
	v_mov_b32_e32 v4, s6
	v_subrev_co_u32_e32 v2, vcc, s6, v2
	v_subb_co_u32_e32 v3, vcc, v3, v4, vcc
	s_cbranch_execnz .LBB71_127
.LBB71_126:                             ;   in Loop: Header=BB71_33 Depth=1
	v_cvt_f32_u32_e32 v2, s33
	s_sub_i32 s2, 0, s33
	v_rcp_iflag_f32_e32 v2, v2
	v_mul_f32_e32 v2, 0x4f7ffffe, v2
	v_cvt_u32_f32_e32 v2, v2
	v_mul_lo_u32 v3, s2, v2
	v_mul_hi_u32 v3, v2, v3
	v_add_u32_e32 v2, v2, v3
	v_mul_hi_u32 v2, s22, v2
	v_mul_lo_u32 v2, v2, s33
	v_sub_u32_e32 v2, s22, v2
	v_subrev_u32_e32 v3, s33, v2
	v_cmp_le_u32_e32 vcc, s33, v2
	v_cndmask_b32_e32 v2, v2, v3, vcc
	v_subrev_u32_e32 v3, s33, v2
	v_cmp_le_u32_e32 vcc, s33, v2
	v_cndmask_b32_e32 v12, v2, v3, vcc
	v_pk_mov_b32 v[2:3], v[12:13], v[12:13] op_sel:[0,1]
.LBB71_127:                             ;   in Loop: Header=BB71_33 Depth=1
	v_mov_b32_e32 v4, s3
	v_sub_co_u32_e32 v2, vcc, s22, v2
	v_subb_co_u32_e32 v3, vcc, v4, v3, vcc
	v_cmp_gt_i64_e32 vcc, v[2:3], v[0:1]
	s_mov_b64 s[2:3], 0
                                        ; implicit-def: $vgpr56
	s_and_saveexec_b64 s[22:23], vcc
	v_readlane_b32 s4, v60, 43
	v_readlane_b32 s5, v60, 44
	s_cbranch_execz .LBB71_136
; %bb.128:                              ;   in Loop: Header=BB71_33 Depth=1
	v_mov_b32_e32 v6, v43
	v_pk_mov_b32 v[4:5], v[0:1], v[0:1] op_sel:[0,1]
                                        ; implicit-def: $sgpr24_sgpr25
	s_branch .LBB71_130
.LBB71_129:                             ;   in Loop: Header=BB71_130 Depth=2
	s_or_b64 exec, exec, s[6:7]
	s_waitcnt lgkmcnt(0)
	s_barrier
	ds_read_b32 v7, v13 offset:3072
	v_add_co_u32_e64 v4, s[6:7], s33, v4
	v_add_u32_e32 v6, s94, v6
	s_waitcnt lgkmcnt(0)
	v_and_b32_e32 v8, 0x7fff, v7
	v_cmp_ne_u16_e32 vcc, 0, v8
	v_mov_b32_e32 v8, s84
	v_addc_co_u32_e64 v5, s[6:7], v5, v8, s[6:7]
	v_cmp_ge_i64_e64 s[6:7], v[4:5], v[2:3]
	s_or_b64 s[6:7], vcc, s[6:7]
	s_and_b64 s[6:7], exec, s[6:7]
	s_or_b64 s[2:3], s[6:7], s[2:3]
	s_andn2_b64 s[6:7], s[24:25], exec
	s_and_b64 s[24:25], vcc, exec
	s_or_b64 s[24:25], s[6:7], s[24:25]
	s_barrier
	s_andn2_b64 exec, exec, s[2:3]
	s_cbranch_execz .LBB71_135
.LBB71_130:                             ;   Parent Loop BB71_33 Depth=1
                                        ; =>  This Inner Loop Header: Depth=2
	v_cmp_gt_i64_e32 vcc, s[12:13], v[4:5]
	v_mov_b32_e32 v7, 0
	s_and_saveexec_b64 s[6:7], vcc
	s_cbranch_execz .LBB71_132
; %bb.131:                              ;   in Loop: Header=BB71_130 Depth=2
	ds_read_u16 v7, v6
.LBB71_132:                             ;   in Loop: Header=BB71_130 Depth=2
	s_or_b64 exec, exec, s[6:7]
	s_and_saveexec_b64 s[6:7], vcc
	s_cbranch_execz .LBB71_129
; %bb.133:                              ;   in Loop: Header=BB71_130 Depth=2
	s_waitcnt lgkmcnt(0)
	v_cmp_lt_i16_e32 vcc, -1, v7
	v_cndmask_b32_e32 v8, v51, v52, vcc
	v_lshlrev_b32_e32 v9, 16, v7
	v_xor_b32_sdwa v8, v8, v7 dst_sel:DWORD dst_unused:UNUSED_PAD src0_sel:DWORD src1_sel:WORD_0
	v_cmp_o_f32_e32 vcc, v9, v9
	v_cndmask_b32_e32 v8, v51, v8, vcc
	v_and_b32_e32 v8, s95, v8
	v_cmp_eq_u32_e32 vcc, s60, v8
	s_and_b64 exec, exec, vcc
	s_cbranch_execz .LBB71_129
; %bb.134:                              ;   in Loop: Header=BB71_130 Depth=2
	v_perm_b32 v7, v7, s66, v55
	ds_write_b32 v13, v7 offset:3072
	s_branch .LBB71_129
.LBB71_135:                             ;   in Loop: Header=BB71_33 Depth=1
	s_or_b64 exec, exec, s[2:3]
	v_lshrrev_b32_e32 v56, 16, v7
	s_and_b64 s[2:3], s[24:25], exec
.LBB71_136:                             ;   in Loop: Header=BB71_33 Depth=1
	s_or_b64 exec, exec, s[22:23]
	s_mov_b64 s[24:25], -1
	s_mov_b64 s[6:7], 0
	s_mov_b64 s[22:23], 0
.LBB71_137:                             ;   in Loop: Header=BB71_33 Depth=1
	s_andn2_b64 s[8:9], s[88:89], exec
	s_and_b64 s[6:7], s[6:7], exec
	s_or_b64 s[88:89], s[8:9], s[6:7]
	s_andn2_b64 s[0:1], s[0:1], exec
	s_and_b64 s[6:7], s[24:25], exec
	s_or_b64 s[0:1], s[0:1], s[6:7]
	;; [unrolled: 3-line block ×3, first 2 shown]
	s_and_saveexec_b64 s[12:13], s[2:3]
	s_cbranch_execz .LBB71_32
; %bb.138:                              ;   in Loop: Header=BB71_33 Depth=1
	s_xor_b64 s[2:3], s[20:21], -1
	s_andn2_b64 vcc, exec, s[2:3]
	s_mov_b32 s47, 1
	s_cbranch_vccnz .LBB71_149
; %bb.139:                              ;   in Loop: Header=BB71_33 Depth=1
	v_pk_mov_b32 v[2:3], s[14:15], s[14:15] op_sel:[0,1]
	v_cmp_gt_i64_e32 vcc, s[54:55], v[2:3]
	s_mov_b64 s[2:3], -1
                                        ; implicit-def: $sgpr47
                                        ; implicit-def: $sgpr6
                                        ; implicit-def: $sgpr7
	s_cbranch_vccnz .LBB71_145
; %bb.140:                              ;   in Loop: Header=BB71_33 Depth=1
	ds_read_b64 v[2:3], v13 offset:5120
	s_waitcnt lgkmcnt(0)
	v_cmp_ne_u64_e32 vcc, 0, v[2:3]
	s_cbranch_vccnz .LBB71_144
; %bb.141:                              ;   in Loop: Header=BB71_33 Depth=1
	s_mov_b64 s[2:3], exec
	v_readlane_b32 s6, v60, 12
	v_readlane_b32 s7, v60, 13
	s_and_b64 s[6:7], s[2:3], s[6:7]
	s_mov_b64 exec, s[6:7]
	s_cbranch_execz .LBB71_143
; %bb.142:                              ;   in Loop: Header=BB71_33 Depth=1
	v_pk_mov_b32 v[2:3], s[14:15], s[14:15] op_sel:[0,1]
	ds_write_b64 v13, v[2:3] offset:5128
.LBB71_143:                             ;   in Loop: Header=BB71_33 Depth=1
	s_or_b64 exec, exec, s[2:3]
	s_waitcnt lgkmcnt(0)
	s_barrier
.LBB71_144:                             ;   in Loop: Header=BB71_33 Depth=1
	s_and_b32 s6, s60, s41
	s_or_b32 s7, s95, s46
	s_mov_b64 s[2:3], 0
	s_mov_b32 s47, 8
.LBB71_145:                             ;   in Loop: Header=BB71_33 Depth=1
	s_andn2_b64 vcc, exec, s[2:3]
	s_cbranch_vccnz .LBB71_147
; %bb.146:                              ;   in Loop: Header=BB71_33 Depth=1
	s_sub_u32 s54, s54, s14
	s_subb_u32 s55, s55, s15
	s_mov_b64 s[2:3], -1
	s_mov_b32 s47, 0
	s_mov_b32 s6, s60
	;; [unrolled: 1-line block ×3, first 2 shown]
.LBB71_147:                             ;   in Loop: Header=BB71_33 Depth=1
	s_mov_b32 s95, s7
	s_mov_b32 s60, s6
	s_mov_b64 s[14:15], -1
	s_and_b64 vcc, exec, s[2:3]
	s_cbranch_vccnz .LBB71_150
.LBB71_148:                             ;   in Loop: Header=BB71_33 Depth=1
	s_mov_b64 s[6:7], -1
                                        ; implicit-def: $sgpr18_sgpr19
                                        ; implicit-def: $sgpr22_sgpr23
                                        ; implicit-def: $sgpr20_sgpr21
	s_and_saveexec_b64 s[2:3], s[6:7]
	s_xor_b64 s[2:3], exec, s[2:3]
	s_cbranch_execz .LBB71_31
	s_branch .LBB71_296
.LBB71_149:                             ;   in Loop: Header=BB71_33 Depth=1
	s_mov_b64 s[54:55], 1
	s_mov_b64 s[14:15], -1
	s_branch .LBB71_148
.LBB71_150:                             ;   in Loop: Header=BB71_33 Depth=1
	s_cmp_eq_u64 s[28:29], 1
	s_cselect_b64 s[2:3], -1, 0
	s_cmp_eq_u64 s[54:55], 1
	s_cselect_b64 s[6:7], -1, 0
	s_and_b64 s[30:31], s[2:3], s[6:7]
	s_mov_b64 s[2:3], -1
	s_and_b64 vcc, exec, s[30:31]
	s_cbranch_vccz .LBB71_165
; %bb.151:                              ;   in Loop: Header=BB71_33 Depth=1
	ds_read_b64 v[2:3], v13 offset:5120
	s_waitcnt lgkmcnt(0)
	s_barrier
	v_readfirstlane_b32 s24, v2
	v_readfirstlane_b32 s25, v3
	s_mov_b64 s[2:3], exec
	v_readlane_b32 s6, v60, 14
	v_readlane_b32 s7, v60, 15
	s_and_b64 s[6:7], s[2:3], s[6:7]
	s_mov_b64 exec, s[6:7]
	s_cbranch_execz .LBB71_153
; %bb.152:                              ;   in Loop: Header=BB71_33 Depth=1
	ds_write_b16 v44, v13
.LBB71_153:                             ;   in Loop: Header=BB71_33 Depth=1
	s_or_b64 exec, exec, s[2:3]
	s_lshl_b32 s2, 1, s40
	s_and_b32 s3, s60, s41
	s_or_b32 s60, s3, s2
	v_cmp_gt_i64_e64 s[2:3], s[24:25], 0
	s_or_b32 s95, s95, s46
	s_and_b64 vcc, exec, s[2:3]
	s_waitcnt lgkmcnt(0)
	s_barrier
	s_cbranch_vccnz .LBB71_168
; %bb.154:                              ;   in Loop: Header=BB71_33 Depth=1
	s_mov_b32 s86, s77
	s_cmp_lg_u64 s[86:87], 0
	s_cbranch_scc0 .LBB71_213
; %bb.155:                              ;   in Loop: Header=BB71_33 Depth=1
	v_cvt_f32_u32_e32 v2, s33
	s_sub_u32 s2, 0, s33
	s_subb_u32 s3, 0, 0
	v_mac_f32_e32 v2, 0x4f800000, v53
	v_rcp_f32_e32 v2, v2
	v_mul_f32_e32 v2, 0x5f7ffffc, v2
	v_mul_f32_e32 v3, 0x2f800000, v2
	v_trunc_f32_e32 v3, v3
	v_mac_f32_e32 v2, 0xcf800000, v3
	v_cvt_u32_f32_e32 v3, v3
	v_cvt_u32_f32_e32 v2, v2
	v_readfirstlane_b32 s6, v3
	v_readfirstlane_b32 s7, v2
	s_mul_i32 s18, s2, s6
	s_mul_hi_u32 s20, s2, s7
	s_mul_i32 s19, s3, s7
	s_add_i32 s18, s20, s18
	s_mul_i32 s21, s2, s7
	s_add_i32 s18, s18, s19
	s_mul_hi_u32 s20, s7, s21
	s_mul_hi_u32 s19, s7, s18
	s_mul_i32 s7, s7, s18
	s_add_u32 s7, s20, s7
	s_addc_u32 s19, 0, s19
	s_mul_hi_u32 s22, s6, s21
	s_mul_i32 s21, s6, s21
	s_add_u32 s7, s7, s21
	s_mul_hi_u32 s20, s6, s18
	s_addc_u32 s7, s19, s22
	s_addc_u32 s19, s20, 0
	s_mul_i32 s18, s6, s18
	s_add_u32 s7, s7, s18
	s_addc_u32 s18, 0, s19
	v_add_co_u32_e32 v2, vcc, s7, v2
	s_cmp_lg_u64 vcc, 0
	s_addc_u32 s6, s6, s18
	v_readfirstlane_b32 s18, v2
	s_mul_i32 s7, s2, s6
	s_mul_hi_u32 s19, s2, s18
	s_add_i32 s7, s19, s7
	s_mul_i32 s3, s3, s18
	s_add_i32 s7, s7, s3
	s_mul_i32 s2, s2, s18
	s_mul_hi_u32 s19, s6, s2
	s_mul_i32 s20, s6, s2
	s_mul_i32 s22, s18, s7
	s_mul_hi_u32 s2, s18, s2
	s_mul_hi_u32 s21, s18, s7
	s_add_u32 s2, s2, s22
	s_addc_u32 s18, 0, s21
	s_add_u32 s2, s2, s20
	s_mul_hi_u32 s3, s6, s7
	s_addc_u32 s2, s18, s19
	s_addc_u32 s3, s3, 0
	s_mul_i32 s7, s6, s7
	s_add_u32 s2, s2, s7
	s_addc_u32 s3, 0, s3
	v_add_co_u32_e32 v2, vcc, s2, v2
	s_cmp_lg_u64 vcc, 0
	s_addc_u32 s18, s6, s3
	s_ashr_i32 s2, s87, 31
	s_add_u32 s6, s90, s2
	s_mov_b32 s3, s2
	s_addc_u32 s7, s87, s2
	s_xor_b64 s[6:7], s[6:7], s[2:3]
	v_readfirstlane_b32 s20, v2
	s_mul_i32 s19, s6, s18
	s_mul_hi_u32 s21, s6, s20
	s_mul_hi_u32 s3, s6, s18
	s_add_u32 s19, s21, s19
	s_addc_u32 s3, 0, s3
	s_mul_hi_u32 s22, s7, s20
	s_mul_i32 s20, s7, s20
	s_add_u32 s19, s19, s20
	s_mul_hi_u32 s21, s7, s18
	s_addc_u32 s3, s3, s22
	s_addc_u32 s19, s21, 0
	s_mul_i32 s18, s7, s18
	s_add_u32 s3, s3, s18
	s_addc_u32 s18, 0, s19
	s_mul_hi_u32 s19, s33, s3
	s_mul_i32 s3, s33, s3
	s_mul_i32 s18, s33, s18
	v_mov_b32_e32 v2, s3
	s_add_i32 s19, s19, s18
	v_sub_co_u32_e32 v2, vcc, s6, v2
	s_cmp_lg_u64 vcc, 0
	s_subb_u32 s3, s7, s19
	v_subrev_co_u32_e32 v3, vcc, s33, v2
	s_cmp_lg_u64 vcc, 0
	s_subb_u32 s6, s3, 0
	v_subrev_co_u32_e32 v4, vcc, s33, v3
	s_cmp_lg_u64 vcc, 0
	s_subb_u32 s7, s6, 0
	v_cmp_le_u32_e32 vcc, s33, v3
	s_cmp_eq_u32 s6, 0
	v_cndmask_b32_e64 v5, 0, -1, vcc
	s_cselect_b64 vcc, -1, 0
	v_cndmask_b32_e32 v5, -1, v5, vcc
	v_mov_b32_e32 v6, s6
	v_mov_b32_e32 v7, s7
	v_cmp_ne_u32_e32 vcc, 0, v5
	v_cndmask_b32_e32 v5, v6, v7, vcc
	v_cndmask_b32_e32 v3, v3, v4, vcc
	v_cmp_le_u32_e32 vcc, s33, v2
	s_cmp_eq_u32 s3, 0
	v_cndmask_b32_e64 v4, 0, -1, vcc
	s_cselect_b64 vcc, -1, 0
	v_cndmask_b32_e32 v4, -1, v4, vcc
	v_cmp_ne_u32_e32 vcc, 0, v4
	v_mov_b32_e32 v6, s3
	v_cndmask_b32_e32 v2, v2, v3, vcc
	v_cndmask_b32_e32 v4, v6, v5, vcc
	v_xor_b32_e32 v2, s2, v2
	v_xor_b32_e32 v3, s2, v4
	v_mov_b32_e32 v4, s2
	v_subrev_co_u32_e32 v2, vcc, s2, v2
	v_subb_co_u32_e32 v3, vcc, v3, v4, vcc
	s_cbranch_execnz .LBB71_157
.LBB71_156:                             ;   in Loop: Header=BB71_33 Depth=1
	v_cvt_f32_u32_e32 v2, s33
	s_sub_i32 s2, 0, s33
	v_rcp_iflag_f32_e32 v2, v2
	v_mul_f32_e32 v2, 0x4f7ffffe, v2
	v_cvt_u32_f32_e32 v2, v2
	v_mul_lo_u32 v3, s2, v2
	v_mul_hi_u32 v3, v2, v3
	v_add_u32_e32 v2, v2, v3
	v_mul_hi_u32 v2, s90, v2
	v_mul_lo_u32 v2, v2, s33
	v_sub_u32_e32 v2, s90, v2
	v_subrev_u32_e32 v3, s33, v2
	v_cmp_le_u32_e32 vcc, s33, v2
	v_cndmask_b32_e32 v2, v2, v3, vcc
	v_subrev_u32_e32 v3, s33, v2
	v_cmp_le_u32_e32 vcc, s33, v2
	v_cndmask_b32_e32 v12, v2, v3, vcc
	v_pk_mov_b32 v[2:3], v[12:13], v[12:13] op_sel:[0,1]
.LBB71_157:                             ;   in Loop: Header=BB71_33 Depth=1
	v_mov_b32_e32 v4, s87
	v_sub_co_u32_e32 v2, vcc, s90, v2
	v_subb_co_u32_e32 v3, vcc, v4, v3, vcc
	v_cmp_gt_i64_e32 vcc, v[2:3], v[0:1]
	s_mov_b64 s[2:3], 0
                                        ; implicit-def: $vgpr56
	s_and_saveexec_b64 s[18:19], vcc
	s_cbranch_execz .LBB71_170
; %bb.158:                              ;   in Loop: Header=BB71_33 Depth=1
	v_pk_mov_b32 v[4:5], v[10:11], v[10:11] op_sel:[0,1]
	v_pk_mov_b32 v[6:7], v[0:1], v[0:1] op_sel:[0,1]
                                        ; implicit-def: $sgpr20_sgpr21
	s_branch .LBB71_160
.LBB71_159:                             ;   in Loop: Header=BB71_160 Depth=2
	s_or_b64 exec, exec, s[6:7]
	s_waitcnt lgkmcnt(0)
	s_barrier
	s_waitcnt vmcnt(0)
	ds_read_b32 v8, v13 offset:3072
	v_add_co_u32_e64 v6, s[6:7], s33, v6
	s_waitcnt lgkmcnt(0)
	s_barrier
	v_and_b32_e32 v9, 0x7fff, v8
	v_cmp_ne_u16_e32 vcc, 0, v9
	v_mov_b32_e32 v9, s84
	v_addc_co_u32_e64 v7, s[6:7], v7, v9, s[6:7]
	v_cmp_ge_i64_e64 s[6:7], v[6:7], v[2:3]
	s_or_b64 s[22:23], vcc, s[6:7]
	v_mov_b32_e32 v9, s75
	v_add_co_u32_e64 v4, s[6:7], s74, v4
	v_addc_co_u32_e64 v5, s[6:7], v5, v9, s[6:7]
	s_and_b64 s[6:7], exec, s[22:23]
	s_or_b64 s[2:3], s[6:7], s[2:3]
	s_andn2_b64 s[6:7], s[20:21], exec
	s_and_b64 s[20:21], vcc, exec
	s_or_b64 s[20:21], s[6:7], s[20:21]
	s_andn2_b64 exec, exec, s[2:3]
	s_cbranch_execz .LBB71_169
.LBB71_160:                             ;   Parent Loop BB71_33 Depth=1
                                        ; =>  This Inner Loop Header: Depth=2
	v_cmp_gt_i64_e32 vcc, s[52:53], v[6:7]
	v_mov_b32_e32 v8, 0
	s_and_saveexec_b64 s[6:7], vcc
	s_cbranch_execz .LBB71_162
; %bb.161:                              ;   in Loop: Header=BB71_160 Depth=2
	global_load_ushort v8, v[4:5], off
.LBB71_162:                             ;   in Loop: Header=BB71_160 Depth=2
	s_or_b64 exec, exec, s[6:7]
	s_and_saveexec_b64 s[6:7], vcc
	s_cbranch_execz .LBB71_159
; %bb.163:                              ;   in Loop: Header=BB71_160 Depth=2
	s_waitcnt vmcnt(0)
	v_cmp_lt_i16_e32 vcc, -1, v8
	v_cndmask_b32_e32 v9, v51, v52, vcc
	v_lshlrev_b32_e32 v12, 16, v8
	v_xor_b32_sdwa v9, v9, v8 dst_sel:DWORD dst_unused:UNUSED_PAD src0_sel:DWORD src1_sel:WORD_0
	v_cmp_o_f32_e32 vcc, v12, v12
	v_cndmask_b32_e32 v9, v51, v9, vcc
	v_and_b32_e32 v9, s95, v9
	v_cmp_eq_u32_e32 vcc, s60, v9
	s_and_b64 exec, exec, vcc
	s_cbranch_execz .LBB71_159
; %bb.164:                              ;   in Loop: Header=BB71_160 Depth=2
	v_perm_b32 v8, v8, s66, v55
	ds_write_b32 v13, v8 offset:3072
	s_branch .LBB71_159
.LBB71_165:                             ;   in Loop: Header=BB71_33 Depth=1
                                        ; implicit-def: $sgpr20_sgpr21
                                        ; implicit-def: $sgpr22_sgpr23
                                        ; implicit-def: $sgpr18_sgpr19
	s_branch .LBB71_184
.LBB71_166:                             ;   in Loop: Header=BB71_33 Depth=1
                                        ; implicit-def: $vgpr2_vgpr3
	s_branch .LBB71_111
.LBB71_167:                             ;   in Loop: Header=BB71_33 Depth=1
                                        ; implicit-def: $vgpr2_vgpr3
	s_branch .LBB71_126
.LBB71_168:                             ;   in Loop: Header=BB71_33 Depth=1
	s_mov_b64 s[20:21], -1
	s_mov_b64 s[2:3], 0
                                        ; implicit-def: $sgpr18_sgpr19
                                        ; implicit-def: $vgpr56
	s_mov_b64 s[22:23], s[20:21]
	s_cbranch_execnz .LBB71_171
	s_branch .LBB71_184
.LBB71_169:                             ;   in Loop: Header=BB71_33 Depth=1
	s_or_b64 exec, exec, s[2:3]
	v_lshrrev_b32_e32 v56, 16, v8
	s_and_b64 s[2:3], s[20:21], exec
.LBB71_170:                             ;   in Loop: Header=BB71_33 Depth=1
	s_or_b64 exec, exec, s[18:19]
	s_mov_b64 s[18:19], -1
	s_mov_b64 s[20:21], 0
	s_mov_b64 s[22:23], s[20:21]
	s_branch .LBB71_184
.LBB71_171:                             ;   in Loop: Header=BB71_33 Depth=1
	v_readlane_b32 s2, v60, 24
	s_add_u32 s18, s2, s24
	v_readlane_b32 s2, v60, 25
	s_addc_u32 s3, s2, s25
	s_mov_b32 s2, s77
	s_cmp_lg_u64 s[2:3], 0
	s_cbranch_scc0 .LBB71_214
; %bb.172:                              ;   in Loop: Header=BB71_33 Depth=1
	v_cvt_f32_u32_e32 v2, s33
	s_sub_u32 s2, 0, s33
	s_subb_u32 s6, 0, 0
	v_mac_f32_e32 v2, 0x4f800000, v53
	v_rcp_f32_e32 v2, v2
	v_mul_f32_e32 v2, 0x5f7ffffc, v2
	v_mul_f32_e32 v3, 0x2f800000, v2
	v_trunc_f32_e32 v3, v3
	v_mac_f32_e32 v2, 0xcf800000, v3
	v_cvt_u32_f32_e32 v3, v3
	v_cvt_u32_f32_e32 v2, v2
	v_readfirstlane_b32 s7, v3
	v_readfirstlane_b32 s19, v2
	s_mul_i32 s20, s2, s7
	s_mul_hi_u32 s22, s2, s19
	s_mul_i32 s21, s6, s19
	s_add_i32 s20, s22, s20
	s_mul_i32 s23, s2, s19
	s_add_i32 s20, s20, s21
	s_mul_hi_u32 s22, s19, s23
	s_mul_hi_u32 s21, s19, s20
	s_mul_i32 s19, s19, s20
	s_add_u32 s19, s22, s19
	s_addc_u32 s21, 0, s21
	s_mul_hi_u32 s26, s7, s23
	s_mul_i32 s23, s7, s23
	s_add_u32 s19, s19, s23
	s_mul_hi_u32 s22, s7, s20
	s_addc_u32 s19, s21, s26
	s_addc_u32 s21, s22, 0
	s_mul_i32 s20, s7, s20
	s_add_u32 s19, s19, s20
	s_addc_u32 s20, 0, s21
	v_add_co_u32_e32 v2, vcc, s19, v2
	s_cmp_lg_u64 vcc, 0
	s_addc_u32 s7, s7, s20
	v_readfirstlane_b32 s20, v2
	s_mul_i32 s19, s2, s7
	s_mul_hi_u32 s21, s2, s20
	s_add_i32 s19, s21, s19
	s_mul_i32 s6, s6, s20
	s_add_i32 s19, s19, s6
	s_mul_i32 s2, s2, s20
	s_mul_hi_u32 s21, s7, s2
	s_mul_i32 s22, s7, s2
	s_mul_i32 s26, s20, s19
	s_mul_hi_u32 s2, s20, s2
	s_mul_hi_u32 s23, s20, s19
	s_add_u32 s2, s2, s26
	s_addc_u32 s20, 0, s23
	s_add_u32 s2, s2, s22
	s_mul_hi_u32 s6, s7, s19
	s_addc_u32 s2, s20, s21
	s_addc_u32 s6, s6, 0
	s_mul_i32 s19, s7, s19
	s_add_u32 s2, s2, s19
	s_addc_u32 s6, 0, s6
	v_add_co_u32_e32 v2, vcc, s2, v2
	s_cmp_lg_u64 vcc, 0
	s_addc_u32 s2, s7, s6
	s_ashr_i32 s6, s3, 31
	s_add_u32 s20, s18, s6
	s_mov_b32 s7, s6
	s_addc_u32 s21, s3, s6
	s_xor_b64 s[20:21], s[20:21], s[6:7]
	v_readfirstlane_b32 s22, v2
	s_mul_i32 s19, s20, s2
	s_mul_hi_u32 s23, s20, s22
	s_mul_hi_u32 s7, s20, s2
	s_add_u32 s19, s23, s19
	s_addc_u32 s7, 0, s7
	s_mul_hi_u32 s26, s21, s22
	s_mul_i32 s22, s21, s22
	s_add_u32 s19, s19, s22
	s_mul_hi_u32 s23, s21, s2
	s_addc_u32 s7, s7, s26
	s_addc_u32 s19, s23, 0
	s_mul_i32 s2, s21, s2
	s_add_u32 s2, s7, s2
	s_addc_u32 s7, 0, s19
	s_mul_hi_u32 s19, s33, s2
	s_mul_i32 s2, s33, s2
	s_mul_i32 s7, s33, s7
	v_mov_b32_e32 v2, s2
	s_add_i32 s19, s19, s7
	v_sub_co_u32_e32 v2, vcc, s20, v2
	s_cmp_lg_u64 vcc, 0
	s_subb_u32 s2, s21, s19
	v_subrev_co_u32_e32 v3, vcc, s33, v2
	s_cmp_lg_u64 vcc, 0
	s_subb_u32 s7, s2, 0
	v_subrev_co_u32_e32 v4, vcc, s33, v3
	s_cmp_lg_u64 vcc, 0
	s_subb_u32 s19, s7, 0
	v_cmp_le_u32_e32 vcc, s33, v3
	s_cmp_eq_u32 s7, 0
	v_cndmask_b32_e64 v5, 0, -1, vcc
	s_cselect_b64 vcc, -1, 0
	v_cndmask_b32_e32 v5, -1, v5, vcc
	v_mov_b32_e32 v6, s7
	v_mov_b32_e32 v7, s19
	v_cmp_ne_u32_e32 vcc, 0, v5
	v_cndmask_b32_e32 v5, v6, v7, vcc
	v_cndmask_b32_e32 v3, v3, v4, vcc
	v_cmp_le_u32_e32 vcc, s33, v2
	s_cmp_eq_u32 s2, 0
	v_cndmask_b32_e64 v4, 0, -1, vcc
	s_cselect_b64 vcc, -1, 0
	v_cndmask_b32_e32 v4, -1, v4, vcc
	v_cmp_ne_u32_e32 vcc, 0, v4
	v_mov_b32_e32 v6, s2
	v_cndmask_b32_e32 v2, v2, v3, vcc
	v_cndmask_b32_e32 v4, v6, v5, vcc
	v_xor_b32_e32 v2, s6, v2
	v_xor_b32_e32 v3, s6, v4
	v_mov_b32_e32 v4, s6
	v_subrev_co_u32_e32 v2, vcc, s6, v2
	v_subb_co_u32_e32 v3, vcc, v3, v4, vcc
	s_cbranch_execnz .LBB71_174
.LBB71_173:                             ;   in Loop: Header=BB71_33 Depth=1
	v_cvt_f32_u32_e32 v2, s33
	s_sub_i32 s2, 0, s33
	v_rcp_iflag_f32_e32 v2, v2
	v_mul_f32_e32 v2, 0x4f7ffffe, v2
	v_cvt_u32_f32_e32 v2, v2
	v_mul_lo_u32 v3, s2, v2
	v_mul_hi_u32 v3, v2, v3
	v_add_u32_e32 v2, v2, v3
	v_mul_hi_u32 v2, s18, v2
	v_mul_lo_u32 v2, v2, s33
	v_sub_u32_e32 v2, s18, v2
	v_subrev_u32_e32 v3, s33, v2
	v_cmp_le_u32_e32 vcc, s33, v2
	v_cndmask_b32_e32 v2, v2, v3, vcc
	v_subrev_u32_e32 v3, s33, v2
	v_cmp_le_u32_e32 vcc, s33, v2
	v_cndmask_b32_e32 v12, v2, v3, vcc
	v_pk_mov_b32 v[2:3], v[12:13], v[12:13] op_sel:[0,1]
.LBB71_174:                             ;   in Loop: Header=BB71_33 Depth=1
	v_mov_b32_e32 v4, s3
	v_sub_co_u32_e32 v2, vcc, s18, v2
	v_subb_co_u32_e32 v3, vcc, v4, v3, vcc
	v_cmp_gt_i64_e32 vcc, v[2:3], v[0:1]
	s_mov_b64 s[2:3], 0
                                        ; implicit-def: $vgpr56
	s_and_saveexec_b64 s[18:19], vcc
	s_cbranch_execz .LBB71_183
; %bb.175:                              ;   in Loop: Header=BB71_33 Depth=1
	v_mov_b32_e32 v6, v43
	v_pk_mov_b32 v[4:5], v[0:1], v[0:1] op_sel:[0,1]
                                        ; implicit-def: $sgpr20_sgpr21
	s_branch .LBB71_177
.LBB71_176:                             ;   in Loop: Header=BB71_177 Depth=2
	s_or_b64 exec, exec, s[6:7]
	s_waitcnt lgkmcnt(0)
	s_barrier
	ds_read_b32 v7, v13 offset:3072
	v_add_co_u32_e64 v4, s[6:7], s33, v4
	v_add_u32_e32 v6, s94, v6
	s_waitcnt lgkmcnt(0)
	v_and_b32_e32 v8, 0x7fff, v7
	v_cmp_ne_u16_e32 vcc, 0, v8
	v_mov_b32_e32 v8, s84
	v_addc_co_u32_e64 v5, s[6:7], v5, v8, s[6:7]
	v_cmp_ge_i64_e64 s[6:7], v[4:5], v[2:3]
	s_or_b64 s[6:7], vcc, s[6:7]
	s_and_b64 s[6:7], exec, s[6:7]
	s_or_b64 s[2:3], s[6:7], s[2:3]
	s_andn2_b64 s[6:7], s[20:21], exec
	s_and_b64 s[20:21], vcc, exec
	s_or_b64 s[20:21], s[6:7], s[20:21]
	s_barrier
	s_andn2_b64 exec, exec, s[2:3]
	s_cbranch_execz .LBB71_182
.LBB71_177:                             ;   Parent Loop BB71_33 Depth=1
                                        ; =>  This Inner Loop Header: Depth=2
	v_cmp_gt_i64_e32 vcc, s[24:25], v[4:5]
	v_mov_b32_e32 v7, 0
	s_and_saveexec_b64 s[6:7], vcc
	s_cbranch_execz .LBB71_179
; %bb.178:                              ;   in Loop: Header=BB71_177 Depth=2
	ds_read_u16 v7, v6
.LBB71_179:                             ;   in Loop: Header=BB71_177 Depth=2
	s_or_b64 exec, exec, s[6:7]
	s_and_saveexec_b64 s[6:7], vcc
	s_cbranch_execz .LBB71_176
; %bb.180:                              ;   in Loop: Header=BB71_177 Depth=2
	s_waitcnt lgkmcnt(0)
	v_cmp_lt_i16_e32 vcc, -1, v7
	v_cndmask_b32_e32 v8, v51, v52, vcc
	v_lshlrev_b32_e32 v9, 16, v7
	v_xor_b32_sdwa v8, v8, v7 dst_sel:DWORD dst_unused:UNUSED_PAD src0_sel:DWORD src1_sel:WORD_0
	v_cmp_o_f32_e32 vcc, v9, v9
	v_cndmask_b32_e32 v8, v51, v8, vcc
	v_and_b32_e32 v8, s95, v8
	v_cmp_eq_u32_e32 vcc, s60, v8
	s_and_b64 exec, exec, vcc
	s_cbranch_execz .LBB71_176
; %bb.181:                              ;   in Loop: Header=BB71_177 Depth=2
	v_perm_b32 v7, v7, s66, v55
	ds_write_b32 v13, v7 offset:3072
	s_branch .LBB71_176
.LBB71_182:                             ;   in Loop: Header=BB71_33 Depth=1
	s_or_b64 exec, exec, s[2:3]
	v_lshrrev_b32_e32 v56, 16, v7
	s_and_b64 s[2:3], s[20:21], exec
.LBB71_183:                             ;   in Loop: Header=BB71_33 Depth=1
	s_or_b64 exec, exec, s[18:19]
	s_mov_b64 s[22:23], -1
	s_mov_b64 s[20:21], 0
	s_mov_b64 s[18:19], 0
.LBB71_184:                             ;   in Loop: Header=BB71_33 Depth=1
	s_mov_b64 s[6:7], 0
                                        ; implicit-def: $sgpr47
	s_and_saveexec_b64 s[24:25], s[2:3]
	s_cbranch_execz .LBB71_295
; %bb.185:                              ;   in Loop: Header=BB71_33 Depth=1
	s_xor_b64 s[2:3], s[30:31], -1
	s_andn2_b64 vcc, exec, s[2:3]
	s_mov_b32 s47, 1
	s_cbranch_vccnz .LBB71_196
; %bb.186:                              ;   in Loop: Header=BB71_33 Depth=1
	v_pk_mov_b32 v[2:3], s[28:29], s[28:29] op_sel:[0,1]
	v_cmp_gt_i64_e32 vcc, s[54:55], v[2:3]
	s_mov_b64 s[2:3], -1
                                        ; implicit-def: $sgpr47
                                        ; implicit-def: $sgpr6
                                        ; implicit-def: $sgpr7
	s_cbranch_vccnz .LBB71_192
; %bb.187:                              ;   in Loop: Header=BB71_33 Depth=1
	ds_read_b64 v[2:3], v13 offset:5120
	s_waitcnt lgkmcnt(0)
	v_cmp_ne_u64_e32 vcc, 0, v[2:3]
	s_cbranch_vccnz .LBB71_191
; %bb.188:                              ;   in Loop: Header=BB71_33 Depth=1
	s_mov_b64 s[2:3], exec
	v_readlane_b32 s6, v60, 12
	v_readlane_b32 s7, v60, 13
	s_and_b64 s[6:7], s[2:3], s[6:7]
	s_mov_b64 exec, s[6:7]
	s_cbranch_execz .LBB71_190
; %bb.189:                              ;   in Loop: Header=BB71_33 Depth=1
	v_pk_mov_b32 v[2:3], s[28:29], s[28:29] op_sel:[0,1]
	ds_write_b64 v13, v[2:3] offset:5128
.LBB71_190:                             ;   in Loop: Header=BB71_33 Depth=1
	s_or_b64 exec, exec, s[2:3]
	s_waitcnt lgkmcnt(0)
	s_barrier
.LBB71_191:                             ;   in Loop: Header=BB71_33 Depth=1
	s_lshl_b32 s2, 1, s40
	s_and_b32 s3, s60, s41
	s_or_b32 s6, s3, s2
	s_or_b32 s7, s95, s46
	s_mov_b64 s[2:3], 0
	s_mov_b32 s47, 8
.LBB71_192:                             ;   in Loop: Header=BB71_33 Depth=1
	s_andn2_b64 vcc, exec, s[2:3]
	s_cbranch_vccnz .LBB71_194
; %bb.193:                              ;   in Loop: Header=BB71_33 Depth=1
	s_sub_u32 s54, s54, s28
	s_subb_u32 s55, s55, s29
	s_mov_b64 s[2:3], -1
	s_mov_b32 s47, 0
	s_mov_b32 s6, s60
	;; [unrolled: 1-line block ×3, first 2 shown]
.LBB71_194:                             ;   in Loop: Header=BB71_33 Depth=1
	s_mov_b32 s95, s7
	s_mov_b32 s60, s6
	s_andn2_b64 vcc, exec, s[2:3]
	s_mov_b64 s[6:7], -1
	s_cbranch_vccz .LBB71_197
.LBB71_195:                             ;   in Loop: Header=BB71_33 Depth=1
	s_mov_b64 s[82:83], s[34:35]
                                        ; implicit-def: $sgpr30_sgpr31
                                        ; implicit-def: $sgpr34_sgpr35
                                        ; implicit-def: $sgpr28_sgpr29
	s_branch .LBB71_294
.LBB71_196:                             ;   in Loop: Header=BB71_33 Depth=1
	s_mov_b64 s[54:55], 1
	s_mov_b64 s[6:7], -1
	s_cbranch_execnz .LBB71_195
.LBB71_197:                             ;   in Loop: Header=BB71_33 Depth=1
	s_cmp_eq_u64 s[16:17], 1
	s_cselect_b64 s[2:3], -1, 0
	s_cmp_eq_u64 s[54:55], 1
	s_cselect_b64 s[6:7], -1, 0
	s_mov_b64 s[64:65], s[38:39]
	s_and_b64 s[38:39], s[2:3], s[6:7]
	s_mov_b64 s[72:73], s[36:37]
	s_mov_b64 s[8:9], s[0:1]
	s_mov_b64 s[2:3], -1
	s_and_b64 vcc, exec, s[38:39]
	s_cbranch_vccz .LBB71_212
; %bb.198:                              ;   in Loop: Header=BB71_33 Depth=1
	ds_read_b64 v[2:3], v13 offset:5120
	s_waitcnt lgkmcnt(0)
	s_barrier
	v_readfirstlane_b32 s36, v2
	v_readfirstlane_b32 s37, v3
	s_mov_b64 s[2:3], exec
	v_readlane_b32 s6, v60, 14
	v_readlane_b32 s7, v60, 15
	s_and_b64 s[6:7], s[2:3], s[6:7]
	s_mov_b64 exec, s[6:7]
	s_cbranch_execz .LBB71_200
; %bb.199:                              ;   in Loop: Header=BB71_33 Depth=1
	ds_write_b16 v44, v13
.LBB71_200:                             ;   in Loop: Header=BB71_33 Depth=1
	s_or_b64 exec, exec, s[2:3]
	s_lshl_b32 s2, 2, s40
	s_and_b32 s3, s60, s41
	s_or_b32 s60, s3, s2
	v_cmp_gt_i64_e64 s[2:3], s[36:37], 0
	s_or_b32 s95, s95, s46
	s_and_b64 vcc, exec, s[2:3]
	s_waitcnt lgkmcnt(0)
	s_barrier
	s_cbranch_vccnz .LBB71_215
; %bb.201:                              ;   in Loop: Header=BB71_33 Depth=1
	s_mov_b32 s86, s77
	s_cmp_lg_u64 s[86:87], 0
	s_cbranch_scc0 .LBB71_260
; %bb.202:                              ;   in Loop: Header=BB71_33 Depth=1
	v_cvt_f32_u32_e32 v2, s33
	s_sub_u32 s2, 0, s33
	s_subb_u32 s3, 0, 0
	v_mac_f32_e32 v2, 0x4f800000, v53
	v_rcp_f32_e32 v2, v2
	v_mul_f32_e32 v2, 0x5f7ffffc, v2
	v_mul_f32_e32 v3, 0x2f800000, v2
	v_trunc_f32_e32 v3, v3
	v_mac_f32_e32 v2, 0xcf800000, v3
	v_cvt_u32_f32_e32 v3, v3
	v_cvt_u32_f32_e32 v2, v2
	v_readfirstlane_b32 s6, v3
	v_readfirstlane_b32 s7, v2
	s_mul_i32 s26, s2, s6
	s_mul_hi_u32 s28, s2, s7
	s_mul_i32 s27, s3, s7
	s_add_i32 s26, s28, s26
	s_mul_i32 s29, s2, s7
	s_add_i32 s26, s26, s27
	s_mul_hi_u32 s28, s7, s29
	s_mul_hi_u32 s27, s7, s26
	s_mul_i32 s7, s7, s26
	s_add_u32 s7, s28, s7
	s_addc_u32 s27, 0, s27
	s_mul_hi_u32 s30, s6, s29
	s_mul_i32 s29, s6, s29
	s_add_u32 s7, s7, s29
	s_mul_hi_u32 s28, s6, s26
	s_addc_u32 s7, s27, s30
	s_addc_u32 s27, s28, 0
	s_mul_i32 s26, s6, s26
	s_add_u32 s7, s7, s26
	s_addc_u32 s26, 0, s27
	v_add_co_u32_e32 v2, vcc, s7, v2
	s_cmp_lg_u64 vcc, 0
	s_addc_u32 s6, s6, s26
	v_readfirstlane_b32 s26, v2
	s_mul_i32 s7, s2, s6
	s_mul_hi_u32 s27, s2, s26
	s_add_i32 s7, s27, s7
	s_mul_i32 s3, s3, s26
	s_add_i32 s7, s7, s3
	s_mul_i32 s2, s2, s26
	s_mul_hi_u32 s27, s6, s2
	s_mul_i32 s28, s6, s2
	s_mul_i32 s30, s26, s7
	s_mul_hi_u32 s2, s26, s2
	s_mul_hi_u32 s29, s26, s7
	s_add_u32 s2, s2, s30
	s_addc_u32 s26, 0, s29
	s_add_u32 s2, s2, s28
	s_mul_hi_u32 s3, s6, s7
	s_addc_u32 s2, s26, s27
	s_addc_u32 s3, s3, 0
	s_mul_i32 s7, s6, s7
	s_add_u32 s2, s2, s7
	s_addc_u32 s3, 0, s3
	v_add_co_u32_e32 v2, vcc, s2, v2
	s_cmp_lg_u64 vcc, 0
	s_addc_u32 s26, s6, s3
	s_ashr_i32 s2, s87, 31
	s_add_u32 s6, s90, s2
	s_mov_b32 s3, s2
	s_addc_u32 s7, s87, s2
	s_xor_b64 s[6:7], s[6:7], s[2:3]
	v_readfirstlane_b32 s28, v2
	s_mul_i32 s27, s6, s26
	s_mul_hi_u32 s29, s6, s28
	s_mul_hi_u32 s3, s6, s26
	s_add_u32 s27, s29, s27
	s_addc_u32 s3, 0, s3
	s_mul_hi_u32 s30, s7, s28
	s_mul_i32 s28, s7, s28
	s_add_u32 s27, s27, s28
	s_mul_hi_u32 s29, s7, s26
	s_addc_u32 s3, s3, s30
	s_addc_u32 s27, s29, 0
	s_mul_i32 s26, s7, s26
	s_add_u32 s3, s3, s26
	s_addc_u32 s26, 0, s27
	s_mul_hi_u32 s27, s33, s3
	s_mul_i32 s3, s33, s3
	s_mul_i32 s26, s33, s26
	v_mov_b32_e32 v2, s3
	s_add_i32 s27, s27, s26
	v_sub_co_u32_e32 v2, vcc, s6, v2
	s_cmp_lg_u64 vcc, 0
	s_subb_u32 s3, s7, s27
	v_subrev_co_u32_e32 v3, vcc, s33, v2
	s_cmp_lg_u64 vcc, 0
	s_subb_u32 s6, s3, 0
	v_subrev_co_u32_e32 v4, vcc, s33, v3
	s_cmp_lg_u64 vcc, 0
	s_subb_u32 s7, s6, 0
	v_cmp_le_u32_e32 vcc, s33, v3
	s_cmp_eq_u32 s6, 0
	v_cndmask_b32_e64 v5, 0, -1, vcc
	s_cselect_b64 vcc, -1, 0
	v_cndmask_b32_e32 v5, -1, v5, vcc
	v_mov_b32_e32 v6, s6
	v_mov_b32_e32 v7, s7
	v_cmp_ne_u32_e32 vcc, 0, v5
	v_cndmask_b32_e32 v5, v6, v7, vcc
	v_cndmask_b32_e32 v3, v3, v4, vcc
	v_cmp_le_u32_e32 vcc, s33, v2
	s_cmp_eq_u32 s3, 0
	v_cndmask_b32_e64 v4, 0, -1, vcc
	s_cselect_b64 vcc, -1, 0
	v_cndmask_b32_e32 v4, -1, v4, vcc
	v_cmp_ne_u32_e32 vcc, 0, v4
	v_mov_b32_e32 v6, s3
	v_cndmask_b32_e32 v2, v2, v3, vcc
	v_cndmask_b32_e32 v4, v6, v5, vcc
	v_xor_b32_e32 v2, s2, v2
	v_xor_b32_e32 v3, s2, v4
	v_mov_b32_e32 v4, s2
	v_subrev_co_u32_e32 v2, vcc, s2, v2
	v_subb_co_u32_e32 v3, vcc, v3, v4, vcc
	s_cbranch_execnz .LBB71_204
.LBB71_203:                             ;   in Loop: Header=BB71_33 Depth=1
	v_cvt_f32_u32_e32 v2, s33
	s_sub_i32 s2, 0, s33
	v_rcp_iflag_f32_e32 v2, v2
	v_mul_f32_e32 v2, 0x4f7ffffe, v2
	v_cvt_u32_f32_e32 v2, v2
	v_mul_lo_u32 v3, s2, v2
	v_mul_hi_u32 v3, v2, v3
	v_add_u32_e32 v2, v2, v3
	v_mul_hi_u32 v2, s90, v2
	v_mul_lo_u32 v2, v2, s33
	v_sub_u32_e32 v2, s90, v2
	v_subrev_u32_e32 v3, s33, v2
	v_cmp_le_u32_e32 vcc, s33, v2
	v_cndmask_b32_e32 v2, v2, v3, vcc
	v_subrev_u32_e32 v3, s33, v2
	v_cmp_le_u32_e32 vcc, s33, v2
	v_cndmask_b32_e32 v12, v2, v3, vcc
	v_pk_mov_b32 v[2:3], v[12:13], v[12:13] op_sel:[0,1]
.LBB71_204:                             ;   in Loop: Header=BB71_33 Depth=1
	v_mov_b32_e32 v4, s87
	v_sub_co_u32_e32 v2, vcc, s90, v2
	v_subb_co_u32_e32 v3, vcc, v4, v3, vcc
	v_cmp_gt_i64_e32 vcc, v[2:3], v[0:1]
	s_mov_b64 s[2:3], 0
                                        ; implicit-def: $vgpr56
	s_and_saveexec_b64 s[26:27], vcc
	s_cbranch_execz .LBB71_217
; %bb.205:                              ;   in Loop: Header=BB71_33 Depth=1
	v_pk_mov_b32 v[4:5], v[10:11], v[10:11] op_sel:[0,1]
	v_pk_mov_b32 v[6:7], v[0:1], v[0:1] op_sel:[0,1]
                                        ; implicit-def: $sgpr28_sgpr29
	s_branch .LBB71_207
.LBB71_206:                             ;   in Loop: Header=BB71_207 Depth=2
	s_or_b64 exec, exec, s[6:7]
	s_waitcnt lgkmcnt(0)
	s_barrier
	s_waitcnt vmcnt(0)
	ds_read_b32 v8, v13 offset:3072
	v_add_co_u32_e64 v6, s[6:7], s33, v6
	s_waitcnt lgkmcnt(0)
	s_barrier
	v_and_b32_e32 v9, 0x7fff, v8
	v_cmp_ne_u16_e32 vcc, 0, v9
	v_mov_b32_e32 v9, s84
	v_addc_co_u32_e64 v7, s[6:7], v7, v9, s[6:7]
	v_cmp_ge_i64_e64 s[6:7], v[6:7], v[2:3]
	s_or_b64 s[30:31], vcc, s[6:7]
	v_mov_b32_e32 v9, s75
	v_add_co_u32_e64 v4, s[6:7], s74, v4
	v_addc_co_u32_e64 v5, s[6:7], v5, v9, s[6:7]
	s_and_b64 s[6:7], exec, s[30:31]
	s_or_b64 s[2:3], s[6:7], s[2:3]
	s_andn2_b64 s[6:7], s[28:29], exec
	s_and_b64 s[28:29], vcc, exec
	s_or_b64 s[28:29], s[6:7], s[28:29]
	s_andn2_b64 exec, exec, s[2:3]
	s_cbranch_execz .LBB71_216
.LBB71_207:                             ;   Parent Loop BB71_33 Depth=1
                                        ; =>  This Inner Loop Header: Depth=2
	v_cmp_gt_i64_e32 vcc, s[52:53], v[6:7]
	v_mov_b32_e32 v8, 0
	s_and_saveexec_b64 s[6:7], vcc
	s_cbranch_execz .LBB71_209
; %bb.208:                              ;   in Loop: Header=BB71_207 Depth=2
	global_load_ushort v8, v[4:5], off
.LBB71_209:                             ;   in Loop: Header=BB71_207 Depth=2
	s_or_b64 exec, exec, s[6:7]
	s_and_saveexec_b64 s[6:7], vcc
	s_cbranch_execz .LBB71_206
; %bb.210:                              ;   in Loop: Header=BB71_207 Depth=2
	s_waitcnt vmcnt(0)
	v_cmp_lt_i16_e32 vcc, -1, v8
	v_cndmask_b32_e32 v9, v51, v52, vcc
	v_lshlrev_b32_e32 v12, 16, v8
	v_xor_b32_sdwa v9, v9, v8 dst_sel:DWORD dst_unused:UNUSED_PAD src0_sel:DWORD src1_sel:WORD_0
	v_cmp_o_f32_e32 vcc, v12, v12
	v_cndmask_b32_e32 v9, v51, v9, vcc
	v_and_b32_e32 v9, s95, v9
	v_cmp_eq_u32_e32 vcc, s60, v9
	s_and_b64 exec, exec, vcc
	s_cbranch_execz .LBB71_206
; %bb.211:                              ;   in Loop: Header=BB71_207 Depth=2
	v_perm_b32 v8, v8, s66, v55
	ds_write_b32 v13, v8 offset:3072
	s_branch .LBB71_206
.LBB71_212:                             ;   in Loop: Header=BB71_33 Depth=1
	s_mov_b64 s[82:83], s[34:35]
                                        ; implicit-def: $sgpr28_sgpr29
                                        ; implicit-def: $sgpr34_sgpr35
                                        ; implicit-def: $sgpr30_sgpr31
	s_branch .LBB71_231
.LBB71_213:                             ;   in Loop: Header=BB71_33 Depth=1
                                        ; implicit-def: $vgpr2_vgpr3
	s_branch .LBB71_156
.LBB71_214:                             ;   in Loop: Header=BB71_33 Depth=1
                                        ; implicit-def: $vgpr2_vgpr3
	s_branch .LBB71_173
.LBB71_215:                             ;   in Loop: Header=BB71_33 Depth=1
	s_mov_b64 s[82:83], s[34:35]
	s_mov_b64 s[28:29], -1
	s_mov_b64 s[2:3], 0
                                        ; implicit-def: $sgpr30_sgpr31
                                        ; implicit-def: $vgpr56
	s_mov_b64 s[34:35], s[28:29]
	s_cbranch_execnz .LBB71_218
	s_branch .LBB71_231
.LBB71_216:                             ;   in Loop: Header=BB71_33 Depth=1
	s_or_b64 exec, exec, s[2:3]
	v_lshrrev_b32_e32 v56, 16, v8
	s_and_b64 s[2:3], s[28:29], exec
.LBB71_217:                             ;   in Loop: Header=BB71_33 Depth=1
	s_or_b64 exec, exec, s[26:27]
	s_mov_b64 s[82:83], s[34:35]
	s_mov_b64 s[30:31], -1
	s_mov_b64 s[28:29], 0
	s_mov_b64 s[34:35], s[28:29]
	s_branch .LBB71_231
.LBB71_218:                             ;   in Loop: Header=BB71_33 Depth=1
	v_readlane_b32 s2, v60, 24
	s_add_u32 s26, s2, s36
	v_readlane_b32 s2, v60, 25
	s_addc_u32 s3, s2, s37
	s_mov_b32 s2, s77
	s_cmp_lg_u64 s[2:3], 0
	s_cbranch_scc0 .LBB71_261
; %bb.219:                              ;   in Loop: Header=BB71_33 Depth=1
	v_cvt_f32_u32_e32 v2, s33
	s_sub_u32 s2, 0, s33
	s_subb_u32 s6, 0, 0
	v_mac_f32_e32 v2, 0x4f800000, v53
	v_rcp_f32_e32 v2, v2
	v_mul_f32_e32 v2, 0x5f7ffffc, v2
	v_mul_f32_e32 v3, 0x2f800000, v2
	v_trunc_f32_e32 v3, v3
	v_mac_f32_e32 v2, 0xcf800000, v3
	v_cvt_u32_f32_e32 v3, v3
	v_cvt_u32_f32_e32 v2, v2
	v_readfirstlane_b32 s7, v3
	v_readfirstlane_b32 s27, v2
	s_mul_i32 s28, s2, s7
	s_mul_hi_u32 s30, s2, s27
	s_mul_i32 s29, s6, s27
	s_add_i32 s28, s30, s28
	s_mul_i32 s31, s2, s27
	s_add_i32 s28, s28, s29
	s_mul_hi_u32 s30, s27, s31
	s_mul_hi_u32 s29, s27, s28
	s_mul_i32 s27, s27, s28
	s_add_u32 s27, s30, s27
	s_addc_u32 s29, 0, s29
	s_mul_hi_u32 s34, s7, s31
	s_mul_i32 s31, s7, s31
	s_add_u32 s27, s27, s31
	s_mul_hi_u32 s30, s7, s28
	s_addc_u32 s27, s29, s34
	s_addc_u32 s29, s30, 0
	s_mul_i32 s28, s7, s28
	s_add_u32 s27, s27, s28
	s_addc_u32 s28, 0, s29
	v_add_co_u32_e32 v2, vcc, s27, v2
	s_cmp_lg_u64 vcc, 0
	s_addc_u32 s7, s7, s28
	v_readfirstlane_b32 s28, v2
	s_mul_i32 s27, s2, s7
	s_mul_hi_u32 s29, s2, s28
	s_add_i32 s27, s29, s27
	s_mul_i32 s6, s6, s28
	s_add_i32 s27, s27, s6
	s_mul_i32 s2, s2, s28
	s_mul_hi_u32 s29, s7, s2
	s_mul_i32 s30, s7, s2
	s_mul_i32 s34, s28, s27
	s_mul_hi_u32 s2, s28, s2
	s_mul_hi_u32 s31, s28, s27
	s_add_u32 s2, s2, s34
	s_addc_u32 s28, 0, s31
	s_add_u32 s2, s2, s30
	s_mul_hi_u32 s6, s7, s27
	s_addc_u32 s2, s28, s29
	s_addc_u32 s6, s6, 0
	s_mul_i32 s27, s7, s27
	s_add_u32 s2, s2, s27
	s_addc_u32 s6, 0, s6
	v_add_co_u32_e32 v2, vcc, s2, v2
	s_cmp_lg_u64 vcc, 0
	s_addc_u32 s2, s7, s6
	s_ashr_i32 s6, s3, 31
	s_add_u32 s28, s26, s6
	s_mov_b32 s7, s6
	s_addc_u32 s29, s3, s6
	s_xor_b64 s[28:29], s[28:29], s[6:7]
	v_readfirstlane_b32 s30, v2
	s_mul_i32 s27, s28, s2
	s_mul_hi_u32 s31, s28, s30
	s_mul_hi_u32 s7, s28, s2
	s_add_u32 s27, s31, s27
	s_addc_u32 s7, 0, s7
	s_mul_hi_u32 s34, s29, s30
	s_mul_i32 s30, s29, s30
	s_add_u32 s27, s27, s30
	s_mul_hi_u32 s31, s29, s2
	s_addc_u32 s7, s7, s34
	s_addc_u32 s27, s31, 0
	s_mul_i32 s2, s29, s2
	s_add_u32 s2, s7, s2
	s_addc_u32 s7, 0, s27
	s_mul_hi_u32 s27, s33, s2
	s_mul_i32 s2, s33, s2
	s_mul_i32 s7, s33, s7
	v_mov_b32_e32 v2, s2
	s_add_i32 s27, s27, s7
	v_sub_co_u32_e32 v2, vcc, s28, v2
	s_cmp_lg_u64 vcc, 0
	s_subb_u32 s2, s29, s27
	v_subrev_co_u32_e32 v3, vcc, s33, v2
	s_cmp_lg_u64 vcc, 0
	s_subb_u32 s7, s2, 0
	v_subrev_co_u32_e32 v4, vcc, s33, v3
	s_cmp_lg_u64 vcc, 0
	s_subb_u32 s27, s7, 0
	v_cmp_le_u32_e32 vcc, s33, v3
	s_cmp_eq_u32 s7, 0
	v_cndmask_b32_e64 v5, 0, -1, vcc
	s_cselect_b64 vcc, -1, 0
	v_cndmask_b32_e32 v5, -1, v5, vcc
	v_mov_b32_e32 v6, s7
	v_mov_b32_e32 v7, s27
	v_cmp_ne_u32_e32 vcc, 0, v5
	v_cndmask_b32_e32 v5, v6, v7, vcc
	v_cndmask_b32_e32 v3, v3, v4, vcc
	v_cmp_le_u32_e32 vcc, s33, v2
	s_cmp_eq_u32 s2, 0
	v_cndmask_b32_e64 v4, 0, -1, vcc
	s_cselect_b64 vcc, -1, 0
	v_cndmask_b32_e32 v4, -1, v4, vcc
	v_cmp_ne_u32_e32 vcc, 0, v4
	v_mov_b32_e32 v6, s2
	v_cndmask_b32_e32 v2, v2, v3, vcc
	v_cndmask_b32_e32 v4, v6, v5, vcc
	v_xor_b32_e32 v2, s6, v2
	v_xor_b32_e32 v3, s6, v4
	v_mov_b32_e32 v4, s6
	v_subrev_co_u32_e32 v2, vcc, s6, v2
	v_subb_co_u32_e32 v3, vcc, v3, v4, vcc
	s_cbranch_execnz .LBB71_221
.LBB71_220:                             ;   in Loop: Header=BB71_33 Depth=1
	v_cvt_f32_u32_e32 v2, s33
	s_sub_i32 s2, 0, s33
	v_rcp_iflag_f32_e32 v2, v2
	v_mul_f32_e32 v2, 0x4f7ffffe, v2
	v_cvt_u32_f32_e32 v2, v2
	v_mul_lo_u32 v3, s2, v2
	v_mul_hi_u32 v3, v2, v3
	v_add_u32_e32 v2, v2, v3
	v_mul_hi_u32 v2, s26, v2
	v_mul_lo_u32 v2, v2, s33
	v_sub_u32_e32 v2, s26, v2
	v_subrev_u32_e32 v3, s33, v2
	v_cmp_le_u32_e32 vcc, s33, v2
	v_cndmask_b32_e32 v2, v2, v3, vcc
	v_subrev_u32_e32 v3, s33, v2
	v_cmp_le_u32_e32 vcc, s33, v2
	v_cndmask_b32_e32 v12, v2, v3, vcc
	v_pk_mov_b32 v[2:3], v[12:13], v[12:13] op_sel:[0,1]
.LBB71_221:                             ;   in Loop: Header=BB71_33 Depth=1
	v_mov_b32_e32 v4, s3
	v_sub_co_u32_e32 v2, vcc, s26, v2
	v_subb_co_u32_e32 v3, vcc, v4, v3, vcc
	v_cmp_gt_i64_e32 vcc, v[2:3], v[0:1]
	s_mov_b64 s[2:3], 0
                                        ; implicit-def: $vgpr56
	s_and_saveexec_b64 s[26:27], vcc
	s_cbranch_execz .LBB71_230
; %bb.222:                              ;   in Loop: Header=BB71_33 Depth=1
	v_mov_b32_e32 v6, v43
	v_pk_mov_b32 v[4:5], v[0:1], v[0:1] op_sel:[0,1]
                                        ; implicit-def: $sgpr28_sgpr29
	s_branch .LBB71_224
.LBB71_223:                             ;   in Loop: Header=BB71_224 Depth=2
	s_or_b64 exec, exec, s[6:7]
	s_waitcnt lgkmcnt(0)
	s_barrier
	ds_read_b32 v7, v13 offset:3072
	v_add_co_u32_e64 v4, s[6:7], s33, v4
	v_add_u32_e32 v6, s94, v6
	s_waitcnt lgkmcnt(0)
	v_and_b32_e32 v8, 0x7fff, v7
	v_cmp_ne_u16_e32 vcc, 0, v8
	v_mov_b32_e32 v8, s84
	v_addc_co_u32_e64 v5, s[6:7], v5, v8, s[6:7]
	v_cmp_ge_i64_e64 s[6:7], v[4:5], v[2:3]
	s_or_b64 s[6:7], vcc, s[6:7]
	s_and_b64 s[6:7], exec, s[6:7]
	s_or_b64 s[2:3], s[6:7], s[2:3]
	s_andn2_b64 s[6:7], s[28:29], exec
	s_and_b64 s[28:29], vcc, exec
	s_or_b64 s[28:29], s[6:7], s[28:29]
	s_barrier
	s_andn2_b64 exec, exec, s[2:3]
	s_cbranch_execz .LBB71_229
.LBB71_224:                             ;   Parent Loop BB71_33 Depth=1
                                        ; =>  This Inner Loop Header: Depth=2
	v_cmp_gt_i64_e32 vcc, s[36:37], v[4:5]
	v_mov_b32_e32 v7, 0
	s_and_saveexec_b64 s[6:7], vcc
	s_cbranch_execz .LBB71_226
; %bb.225:                              ;   in Loop: Header=BB71_224 Depth=2
	ds_read_u16 v7, v6
.LBB71_226:                             ;   in Loop: Header=BB71_224 Depth=2
	s_or_b64 exec, exec, s[6:7]
	s_and_saveexec_b64 s[6:7], vcc
	s_cbranch_execz .LBB71_223
; %bb.227:                              ;   in Loop: Header=BB71_224 Depth=2
	s_waitcnt lgkmcnt(0)
	v_cmp_lt_i16_e32 vcc, -1, v7
	v_cndmask_b32_e32 v8, v51, v52, vcc
	v_lshlrev_b32_e32 v9, 16, v7
	v_xor_b32_sdwa v8, v8, v7 dst_sel:DWORD dst_unused:UNUSED_PAD src0_sel:DWORD src1_sel:WORD_0
	v_cmp_o_f32_e32 vcc, v9, v9
	v_cndmask_b32_e32 v8, v51, v8, vcc
	v_and_b32_e32 v8, s95, v8
	v_cmp_eq_u32_e32 vcc, s60, v8
	s_and_b64 exec, exec, vcc
	s_cbranch_execz .LBB71_223
; %bb.228:                              ;   in Loop: Header=BB71_224 Depth=2
	v_perm_b32 v7, v7, s66, v55
	ds_write_b32 v13, v7 offset:3072
	s_branch .LBB71_223
.LBB71_229:                             ;   in Loop: Header=BB71_33 Depth=1
	s_or_b64 exec, exec, s[2:3]
	v_lshrrev_b32_e32 v56, 16, v7
	s_and_b64 s[2:3], s[28:29], exec
.LBB71_230:                             ;   in Loop: Header=BB71_33 Depth=1
	s_or_b64 exec, exec, s[26:27]
	s_mov_b64 s[34:35], -1
	s_mov_b64 s[28:29], 0
	s_mov_b64 s[30:31], 0
.LBB71_231:                             ;   in Loop: Header=BB71_33 Depth=1
	s_mov_b64 s[6:7], 0
                                        ; implicit-def: $sgpr47
	s_and_saveexec_b64 s[36:37], s[2:3]
	s_cbranch_execz .LBB71_293
; %bb.232:                              ;   in Loop: Header=BB71_33 Depth=1
	s_xor_b64 s[2:3], s[38:39], -1
	s_andn2_b64 vcc, exec, s[2:3]
	s_mov_b32 s47, 1
	s_cbranch_vccnz .LBB71_243
; %bb.233:                              ;   in Loop: Header=BB71_33 Depth=1
	v_pk_mov_b32 v[2:3], s[16:17], s[16:17] op_sel:[0,1]
	v_cmp_gt_i64_e32 vcc, s[54:55], v[2:3]
	s_mov_b64 s[2:3], -1
                                        ; implicit-def: $sgpr47
                                        ; implicit-def: $sgpr6
                                        ; implicit-def: $sgpr7
	s_cbranch_vccnz .LBB71_239
; %bb.234:                              ;   in Loop: Header=BB71_33 Depth=1
	ds_read_b64 v[2:3], v13 offset:5120
	s_waitcnt lgkmcnt(0)
	v_cmp_ne_u64_e32 vcc, 0, v[2:3]
	s_cbranch_vccnz .LBB71_238
; %bb.235:                              ;   in Loop: Header=BB71_33 Depth=1
	s_mov_b64 s[2:3], exec
	v_readlane_b32 s6, v60, 12
	v_readlane_b32 s7, v60, 13
	s_and_b64 s[6:7], s[2:3], s[6:7]
	s_mov_b64 exec, s[6:7]
	s_cbranch_execz .LBB71_237
; %bb.236:                              ;   in Loop: Header=BB71_33 Depth=1
	v_pk_mov_b32 v[2:3], s[16:17], s[16:17] op_sel:[0,1]
	ds_write_b64 v13, v[2:3] offset:5128
.LBB71_237:                             ;   in Loop: Header=BB71_33 Depth=1
	s_or_b64 exec, exec, s[2:3]
	s_waitcnt lgkmcnt(0)
	s_barrier
.LBB71_238:                             ;   in Loop: Header=BB71_33 Depth=1
	s_lshl_b32 s2, 2, s40
	s_and_b32 s3, s60, s41
	s_or_b32 s6, s3, s2
	s_or_b32 s7, s95, s46
	s_mov_b64 s[2:3], 0
	s_mov_b32 s47, 8
.LBB71_239:                             ;   in Loop: Header=BB71_33 Depth=1
	s_mov_b64 s[0:1], s[42:43]
	s_andn2_b64 vcc, exec, s[2:3]
	s_cbranch_vccnz .LBB71_241
; %bb.240:                              ;   in Loop: Header=BB71_33 Depth=1
	s_sub_u32 s54, s54, s16
	s_subb_u32 s55, s55, s17
	s_mov_b64 s[2:3], -1
	s_mov_b32 s47, 0
	s_mov_b32 s6, s60
	s_mov_b32 s7, s95
.LBB71_241:                             ;   in Loop: Header=BB71_33 Depth=1
	s_mov_b32 s95, s7
	s_mov_b32 s60, s6
	s_andn2_b64 vcc, exec, s[2:3]
	s_mov_b64 s[42:43], -1
	s_cbranch_vccz .LBB71_244
.LBB71_242:                             ;   in Loop: Header=BB71_33 Depth=1
                                        ; implicit-def: $sgpr2_sgpr3
                                        ; implicit-def: $sgpr26_sgpr27
                                        ; implicit-def: $sgpr6_sgpr7
	s_branch .LBB71_292
.LBB71_243:                             ;   in Loop: Header=BB71_33 Depth=1
	s_mov_b64 s[0:1], s[42:43]
	s_mov_b64 s[54:55], 1
	s_mov_b64 s[42:43], -1
	s_cbranch_execnz .LBB71_242
.LBB71_244:                             ;   in Loop: Header=BB71_33 Depth=1
	s_cmp_eq_u64 s[10:11], 1
	s_cselect_b64 s[2:3], -1, 0
	s_cmp_eq_u64 s[54:55], 1
	s_cselect_b64 s[6:7], -1, 0
	s_and_b64 s[16:17], s[2:3], s[6:7]
	s_mov_b64 s[40:41], -1
	s_and_b64 vcc, exec, s[16:17]
	s_cbranch_vccz .LBB71_259
; %bb.245:                              ;   in Loop: Header=BB71_33 Depth=1
	ds_read_b64 v[2:3], v13 offset:5120
	s_waitcnt lgkmcnt(0)
	s_barrier
	v_readfirstlane_b32 s38, v2
	v_readfirstlane_b32 s39, v3
	s_mov_b64 s[2:3], exec
	v_readlane_b32 s6, v60, 14
	v_readlane_b32 s7, v60, 15
	s_and_b64 s[6:7], s[2:3], s[6:7]
	s_mov_b64 exec, s[6:7]
	s_cbranch_execz .LBB71_247
; %bb.246:                              ;   in Loop: Header=BB71_33 Depth=1
	ds_write_b16 v44, v13
.LBB71_247:                             ;   in Loop: Header=BB71_33 Depth=1
	s_or_b64 exec, exec, s[2:3]
	v_cmp_gt_i64_e64 s[2:3], s[38:39], 0
	s_or_b32 s60, s60, s46
	s_or_b32 s95, s95, s46
	s_and_b64 vcc, exec, s[2:3]
	s_waitcnt lgkmcnt(0)
	s_barrier
	s_cbranch_vccnz .LBB71_262
; %bb.248:                              ;   in Loop: Header=BB71_33 Depth=1
	s_mov_b32 s86, s77
	s_cmp_lg_u64 s[86:87], 0
	s_cbranch_scc0 .LBB71_298
; %bb.249:                              ;   in Loop: Header=BB71_33 Depth=1
	v_cvt_f32_u32_e32 v2, s33
	s_sub_u32 s2, 0, s33
	s_subb_u32 s3, 0, 0
	v_mac_f32_e32 v2, 0x4f800000, v53
	v_rcp_f32_e32 v2, v2
	v_mul_f32_e32 v2, 0x5f7ffffc, v2
	v_mul_f32_e32 v3, 0x2f800000, v2
	v_trunc_f32_e32 v3, v3
	v_mac_f32_e32 v2, 0xcf800000, v3
	v_cvt_u32_f32_e32 v3, v3
	v_cvt_u32_f32_e32 v2, v2
	v_readfirstlane_b32 s6, v3
	v_readfirstlane_b32 s7, v2
	s_mul_i32 s26, s2, s6
	s_mul_hi_u32 s40, s2, s7
	s_mul_i32 s27, s3, s7
	s_add_i32 s26, s40, s26
	s_mul_i32 s41, s2, s7
	s_add_i32 s26, s26, s27
	s_mul_hi_u32 s40, s7, s41
	s_mul_hi_u32 s27, s7, s26
	s_mul_i32 s7, s7, s26
	s_add_u32 s7, s40, s7
	s_addc_u32 s27, 0, s27
	s_mul_hi_u32 s42, s6, s41
	s_mul_i32 s41, s6, s41
	s_add_u32 s7, s7, s41
	s_mul_hi_u32 s40, s6, s26
	s_addc_u32 s7, s27, s42
	s_addc_u32 s27, s40, 0
	s_mul_i32 s26, s6, s26
	s_add_u32 s7, s7, s26
	s_addc_u32 s26, 0, s27
	v_add_co_u32_e32 v2, vcc, s7, v2
	s_cmp_lg_u64 vcc, 0
	s_addc_u32 s6, s6, s26
	v_readfirstlane_b32 s26, v2
	s_mul_i32 s7, s2, s6
	s_mul_hi_u32 s27, s2, s26
	s_add_i32 s7, s27, s7
	s_mul_i32 s3, s3, s26
	s_add_i32 s7, s7, s3
	s_mul_i32 s2, s2, s26
	s_mul_hi_u32 s27, s6, s2
	s_mul_i32 s40, s6, s2
	s_mul_i32 s42, s26, s7
	s_mul_hi_u32 s2, s26, s2
	s_mul_hi_u32 s41, s26, s7
	s_add_u32 s2, s2, s42
	s_addc_u32 s26, 0, s41
	s_add_u32 s2, s2, s40
	s_mul_hi_u32 s3, s6, s7
	s_addc_u32 s2, s26, s27
	s_addc_u32 s3, s3, 0
	s_mul_i32 s7, s6, s7
	s_add_u32 s2, s2, s7
	s_addc_u32 s3, 0, s3
	v_add_co_u32_e32 v2, vcc, s2, v2
	s_cmp_lg_u64 vcc, 0
	s_addc_u32 s26, s6, s3
	s_ashr_i32 s2, s87, 31
	s_add_u32 s6, s90, s2
	s_mov_b32 s3, s2
	s_addc_u32 s7, s87, s2
	s_xor_b64 s[6:7], s[6:7], s[2:3]
	v_readfirstlane_b32 s40, v2
	s_mul_i32 s27, s6, s26
	s_mul_hi_u32 s41, s6, s40
	s_mul_hi_u32 s3, s6, s26
	s_add_u32 s27, s41, s27
	s_addc_u32 s3, 0, s3
	s_mul_hi_u32 s42, s7, s40
	s_mul_i32 s40, s7, s40
	s_add_u32 s27, s27, s40
	s_mul_hi_u32 s41, s7, s26
	s_addc_u32 s3, s3, s42
	s_addc_u32 s27, s41, 0
	s_mul_i32 s26, s7, s26
	s_add_u32 s3, s3, s26
	s_addc_u32 s26, 0, s27
	s_mul_hi_u32 s27, s33, s3
	s_mul_i32 s3, s33, s3
	s_mul_i32 s26, s33, s26
	v_mov_b32_e32 v2, s3
	s_add_i32 s27, s27, s26
	v_sub_co_u32_e32 v2, vcc, s6, v2
	s_cmp_lg_u64 vcc, 0
	s_subb_u32 s3, s7, s27
	v_subrev_co_u32_e32 v3, vcc, s33, v2
	s_cmp_lg_u64 vcc, 0
	s_subb_u32 s6, s3, 0
	v_subrev_co_u32_e32 v4, vcc, s33, v3
	s_cmp_lg_u64 vcc, 0
	s_subb_u32 s7, s6, 0
	v_cmp_le_u32_e32 vcc, s33, v3
	s_cmp_eq_u32 s6, 0
	v_cndmask_b32_e64 v5, 0, -1, vcc
	s_cselect_b64 vcc, -1, 0
	v_cndmask_b32_e32 v5, -1, v5, vcc
	v_mov_b32_e32 v6, s6
	v_mov_b32_e32 v7, s7
	v_cmp_ne_u32_e32 vcc, 0, v5
	v_cndmask_b32_e32 v5, v6, v7, vcc
	v_cndmask_b32_e32 v3, v3, v4, vcc
	v_cmp_le_u32_e32 vcc, s33, v2
	s_cmp_eq_u32 s3, 0
	v_cndmask_b32_e64 v4, 0, -1, vcc
	s_cselect_b64 vcc, -1, 0
	v_cndmask_b32_e32 v4, -1, v4, vcc
	v_cmp_ne_u32_e32 vcc, 0, v4
	v_mov_b32_e32 v6, s3
	v_cndmask_b32_e32 v2, v2, v3, vcc
	v_cndmask_b32_e32 v4, v6, v5, vcc
	v_xor_b32_e32 v2, s2, v2
	v_xor_b32_e32 v3, s2, v4
	v_mov_b32_e32 v4, s2
	v_subrev_co_u32_e32 v2, vcc, s2, v2
	v_subb_co_u32_e32 v3, vcc, v3, v4, vcc
	s_cbranch_execnz .LBB71_251
.LBB71_250:                             ;   in Loop: Header=BB71_33 Depth=1
	v_cvt_f32_u32_e32 v2, s33
	s_sub_i32 s2, 0, s33
	v_rcp_iflag_f32_e32 v2, v2
	v_mul_f32_e32 v2, 0x4f7ffffe, v2
	v_cvt_u32_f32_e32 v2, v2
	v_mul_lo_u32 v3, s2, v2
	v_mul_hi_u32 v3, v2, v3
	v_add_u32_e32 v2, v2, v3
	v_mul_hi_u32 v2, s90, v2
	v_mul_lo_u32 v2, v2, s33
	v_sub_u32_e32 v2, s90, v2
	v_subrev_u32_e32 v3, s33, v2
	v_cmp_le_u32_e32 vcc, s33, v2
	v_cndmask_b32_e32 v2, v2, v3, vcc
	v_subrev_u32_e32 v3, s33, v2
	v_cmp_le_u32_e32 vcc, s33, v2
	v_cndmask_b32_e32 v12, v2, v3, vcc
	v_pk_mov_b32 v[2:3], v[12:13], v[12:13] op_sel:[0,1]
.LBB71_251:                             ;   in Loop: Header=BB71_33 Depth=1
	v_mov_b32_e32 v4, s87
	v_sub_co_u32_e32 v2, vcc, s90, v2
	v_subb_co_u32_e32 v3, vcc, v4, v3, vcc
	v_cmp_gt_i64_e32 vcc, v[2:3], v[0:1]
	s_mov_b64 s[40:41], 0
                                        ; implicit-def: $vgpr56
	s_and_saveexec_b64 s[2:3], vcc
	s_cbranch_execz .LBB71_264
; %bb.252:                              ;   in Loop: Header=BB71_33 Depth=1
	s_mov_b64 s[26:27], 0
	v_pk_mov_b32 v[4:5], v[10:11], v[10:11] op_sel:[0,1]
	v_pk_mov_b32 v[6:7], v[0:1], v[0:1] op_sel:[0,1]
                                        ; implicit-def: $sgpr40_sgpr41
	s_branch .LBB71_254
.LBB71_253:                             ;   in Loop: Header=BB71_254 Depth=2
	s_or_b64 exec, exec, s[6:7]
	s_waitcnt lgkmcnt(0)
	s_barrier
	s_waitcnt vmcnt(0)
	ds_read_b32 v8, v13 offset:3072
	v_add_co_u32_e64 v6, s[6:7], s33, v6
	s_waitcnt lgkmcnt(0)
	s_barrier
	v_and_b32_e32 v9, 0x7fff, v8
	v_cmp_ne_u16_e32 vcc, 0, v9
	v_mov_b32_e32 v9, s84
	v_addc_co_u32_e64 v7, s[6:7], v7, v9, s[6:7]
	v_cmp_ge_i64_e64 s[6:7], v[6:7], v[2:3]
	s_or_b64 s[42:43], vcc, s[6:7]
	v_mov_b32_e32 v9, s75
	v_add_co_u32_e64 v4, s[6:7], s74, v4
	v_addc_co_u32_e64 v5, s[6:7], v5, v9, s[6:7]
	s_and_b64 s[6:7], exec, s[42:43]
	s_or_b64 s[26:27], s[6:7], s[26:27]
	s_andn2_b64 s[6:7], s[40:41], exec
	s_and_b64 s[40:41], vcc, exec
	s_or_b64 s[40:41], s[6:7], s[40:41]
	s_andn2_b64 exec, exec, s[26:27]
	s_cbranch_execz .LBB71_263
.LBB71_254:                             ;   Parent Loop BB71_33 Depth=1
                                        ; =>  This Inner Loop Header: Depth=2
	v_cmp_gt_i64_e32 vcc, s[52:53], v[6:7]
	v_mov_b32_e32 v8, 0
	s_and_saveexec_b64 s[6:7], vcc
	s_cbranch_execz .LBB71_256
; %bb.255:                              ;   in Loop: Header=BB71_254 Depth=2
	global_load_ushort v8, v[4:5], off
.LBB71_256:                             ;   in Loop: Header=BB71_254 Depth=2
	s_or_b64 exec, exec, s[6:7]
	s_and_saveexec_b64 s[6:7], vcc
	s_cbranch_execz .LBB71_253
; %bb.257:                              ;   in Loop: Header=BB71_254 Depth=2
	s_waitcnt vmcnt(0)
	v_cmp_lt_i16_e32 vcc, -1, v8
	v_cndmask_b32_e32 v9, v51, v52, vcc
	v_lshlrev_b32_e32 v12, 16, v8
	v_xor_b32_sdwa v9, v9, v8 dst_sel:DWORD dst_unused:UNUSED_PAD src0_sel:DWORD src1_sel:WORD_0
	v_cmp_o_f32_e32 vcc, v12, v12
	v_cndmask_b32_e32 v9, v51, v9, vcc
	v_and_b32_e32 v9, s95, v9
	v_cmp_eq_u32_e32 vcc, s60, v9
	s_and_b64 exec, exec, vcc
	s_cbranch_execz .LBB71_253
; %bb.258:                              ;   in Loop: Header=BB71_254 Depth=2
	v_perm_b32 v8, v8, s66, v55
	ds_write_b32 v13, v8 offset:3072
	s_branch .LBB71_253
.LBB71_259:                             ;   in Loop: Header=BB71_33 Depth=1
                                        ; implicit-def: $sgpr2_sgpr3
                                        ; implicit-def: $sgpr26_sgpr27
                                        ; implicit-def: $sgpr6_sgpr7
	s_branch .LBB71_278
.LBB71_260:                             ;   in Loop: Header=BB71_33 Depth=1
                                        ; implicit-def: $vgpr2_vgpr3
	s_branch .LBB71_203
.LBB71_261:                             ;   in Loop: Header=BB71_33 Depth=1
                                        ; implicit-def: $vgpr2_vgpr3
	s_branch .LBB71_220
.LBB71_262:                             ;   in Loop: Header=BB71_33 Depth=1
	s_mov_b64 s[2:3], -1
	s_mov_b64 s[40:41], 0
                                        ; implicit-def: $sgpr6_sgpr7
                                        ; implicit-def: $vgpr56
	s_mov_b64 s[26:27], s[2:3]
	s_cbranch_execnz .LBB71_265
	s_branch .LBB71_278
.LBB71_263:                             ;   in Loop: Header=BB71_33 Depth=1
	s_or_b64 exec, exec, s[26:27]
	v_lshrrev_b32_e32 v56, 16, v8
	s_and_b64 s[40:41], s[40:41], exec
.LBB71_264:                             ;   in Loop: Header=BB71_33 Depth=1
	s_or_b64 exec, exec, s[2:3]
	s_mov_b64 s[6:7], -1
	s_mov_b64 s[2:3], 0
	s_mov_b64 s[26:27], s[2:3]
	s_branch .LBB71_278
.LBB71_265:                             ;   in Loop: Header=BB71_33 Depth=1
	v_readlane_b32 s2, v60, 24
	s_add_u32 s26, s2, s38
	v_readlane_b32 s2, v60, 25
	s_addc_u32 s3, s2, s39
	s_mov_b32 s2, s77
	s_cmp_lg_u64 s[2:3], 0
	s_cbranch_scc0 .LBB71_299
; %bb.266:                              ;   in Loop: Header=BB71_33 Depth=1
	v_cvt_f32_u32_e32 v2, s33
	s_sub_u32 s2, 0, s33
	s_subb_u32 s6, 0, 0
	v_mac_f32_e32 v2, 0x4f800000, v53
	v_rcp_f32_e32 v2, v2
	v_mul_f32_e32 v2, 0x5f7ffffc, v2
	v_mul_f32_e32 v3, 0x2f800000, v2
	v_trunc_f32_e32 v3, v3
	v_mac_f32_e32 v2, 0xcf800000, v3
	v_cvt_u32_f32_e32 v3, v3
	v_cvt_u32_f32_e32 v2, v2
	v_readfirstlane_b32 s7, v3
	v_readfirstlane_b32 s27, v2
	s_mul_i32 s40, s2, s7
	s_mul_hi_u32 s42, s2, s27
	s_mul_i32 s41, s6, s27
	s_add_i32 s40, s42, s40
	s_mul_i32 s43, s2, s27
	s_add_i32 s40, s40, s41
	s_mul_hi_u32 s42, s27, s43
	s_mul_hi_u32 s41, s27, s40
	s_mul_i32 s27, s27, s40
	s_add_u32 s27, s42, s27
	s_addc_u32 s41, 0, s41
	s_mul_hi_u32 s44, s7, s43
	s_mul_i32 s43, s7, s43
	s_add_u32 s27, s27, s43
	s_mul_hi_u32 s42, s7, s40
	s_addc_u32 s27, s41, s44
	s_addc_u32 s41, s42, 0
	s_mul_i32 s40, s7, s40
	s_add_u32 s27, s27, s40
	s_addc_u32 s40, 0, s41
	v_add_co_u32_e32 v2, vcc, s27, v2
	s_cmp_lg_u64 vcc, 0
	s_addc_u32 s7, s7, s40
	v_readfirstlane_b32 s40, v2
	s_mul_i32 s27, s2, s7
	s_mul_hi_u32 s41, s2, s40
	s_add_i32 s27, s41, s27
	s_mul_i32 s6, s6, s40
	s_add_i32 s27, s27, s6
	s_mul_i32 s2, s2, s40
	s_mul_hi_u32 s41, s7, s2
	s_mul_i32 s42, s7, s2
	s_mul_i32 s44, s40, s27
	s_mul_hi_u32 s2, s40, s2
	s_mul_hi_u32 s43, s40, s27
	s_add_u32 s2, s2, s44
	s_addc_u32 s40, 0, s43
	s_add_u32 s2, s2, s42
	s_mul_hi_u32 s6, s7, s27
	s_addc_u32 s2, s40, s41
	s_addc_u32 s6, s6, 0
	s_mul_i32 s27, s7, s27
	s_add_u32 s2, s2, s27
	s_addc_u32 s6, 0, s6
	v_add_co_u32_e32 v2, vcc, s2, v2
	s_cmp_lg_u64 vcc, 0
	s_addc_u32 s2, s7, s6
	s_ashr_i32 s6, s3, 31
	s_add_u32 s40, s26, s6
	s_mov_b32 s7, s6
	s_addc_u32 s41, s3, s6
	s_xor_b64 s[40:41], s[40:41], s[6:7]
	v_readfirstlane_b32 s42, v2
	s_mul_i32 s27, s40, s2
	s_mul_hi_u32 s43, s40, s42
	s_mul_hi_u32 s7, s40, s2
	s_add_u32 s27, s43, s27
	s_addc_u32 s7, 0, s7
	s_mul_hi_u32 s44, s41, s42
	s_mul_i32 s42, s41, s42
	s_add_u32 s27, s27, s42
	s_mul_hi_u32 s43, s41, s2
	s_addc_u32 s7, s7, s44
	s_addc_u32 s27, s43, 0
	s_mul_i32 s2, s41, s2
	s_add_u32 s2, s7, s2
	s_addc_u32 s7, 0, s27
	s_mul_hi_u32 s27, s33, s2
	s_mul_i32 s2, s33, s2
	s_mul_i32 s7, s33, s7
	v_mov_b32_e32 v2, s2
	s_add_i32 s27, s27, s7
	v_sub_co_u32_e32 v2, vcc, s40, v2
	s_cmp_lg_u64 vcc, 0
	s_subb_u32 s2, s41, s27
	v_subrev_co_u32_e32 v3, vcc, s33, v2
	s_cmp_lg_u64 vcc, 0
	s_subb_u32 s7, s2, 0
	v_subrev_co_u32_e32 v4, vcc, s33, v3
	s_cmp_lg_u64 vcc, 0
	s_subb_u32 s27, s7, 0
	v_cmp_le_u32_e32 vcc, s33, v3
	s_cmp_eq_u32 s7, 0
	v_cndmask_b32_e64 v5, 0, -1, vcc
	s_cselect_b64 vcc, -1, 0
	v_cndmask_b32_e32 v5, -1, v5, vcc
	v_mov_b32_e32 v6, s7
	v_mov_b32_e32 v7, s27
	v_cmp_ne_u32_e32 vcc, 0, v5
	v_cndmask_b32_e32 v5, v6, v7, vcc
	v_cndmask_b32_e32 v3, v3, v4, vcc
	v_cmp_le_u32_e32 vcc, s33, v2
	s_cmp_eq_u32 s2, 0
	v_cndmask_b32_e64 v4, 0, -1, vcc
	s_cselect_b64 vcc, -1, 0
	v_cndmask_b32_e32 v4, -1, v4, vcc
	v_cmp_ne_u32_e32 vcc, 0, v4
	v_mov_b32_e32 v6, s2
	v_cndmask_b32_e32 v2, v2, v3, vcc
	v_cndmask_b32_e32 v4, v6, v5, vcc
	v_xor_b32_e32 v2, s6, v2
	v_xor_b32_e32 v3, s6, v4
	v_mov_b32_e32 v4, s6
	v_subrev_co_u32_e32 v2, vcc, s6, v2
	v_subb_co_u32_e32 v3, vcc, v3, v4, vcc
	s_cbranch_execnz .LBB71_268
.LBB71_267:                             ;   in Loop: Header=BB71_33 Depth=1
	v_cvt_f32_u32_e32 v2, s33
	s_sub_i32 s2, 0, s33
	v_rcp_iflag_f32_e32 v2, v2
	v_mul_f32_e32 v2, 0x4f7ffffe, v2
	v_cvt_u32_f32_e32 v2, v2
	v_mul_lo_u32 v3, s2, v2
	v_mul_hi_u32 v3, v2, v3
	v_add_u32_e32 v2, v2, v3
	v_mul_hi_u32 v2, s26, v2
	v_mul_lo_u32 v2, v2, s33
	v_sub_u32_e32 v2, s26, v2
	v_subrev_u32_e32 v3, s33, v2
	v_cmp_le_u32_e32 vcc, s33, v2
	v_cndmask_b32_e32 v2, v2, v3, vcc
	v_subrev_u32_e32 v3, s33, v2
	v_cmp_le_u32_e32 vcc, s33, v2
	v_cndmask_b32_e32 v12, v2, v3, vcc
	v_pk_mov_b32 v[2:3], v[12:13], v[12:13] op_sel:[0,1]
.LBB71_268:                             ;   in Loop: Header=BB71_33 Depth=1
	v_mov_b32_e32 v4, s3
	v_sub_co_u32_e32 v2, vcc, s26, v2
	v_subb_co_u32_e32 v3, vcc, v4, v3, vcc
	v_cmp_gt_i64_e32 vcc, v[2:3], v[0:1]
	s_mov_b64 s[40:41], 0
                                        ; implicit-def: $vgpr56
	s_and_saveexec_b64 s[2:3], vcc
	s_cbranch_execz .LBB71_277
; %bb.269:                              ;   in Loop: Header=BB71_33 Depth=1
	s_mov_b64 s[26:27], 0
	v_mov_b32_e32 v6, v43
	v_pk_mov_b32 v[4:5], v[0:1], v[0:1] op_sel:[0,1]
                                        ; implicit-def: $sgpr40_sgpr41
	s_branch .LBB71_271
.LBB71_270:                             ;   in Loop: Header=BB71_271 Depth=2
	s_or_b64 exec, exec, s[6:7]
	s_waitcnt lgkmcnt(0)
	s_barrier
	ds_read_b32 v7, v13 offset:3072
	v_add_co_u32_e64 v4, s[6:7], s33, v4
	v_add_u32_e32 v6, s94, v6
	s_waitcnt lgkmcnt(0)
	v_and_b32_e32 v8, 0x7fff, v7
	v_cmp_ne_u16_e32 vcc, 0, v8
	v_mov_b32_e32 v8, s84
	v_addc_co_u32_e64 v5, s[6:7], v5, v8, s[6:7]
	v_cmp_ge_i64_e64 s[6:7], v[4:5], v[2:3]
	s_or_b64 s[6:7], vcc, s[6:7]
	s_and_b64 s[6:7], exec, s[6:7]
	s_or_b64 s[26:27], s[6:7], s[26:27]
	s_andn2_b64 s[6:7], s[40:41], exec
	s_and_b64 s[40:41], vcc, exec
	s_or_b64 s[40:41], s[6:7], s[40:41]
	s_barrier
	s_andn2_b64 exec, exec, s[26:27]
	s_cbranch_execz .LBB71_276
.LBB71_271:                             ;   Parent Loop BB71_33 Depth=1
                                        ; =>  This Inner Loop Header: Depth=2
	v_cmp_gt_i64_e32 vcc, s[38:39], v[4:5]
	v_mov_b32_e32 v7, 0
	s_and_saveexec_b64 s[6:7], vcc
	s_cbranch_execz .LBB71_273
; %bb.272:                              ;   in Loop: Header=BB71_271 Depth=2
	ds_read_u16 v7, v6
.LBB71_273:                             ;   in Loop: Header=BB71_271 Depth=2
	s_or_b64 exec, exec, s[6:7]
	s_and_saveexec_b64 s[6:7], vcc
	s_cbranch_execz .LBB71_270
; %bb.274:                              ;   in Loop: Header=BB71_271 Depth=2
	s_waitcnt lgkmcnt(0)
	v_cmp_lt_i16_e32 vcc, -1, v7
	v_cndmask_b32_e32 v8, v51, v52, vcc
	v_lshlrev_b32_e32 v9, 16, v7
	v_xor_b32_sdwa v8, v8, v7 dst_sel:DWORD dst_unused:UNUSED_PAD src0_sel:DWORD src1_sel:WORD_0
	v_cmp_o_f32_e32 vcc, v9, v9
	v_cndmask_b32_e32 v8, v51, v8, vcc
	v_and_b32_e32 v8, s95, v8
	v_cmp_eq_u32_e32 vcc, s60, v8
	s_and_b64 exec, exec, vcc
	s_cbranch_execz .LBB71_270
; %bb.275:                              ;   in Loop: Header=BB71_271 Depth=2
	v_perm_b32 v7, v7, s66, v55
	ds_write_b32 v13, v7 offset:3072
	s_branch .LBB71_270
.LBB71_276:                             ;   in Loop: Header=BB71_33 Depth=1
	s_or_b64 exec, exec, s[26:27]
	v_lshrrev_b32_e32 v56, 16, v7
	s_and_b64 s[40:41], s[40:41], exec
.LBB71_277:                             ;   in Loop: Header=BB71_33 Depth=1
	s_or_b64 exec, exec, s[2:3]
	s_mov_b64 s[26:27], -1
	s_mov_b64 s[2:3], 0
	s_mov_b64 s[6:7], 0
.LBB71_278:                             ;   in Loop: Header=BB71_33 Depth=1
	s_mov_b64 s[42:43], 0
                                        ; implicit-def: $sgpr47
                                        ; implicit-def: $sgpr44_sgpr45
	s_and_saveexec_b64 s[38:39], s[40:41]
	s_cbranch_execz .LBB71_291
; %bb.279:                              ;   in Loop: Header=BB71_33 Depth=1
	s_xor_b64 s[16:17], s[16:17], -1
	s_mov_b64 s[44:45], 1
	s_andn2_b64 vcc, exec, s[16:17]
	s_mov_b32 s47, 1
	s_cbranch_vccnz .LBB71_290
; %bb.280:                              ;   in Loop: Header=BB71_33 Depth=1
	v_pk_mov_b32 v[2:3], s[10:11], s[10:11] op_sel:[0,1]
	v_cmp_gt_i64_e32 vcc, s[54:55], v[2:3]
	s_cbranch_vccnz .LBB71_286
; %bb.281:                              ;   in Loop: Header=BB71_33 Depth=1
	ds_read_b64 v[2:3], v13 offset:5120
	s_waitcnt lgkmcnt(0)
	v_cmp_ne_u64_e32 vcc, 0, v[2:3]
	s_cbranch_vccnz .LBB71_285
; %bb.282:                              ;   in Loop: Header=BB71_33 Depth=1
	s_mov_b64 s[16:17], exec
	v_readlane_b32 s40, v60, 12
	v_readlane_b32 s41, v60, 13
	s_and_b64 s[40:41], s[16:17], s[40:41]
	s_mov_b64 exec, s[40:41]
	s_cbranch_execz .LBB71_284
; %bb.283:                              ;   in Loop: Header=BB71_33 Depth=1
	v_pk_mov_b32 v[2:3], s[10:11], s[10:11] op_sel:[0,1]
	ds_write_b64 v13, v[2:3] offset:5128
.LBB71_284:                             ;   in Loop: Header=BB71_33 Depth=1
	s_or_b64 exec, exec, s[16:17]
	s_waitcnt lgkmcnt(0)
	s_barrier
.LBB71_285:                             ;   in Loop: Header=BB71_33 Depth=1
	s_or_b32 s40, s60, s46
	s_or_b32 s41, s95, s46
	s_mov_b64 s[16:17], 0
	s_mov_b32 s47, 8
	s_branch .LBB71_287
.LBB71_286:                             ;   in Loop: Header=BB71_33 Depth=1
	s_mov_b64 s[16:17], -1
                                        ; implicit-def: $sgpr47
                                        ; implicit-def: $sgpr40
                                        ; implicit-def: $sgpr41
.LBB71_287:                             ;   in Loop: Header=BB71_33 Depth=1
	s_andn2_b64 vcc, exec, s[16:17]
	s_cbranch_vccnz .LBB71_289
; %bb.288:                              ;   in Loop: Header=BB71_33 Depth=1
	s_sub_u32 s54, s54, s10
	s_subb_u32 s55, s55, s11
	s_mov_b32 s47, 8
	s_mov_b32 s40, s60
	;; [unrolled: 1-line block ×3, first 2 shown]
.LBB71_289:                             ;   in Loop: Header=BB71_33 Depth=1
	s_mov_b64 s[44:45], s[54:55]
	s_mov_b32 s60, s40
	s_mov_b32 s95, s41
.LBB71_290:                             ;   in Loop: Header=BB71_33 Depth=1
	s_mov_b64 s[42:43], exec
.LBB71_291:                             ;   in Loop: Header=BB71_33 Depth=1
	s_or_b64 exec, exec, s[38:39]
	s_mov_b64 s[54:55], s[44:45]
.LBB71_292:                             ;   in Loop: Header=BB71_33 Depth=1
	s_andn2_b64 s[10:11], s[28:29], exec
	s_and_b64 s[2:3], s[2:3], exec
	s_or_b64 s[28:29], s[10:11], s[2:3]
	s_andn2_b64 s[2:3], s[34:35], exec
	s_and_b64 s[10:11], s[26:27], exec
	s_or_b64 s[34:35], s[2:3], s[10:11]
	;; [unrolled: 3-line block ×3, first 2 shown]
	s_and_b64 s[6:7], s[42:43], exec
	s_mov_b64 s[42:43], s[0:1]
.LBB71_293:                             ;   in Loop: Header=BB71_33 Depth=1
	s_or_b64 exec, exec, s[36:37]
	s_mov_b64 s[0:1], s[8:9]
	s_mov_b64 s[36:37], s[72:73]
	;; [unrolled: 1-line block ×3, first 2 shown]
.LBB71_294:                             ;   in Loop: Header=BB71_33 Depth=1
	s_andn2_b64 s[2:3], s[20:21], exec
	s_and_b64 s[10:11], s[28:29], exec
	s_or_b64 s[20:21], s[2:3], s[10:11]
	s_andn2_b64 s[2:3], s[22:23], exec
	s_and_b64 s[10:11], s[34:35], exec
	s_or_b64 s[22:23], s[2:3], s[10:11]
	;; [unrolled: 3-line block ×3, first 2 shown]
	s_and_b64 s[6:7], s[6:7], exec
	s_mov_b64 s[34:35], s[82:83]
.LBB71_295:                             ;   in Loop: Header=BB71_33 Depth=1
	s_or_b64 exec, exec, s[24:25]
	v_readlane_b32 s4, v60, 43
	v_readlane_b32 s5, v60, 44
	s_and_saveexec_b64 s[2:3], s[6:7]
	s_xor_b64 s[2:3], exec, s[2:3]
	s_cbranch_execz .LBB71_31
.LBB71_296:                             ;   in Loop: Header=BB71_33 Depth=1
	s_and_b32 s6, s47, -9
	s_cmp_eq_u32 s6, 0
	s_cbranch_scc1 .LBB71_29
; %bb.297:                              ;   in Loop: Header=BB71_33 Depth=1
	s_mov_b64 s[6:7], -1
                                        ; implicit-def: $sgpr95
                                        ; implicit-def: $sgpr80
                                        ; implicit-def: $sgpr85
	s_mov_b64 s[10:11], -1
	s_branch .LBB71_30
.LBB71_298:                             ;   in Loop: Header=BB71_33 Depth=1
                                        ; implicit-def: $vgpr2_vgpr3
	s_branch .LBB71_250
.LBB71_299:                             ;   in Loop: Header=BB71_33 Depth=1
                                        ; implicit-def: $vgpr2_vgpr3
	s_branch .LBB71_267
.LBB71_300:
	s_or_b64 exec, exec, s[70:71]
	s_xor_b64 s[4:5], s[34:35], -1
	s_xor_b64 s[0:1], s[36:37], -1
	;; [unrolled: 1-line block ×3, first 2 shown]
	s_mov_b64 s[2:3], 0
	s_and_saveexec_b64 s[8:9], s[0:1]
	s_xor_b64 s[0:1], exec, s[8:9]
	s_cbranch_execnz .LBB71_305
; %bb.301:
	s_andn2_saveexec_b64 s[0:1], s[0:1]
	s_cbranch_execnz .LBB71_327
.LBB71_302:
	s_or_b64 exec, exec, s[0:1]
	s_and_saveexec_b64 s[0:1], s[2:3]
.LBB71_303:
	; divergent unreachable
.LBB71_304:
	s_endpgm
.LBB71_305:
	s_and_saveexec_b64 s[2:3], s[4:5]
	s_xor_b64 s[4:5], exec, s[2:3]
	s_cbranch_execz .LBB71_325
; %bb.306:
	s_and_saveexec_b64 s[2:3], s[6:7]
	s_xor_b64 s[2:3], exec, s[2:3]
; %bb.307:
	v_and_b32_e32 v3, 0x8000, v2
	v_mov_b32_e32 v4, 0x8000
	v_mov_b32_e32 v5, 0xffff
	v_cmp_eq_u32_e32 vcc, 0, v3
	v_cndmask_b32_e32 v3, v4, v5, vcc
	v_xor_b32_e32 v56, v3, v2
; %bb.308:
	s_or_b64 exec, exec, s[2:3]
	s_mov_b64 s[2:3], exec
	v_readlane_b32 s6, v60, 12
	v_readlane_b32 s7, v60, 13
	s_and_b64 s[6:7], s[2:3], s[6:7]
	s_mov_b64 exec, s[6:7]
	s_cbranch_execz .LBB71_310
; %bb.309:
	v_mov_b32_e32 v2, 0
	v_mov_b32_e32 v3, s52
	ds_write_b32 v2, v3 offset:5140
.LBB71_310:
	s_or_b64 exec, exec, s[2:3]
	s_waitcnt lgkmcnt(0)
	s_barrier
	s_mov_b64 s[6:7], exec
	v_readlane_b32 s2, v60, 20
	v_readlane_b32 s3, v60, 21
	s_and_b64 s[2:3], s[6:7], s[2:3]
	s_mov_b64 exec, s[2:3]
	s_cbranch_execz .LBB71_322
; %bb.311:
	v_mov_b32_e32 v2, 0
	ds_read_b32 v4, v2 offset:5140
	v_lshlrev_b32_e32 v6, 16, v56
	v_cmp_u_f32_e32 vcc, v6, v6
	s_mov_b64 s[8:9], 0
	s_xor_b64 s[10:11], vcc, -1
	s_waitcnt lgkmcnt(0)
	v_ashrrev_i32_e32 v5, 31, v4
                                        ; implicit-def: $sgpr12_sgpr13
                                        ; implicit-def: $sgpr14_sgpr15
                                        ; implicit-def: $sgpr16_sgpr17
	s_branch .LBB71_314
.LBB71_312:                             ;   in Loop: Header=BB71_314 Depth=1
	s_or_b64 exec, exec, s[22:23]
	s_andn2_b64 s[16:17], s[16:17], exec
	s_and_b64 s[2:3], s[2:3], exec
	s_or_b64 s[16:17], s[16:17], s[2:3]
	s_andn2_b64 s[2:3], s[14:15], exec
	s_and_b64 s[14:15], s[20:21], exec
	s_or_b64 s[14:15], s[2:3], s[14:15]
.LBB71_313:                             ;   in Loop: Header=BB71_314 Depth=1
	s_or_b64 exec, exec, s[18:19]
	s_and_b64 s[2:3], exec, s[14:15]
	s_or_b64 s[8:9], s[2:3], s[8:9]
	s_andn2_b64 s[2:3], s[12:13], exec
	s_and_b64 s[12:13], s[16:17], exec
	s_or_b64 s[12:13], s[2:3], s[12:13]
	s_andn2_b64 exec, exec, s[8:9]
	s_cbranch_execz .LBB71_317
.LBB71_314:                             ; =>This Inner Loop Header: Depth=1
	v_pk_mov_b32 v[2:3], v[0:1], v[0:1] op_sel:[0,1]
	v_cmp_lt_i64_e32 vcc, v[2:3], v[4:5]
	s_or_b64 s[16:17], s[16:17], exec
	s_or_b64 s[14:15], s[14:15], exec
                                        ; implicit-def: $vgpr0_vgpr1
	s_and_saveexec_b64 s[18:19], vcc
	s_cbranch_execz .LBB71_313
; %bb.315:                              ;   in Loop: Header=BB71_314 Depth=1
	global_load_ushort v0, v[10:11], off
	s_mov_b64 s[20:21], -1
	s_waitcnt vmcnt(0)
	v_lshlrev_b32_e32 v0, 16, v0
	v_cmp_o_f32_e64 s[2:3], v0, v0
	v_cmp_neq_f32_e32 vcc, v0, v6
	s_or_b64 s[2:3], s[10:11], s[2:3]
	s_and_b64 s[24:25], vcc, s[2:3]
	s_mov_b64 s[2:3], 0
                                        ; implicit-def: $vgpr0_vgpr1
	s_and_saveexec_b64 s[22:23], s[24:25]
	s_cbranch_execz .LBB71_312
; %bb.316:                              ;   in Loop: Header=BB71_314 Depth=1
	v_mov_b32_e32 v1, s84
	v_add_co_u32_e32 v0, vcc, s33, v2
	v_addc_co_u32_e32 v1, vcc, v3, v1, vcc
	v_mov_b32_e32 v3, s75
	v_add_co_u32_e32 v10, vcc, s74, v10
	v_addc_co_u32_e32 v11, vcc, v11, v3, vcc
	v_cmp_le_i64_e32 vcc, s[52:53], v[0:1]
	s_mov_b64 s[2:3], exec
	s_orn2_b64 s[20:21], vcc, exec
	s_branch .LBB71_312
.LBB71_317:
	s_or_b64 exec, exec, s[8:9]
	s_xor_b64 s[2:3], s[12:13], -1
	s_and_saveexec_b64 s[8:9], s[2:3]
	s_xor_b64 s[8:9], exec, s[8:9]
	s_cbranch_execz .LBB71_322
; %bb.318:
	s_mov_b64 s[2:3], exec
	s_brev_b32 s8, -2
.LBB71_319:                             ; =>This Inner Loop Header: Depth=1
	s_ff1_i32_b64 s9, s[2:3]
	v_readlane_b32 s12, v2, s9
	s_lshl_b64 s[10:11], 1, s9
	s_min_i32 s8, s8, s12
	s_andn2_b64 s[2:3], s[2:3], s[10:11]
	s_cmp_lg_u64 s[2:3], 0
	s_cbranch_scc1 .LBB71_319
; %bb.320:
	v_mbcnt_lo_u32_b32 v0, exec_lo, 0
	v_mbcnt_hi_u32_b32 v0, exec_hi, v0
	v_cmp_eq_u32_e32 vcc, 0, v0
	s_and_saveexec_b64 s[2:3], vcc
	s_xor_b64 s[2:3], exec, s[2:3]
	s_cbranch_execz .LBB71_322
; %bb.321:
	v_mov_b32_e32 v0, 0
	v_mov_b32_e32 v1, s8
	ds_min_i32 v0, v1 offset:5140
.LBB71_322:
	s_or_b64 exec, exec, s[6:7]
	s_waitcnt lgkmcnt(0)
	s_barrier
	s_mov_b64 s[2:3], exec
	v_readlane_b32 s6, v60, 12
	v_readlane_b32 s7, v60, 13
	s_and_b64 s[6:7], s[2:3], s[6:7]
	s_mov_b64 exec, s[6:7]
	s_cbranch_execz .LBB71_324
; %bb.323:
	v_readlane_b32 s8, v60, 0
	v_readlane_b32 s9, v60, 1
	;; [unrolled: 1-line block ×4, first 2 shown]
	s_mul_i32 s6, s10, s9
	s_mul_hi_u32 s7, s10, s8
	s_add_i32 s6, s7, s6
	s_mul_i32 s7, s11, s8
	s_add_i32 s7, s6, s7
	s_mul_i32 s6, s10, s8
	v_readlane_b32 s10, v60, 8
	v_readlane_b32 s11, v60, 9
	s_mul_i32 s8, s10, s49
	s_mul_hi_u32 s9, s10, s48
	s_add_i32 s8, s9, s8
	s_mul_i32 s9, s11, s48
	s_add_i32 s9, s8, s9
	s_mul_i32 s8, s10, s48
	s_lshl_b64 s[6:7], s[6:7], 1
	v_readlane_b32 s10, v60, 6
	v_readlane_b32 s11, v60, 7
	s_add_u32 s10, s10, s6
	s_addc_u32 s11, s11, s7
	v_readlane_b32 s6, v60, 2
	v_readlane_b32 s7, v60, 3
	s_lshl_b64 s[6:7], s[6:7], 1
	v_mov_b32_e32 v2, 0
	s_add_u32 s6, s10, s6
	ds_read_b32 v0, v2 offset:5140
	s_addc_u32 s7, s11, s7
	s_lshl_b64 s[8:9], s[8:9], 3
	v_readlane_b32 s10, v60, 10
	v_readlane_b32 s11, v60, 11
	s_add_u32 s10, s10, s8
	s_addc_u32 s11, s11, s9
	s_lshl_b64 s[8:9], s[62:63], 3
	s_add_u32 s8, s10, s8
	s_addc_u32 s9, s11, s9
	s_waitcnt lgkmcnt(0)
	v_ashrrev_i32_e32 v1, 31, v0
	global_store_dwordx2 v2, v[0:1], s[8:9]
	global_store_short v2, v56, s[6:7]
.LBB71_324:
	s_or_b64 exec, exec, s[2:3]
.LBB71_325:
	s_or_saveexec_b64 s[2:3], s[4:5]
	s_mov_b64 s[4:5], 0
	s_xor_b64 exec, exec, s[2:3]
	s_cbranch_execnz .LBB71_328
.LBB71_326:
	s_or_b64 exec, exec, s[2:3]
	s_and_b64 s[2:3], s[4:5], exec
	s_andn2_saveexec_b64 s[0:1], s[0:1]
	s_cbranch_execz .LBB71_302
.LBB71_327:
	s_or_b64 s[2:3], s[2:3], exec
	s_trap 2
	s_or_b64 exec, exec, s[0:1]
	s_and_saveexec_b64 s[0:1], s[2:3]
	s_cbranch_execnz .LBB71_303
	s_branch .LBB71_304
.LBB71_328:
	s_mov_b64 s[4:5], exec
	s_trap 2
	s_branch .LBB71_326
	.section	.rodata,"a",@progbits
	.p2align	6, 0x0
	.amdhsa_kernel _ZN2at6native12_GLOBAL__N_114gatherKthValueIN3c108BFloat16ElLin1EEEvNS_4cuda6detail10TensorInfoIKT_T0_EESA_SA_SA_SA_NS7_IS8_SA_EENS7_IlSA_EE
		.amdhsa_group_segment_fixed_size 5144
		.amdhsa_private_segment_fixed_size 0
		.amdhsa_kernarg_size 1536
		.amdhsa_user_sgpr_count 6
		.amdhsa_user_sgpr_private_segment_buffer 1
		.amdhsa_user_sgpr_dispatch_ptr 0
		.amdhsa_user_sgpr_queue_ptr 0
		.amdhsa_user_sgpr_kernarg_segment_ptr 1
		.amdhsa_user_sgpr_dispatch_id 0
		.amdhsa_user_sgpr_flat_scratch_init 0
		.amdhsa_user_sgpr_kernarg_preload_length 0
		.amdhsa_user_sgpr_kernarg_preload_offset 0
		.amdhsa_user_sgpr_private_segment_size 0
		.amdhsa_uses_dynamic_stack 0
		.amdhsa_system_sgpr_private_segment_wavefront_offset 0
		.amdhsa_system_sgpr_workgroup_id_x 1
		.amdhsa_system_sgpr_workgroup_id_y 1
		.amdhsa_system_sgpr_workgroup_id_z 1
		.amdhsa_system_sgpr_workgroup_info 0
		.amdhsa_system_vgpr_workitem_id 0
		.amdhsa_next_free_vgpr 61
		.amdhsa_next_free_sgpr 96
		.amdhsa_accum_offset 64
		.amdhsa_reserve_vcc 1
		.amdhsa_reserve_flat_scratch 0
		.amdhsa_float_round_mode_32 0
		.amdhsa_float_round_mode_16_64 0
		.amdhsa_float_denorm_mode_32 3
		.amdhsa_float_denorm_mode_16_64 3
		.amdhsa_dx10_clamp 1
		.amdhsa_ieee_mode 1
		.amdhsa_fp16_overflow 0
		.amdhsa_tg_split 0
		.amdhsa_exception_fp_ieee_invalid_op 0
		.amdhsa_exception_fp_denorm_src 0
		.amdhsa_exception_fp_ieee_div_zero 0
		.amdhsa_exception_fp_ieee_overflow 0
		.amdhsa_exception_fp_ieee_underflow 0
		.amdhsa_exception_fp_ieee_inexact 0
		.amdhsa_exception_int_div_zero 0
	.end_amdhsa_kernel
	.section	.text._ZN2at6native12_GLOBAL__N_114gatherKthValueIN3c108BFloat16ElLin1EEEvNS_4cuda6detail10TensorInfoIKT_T0_EESA_SA_SA_SA_NS7_IS8_SA_EENS7_IlSA_EE,"axG",@progbits,_ZN2at6native12_GLOBAL__N_114gatherKthValueIN3c108BFloat16ElLin1EEEvNS_4cuda6detail10TensorInfoIKT_T0_EESA_SA_SA_SA_NS7_IS8_SA_EENS7_IlSA_EE,comdat
.Lfunc_end71:
	.size	_ZN2at6native12_GLOBAL__N_114gatherKthValueIN3c108BFloat16ElLin1EEEvNS_4cuda6detail10TensorInfoIKT_T0_EESA_SA_SA_SA_NS7_IS8_SA_EENS7_IlSA_EE, .Lfunc_end71-_ZN2at6native12_GLOBAL__N_114gatherKthValueIN3c108BFloat16ElLin1EEEvNS_4cuda6detail10TensorInfoIKT_T0_EESA_SA_SA_SA_NS7_IS8_SA_EENS7_IlSA_EE
                                        ; -- End function
	.section	.AMDGPU.csdata,"",@progbits
; Kernel info:
; codeLenInByte = 19736
; NumSgprs: 100
; NumVgprs: 61
; NumAgprs: 0
; TotalNumVgprs: 61
; ScratchSize: 0
; MemoryBound: 0
; FloatMode: 240
; IeeeMode: 1
; LDSByteSize: 5144 bytes/workgroup (compile time only)
; SGPRBlocks: 12
; VGPRBlocks: 7
; NumSGPRsForWavesPerEU: 100
; NumVGPRsForWavesPerEU: 61
; AccumOffset: 64
; Occupancy: 8
; WaveLimiterHint : 1
; COMPUTE_PGM_RSRC2:SCRATCH_EN: 0
; COMPUTE_PGM_RSRC2:USER_SGPR: 6
; COMPUTE_PGM_RSRC2:TRAP_HANDLER: 0
; COMPUTE_PGM_RSRC2:TGID_X_EN: 1
; COMPUTE_PGM_RSRC2:TGID_Y_EN: 1
; COMPUTE_PGM_RSRC2:TGID_Z_EN: 1
; COMPUTE_PGM_RSRC2:TIDIG_COMP_CNT: 0
; COMPUTE_PGM_RSRC3_GFX90A:ACCUM_OFFSET: 15
; COMPUTE_PGM_RSRC3_GFX90A:TG_SPLIT: 0
	.section	.text._ZN2at6native12_GLOBAL__N_112gatherMedianIhjLi1EEEvNS_4cuda6detail10TensorInfoIT_T0_EENS5_IlS7_EENS5_IKS6_S7_EES7_S7_S7_b,"axG",@progbits,_ZN2at6native12_GLOBAL__N_112gatherMedianIhjLi1EEEvNS_4cuda6detail10TensorInfoIT_T0_EENS5_IlS7_EENS5_IKS6_S7_EES7_S7_S7_b,comdat
	.globl	_ZN2at6native12_GLOBAL__N_112gatherMedianIhjLi1EEEvNS_4cuda6detail10TensorInfoIT_T0_EENS5_IlS7_EENS5_IKS6_S7_EES7_S7_S7_b ; -- Begin function _ZN2at6native12_GLOBAL__N_112gatherMedianIhjLi1EEEvNS_4cuda6detail10TensorInfoIT_T0_EENS5_IlS7_EENS5_IKS6_S7_EES7_S7_S7_b
	.p2align	8
	.type	_ZN2at6native12_GLOBAL__N_112gatherMedianIhjLi1EEEvNS_4cuda6detail10TensorInfoIT_T0_EENS5_IlS7_EENS5_IKS6_S7_EES7_S7_S7_b,@function
_ZN2at6native12_GLOBAL__N_112gatherMedianIhjLi1EEEvNS_4cuda6detail10TensorInfoIT_T0_EENS5_IlS7_EENS5_IKS6_S7_EES7_S7_S7_b: ; @_ZN2at6native12_GLOBAL__N_112gatherMedianIhjLi1EEEvNS_4cuda6detail10TensorInfoIT_T0_EENS5_IlS7_EENS5_IKS6_S7_EES7_S7_S7_b
; %bb.0:
	s_load_dwordx2 s[12:13], s[4:5], 0x298
	s_load_dwordx4 s[56:59], s[4:5], 0x288
	s_add_u32 s10, s4, 0x298
	s_addc_u32 s11, s5, 0
	s_waitcnt lgkmcnt(0)
	s_mul_i32 s0, s13, s8
	s_add_i32 s0, s0, s7
	s_mul_i32 s0, s0, s12
	s_add_i32 s7, s0, s6
	s_cmp_ge_u32 s7, s57
	s_cbranch_scc1 .LBB72_242
; %bb.1:
	v_cmp_eq_u32_e64 s[0:1], 0, v0
	s_mov_b64 s[2:3], exec
                                        ; implicit-def: $vgpr42 : SGPR spill to VGPR lane
	v_writelane_b32 v42, s0, 0
	v_writelane_b32 v42, s1, 1
	s_and_b64 s[0:1], s[2:3], s[0:1]
	s_mov_b64 exec, s[0:1]
	s_cbranch_execz .LBB72_3
; %bb.2:
	v_mov_b32_e32 v2, 0
	v_mov_b32_e32 v3, v2
	ds_write_b64 v2, v[2:3] offset:4096
.LBB72_3:
	s_or_b64 exec, exec, s[2:3]
	v_mov_b32_e32 v1, 0
	s_waitcnt lgkmcnt(0)
	s_barrier
	s_barrier
	ds_read_b64 v[2:3], v1 offset:4096
	s_load_dwordx2 s[2:3], s[4:5], 0x1b0
	s_bitcmp1_b32 s59, 0
	s_cselect_b64 s[0:1], -1, 0
	s_mov_b32 s70, s56
	s_waitcnt lgkmcnt(0)
	v_cmp_gt_i64_e32 vcc, 1, v[2:3]
	s_or_b64 s[0:1], s[0:1], vcc
	s_andn2_b64 vcc, exec, s[0:1]
	s_cbranch_vccnz .LBB72_5
; %bb.4:
	v_not_b32_e32 v1, v2
	v_not_b32_e32 v2, v3
	v_add_co_u32_e32 v1, vcc, s56, v1
	v_addc_co_u32_e32 v2, vcc, 0, v2, vcc
	v_lshrrev_b32_e32 v3, 31, v2
	v_add_co_u32_e32 v1, vcc, v1, v3
	v_addc_co_u32_e32 v2, vcc, 0, v2, vcc
	v_alignbit_b32 v1, v2, v1, 1
	v_readfirstlane_b32 s0, v1
	s_add_i32 s70, s0, 1
.LBB72_5:
	s_load_dword s0, s[4:5], 0x21c
	s_load_dwordx2 s[8:9], s[4:5], 0xd8
	s_waitcnt lgkmcnt(0)
	v_writelane_b32 v42, s8, 2
	v_writelane_b32 v42, s9, 3
	s_load_dwordx2 s[8:9], s[4:5], 0x0
	s_waitcnt lgkmcnt(0)
	v_writelane_b32 v42, s8, 4
	v_writelane_b32 v42, s9, 5
	s_mov_b64 s[8:9], exec
	v_readlane_b32 s14, v42, 0
	v_readlane_b32 s15, v42, 1
	s_and_b64 s[14:15], s[8:9], s[14:15]
	s_mov_b64 exec, s[14:15]
	s_cbranch_execz .LBB72_7
; %bb.6:
	v_mov_b32_e32 v2, 0
	v_mov_b32_e32 v3, s56
	ds_write_b32 v2, v2 offset:4112
	ds_write_b64 v2, v[2:3] offset:4104
.LBB72_7:
	s_or_b64 exec, exec, s[8:9]
	s_load_dword s1, s[4:5], 0x144
	s_waitcnt lgkmcnt(0)
	s_barrier
	s_mul_i32 s0, s0, s7
	v_writelane_b32 v42, s1, 6
	s_load_dword s1, s[4:5], 0x6c
	s_add_u32 s62, s2, s0
	s_addc_u32 s63, s3, 0
	v_cmp_gt_u32_e64 s[2:3], s56, v0
	v_mbcnt_lo_u32_b32 v1, -1, 0
	s_waitcnt lgkmcnt(0)
	v_writelane_b32 v42, s1, 7
	s_load_dword s1, s[10:11], 0xc
	v_writelane_b32 v42, s7, 8
	v_writelane_b32 v42, s2, 9
	v_mbcnt_hi_u32_b32 v12, -1, v1
                                        ; kill: killed $sgpr4 killed $sgpr5
	v_writelane_b32 v42, s3, 10
	s_waitcnt lgkmcnt(0)
	s_and_b32 s59, s1, 0xffff
	v_cmp_gt_u32_e32 vcc, 64, v0
	v_cmp_gt_i32_e64 s[4:5], 4, v12
	s_add_i32 s0, s59, -1
	s_lshl_b32 s57, s59, 2
	s_bfe_u32 s3, s1, 0xa0006
	s_and_b64 s[68:69], vcc, s[4:5]
	v_writelane_b32 v42, s0, 11
	s_add_i32 s0, s0, s56
	s_cmpk_gt_u32 s56, 0xc00
	s_cselect_b64 s[4:5], -1, 0
	s_cmp_gt_u32 s59, 63
	s_cselect_b64 s[72:73], -1, 0
	s_cmp_lt_u32 s6, s12
	v_writelane_b32 v42, s4, 12
	s_cselect_b32 s1, 12, 18
	v_writelane_b32 v42, s5, 13
	s_add_u32 s4, s10, s1
	s_addc_u32 s5, s11, 0
	s_add_i32 s1, s3, -2
	s_lshr_b32 s2, s1, 1
	s_add_i32 s2, s2, 1
	v_lshlrev_b64 v[2:3], v12, -1
	v_writelane_b32 v42, s4, 14
	s_cmpk_gt_u32 s59, 0x7f
	v_not_b32_e32 v8, v2
	v_cvt_f32_u32_e32 v2, s57
	v_writelane_b32 v42, s5, 15
	s_cselect_b64 s[4:5], -1, 0
	s_and_b32 s8, s3, 0x3fe
	s_and_b32 s9, s2, 7
	v_writelane_b32 v42, s4, 16
	s_cmp_gt_u32 s1, 13
	v_writelane_b32 v42, s5, 17
	s_cselect_b64 s[10:11], -1, 0
	v_writelane_b32 v42, s10, 18
	v_rcp_iflag_f32_e32 v2, v2
	v_writelane_b32 v42, s11, 19
	s_and_b32 s1, s2, -8
	v_writelane_b32 v42, s1, 20
	s_cmp_lg_u32 s9, 0
	v_writelane_b32 v42, s9, 21
	s_cselect_b64 s[10:11], -1, 0
	v_writelane_b32 v42, s10, 22
	v_mul_f32_e32 v2, 0x4f7ffffe, v2
	v_writelane_b32 v42, s11, 23
	v_cvt_u32_f32_e32 v2, v2
	v_writelane_b32 v42, s3, 24
	s_cmp_lg_u32 s8, s3
	v_writelane_b32 v42, s8, 25
	s_cselect_b64 s[2:3], -1, 0
	v_writelane_b32 v42, s2, 26
	v_writelane_b32 v42, s3, 27
	v_readfirstlane_b32 s2, v2
	v_cvt_f32_u32_e32 v2, s59
	s_sub_i32 s1, 0, s57
	s_mul_i32 s1, s1, s2
	s_mul_hi_u32 s1, s2, s1
	s_add_i32 s82, s2, s1
	v_rcp_iflag_f32_e32 v2, v2
	s_mul_hi_u32 s1, s56, s82
	s_mul_i32 s1, s1, s57
	s_sub_i32 s1, s56, s1
	s_sub_i32 s2, s1, s57
	v_mul_f32_e32 v2, 0x4f7ffffe, v2
	s_cmp_ge_u32 s1, s57
	v_cvt_u32_f32_e32 v2, v2
	s_cselect_b32 s1, s2, s1
	s_sub_i32 s2, s1, s57
	s_cmp_ge_u32 s1, s57
	s_cselect_b32 s1, s2, s1
	s_sub_i32 s2, 0, s59
	v_readfirstlane_b32 s3, v2
	s_mul_i32 s2, s2, s3
	s_mul_hi_u32 s2, s3, s2
	s_add_i32 s33, s3, s2
	s_mul_hi_u32 s2, s0, s33
	s_mul_i32 s2, s2, s59
	s_sub_i32 s2, s0, s2
	s_sub_i32 s83, s56, s1
	s_sub_i32 s3, s2, s59
	s_cmp_ge_u32 s2, s59
	s_cselect_b32 s2, s3, s2
	v_lshlrev_b32_e32 v13, 2, v0
	s_sub_i32 s3, s2, s59
	v_mul_lo_u32 v9, v0, s58
	s_cmp_ge_u32 s2, s59
	v_mul_lo_u32 v2, s58, v13
	v_mov_b32_e32 v1, s63
	v_add_co_u32_e32 v6, vcc, s62, v9
	s_cselect_b32 s2, s3, s2
	v_add_u32_e32 v17, s58, v2
	v_or_b32_e32 v2, 2, v13
	v_addc_co_u32_e32 v7, vcc, 0, v1, vcc
	v_lshrrev_b32_e32 v1, 4, v0
	v_add_u32_e32 v16, s83, v0
	s_sub_i32 s74, s0, s2
	v_mul_lo_u32 v18, s58, v2
	v_or_b32_e32 v2, 3, v13
	s_add_i32 s0, s59, s56
	v_and_b32_e32 v14, 60, v1
	v_not_b32_e32 v1, v3
	v_mul_lo_u32 v3, v16, s58
	v_mul_lo_u32 v19, s58, v2
	v_add_u32_e32 v2, s0, v0
	v_lshlrev_b32_e32 v4, 2, v12
	v_mov_b32_e32 v5, s63
	v_add_co_u32_e32 v10, vcc, s62, v3
	v_cmp_gt_u32_e64 s[2:3], s74, v0
	s_mul_i32 s81, s58, s59
	v_subrev_u32_e32 v2, s1, v2
	s_mov_b32 s66, 0
	v_cmp_eq_u32_e64 s[4:5], 0, v12
	v_cmp_gt_u32_e64 s[6:7], 2, v0
	v_and_b32_e32 v15, 0x100, v4
	v_cmp_gt_u32_e64 s[8:9], s83, v13
	v_cmp_gt_u32_e64 s[10:11], s56, v16
	v_addc_co_u32_e32 v11, vcc, 0, v5, vcc
	v_writelane_b32 v42, s2, 28
	s_lshl_b32 s75, s81, 2
	v_lshlrev_b32_e32 v20, 2, v9
	v_mul_lo_u32 v21, s58, v2
	v_or_b32_e32 v22, 0xc00, v4
	s_mov_b32 s76, 6
	s_mov_b64 s[84:85], 0
	v_mov_b32_e32 v23, 0
	v_mov_b32_e32 v24, 0xc00
	;; [unrolled: 1-line block ×3, first 2 shown]
	s_mov_b32 s77, 0
	s_mov_b32 s13, 0
	;; [unrolled: 1-line block ×3, first 2 shown]
	v_writelane_b32 v42, s3, 29
                                        ; implicit-def: $sgpr86_sgpr87
                                        ; implicit-def: $sgpr90_sgpr91
                                        ; implicit-def: $sgpr88_sgpr89
                                        ; implicit-def: $sgpr92_sgpr93
                                        ; implicit-def: $sgpr94_sgpr95
                                        ; implicit-def: $sgpr60_sgpr61
	s_branch .LBB72_12
.LBB72_8:                               ;   in Loop: Header=BB72_12 Depth=1
	s_xor_b32 s77, s77, 1
	s_add_i32 s0, s76, -2
	s_cmp_eq_u32 s76, 0
	s_mov_b64 s[16:17], 0
	s_cselect_b64 s[26:27], -1, 0
	s_mov_b32 s76, s0
.LBB72_9:                               ;   in Loop: Header=BB72_12 Depth=1
	s_andn2_b64 s[0:1], s[20:21], exec
	s_and_b64 s[2:3], s[16:17], exec
	s_or_b64 s[20:21], s[0:1], s[2:3]
	s_andn2_b64 s[22:23], s[22:23], exec
	s_andn2_b64 s[18:19], s[18:19], exec
	s_orn2_b64 s[16:17], s[26:27], exec
	s_mov_b32 s70, s35
.LBB72_10:                              ;   in Loop: Header=BB72_12 Depth=1
	s_or_b64 exec, exec, s[24:25]
	s_andn2_b64 s[0:1], s[60:61], exec
	s_and_b64 s[2:3], s[20:21], exec
	s_or_b64 s[60:61], s[0:1], s[2:3]
	s_andn2_b64 s[0:1], s[94:95], exec
	s_and_b64 s[2:3], s[22:23], exec
	s_or_b64 s[94:95], s[0:1], s[2:3]
	;; [unrolled: 3-line block ×3, first 2 shown]
	s_orn2_b64 s[16:17], s[16:17], exec
.LBB72_11:                              ;   in Loop: Header=BB72_12 Depth=1
	s_or_b64 exec, exec, s[14:15]
	s_and_b64 s[0:1], exec, s[16:17]
	s_or_b64 s[84:85], s[0:1], s[84:85]
	s_andn2_b64 s[0:1], s[88:89], exec
	s_and_b64 s[2:3], s[60:61], exec
	s_or_b64 s[88:89], s[0:1], s[2:3]
	s_andn2_b64 s[0:1], s[90:91], exec
	s_and_b64 s[2:3], s[94:95], exec
	;; [unrolled: 3-line block ×3, first 2 shown]
	v_mov_b32_e32 v2, s13
	s_or_b64 s[86:87], s[0:1], s[2:3]
	s_andn2_b64 exec, exec, s[84:85]
	s_cbranch_execz .LBB72_238
.LBB72_12:                              ; =>This Loop Header: Depth=1
                                        ;     Child Loop BB72_17 Depth 2
                                        ;     Child Loop BB72_35 Depth 2
	;; [unrolled: 1-line block ×17, first 2 shown]
	ds_read_b64 v[2:3], v23 offset:4104
	s_waitcnt lgkmcnt(0)
	v_readfirstlane_b32 s67, v2
	s_cmp_lg_u32 s67, 0
	s_cbranch_scc1 .LBB72_42
; %bb.13:                               ;   in Loop: Header=BB72_12 Depth=1
	v_readlane_b32 s0, v42, 12
	v_readlane_b32 s1, v42, 13
	s_and_b64 vcc, exec, s[0:1]
	s_cbranch_vccz .LBB72_25
; %bb.14:                               ;   in Loop: Header=BB72_12 Depth=1
	s_movk_i32 s0, 0xc01
	v_cmp_gt_u32_e32 vcc, s0, v3
	s_mov_b64 s[16:17], 0
	s_mov_b64 s[14:15], 0
	s_cbranch_vccz .LBB72_26
; %bb.15:                               ;   in Loop: Header=BB72_12 Depth=1
	v_readlane_b32 s0, v42, 14
	v_readlane_b32 s1, v42, 15
	s_nop 4
	global_load_ushort v2, v23, s[0:1]
	global_load_ubyte v4, v[6:7], off
	s_mov_b64 s[18:19], 0
	v_mov_b32_e32 v26, v0
	s_waitcnt vmcnt(1)
	v_add_u32_e32 v5, v0, v2
	v_mul_lo_u32 v3, s58, v2
	v_mul_lo_u32 v5, s58, v5
	s_branch .LBB72_17
.LBB72_16:                              ;   in Loop: Header=BB72_17 Depth=2
	s_or_b64 exec, exec, s[14:15]
	v_add_u32_e32 v5, v5, v3
	v_mov_b32_e32 v4, v27
	s_andn2_b64 exec, exec, s[18:19]
	s_cbranch_execz .LBB72_27
.LBB72_17:                              ;   Parent Loop BB72_12 Depth=1
                                        ; =>  This Inner Loop Header: Depth=2
	v_add_u32_e32 v26, v26, v2
	v_cmp_gt_u32_e64 s[14:15], s56, v26
	v_cmp_le_u32_e32 vcc, s56, v26
	s_waitcnt lgkmcnt(0)
	v_mov_b32_e32 v28, 0
	v_mov_b32_e32 v27, 0
	s_and_saveexec_b64 s[20:21], s[14:15]
	s_cbranch_execz .LBB72_19
; %bb.18:                               ;   in Loop: Header=BB72_17 Depth=2
	global_load_ubyte v27, v5, s[62:63]
.LBB72_19:                              ;   in Loop: Header=BB72_17 Depth=2
	s_or_b64 exec, exec, s[20:21]
	s_waitcnt vmcnt(0)
	v_and_b32_e32 v29, s12, v4
	v_cmp_eq_u32_sdwa s[20:21], v29, s13 src0_sel:BYTE_0 src1_sel:DWORD
	s_cmp_lg_u64 s[20:21], 0
	s_cselect_b64 s[0:1], -1, 0
	s_and_b64 s[0:1], s[4:5], s[0:1]
	s_and_saveexec_b64 s[22:23], s[0:1]
	s_cbranch_execz .LBB72_23
; %bb.20:                               ;   in Loop: Header=BB72_17 Depth=2
	s_mov_b64 s[26:27], exec
	v_mbcnt_lo_u32_b32 v28, s26, 0
	v_mbcnt_hi_u32_b32 v28, s27, v28
	s_bcnt1_i32_b64 s0, s[20:21]
	v_cmp_eq_u32_e64 s[14:15], 0, v28
                                        ; implicit-def: $vgpr29
	s_and_saveexec_b64 s[24:25], s[14:15]
	s_cbranch_execz .LBB72_22
; %bb.21:                               ;   in Loop: Header=BB72_17 Depth=2
	s_bcnt1_i32_b64 s1, s[26:27]
	s_mul_i32 s1, s0, s1
	v_mov_b32_e32 v29, s1
	ds_add_rtn_u32 v29, v23, v29 offset:4112
.LBB72_22:                              ;   in Loop: Header=BB72_17 Depth=2
	s_or_b64 exec, exec, s[24:25]
	s_waitcnt lgkmcnt(0)
	v_readfirstlane_b32 s1, v29
	v_mov_b32_e32 v29, s1
	v_mad_u32_u24 v28, s0, v28, v29
.LBB72_23:                              ;   in Loop: Header=BB72_17 Depth=2
	s_or_b64 exec, exec, s[22:23]
	ds_bpermute_b32 v28, v15, v28
	s_and_b64 s[0:1], exec, vcc
	s_or_b64 s[18:19], s[0:1], s[18:19]
	s_and_saveexec_b64 s[14:15], s[20:21]
	s_cbranch_execz .LBB72_16
; %bb.24:                               ;   in Loop: Header=BB72_17 Depth=2
	v_and_b32_e32 v30, s20, v8
	v_and_b32_e32 v29, s21, v1
	v_bcnt_u32_b32 v30, v30, 0
	v_bcnt_u32_b32 v29, v29, v30
	s_waitcnt lgkmcnt(0)
	v_add_u32_e32 v28, v28, v29
	ds_write_b8 v28, v4
	s_branch .LBB72_16
.LBB72_25:                              ;   in Loop: Header=BB72_12 Depth=1
	s_mov_b64 s[14:15], 0
                                        ; implicit-def: $sgpr67
	s_cbranch_execnz .LBB72_30
	s_branch .LBB72_40
.LBB72_26:                              ;   in Loop: Header=BB72_12 Depth=1
	s_mov_b32 s67, 0
	s_and_b64 vcc, exec, s[16:17]
	s_cbranch_vccnz .LBB72_30
	s_branch .LBB72_40
.LBB72_27:                              ;   in Loop: Header=BB72_12 Depth=1
	s_or_b64 exec, exec, s[18:19]
	s_waitcnt lgkmcnt(0)
	s_barrier
	s_mov_b64 s[14:15], exec
	v_readlane_b32 s0, v42, 0
	v_readlane_b32 s1, v42, 1
	s_and_b64 s[0:1], s[14:15], s[0:1]
	s_mov_b64 exec, s[0:1]
	s_cbranch_execz .LBB72_29
; %bb.28:                               ;   in Loop: Header=BB72_12 Depth=1
	ds_read_b32 v2, v23 offset:4112
	s_waitcnt lgkmcnt(0)
	ds_write_b32 v23, v2 offset:4104
.LBB72_29:                              ;   in Loop: Header=BB72_12 Depth=1
	s_or_b64 exec, exec, s[14:15]
	s_waitcnt lgkmcnt(0)
	s_barrier
	s_mov_b64 s[14:15], -1
	s_mov_b32 s67, 0
	s_and_b64 vcc, exec, s[16:17]
	s_cbranch_vccz .LBB72_40
.LBB72_30:                              ;   in Loop: Header=BB72_12 Depth=1
	v_mov_b32_e32 v2, 0
	s_mov_b64 s[14:15], exec
	v_readlane_b32 s0, v42, 9
	v_readlane_b32 s1, v42, 10
	s_and_b64 s[0:1], s[14:15], s[0:1]
	s_mov_b64 exec, s[0:1]
	s_cbranch_execz .LBB72_32
; %bb.31:                               ;   in Loop: Header=BB72_12 Depth=1
	global_load_ubyte v2, v[6:7], off
.LBB72_32:                              ;   in Loop: Header=BB72_12 Depth=1
	s_or_b64 exec, exec, s[14:15]
	s_mov_b64 s[16:17], exec
	v_readlane_b32 s0, v42, 9
	v_readlane_b32 s1, v42, 10
	s_and_b64 s[0:1], s[16:17], s[0:1]
	s_mov_b64 exec, s[0:1]
	s_cbranch_execz .LBB72_37
; %bb.33:                               ;   in Loop: Header=BB72_12 Depth=1
	v_readlane_b32 s0, v42, 14
	v_readlane_b32 s1, v42, 15
	s_mov_b64 s[18:19], 0
	v_mov_b32_e32 v26, v0
	s_nop 2
	global_load_ushort v3, v23, s[0:1]
	s_waitcnt vmcnt(0)
	v_add_u32_e32 v5, v0, v3
	v_mul_lo_u32 v4, s58, v3
	v_mul_lo_u32 v5, s58, v5
	s_branch .LBB72_35
.LBB72_34:                              ;   in Loop: Header=BB72_35 Depth=2
	s_or_b64 exec, exec, s[20:21]
	s_and_b64 s[0:1], exec, vcc
	s_or_b64 s[18:19], s[0:1], s[18:19]
	ds_write_b8 v26, v2
	v_add_u32_e32 v5, v5, v4
	s_waitcnt vmcnt(0)
	v_mov_b32_e32 v2, v28
	v_mov_b32_e32 v26, v27
	s_andn2_b64 exec, exec, s[18:19]
	s_cbranch_execz .LBB72_37
.LBB72_35:                              ;   Parent Loop BB72_12 Depth=1
                                        ; =>  This Inner Loop Header: Depth=2
	v_add_u32_e32 v27, v26, v3
	v_cmp_gt_u32_e64 s[14:15], s56, v27
	v_cmp_le_u32_e32 vcc, s56, v27
	v_mov_b32_e32 v28, 0
	s_and_saveexec_b64 s[20:21], s[14:15]
	s_cbranch_execz .LBB72_34
; %bb.36:                               ;   in Loop: Header=BB72_35 Depth=2
	global_load_ubyte v28, v5, s[62:63]
	s_branch .LBB72_34
.LBB72_37:                              ;   in Loop: Header=BB72_12 Depth=1
	s_or_b64 exec, exec, s[16:17]
	s_waitcnt lgkmcnt(0)
	s_barrier
	s_mov_b64 s[14:15], exec
	v_readlane_b32 s0, v42, 0
	v_readlane_b32 s1, v42, 1
	s_and_b64 s[0:1], s[14:15], s[0:1]
	s_mov_b64 exec, s[0:1]
	s_cbranch_execz .LBB72_39
; %bb.38:                               ;   in Loop: Header=BB72_12 Depth=1
	s_waitcnt vmcnt(0)
	v_mov_b32_e32 v2, s56
	ds_write_b32 v23, v2 offset:4104
.LBB72_39:                              ;   in Loop: Header=BB72_12 Depth=1
	s_or_b64 exec, exec, s[14:15]
	s_mov_b64 s[14:15], -1
	s_waitcnt lgkmcnt(0)
	s_barrier
                                        ; implicit-def: $sgpr67
.LBB72_40:                              ;   in Loop: Header=BB72_12 Depth=1
	s_and_b64 vcc, exec, s[14:15]
	s_cbranch_vccz .LBB72_42
; %bb.41:                               ;   in Loop: Header=BB72_12 Depth=1
	s_waitcnt vmcnt(0)
	ds_read_b32 v2, v23 offset:4104
	s_waitcnt lgkmcnt(0)
	v_readfirstlane_b32 s67, v2
.LBB72_42:                              ;   in Loop: Header=BB72_12 Depth=1
	s_cmp_lt_i32 s67, 1
	s_cbranch_scc0 .LBB72_46
; %bb.43:                               ;   in Loop: Header=BB72_12 Depth=1
	s_waitcnt vmcnt(0)
	v_mov_b32_e32 v2, 0
	s_mov_b32 s71, 0
	v_mov_b32_e32 v3, 0
	v_mov_b32_e32 v4, v2
	;; [unrolled: 1-line block ×3, first 2 shown]
	s_and_saveexec_b64 s[64:65], s[8:9]
	s_cbranch_execnz .LBB72_47
; %bb.44:                               ;   in Loop: Header=BB72_12 Depth=1
	s_or_b64 exec, exec, s[64:65]
	v_mov_b32_e32 v28, 0
	s_and_saveexec_b64 s[14:15], s[10:11]
	s_cbranch_execnz .LBB72_50
.LBB72_45:                              ;   in Loop: Header=BB72_12 Depth=1
	s_or_b64 exec, exec, s[14:15]
	s_and_saveexec_b64 s[16:17], s[10:11]
	s_cbranch_execnz .LBB72_51
	s_branch .LBB72_56
.LBB72_46:                              ;   in Loop: Header=BB72_12 Depth=1
                                        ; implicit-def: $vgpr5
	s_cbranch_execnz .LBB72_57
	s_branch .LBB72_66
.LBB72_47:                              ;   in Loop: Header=BB72_12 Depth=1
	s_and_b32 s2, s76, 0xfe
	s_mov_b64 s[78:79], 0
	s_mov_b32 s3, 0
	s_mov_b32 s0, 0
	;; [unrolled: 1-line block ×4, first 2 shown]
	v_mov_b32_e32 v26, v13
.LBB72_48:                              ;   Parent Loop BB72_12 Depth=1
                                        ; =>  This Inner Loop Header: Depth=2
	v_add_u32_e32 v2, s71, v20
	v_add_u32_e32 v3, s71, v17
	;; [unrolled: 1-line block ×4, first 2 shown]
	global_load_ubyte v2, v2, s[62:63]
	s_nop 0
	global_load_ubyte v3, v3, s[62:63]
	s_nop 0
	;; [unrolled: 2-line block ×3, first 2 shown]
	global_load_ubyte v5, v5, s[62:63]
	v_add_u32_e32 v26, s57, v26
	s_add_i32 s71, s71, s75
	v_cmp_le_u32_e32 vcc, s83, v26
	s_waitcnt vmcnt(3)
	v_and_b32_e32 v27, s12, v2
	v_bfe_u32 v2, v2, s2, 2
	s_waitcnt vmcnt(2)
	v_and_b32_e32 v28, s12, v3
	v_bfe_u32 v3, v3, s2, 2
	v_cmp_eq_u32_e64 s[14:15], s13, v27
	v_cmp_eq_u32_e64 s[22:23], 0, v2
	s_waitcnt vmcnt(1)
	v_and_b32_e32 v29, s12, v4
	v_bfe_u32 v4, v4, s2, 2
	v_cmp_eq_u32_e64 s[16:17], s13, v28
	v_cmp_eq_u32_e64 s[24:25], 0, v3
	s_and_b64 s[22:23], s[14:15], s[22:23]
	s_waitcnt vmcnt(0)
	v_and_b32_e32 v30, s12, v5
	v_bfe_u32 v5, v5, s2, 2
	v_cmp_eq_u32_e64 s[18:19], s13, v29
	v_cmp_eq_u32_e64 s[26:27], 0, v4
	;; [unrolled: 1-line block ×5, first 2 shown]
	v_cndmask_b32_e64 v2, 0, 1, s[22:23]
	s_and_b64 s[22:23], s[16:17], s[24:25]
	v_cmp_eq_u32_e64 s[20:21], s13, v30
	v_cmp_eq_u32_e64 s[28:29], 0, v5
	;; [unrolled: 1-line block ×5, first 2 shown]
	v_cndmask_b32_e64 v3, 0, 1, s[22:23]
	s_and_b64 s[22:23], s[18:19], s[26:27]
	v_cmp_eq_u32_e64 s[36:37], 1, v4
	v_cmp_eq_u32_e64 s[44:45], 2, v4
	;; [unrolled: 1-line block ×3, first 2 shown]
	v_cndmask_b32_e64 v4, 0, 1, s[22:23]
	s_and_b64 s[22:23], s[20:21], s[28:29]
	v_cmp_eq_u32_e64 s[38:39], 1, v5
	v_cmp_eq_u32_e64 s[46:47], 2, v5
	;; [unrolled: 1-line block ×3, first 2 shown]
	v_cndmask_b32_e64 v5, 0, 1, s[22:23]
	s_and_b64 s[22:23], s[14:15], s[30:31]
	v_cndmask_b32_e64 v27, 0, 1, s[22:23]
	s_and_b64 s[22:23], s[16:17], s[34:35]
	;; [unrolled: 2-line block ×5, first 2 shown]
	s_and_b64 s[14:15], s[14:15], s[48:49]
	v_cndmask_b32_e64 v31, 0, 1, s[22:23]
	s_and_b64 s[22:23], s[16:17], s[42:43]
	v_cndmask_b32_e64 v35, 0, 1, s[14:15]
	;; [unrolled: 2-line block ×7, first 2 shown]
	v_cndmask_b32_e64 v38, 0, 1, s[14:15]
	v_cmp_ne_u32_e64 s[14:15], 0, v2
	v_cmp_ne_u32_e64 s[16:17], 0, v3
	;; [unrolled: 1-line block ×11, first 2 shown]
	s_bcnt1_i32_b64 s14, s[14:15]
	s_bcnt1_i32_b64 s15, s[16:17]
	;; [unrolled: 1-line block ×8, first 2 shown]
	v_cmp_ne_u32_e64 s[28:29], 0, v30
	v_cmp_ne_u32_e64 s[36:37], 0, v33
	v_cmp_ne_u32_e64 s[44:45], 0, v37
	s_bcnt1_i32_b64 s19, s[24:25]
	s_bcnt1_i32_b64 s23, s[34:35]
	;; [unrolled: 1-line block ×3, first 2 shown]
	s_add_i32 s14, s80, s14
	s_add_i32 s1, s1, s18
	;; [unrolled: 1-line block ×4, first 2 shown]
	v_cmp_ne_u32_e64 s[38:39], 0, v34
	v_cmp_ne_u32_e64 s[46:47], 0, v38
	s_bcnt1_i32_b64 s21, s[28:29]
	s_bcnt1_i32_b64 s24, s[36:37]
	;; [unrolled: 1-line block ×3, first 2 shown]
	s_add_i32 s14, s14, s15
	s_add_i32 s1, s1, s19
	;; [unrolled: 1-line block ×4, first 2 shown]
	s_bcnt1_i32_b64 s25, s[38:39]
	s_bcnt1_i32_b64 s29, s[46:47]
	s_add_i32 s14, s14, s16
	s_add_i32 s1, s1, s20
	;; [unrolled: 1-line block ×8, first 2 shown]
	s_or_b64 s[78:79], vcc, s[78:79]
	v_mov_b32_e32 v2, s80
	v_mov_b32_e32 v3, s1
	v_mov_b32_e32 v4, s0
	v_mov_b32_e32 v5, s3
	s_andn2_b64 exec, exec, s[78:79]
	s_cbranch_execnz .LBB72_48
; %bb.49:                               ;   in Loop: Header=BB72_12 Depth=1
	s_or_b64 exec, exec, s[78:79]
	s_or_b64 exec, exec, s[64:65]
	v_mov_b32_e32 v28, 0
	s_and_saveexec_b64 s[14:15], s[10:11]
	s_cbranch_execz .LBB72_45
.LBB72_50:                              ;   in Loop: Header=BB72_12 Depth=1
	global_load_ubyte v28, v[10:11], off
	s_or_b64 exec, exec, s[14:15]
	s_and_saveexec_b64 s[16:17], s[10:11]
	s_cbranch_execz .LBB72_56
.LBB72_51:                              ;   in Loop: Header=BB72_12 Depth=1
	s_and_b32 s0, s76, 0xfe
	s_mov_b64 s[18:19], 0
	v_mov_b32_e32 v26, v21
	v_mov_b32_e32 v27, v16
	s_branch .LBB72_53
.LBB72_52:                              ;   in Loop: Header=BB72_53 Depth=2
	s_or_b64 exec, exec, s[20:21]
	s_waitcnt vmcnt(0)
	v_and_b32_e32 v28, 0xff, v28
	s_and_b64 s[2:3], exec, vcc
	v_and_b32_e32 v30, s12, v28
	v_bfe_u32 v28, v28, s0, 2
	s_or_b64 s[18:19], s[2:3], s[18:19]
	v_cmp_eq_u32_e32 vcc, s13, v30
	v_cmp_eq_u32_e64 s[14:15], 0, v28
	s_and_b64 s[2:3], vcc, s[14:15]
	v_cndmask_b32_e64 v30, 0, 1, s[2:3]
	v_cmp_ne_u32_e64 s[14:15], 0, v30
	s_bcnt1_i32_b64 s1, s[14:15]
	v_cmp_eq_u32_e64 s[14:15], 1, v28
	s_and_b64 s[2:3], vcc, s[14:15]
	v_cndmask_b32_e64 v30, 0, 1, s[2:3]
	v_cmp_ne_u32_e64 s[14:15], 0, v30
	v_add_u32_e32 v2, s1, v2
	s_bcnt1_i32_b64 s1, s[14:15]
	v_cmp_eq_u32_e64 s[14:15], 2, v28
	s_and_b64 s[2:3], vcc, s[14:15]
	v_cndmask_b32_e64 v30, 0, 1, s[2:3]
	v_cmp_ne_u32_e64 s[14:15], 0, v30
	v_add_u32_e32 v3, s1, v3
	s_bcnt1_i32_b64 s1, s[14:15]
	v_cmp_eq_u32_e64 s[14:15], 3, v28
	s_and_b64 s[2:3], vcc, s[14:15]
	v_cndmask_b32_e64 v28, 0, 1, s[2:3]
	v_cmp_ne_u32_e32 vcc, 0, v28
	v_add_u32_e32 v4, s1, v4
	s_bcnt1_i32_b64 s1, vcc
	v_add_u32_e32 v5, s1, v5
	v_add_u32_e32 v26, s81, v26
	v_mov_b32_e32 v28, v29
	s_andn2_b64 exec, exec, s[18:19]
	s_cbranch_execz .LBB72_55
.LBB72_53:                              ;   Parent Loop BB72_12 Depth=1
                                        ; =>  This Inner Loop Header: Depth=2
	v_add_u32_e32 v27, s59, v27
	v_cmp_gt_u32_e64 s[14:15], s56, v27
	v_cmp_le_u32_e32 vcc, s56, v27
	v_mov_b32_e32 v29, 0
	s_and_saveexec_b64 s[20:21], s[14:15]
	s_cbranch_execz .LBB72_52
; %bb.54:                               ;   in Loop: Header=BB72_53 Depth=2
	global_load_ubyte v29, v26, s[62:63]
	s_branch .LBB72_52
.LBB72_55:                              ;   in Loop: Header=BB72_12 Depth=1
	s_or_b64 exec, exec, s[18:19]
.LBB72_56:                              ;   in Loop: Header=BB72_12 Depth=1
	s_or_b64 exec, exec, s[16:17]
	s_branch .LBB72_66
.LBB72_57:                              ;   in Loop: Header=BB72_12 Depth=1
	s_mul_hi_u32 s0, s67, s82
	s_mul_i32 s0, s0, s57
	s_sub_i32 s0, s67, s0
	s_sub_i32 s1, s0, s57
	s_cmp_ge_u32 s0, s57
	s_cselect_b32 s0, s1, s0
	s_sub_i32 s1, s0, s57
	s_cmp_ge_u32 s0, s57
	s_cselect_b32 s0, s1, s0
	s_sub_i32 s71, s67, s0
	v_cmp_gt_u32_e32 vcc, s71, v13
	s_mov_b32 s3, 0
	s_waitcnt vmcnt(0)
	v_mov_b32_e32 v2, 0
	v_mov_b32_e32 v3, 0
	;; [unrolled: 1-line block ×4, first 2 shown]
	s_and_saveexec_b64 s[64:65], vcc
	s_cbranch_execz .LBB72_61
; %bb.58:                               ;   in Loop: Header=BB72_12 Depth=1
	s_and_b32 s2, s76, 0xfe
	s_mov_b64 s[78:79], 0
	s_mov_b32 s0, 0
	s_mov_b32 s1, 0
	;; [unrolled: 1-line block ×3, first 2 shown]
	v_mov_b32_e32 v26, v13
.LBB72_59:                              ;   Parent Loop BB72_12 Depth=1
                                        ; =>  This Inner Loop Header: Depth=2
	ds_read_b32 v2, v26
	v_add_u32_e32 v26, s57, v26
	v_cmp_le_u32_e32 vcc, s71, v26
	s_waitcnt lgkmcnt(0)
	v_and_b32_e32 v4, 0xff, v2
	v_bfe_u32 v5, v2, 8, 8
	v_and_b32_e32 v27, s12, v4
	v_bfe_u32 v4, v4, s2, 2
	v_lshrrev_b32_e32 v3, 24, v2
	v_bfe_u32 v2, v2, 16, 8
	v_and_b32_e32 v28, s12, v5
	v_bfe_u32 v5, v5, s2, 2
	v_cmp_eq_u32_e64 s[14:15], s13, v27
	v_cmp_eq_u32_e64 s[22:23], 0, v4
	v_and_b32_e32 v29, s12, v2
	v_bfe_u32 v2, v2, s2, 2
	v_cmp_eq_u32_e64 s[16:17], s13, v28
	v_cmp_eq_u32_e64 s[24:25], 0, v5
	s_and_b64 s[22:23], s[14:15], s[22:23]
	v_and_b32_e32 v30, s12, v3
	v_bfe_u32 v3, v3, s2, 2
	v_cmp_eq_u32_e64 s[18:19], s13, v29
	v_cmp_eq_u32_e64 s[26:27], 0, v2
	;; [unrolled: 1-line block ×5, first 2 shown]
	v_cndmask_b32_e64 v2, 0, 1, s[22:23]
	s_and_b64 s[22:23], s[16:17], s[24:25]
	v_cmp_eq_u32_e64 s[20:21], s13, v30
	v_cmp_eq_u32_e64 s[28:29], 0, v3
	v_cmp_eq_u32_e64 s[38:39], 1, v3
	v_cmp_eq_u32_e64 s[46:47], 2, v3
	v_cmp_eq_u32_e64 s[54:55], 3, v3
	v_cndmask_b32_e64 v3, 0, 1, s[22:23]
	s_and_b64 s[22:23], s[18:19], s[26:27]
	v_cmp_eq_u32_e64 s[30:31], 1, v4
	v_cmp_eq_u32_e64 s[40:41], 2, v4
	v_cmp_eq_u32_e64 s[48:49], 3, v4
	v_cndmask_b32_e64 v4, 0, 1, s[22:23]
	s_and_b64 s[22:23], s[20:21], s[28:29]
	v_cmp_eq_u32_e64 s[34:35], 1, v5
	v_cmp_eq_u32_e64 s[42:43], 2, v5
	;; [unrolled: 1-line block ×3, first 2 shown]
	v_cndmask_b32_e64 v5, 0, 1, s[22:23]
	s_and_b64 s[22:23], s[14:15], s[30:31]
	v_cndmask_b32_e64 v27, 0, 1, s[22:23]
	s_and_b64 s[22:23], s[16:17], s[34:35]
	;; [unrolled: 2-line block ×5, first 2 shown]
	s_and_b64 s[14:15], s[14:15], s[48:49]
	v_cndmask_b32_e64 v31, 0, 1, s[22:23]
	s_and_b64 s[22:23], s[16:17], s[42:43]
	v_cndmask_b32_e64 v35, 0, 1, s[14:15]
	;; [unrolled: 2-line block ×7, first 2 shown]
	v_cndmask_b32_e64 v38, 0, 1, s[14:15]
	v_cmp_ne_u32_e64 s[14:15], 0, v2
	v_cmp_ne_u32_e64 s[16:17], 0, v3
	;; [unrolled: 1-line block ×11, first 2 shown]
	s_bcnt1_i32_b64 s14, s[14:15]
	s_bcnt1_i32_b64 s15, s[16:17]
	;; [unrolled: 1-line block ×8, first 2 shown]
	v_cmp_ne_u32_e64 s[28:29], 0, v30
	v_cmp_ne_u32_e64 s[36:37], 0, v33
	;; [unrolled: 1-line block ×3, first 2 shown]
	s_bcnt1_i32_b64 s19, s[24:25]
	s_bcnt1_i32_b64 s23, s[34:35]
	;; [unrolled: 1-line block ×3, first 2 shown]
	s_add_i32 s14, s80, s14
	s_add_i32 s1, s1, s18
	;; [unrolled: 1-line block ×4, first 2 shown]
	v_cmp_ne_u32_e64 s[38:39], 0, v34
	v_cmp_ne_u32_e64 s[46:47], 0, v38
	s_bcnt1_i32_b64 s21, s[28:29]
	s_bcnt1_i32_b64 s24, s[36:37]
	;; [unrolled: 1-line block ×3, first 2 shown]
	s_add_i32 s14, s14, s15
	s_add_i32 s1, s1, s19
	;; [unrolled: 1-line block ×4, first 2 shown]
	s_bcnt1_i32_b64 s25, s[38:39]
	s_bcnt1_i32_b64 s29, s[46:47]
	s_add_i32 s14, s14, s16
	s_add_i32 s1, s1, s20
	;; [unrolled: 1-line block ×8, first 2 shown]
	s_or_b64 s[78:79], vcc, s[78:79]
	v_mov_b32_e32 v2, s80
	v_mov_b32_e32 v3, s1
	;; [unrolled: 1-line block ×4, first 2 shown]
	s_andn2_b64 exec, exec, s[78:79]
	s_cbranch_execnz .LBB72_59
; %bb.60:                               ;   in Loop: Header=BB72_12 Depth=1
	s_or_b64 exec, exec, s[78:79]
.LBB72_61:                              ;   in Loop: Header=BB72_12 Depth=1
	s_or_b64 exec, exec, s[64:65]
	v_add_u32_e32 v26, s71, v0
	v_cmp_gt_u32_e32 vcc, s67, v26
	s_and_saveexec_b64 s[24:25], vcc
	s_cbranch_execz .LBB72_65
; %bb.62:                               ;   in Loop: Header=BB72_12 Depth=1
	s_and_b32 s0, s76, 0xfe
	s_mov_b64 s[26:27], 0
.LBB72_63:                              ;   Parent Loop BB72_12 Depth=1
                                        ; =>  This Inner Loop Header: Depth=2
	ds_read_u8 v27, v26
	v_add_u32_e32 v26, s59, v26
	v_cmp_le_u32_e32 vcc, s67, v26
	s_waitcnt lgkmcnt(0)
	v_and_b32_e32 v28, s12, v27
	v_bfe_u32 v27, v27, s0, 2
	v_cmp_eq_u32_e64 s[14:15], s13, v28
	v_cmp_eq_u32_e64 s[16:17], 0, v27
	;; [unrolled: 1-line block ×3, first 2 shown]
	s_and_b64 s[2:3], s[14:15], s[16:17]
	v_cmp_eq_u32_e64 s[20:21], 2, v27
	v_cmp_eq_u32_e64 s[22:23], 3, v27
	v_cndmask_b32_e64 v27, 0, 1, s[2:3]
	s_and_b64 s[2:3], s[14:15], s[18:19]
	v_cndmask_b32_e64 v28, 0, 1, s[2:3]
	s_and_b64 s[2:3], s[14:15], s[20:21]
	v_cndmask_b32_e64 v29, 0, 1, s[2:3]
	s_and_b64 s[2:3], s[14:15], s[22:23]
	v_cndmask_b32_e64 v30, 0, 1, s[2:3]
	v_cmp_ne_u32_e64 s[14:15], 0, v27
	v_cmp_ne_u32_e64 s[16:17], 0, v28
	;; [unrolled: 1-line block ×4, first 2 shown]
	s_bcnt1_i32_b64 s1, s[14:15]
	s_bcnt1_i32_b64 s2, s[16:17]
	;; [unrolled: 1-line block ×4, first 2 shown]
	v_add_u32_e32 v2, s1, v2
	v_add_u32_e32 v3, s2, v3
	;; [unrolled: 1-line block ×3, first 2 shown]
	s_or_b64 s[26:27], vcc, s[26:27]
	v_add_u32_e32 v5, s14, v5
	s_andn2_b64 exec, exec, s[26:27]
	s_cbranch_execnz .LBB72_63
; %bb.64:                               ;   in Loop: Header=BB72_12 Depth=1
	s_or_b64 exec, exec, s[26:27]
.LBB72_65:                              ;   in Loop: Header=BB72_12 Depth=1
	s_or_b64 exec, exec, s[24:25]
.LBB72_66:                              ;   in Loop: Header=BB72_12 Depth=1
	s_lshl_b32 s0, s77, 6
	s_and_saveexec_b64 s[14:15], s[4:5]
	s_cbranch_execz .LBB72_68
; %bb.67:                               ;   in Loop: Header=BB72_12 Depth=1
	v_or_b32_e32 v26, s0, v14
	v_lshlrev_b32_e32 v26, 2, v26
	s_waitcnt vmcnt(0)
	ds_write_b128 v26, v[2:5] offset:3072
.LBB72_68:                              ;   in Loop: Header=BB72_12 Depth=1
	s_or_b64 exec, exec, s[14:15]
	s_waitcnt lgkmcnt(0)
	s_barrier
	s_and_saveexec_b64 s[14:15], s[68:69]
	s_cbranch_execz .LBB72_82
; %bb.69:                               ;   in Loop: Header=BB72_12 Depth=1
	v_add_u32_e32 v4, s0, v12
	s_andn2_b64 vcc, exec, s[72:73]
	s_waitcnt vmcnt(0)
	v_mov_b32_e32 v2, 0
	s_cbranch_vccnz .LBB72_81
; %bb.70:                               ;   in Loop: Header=BB72_12 Depth=1
	v_readlane_b32 s2, v42, 16
	v_readlane_b32 s3, v42, 17
	s_mov_b32 s1, 0
	s_and_b64 vcc, exec, s[2:3]
	v_mov_b32_e32 v2, 0
	s_cbranch_vccz .LBB72_74
; %bb.71:                               ;   in Loop: Header=BB72_12 Depth=1
	v_readlane_b32 s2, v42, 18
	v_readlane_b32 s3, v42, 19
	v_lshl_add_u32 v5, v4, 2, v24
	s_andn2_b64 vcc, exec, s[2:3]
	s_cbranch_vccnz .LBB72_75
; %bb.72:                               ;   in Loop: Header=BB72_12 Depth=1
	s_mov_b32 s17, 1
	s_mov_b32 s16, 0
	v_mov_b32_e32 v2, 0
	v_readlane_b32 s1, v42, 20
	v_mov_b32_e32 v3, 0
.LBB72_73:                              ;   Parent Loop BB72_12 Depth=1
                                        ; =>  This Inner Loop Header: Depth=2
	v_lshl_add_u32 v38, s16, 4, v5
	v_lshl_add_u32 v40, s17, 4, v5
	ds_read2_b32 v[26:27], v38 offset1:8
	ds_read2_b32 v[28:29], v40 offset1:8
	ds_read2_b32 v[30:31], v38 offset0:16 offset1:24
	ds_read2_b32 v[32:33], v40 offset0:16 offset1:24
	;; [unrolled: 1-line block ×6, first 2 shown]
	s_waitcnt lgkmcnt(7)
	v_add3_u32 v2, v26, v2, v27
	s_waitcnt lgkmcnt(6)
	v_add3_u32 v3, v28, v3, v29
	;; [unrolled: 2-line block ×3, first 2 shown]
	v_add3_u32 v2, v30, v2, v31
	s_add_i32 s17, s17, 16
	s_add_i32 s16, s16, 16
	s_add_i32 s1, s1, -8
	s_waitcnt lgkmcnt(3)
	v_add3_u32 v2, v34, v2, v35
	s_waitcnt lgkmcnt(2)
	v_add3_u32 v3, v36, v3, v37
	s_cmp_lg_u32 s1, 0
	s_waitcnt lgkmcnt(0)
	v_add3_u32 v3, v40, v3, v41
	v_add3_u32 v2, v38, v2, v39
	s_cbranch_scc1 .LBB72_73
	s_branch .LBB72_76
.LBB72_74:                              ;   in Loop: Header=BB72_12 Depth=1
	s_cbranch_execnz .LBB72_79
	s_branch .LBB72_81
.LBB72_75:                              ;   in Loop: Header=BB72_12 Depth=1
	s_mov_b32 s67, s66
	v_pk_mov_b32 v[2:3], s[66:67], s[66:67] op_sel:[0,1]
	s_mov_b32 s67, 1
	s_mov_b64 s[16:17], s[66:67]
.LBB72_76:                              ;   in Loop: Header=BB72_12 Depth=1
	v_readlane_b32 s2, v42, 22
	v_readlane_b32 s3, v42, 23
	s_andn2_b64 vcc, exec, s[2:3]
	v_readlane_b32 s1, v42, 21
	s_cbranch_vccnz .LBB72_78
.LBB72_77:                              ;   Parent Loop BB72_12 Depth=1
                                        ; =>  This Inner Loop Header: Depth=2
	v_lshl_add_u32 v26, s16, 4, v5
	v_lshl_add_u32 v27, s17, 4, v5
	ds_read_b32 v27, v27
	ds_read_b32 v26, v26
	s_add_i32 s17, s17, 2
	s_add_i32 s16, s16, 2
	s_add_i32 s1, s1, -1
	s_cmp_lg_u32 s1, 0
	s_waitcnt lgkmcnt(1)
	v_add_u32_e32 v3, v27, v3
	s_waitcnt lgkmcnt(0)
	v_add_u32_e32 v2, v26, v2
	s_cbranch_scc1 .LBB72_77
.LBB72_78:                              ;   in Loop: Header=BB72_12 Depth=1
	v_readlane_b32 s16, v42, 26
	v_add_u32_e32 v2, v2, v3
	v_readlane_b32 s1, v42, 25
	v_readlane_b32 s17, v42, 27
	s_and_b64 vcc, exec, s[16:17]
	s_cbranch_vccz .LBB72_81
.LBB72_79:                              ;   in Loop: Header=BB72_12 Depth=1
	s_lshl_b32 s2, s77, 8
	s_lshl_b32 s3, s1, 4
	s_add_i32 s2, s2, s3
	v_add_u32_e32 v3, s2, v22
	v_readlane_b32 s2, v42, 24
	s_sub_i32 s1, s2, s1
.LBB72_80:                              ;   Parent Loop BB72_12 Depth=1
                                        ; =>  This Inner Loop Header: Depth=2
	ds_read_b32 v5, v3
	s_add_i32 s1, s1, -1
	v_add_u32_e32 v3, 16, v3
	s_cmp_eq_u32 s1, 0
	s_waitcnt lgkmcnt(0)
	v_add_u32_e32 v2, v5, v2
	s_cbranch_scc0 .LBB72_80
.LBB72_81:                              ;   in Loop: Header=BB72_12 Depth=1
	v_lshlrev_b32_e32 v3, 2, v4
	ds_write_b32 v3, v2 offset:3072
.LBB72_82:                              ;   in Loop: Header=BB72_12 Depth=1
	s_or_b64 exec, exec, s[14:15]
	s_lshl_b32 s0, s0, 2
	s_waitcnt vmcnt(0)
	v_mov_b32_e32 v2, s0
	s_waitcnt lgkmcnt(0)
	s_barrier
	ds_read_b128 v[2:5], v2 offset:3072
	s_and_b32 s43, s76, 0xfe
	s_lshl_b32 s51, 3, s43
	s_not_b32 s44, s51
	s_mov_b64 s[16:17], -1
	s_waitcnt lgkmcnt(0)
	v_readfirstlane_b32 s26, v2
	s_cmp_eq_u32 s26, 1
	s_cselect_b64 s[0:1], -1, 0
	s_cmp_eq_u32 s70, 1
	s_cselect_b64 s[2:3], -1, 0
	s_and_b64 s[18:19], s[0:1], s[2:3]
	v_readfirstlane_b32 s34, v3
	v_readfirstlane_b32 s42, v4
	;; [unrolled: 1-line block ×3, first 2 shown]
	s_and_b64 vcc, exec, s[18:19]
	s_cbranch_vccz .LBB72_93
; %bb.83:                               ;   in Loop: Header=BB72_12 Depth=1
	ds_read_b32 v2, v23 offset:4104
	s_waitcnt lgkmcnt(0)
	s_barrier
	v_readfirstlane_b32 s0, v2
	s_and_saveexec_b64 s[14:15], s[6:7]
	s_cbranch_execz .LBB72_85
; %bb.84:                               ;   in Loop: Header=BB72_12 Depth=1
	ds_write_b8 v0, v23 offset:3072
.LBB72_85:                              ;   in Loop: Header=BB72_12 Depth=1
	s_or_b64 exec, exec, s[14:15]
	s_and_b32 s13, s13, s44
	s_or_b32 s12, s12, s51
	s_cmp_eq_u32 s0, 0
	s_waitcnt lgkmcnt(0)
	s_barrier
	s_cbranch_scc1 .LBB72_94
; %bb.86:                               ;   in Loop: Header=BB72_12 Depth=1
	v_readlane_b32 s1, v42, 11
	s_add_i32 s1, s0, s1
	s_mul_hi_u32 s2, s1, s33
	s_mul_i32 s2, s2, s59
	s_sub_i32 s2, s1, s2
	s_sub_i32 s3, s2, s59
	s_cmp_ge_u32 s2, s59
	s_cselect_b32 s2, s3, s2
	s_sub_i32 s3, s2, s59
	s_cmp_ge_u32 s2, s59
	s_cselect_b32 s2, s3, s2
	s_sub_i32 s1, s1, s2
	v_cmp_gt_u32_e32 vcc, s1, v0
	s_mov_b64 s[20:21], 0
                                        ; implicit-def: $vgpr25
	s_and_saveexec_b64 s[14:15], vcc
	s_cbranch_execz .LBB72_96
; %bb.87:                               ;   in Loop: Header=BB72_12 Depth=1
	v_mov_b32_e32 v2, v0
                                        ; implicit-def: $sgpr22_sgpr23
	s_branch .LBB72_89
.LBB72_88:                              ;   in Loop: Header=BB72_89 Depth=2
	s_or_b64 exec, exec, s[24:25]
	s_waitcnt lgkmcnt(0)
	s_barrier
	ds_read_u16 v3, v23 offset:3072
	v_add_u32_e32 v2, s59, v2
	v_cmp_le_u32_e32 vcc, s1, v2
	s_waitcnt lgkmcnt(0)
	s_barrier
	v_cmp_ne_u16_sdwa s[2:3], v3, v23 src0_sel:BYTE_0 src1_sel:DWORD
	s_or_b64 s[24:25], vcc, s[2:3]
	s_and_b64 s[24:25], exec, s[24:25]
	s_or_b64 s[20:21], s[24:25], s[20:21]
	s_andn2_b64 s[22:23], s[22:23], exec
	s_and_b64 s[2:3], s[2:3], exec
	s_or_b64 s[22:23], s[22:23], s[2:3]
	s_andn2_b64 exec, exec, s[20:21]
	s_cbranch_execz .LBB72_95
.LBB72_89:                              ;   Parent Loop BB72_12 Depth=1
                                        ; =>  This Inner Loop Header: Depth=2
	v_cmp_gt_u32_e32 vcc, s0, v2
	v_mov_b32_e32 v3, 0
	s_and_saveexec_b64 s[24:25], vcc
	s_cbranch_execz .LBB72_91
; %bb.90:                               ;   in Loop: Header=BB72_89 Depth=2
	ds_read_u8 v3, v2
.LBB72_91:                              ;   in Loop: Header=BB72_89 Depth=2
	s_or_b64 exec, exec, s[24:25]
	s_waitcnt lgkmcnt(0)
	v_and_b32_e32 v4, s12, v3
	v_cmp_eq_u32_sdwa s[2:3], v4, s13 src0_sel:BYTE_0 src1_sel:DWORD
	s_and_b64 s[2:3], vcc, s[2:3]
	s_and_saveexec_b64 s[24:25], s[2:3]
	s_cbranch_execz .LBB72_88
; %bb.92:                               ;   in Loop: Header=BB72_89 Depth=2
	v_lshlrev_b16_e32 v3, 8, v3
	v_or_b32_e32 v3, 1, v3
	ds_write_b16 v23, v3 offset:3072
	s_branch .LBB72_88
.LBB72_93:                              ;   in Loop: Header=BB72_12 Depth=1
	s_mov_b64 s[20:21], -1
                                        ; implicit-def: $sgpr14_sgpr15
                                        ; implicit-def: $sgpr24_sgpr25
                                        ; implicit-def: $sgpr22_sgpr23
	s_branch .LBB72_106
.LBB72_94:                              ;   in Loop: Header=BB72_12 Depth=1
	s_mov_b64 s[14:15], -1
	s_mov_b64 s[20:21], 0
                                        ; implicit-def: $sgpr22_sgpr23
                                        ; implicit-def: $vgpr25
	s_mov_b64 s[24:25], s[14:15]
	s_cbranch_execnz .LBB72_97
	s_branch .LBB72_106
.LBB72_95:                              ;   in Loop: Header=BB72_12 Depth=1
	s_or_b64 exec, exec, s[20:21]
	v_lshrrev_b16_e32 v25, 8, v3
	s_and_b64 s[20:21], s[22:23], exec
.LBB72_96:                              ;   in Loop: Header=BB72_12 Depth=1
	s_or_b64 exec, exec, s[14:15]
	s_mov_b64 s[22:23], -1
	s_mov_b64 s[14:15], 0
	s_mov_b64 s[24:25], s[14:15]
	s_branch .LBB72_106
.LBB72_97:                              ;   in Loop: Header=BB72_12 Depth=1
	s_mov_b64 s[20:21], 0
                                        ; implicit-def: $vgpr25
	s_mov_b64 s[14:15], exec
	v_readlane_b32 s0, v42, 28
	v_readlane_b32 s1, v42, 29
	s_and_b64 s[0:1], s[14:15], s[0:1]
	s_mov_b64 exec, s[0:1]
	s_cbranch_execz .LBB72_105
; %bb.98:                               ;   in Loop: Header=BB72_12 Depth=1
	v_mov_b32_e32 v2, v9
	v_mov_b32_e32 v3, v0
                                        ; implicit-def: $sgpr22_sgpr23
	s_branch .LBB72_100
.LBB72_99:                              ;   in Loop: Header=BB72_100 Depth=2
	s_or_b64 exec, exec, s[24:25]
	s_waitcnt lgkmcnt(0)
	s_barrier
	ds_read_u16 v4, v23 offset:3072
	v_add_u32_e32 v3, s59, v3
	v_cmp_le_u32_e32 vcc, s74, v3
	v_add_u32_e32 v2, s81, v2
	s_waitcnt lgkmcnt(0)
	v_cmp_ne_u16_sdwa s[0:1], v4, v23 src0_sel:BYTE_0 src1_sel:DWORD
	s_or_b64 s[2:3], vcc, s[0:1]
	s_and_b64 s[2:3], exec, s[2:3]
	s_or_b64 s[20:21], s[2:3], s[20:21]
	s_andn2_b64 s[2:3], s[22:23], exec
	s_and_b64 s[0:1], s[0:1], exec
	s_or_b64 s[22:23], s[2:3], s[0:1]
	s_barrier
	s_andn2_b64 exec, exec, s[20:21]
	s_cbranch_execz .LBB72_104
.LBB72_100:                             ;   Parent Loop BB72_12 Depth=1
                                        ; =>  This Inner Loop Header: Depth=2
	v_cmp_gt_u32_e32 vcc, s56, v3
	v_mov_b32_e32 v4, 0
	s_and_saveexec_b64 s[24:25], vcc
	s_cbranch_execz .LBB72_102
; %bb.101:                              ;   in Loop: Header=BB72_100 Depth=2
	global_load_ubyte v4, v2, s[62:63]
.LBB72_102:                             ;   in Loop: Header=BB72_100 Depth=2
	s_or_b64 exec, exec, s[24:25]
	s_waitcnt vmcnt(0)
	v_and_b32_e32 v5, s12, v4
	v_cmp_eq_u32_sdwa s[0:1], v5, s13 src0_sel:BYTE_0 src1_sel:DWORD
	s_and_b64 s[0:1], vcc, s[0:1]
	s_and_saveexec_b64 s[24:25], s[0:1]
	s_cbranch_execz .LBB72_99
; %bb.103:                              ;   in Loop: Header=BB72_100 Depth=2
	v_lshlrev_b16_e32 v4, 8, v4
	v_or_b32_e32 v4, 1, v4
	ds_write_b16 v23, v4 offset:3072
	s_branch .LBB72_99
.LBB72_104:                             ;   in Loop: Header=BB72_12 Depth=1
	s_or_b64 exec, exec, s[20:21]
	v_lshrrev_b16_e32 v25, 8, v4
	s_and_b64 s[20:21], s[22:23], exec
.LBB72_105:                             ;   in Loop: Header=BB72_12 Depth=1
	s_or_b64 exec, exec, s[14:15]
	s_mov_b64 s[24:25], -1
	s_mov_b64 s[14:15], 0
	s_mov_b64 s[22:23], 0
.LBB72_106:                             ;   in Loop: Header=BB72_12 Depth=1
	s_andn2_b64 s[0:1], s[60:61], exec
	s_and_b64 s[2:3], s[14:15], exec
	s_or_b64 s[60:61], s[0:1], s[2:3]
	s_andn2_b64 s[0:1], s[94:95], exec
	s_and_b64 s[2:3], s[24:25], exec
	s_or_b64 s[94:95], s[0:1], s[2:3]
	;; [unrolled: 3-line block ×3, first 2 shown]
	s_and_saveexec_b64 s[14:15], s[20:21]
	s_cbranch_execz .LBB72_11
; %bb.107:                              ;   in Loop: Header=BB72_12 Depth=1
	s_xor_b64 s[0:1], s[18:19], -1
	s_mov_b64 s[20:21], 0
	s_andn2_b64 vcc, exec, s[0:1]
	s_mov_b32 s35, 1
	s_cbranch_vccnz .LBB72_118
; %bb.108:                              ;   in Loop: Header=BB72_12 Depth=1
	s_cmp_gt_u32 s70, s26
	s_mov_b64 s[20:21], -1
                                        ; implicit-def: $sgpr53
                                        ; implicit-def: $sgpr0
                                        ; implicit-def: $sgpr1
	s_cbranch_scc1 .LBB72_114
; %bb.109:                              ;   in Loop: Header=BB72_12 Depth=1
	ds_read_b32 v2, v23 offset:4104
	s_waitcnt lgkmcnt(0)
	v_cmp_ne_u32_e32 vcc, 0, v2
	s_cbranch_vccnz .LBB72_113
; %bb.110:                              ;   in Loop: Header=BB72_12 Depth=1
	s_mov_b64 s[16:17], exec
	v_readlane_b32 s0, v42, 0
	v_readlane_b32 s1, v42, 1
	s_and_b64 s[0:1], s[16:17], s[0:1]
	s_mov_b64 exec, s[0:1]
	s_cbranch_execz .LBB72_112
; %bb.111:                              ;   in Loop: Header=BB72_12 Depth=1
	v_mov_b32_e32 v2, s26
	ds_write_b32 v23, v2 offset:4108
.LBB72_112:                             ;   in Loop: Header=BB72_12 Depth=1
	s_or_b64 exec, exec, s[16:17]
	s_waitcnt lgkmcnt(0)
	s_barrier
.LBB72_113:                             ;   in Loop: Header=BB72_12 Depth=1
	s_and_b32 s0, s13, s44
	s_or_b32 s1, s12, s51
	s_mov_b64 s[20:21], 0
	s_mov_b32 s53, 8
.LBB72_114:                             ;   in Loop: Header=BB72_12 Depth=1
	s_andn2_b64 vcc, exec, s[20:21]
	s_cbranch_vccnz .LBB72_116
; %bb.115:                              ;   in Loop: Header=BB72_12 Depth=1
	s_sub_i32 s70, s70, s26
	s_mov_b64 s[20:21], -1
	s_mov_b32 s53, 0
	s_mov_b32 s0, s13
	;; [unrolled: 1-line block ×3, first 2 shown]
.LBB72_116:                             ;   in Loop: Header=BB72_12 Depth=1
	s_mov_b32 s12, s1
	s_mov_b32 s13, s0
	;; [unrolled: 1-line block ×3, first 2 shown]
	s_mov_b64 s[16:17], -1
	s_and_b64 vcc, exec, s[20:21]
	s_cbranch_vccnz .LBB72_119
.LBB72_117:                             ;   in Loop: Header=BB72_12 Depth=1
	s_mov_b64 s[30:31], -1
                                        ; implicit-def: $sgpr18_sgpr19
                                        ; implicit-def: $sgpr22_sgpr23
                                        ; implicit-def: $sgpr20_sgpr21
                                        ; implicit-def: $sgpr70
	s_and_saveexec_b64 s[0:1], s[30:31]
	s_xor_b64 s[24:25], exec, s[0:1]
	s_cbranch_execz .LBB72_10
	s_branch .LBB72_236
.LBB72_118:                             ;   in Loop: Header=BB72_12 Depth=1
	s_mov_b32 s53, 1
	s_mov_b64 s[16:17], -1
	s_and_b64 vcc, exec, s[20:21]
	s_cbranch_vccz .LBB72_117
.LBB72_119:                             ;   in Loop: Header=BB72_12 Depth=1
	s_cmp_eq_u32 s34, 1
	s_cselect_b64 s[0:1], -1, 0
	s_cmp_eq_u32 s35, 1
	s_cselect_b64 s[2:3], -1, 0
	s_and_b64 s[26:27], s[0:1], s[2:3]
	s_mov_b64 s[28:29], -1
	s_and_b64 vcc, exec, s[26:27]
	s_cbranch_vccz .LBB72_130
; %bb.120:                              ;   in Loop: Header=BB72_12 Depth=1
	ds_read_b32 v2, v23 offset:4104
	s_waitcnt lgkmcnt(0)
	s_barrier
	v_readfirstlane_b32 s0, v2
	s_and_saveexec_b64 s[18:19], s[6:7]
	s_cbranch_execz .LBB72_122
; %bb.121:                              ;   in Loop: Header=BB72_12 Depth=1
	ds_write_b8 v0, v23 offset:3072
.LBB72_122:                             ;   in Loop: Header=BB72_12 Depth=1
	s_or_b64 exec, exec, s[18:19]
	s_lshl_b32 s1, 1, s43
	s_and_b32 s2, s13, s44
	s_or_b32 s13, s2, s1
	s_or_b32 s12, s12, s51
	s_cmp_eq_u32 s0, 0
	s_waitcnt lgkmcnt(0)
	s_barrier
	s_cbranch_scc1 .LBB72_131
; %bb.123:                              ;   in Loop: Header=BB72_12 Depth=1
	v_readlane_b32 s1, v42, 11
	s_add_i32 s1, s0, s1
	s_mul_hi_u32 s2, s1, s33
	s_mul_i32 s2, s2, s59
	s_sub_i32 s2, s1, s2
	s_sub_i32 s3, s2, s59
	s_cmp_ge_u32 s2, s59
	s_cselect_b32 s2, s3, s2
	s_sub_i32 s3, s2, s59
	s_cmp_ge_u32 s2, s59
	s_cselect_b32 s2, s3, s2
	s_sub_i32 s1, s1, s2
	v_cmp_gt_u32_e32 vcc, s1, v0
	s_mov_b64 s[28:29], 0
                                        ; implicit-def: $vgpr25
	s_and_saveexec_b64 s[18:19], vcc
	s_cbranch_execz .LBB72_133
; %bb.124:                              ;   in Loop: Header=BB72_12 Depth=1
	s_mov_b64 s[20:21], 0
	v_mov_b32_e32 v2, v0
                                        ; implicit-def: $sgpr22_sgpr23
	s_branch .LBB72_126
.LBB72_125:                             ;   in Loop: Header=BB72_126 Depth=2
	s_or_b64 exec, exec, s[24:25]
	s_waitcnt lgkmcnt(0)
	s_barrier
	ds_read_u16 v3, v23 offset:3072
	v_add_u32_e32 v2, s59, v2
	v_cmp_le_u32_e32 vcc, s1, v2
	s_waitcnt lgkmcnt(0)
	s_barrier
	v_cmp_ne_u16_sdwa s[2:3], v3, v23 src0_sel:BYTE_0 src1_sel:DWORD
	s_or_b64 s[24:25], vcc, s[2:3]
	s_and_b64 s[24:25], exec, s[24:25]
	s_or_b64 s[20:21], s[24:25], s[20:21]
	s_andn2_b64 s[22:23], s[22:23], exec
	s_and_b64 s[2:3], s[2:3], exec
	s_or_b64 s[22:23], s[22:23], s[2:3]
	s_andn2_b64 exec, exec, s[20:21]
	s_cbranch_execz .LBB72_132
.LBB72_126:                             ;   Parent Loop BB72_12 Depth=1
                                        ; =>  This Inner Loop Header: Depth=2
	v_cmp_gt_u32_e32 vcc, s0, v2
	v_mov_b32_e32 v3, 0
	s_and_saveexec_b64 s[24:25], vcc
	s_cbranch_execz .LBB72_128
; %bb.127:                              ;   in Loop: Header=BB72_126 Depth=2
	ds_read_u8 v3, v2
.LBB72_128:                             ;   in Loop: Header=BB72_126 Depth=2
	s_or_b64 exec, exec, s[24:25]
	s_waitcnt lgkmcnt(0)
	v_and_b32_e32 v4, s12, v3
	v_cmp_eq_u32_sdwa s[2:3], v4, s13 src0_sel:BYTE_0 src1_sel:DWORD
	s_and_b64 s[2:3], vcc, s[2:3]
	s_and_saveexec_b64 s[24:25], s[2:3]
	s_cbranch_execz .LBB72_125
; %bb.129:                              ;   in Loop: Header=BB72_126 Depth=2
	v_lshlrev_b16_e32 v3, 8, v3
	v_or_b32_e32 v3, 1, v3
	ds_write_b16 v23, v3 offset:3072
	s_branch .LBB72_125
.LBB72_130:                             ;   in Loop: Header=BB72_12 Depth=1
                                        ; implicit-def: $sgpr20_sgpr21
                                        ; implicit-def: $sgpr22_sgpr23
                                        ; implicit-def: $sgpr18_sgpr19
	s_branch .LBB72_143
.LBB72_131:                             ;   in Loop: Header=BB72_12 Depth=1
	s_mov_b64 s[20:21], -1
	s_mov_b64 s[28:29], 0
                                        ; implicit-def: $sgpr18_sgpr19
                                        ; implicit-def: $vgpr25
	s_mov_b64 s[22:23], s[20:21]
	s_cbranch_execnz .LBB72_134
	s_branch .LBB72_143
.LBB72_132:                             ;   in Loop: Header=BB72_12 Depth=1
	s_or_b64 exec, exec, s[20:21]
	v_lshrrev_b16_e32 v25, 8, v3
	s_and_b64 s[28:29], s[22:23], exec
.LBB72_133:                             ;   in Loop: Header=BB72_12 Depth=1
	s_or_b64 exec, exec, s[18:19]
	s_mov_b64 s[18:19], -1
	s_mov_b64 s[20:21], 0
	s_mov_b64 s[22:23], s[20:21]
	s_branch .LBB72_143
.LBB72_134:                             ;   in Loop: Header=BB72_12 Depth=1
	s_mov_b64 s[28:29], 0
                                        ; implicit-def: $vgpr25
	s_mov_b64 s[18:19], exec
	v_readlane_b32 s0, v42, 28
	v_readlane_b32 s1, v42, 29
	s_and_b64 s[0:1], s[18:19], s[0:1]
	s_mov_b64 exec, s[0:1]
	s_cbranch_execz .LBB72_142
; %bb.135:                              ;   in Loop: Header=BB72_12 Depth=1
	s_mov_b64 s[20:21], 0
	v_mov_b32_e32 v2, v9
	v_mov_b32_e32 v3, v0
                                        ; implicit-def: $sgpr22_sgpr23
	s_branch .LBB72_137
.LBB72_136:                             ;   in Loop: Header=BB72_137 Depth=2
	s_or_b64 exec, exec, s[24:25]
	s_waitcnt lgkmcnt(0)
	s_barrier
	ds_read_u16 v4, v23 offset:3072
	v_add_u32_e32 v3, s59, v3
	v_cmp_le_u32_e32 vcc, s74, v3
	v_add_u32_e32 v2, s81, v2
	s_waitcnt lgkmcnt(0)
	v_cmp_ne_u16_sdwa s[0:1], v4, v23 src0_sel:BYTE_0 src1_sel:DWORD
	s_or_b64 s[2:3], vcc, s[0:1]
	s_and_b64 s[2:3], exec, s[2:3]
	s_or_b64 s[20:21], s[2:3], s[20:21]
	s_andn2_b64 s[2:3], s[22:23], exec
	s_and_b64 s[0:1], s[0:1], exec
	s_or_b64 s[22:23], s[2:3], s[0:1]
	s_barrier
	s_andn2_b64 exec, exec, s[20:21]
	s_cbranch_execz .LBB72_141
.LBB72_137:                             ;   Parent Loop BB72_12 Depth=1
                                        ; =>  This Inner Loop Header: Depth=2
	v_cmp_gt_u32_e32 vcc, s56, v3
	v_mov_b32_e32 v4, 0
	s_and_saveexec_b64 s[24:25], vcc
	s_cbranch_execz .LBB72_139
; %bb.138:                              ;   in Loop: Header=BB72_137 Depth=2
	global_load_ubyte v4, v2, s[62:63]
.LBB72_139:                             ;   in Loop: Header=BB72_137 Depth=2
	s_or_b64 exec, exec, s[24:25]
	s_waitcnt vmcnt(0)
	v_and_b32_e32 v5, s12, v4
	v_cmp_eq_u32_sdwa s[0:1], v5, s13 src0_sel:BYTE_0 src1_sel:DWORD
	s_and_b64 s[0:1], vcc, s[0:1]
	s_and_saveexec_b64 s[24:25], s[0:1]
	s_cbranch_execz .LBB72_136
; %bb.140:                              ;   in Loop: Header=BB72_137 Depth=2
	v_lshlrev_b16_e32 v4, 8, v4
	v_or_b32_e32 v4, 1, v4
	ds_write_b16 v23, v4 offset:3072
	s_branch .LBB72_136
.LBB72_141:                             ;   in Loop: Header=BB72_12 Depth=1
	s_or_b64 exec, exec, s[20:21]
	v_lshrrev_b16_e32 v25, 8, v4
	s_and_b64 s[28:29], s[22:23], exec
.LBB72_142:                             ;   in Loop: Header=BB72_12 Depth=1
	s_or_b64 exec, exec, s[18:19]
	s_mov_b64 s[22:23], -1
	s_mov_b64 s[20:21], 0
	s_mov_b64 s[18:19], 0
.LBB72_143:                             ;   in Loop: Header=BB72_12 Depth=1
	s_mov_b64 s[30:31], 0
                                        ; implicit-def: $sgpr53
	s_and_saveexec_b64 s[24:25], s[28:29]
	s_cbranch_execz .LBB72_235
; %bb.144:                              ;   in Loop: Header=BB72_12 Depth=1
	s_xor_b64 s[0:1], s[26:27], -1
	s_mov_b64 s[28:29], 0
	s_andn2_b64 vcc, exec, s[0:1]
	s_mov_b32 s45, 1
	s_cbranch_vccnz .LBB72_155
; %bb.145:                              ;   in Loop: Header=BB72_12 Depth=1
	s_cmp_gt_u32 s35, s34
	s_mov_b64 s[28:29], -1
                                        ; implicit-def: $sgpr53
                                        ; implicit-def: $sgpr0
                                        ; implicit-def: $sgpr1
	s_cbranch_scc1 .LBB72_151
; %bb.146:                              ;   in Loop: Header=BB72_12 Depth=1
	ds_read_b32 v2, v23 offset:4104
	s_waitcnt lgkmcnt(0)
	v_cmp_ne_u32_e32 vcc, 0, v2
	s_cbranch_vccnz .LBB72_150
; %bb.147:                              ;   in Loop: Header=BB72_12 Depth=1
	s_mov_b64 s[26:27], exec
	v_readlane_b32 s0, v42, 0
	v_readlane_b32 s1, v42, 1
	s_and_b64 s[0:1], s[26:27], s[0:1]
	s_mov_b64 exec, s[0:1]
	s_cbranch_execz .LBB72_149
; %bb.148:                              ;   in Loop: Header=BB72_12 Depth=1
	v_mov_b32_e32 v2, s34
	ds_write_b32 v23, v2 offset:4108
.LBB72_149:                             ;   in Loop: Header=BB72_12 Depth=1
	s_or_b64 exec, exec, s[26:27]
	s_waitcnt lgkmcnt(0)
	s_barrier
.LBB72_150:                             ;   in Loop: Header=BB72_12 Depth=1
	s_lshl_b32 s0, 1, s43
	s_and_b32 s1, s13, s44
	s_or_b32 s0, s1, s0
	s_or_b32 s1, s12, s51
	s_mov_b64 s[28:29], 0
	s_mov_b32 s53, 8
.LBB72_151:                             ;   in Loop: Header=BB72_12 Depth=1
	s_andn2_b64 vcc, exec, s[28:29]
	s_cbranch_vccnz .LBB72_153
; %bb.152:                              ;   in Loop: Header=BB72_12 Depth=1
	s_sub_i32 s35, s35, s34
	s_mov_b64 s[28:29], -1
	s_mov_b32 s53, 0
	s_mov_b32 s0, s13
	;; [unrolled: 1-line block ×3, first 2 shown]
.LBB72_153:                             ;   in Loop: Header=BB72_12 Depth=1
	s_mov_b32 s12, s1
	s_mov_b32 s13, s0
	;; [unrolled: 1-line block ×3, first 2 shown]
	s_andn2_b64 vcc, exec, s[28:29]
	s_mov_b64 s[40:41], -1
	s_cbranch_vccz .LBB72_156
.LBB72_154:                             ;   in Loop: Header=BB72_12 Depth=1
                                        ; implicit-def: $sgpr28_sgpr29
                                        ; implicit-def: $sgpr30_sgpr31
                                        ; implicit-def: $sgpr26_sgpr27
	s_branch .LBB72_234
.LBB72_155:                             ;   in Loop: Header=BB72_12 Depth=1
	s_mov_b32 s53, 1
	s_andn2_b64 vcc, exec, s[28:29]
	s_mov_b64 s[40:41], -1
	s_cbranch_vccnz .LBB72_154
.LBB72_156:                             ;   in Loop: Header=BB72_12 Depth=1
	s_cmp_eq_u32 s42, 1
	s_cselect_b64 s[0:1], -1, 0
	s_cmp_eq_u32 s45, 1
	s_cselect_b64 s[2:3], -1, 0
	s_and_b64 s[36:37], s[0:1], s[2:3]
	s_mov_b64 s[38:39], -1
	s_and_b64 vcc, exec, s[36:37]
	s_cbranch_vccz .LBB72_167
; %bb.157:                              ;   in Loop: Header=BB72_12 Depth=1
	ds_read_b32 v2, v23 offset:4104
	s_waitcnt lgkmcnt(0)
	s_barrier
	v_readfirstlane_b32 s0, v2
	s_and_saveexec_b64 s[26:27], s[6:7]
	s_cbranch_execz .LBB72_159
; %bb.158:                              ;   in Loop: Header=BB72_12 Depth=1
	ds_write_b8 v0, v23 offset:3072
.LBB72_159:                             ;   in Loop: Header=BB72_12 Depth=1
	s_or_b64 exec, exec, s[26:27]
	s_lshl_b32 s1, 2, s43
	s_and_b32 s2, s13, s44
	s_or_b32 s13, s2, s1
	s_or_b32 s12, s12, s51
	s_cmp_eq_u32 s0, 0
	s_waitcnt lgkmcnt(0)
	s_barrier
	s_cbranch_scc1 .LBB72_168
; %bb.160:                              ;   in Loop: Header=BB72_12 Depth=1
	v_readlane_b32 s1, v42, 11
	s_add_i32 s1, s0, s1
	s_mul_hi_u32 s2, s1, s33
	s_mul_i32 s2, s2, s59
	s_sub_i32 s2, s1, s2
	s_sub_i32 s3, s2, s59
	s_cmp_ge_u32 s2, s59
	s_cselect_b32 s2, s3, s2
	s_sub_i32 s3, s2, s59
	s_cmp_ge_u32 s2, s59
	s_cselect_b32 s2, s3, s2
	s_sub_i32 s1, s1, s2
	v_cmp_gt_u32_e32 vcc, s1, v0
	s_mov_b64 s[38:39], 0
                                        ; implicit-def: $vgpr25
	s_and_saveexec_b64 s[26:27], vcc
	s_cbranch_execz .LBB72_170
; %bb.161:                              ;   in Loop: Header=BB72_12 Depth=1
	s_mov_b64 s[28:29], 0
	v_mov_b32_e32 v2, v0
                                        ; implicit-def: $sgpr30_sgpr31
	s_branch .LBB72_163
.LBB72_162:                             ;   in Loop: Header=BB72_163 Depth=2
	s_or_b64 exec, exec, s[34:35]
	s_waitcnt lgkmcnt(0)
	s_barrier
	ds_read_u16 v3, v23 offset:3072
	v_add_u32_e32 v2, s59, v2
	v_cmp_le_u32_e32 vcc, s1, v2
	s_waitcnt lgkmcnt(0)
	s_barrier
	v_cmp_ne_u16_sdwa s[2:3], v3, v23 src0_sel:BYTE_0 src1_sel:DWORD
	s_or_b64 s[34:35], vcc, s[2:3]
	s_and_b64 s[34:35], exec, s[34:35]
	s_or_b64 s[28:29], s[34:35], s[28:29]
	s_andn2_b64 s[30:31], s[30:31], exec
	s_and_b64 s[2:3], s[2:3], exec
	s_or_b64 s[30:31], s[30:31], s[2:3]
	s_andn2_b64 exec, exec, s[28:29]
	s_cbranch_execz .LBB72_169
.LBB72_163:                             ;   Parent Loop BB72_12 Depth=1
                                        ; =>  This Inner Loop Header: Depth=2
	v_cmp_gt_u32_e32 vcc, s0, v2
	v_mov_b32_e32 v3, 0
	s_and_saveexec_b64 s[34:35], vcc
	s_cbranch_execz .LBB72_165
; %bb.164:                              ;   in Loop: Header=BB72_163 Depth=2
	ds_read_u8 v3, v2
.LBB72_165:                             ;   in Loop: Header=BB72_163 Depth=2
	s_or_b64 exec, exec, s[34:35]
	s_waitcnt lgkmcnt(0)
	v_and_b32_e32 v4, s12, v3
	v_cmp_eq_u32_sdwa s[2:3], v4, s13 src0_sel:BYTE_0 src1_sel:DWORD
	s_and_b64 s[2:3], vcc, s[2:3]
	s_and_saveexec_b64 s[34:35], s[2:3]
	s_cbranch_execz .LBB72_162
; %bb.166:                              ;   in Loop: Header=BB72_163 Depth=2
	v_lshlrev_b16_e32 v3, 8, v3
	v_or_b32_e32 v3, 1, v3
	ds_write_b16 v23, v3 offset:3072
	s_branch .LBB72_162
.LBB72_167:                             ;   in Loop: Header=BB72_12 Depth=1
                                        ; implicit-def: $sgpr26_sgpr27
                                        ; implicit-def: $sgpr30_sgpr31
                                        ; implicit-def: $sgpr28_sgpr29
	s_branch .LBB72_180
.LBB72_168:                             ;   in Loop: Header=BB72_12 Depth=1
	s_mov_b64 s[26:27], -1
	s_mov_b64 s[38:39], 0
                                        ; implicit-def: $sgpr28_sgpr29
                                        ; implicit-def: $vgpr25
	s_mov_b64 s[30:31], s[26:27]
	s_cbranch_execnz .LBB72_171
	s_branch .LBB72_180
.LBB72_169:                             ;   in Loop: Header=BB72_12 Depth=1
	s_or_b64 exec, exec, s[28:29]
	v_lshrrev_b16_e32 v25, 8, v3
	s_and_b64 s[38:39], s[30:31], exec
.LBB72_170:                             ;   in Loop: Header=BB72_12 Depth=1
	s_or_b64 exec, exec, s[26:27]
	s_mov_b64 s[28:29], -1
	s_mov_b64 s[26:27], 0
	s_mov_b64 s[30:31], s[26:27]
	s_branch .LBB72_180
.LBB72_171:                             ;   in Loop: Header=BB72_12 Depth=1
	s_mov_b64 s[38:39], 0
                                        ; implicit-def: $vgpr25
	s_mov_b64 s[26:27], exec
	v_readlane_b32 s0, v42, 28
	v_readlane_b32 s1, v42, 29
	s_and_b64 s[0:1], s[26:27], s[0:1]
	s_mov_b64 exec, s[0:1]
	s_cbranch_execz .LBB72_179
; %bb.172:                              ;   in Loop: Header=BB72_12 Depth=1
	s_mov_b64 s[28:29], 0
	v_mov_b32_e32 v2, v9
	v_mov_b32_e32 v3, v0
                                        ; implicit-def: $sgpr30_sgpr31
	s_branch .LBB72_174
.LBB72_173:                             ;   in Loop: Header=BB72_174 Depth=2
	s_or_b64 exec, exec, s[34:35]
	s_waitcnt lgkmcnt(0)
	s_barrier
	ds_read_u16 v4, v23 offset:3072
	v_add_u32_e32 v3, s59, v3
	v_cmp_le_u32_e32 vcc, s74, v3
	v_add_u32_e32 v2, s81, v2
	s_waitcnt lgkmcnt(0)
	v_cmp_ne_u16_sdwa s[0:1], v4, v23 src0_sel:BYTE_0 src1_sel:DWORD
	s_or_b64 s[2:3], vcc, s[0:1]
	s_and_b64 s[2:3], exec, s[2:3]
	s_or_b64 s[28:29], s[2:3], s[28:29]
	s_andn2_b64 s[2:3], s[30:31], exec
	s_and_b64 s[0:1], s[0:1], exec
	s_or_b64 s[30:31], s[2:3], s[0:1]
	s_barrier
	s_andn2_b64 exec, exec, s[28:29]
	s_cbranch_execz .LBB72_178
.LBB72_174:                             ;   Parent Loop BB72_12 Depth=1
                                        ; =>  This Inner Loop Header: Depth=2
	v_cmp_gt_u32_e32 vcc, s56, v3
	v_mov_b32_e32 v4, 0
	s_and_saveexec_b64 s[34:35], vcc
	s_cbranch_execz .LBB72_176
; %bb.175:                              ;   in Loop: Header=BB72_174 Depth=2
	global_load_ubyte v4, v2, s[62:63]
.LBB72_176:                             ;   in Loop: Header=BB72_174 Depth=2
	s_or_b64 exec, exec, s[34:35]
	s_waitcnt vmcnt(0)
	v_and_b32_e32 v5, s12, v4
	v_cmp_eq_u32_sdwa s[0:1], v5, s13 src0_sel:BYTE_0 src1_sel:DWORD
	s_and_b64 s[0:1], vcc, s[0:1]
	s_and_saveexec_b64 s[34:35], s[0:1]
	s_cbranch_execz .LBB72_173
; %bb.177:                              ;   in Loop: Header=BB72_174 Depth=2
	v_lshlrev_b16_e32 v4, 8, v4
	v_or_b32_e32 v4, 1, v4
	ds_write_b16 v23, v4 offset:3072
	s_branch .LBB72_173
.LBB72_178:                             ;   in Loop: Header=BB72_12 Depth=1
	s_or_b64 exec, exec, s[28:29]
	v_lshrrev_b16_e32 v25, 8, v4
	s_and_b64 s[38:39], s[30:31], exec
.LBB72_179:                             ;   in Loop: Header=BB72_12 Depth=1
	s_or_b64 exec, exec, s[26:27]
	s_mov_b64 s[30:31], -1
	s_mov_b64 s[26:27], 0
	s_mov_b64 s[28:29], 0
.LBB72_180:                             ;   in Loop: Header=BB72_12 Depth=1
	s_mov_b64 s[40:41], 0
                                        ; implicit-def: $sgpr53
	s_and_saveexec_b64 s[34:35], s[38:39]
	s_cbranch_execz .LBB72_233
; %bb.181:                              ;   in Loop: Header=BB72_12 Depth=1
	s_xor_b64 s[0:1], s[36:37], -1
	s_mov_b64 s[38:39], 0
	s_andn2_b64 vcc, exec, s[0:1]
	s_mov_b32 s52, 1
	s_cbranch_vccnz .LBB72_192
; %bb.182:                              ;   in Loop: Header=BB72_12 Depth=1
	s_cmp_gt_u32 s45, s42
	s_mov_b64 s[38:39], -1
                                        ; implicit-def: $sgpr53
                                        ; implicit-def: $sgpr0
                                        ; implicit-def: $sgpr1
	s_cbranch_scc1 .LBB72_188
; %bb.183:                              ;   in Loop: Header=BB72_12 Depth=1
	ds_read_b32 v2, v23 offset:4104
	s_waitcnt lgkmcnt(0)
	v_cmp_ne_u32_e32 vcc, 0, v2
	s_cbranch_vccnz .LBB72_187
; %bb.184:                              ;   in Loop: Header=BB72_12 Depth=1
	s_mov_b64 s[36:37], exec
	v_readlane_b32 s0, v42, 0
	v_readlane_b32 s1, v42, 1
	s_and_b64 s[0:1], s[36:37], s[0:1]
	s_mov_b64 exec, s[0:1]
	s_cbranch_execz .LBB72_186
; %bb.185:                              ;   in Loop: Header=BB72_12 Depth=1
	v_mov_b32_e32 v2, s42
	ds_write_b32 v23, v2 offset:4108
.LBB72_186:                             ;   in Loop: Header=BB72_12 Depth=1
	s_or_b64 exec, exec, s[36:37]
	s_waitcnt lgkmcnt(0)
	s_barrier
.LBB72_187:                             ;   in Loop: Header=BB72_12 Depth=1
	s_lshl_b32 s0, 2, s43
	s_and_b32 s1, s13, s44
	s_or_b32 s0, s1, s0
	s_or_b32 s1, s12, s51
	s_mov_b64 s[38:39], 0
	s_mov_b32 s53, 8
.LBB72_188:                             ;   in Loop: Header=BB72_12 Depth=1
	s_andn2_b64 vcc, exec, s[38:39]
	s_cbranch_vccnz .LBB72_190
; %bb.189:                              ;   in Loop: Header=BB72_12 Depth=1
	s_sub_i32 s45, s45, s42
	s_mov_b64 s[38:39], -1
	s_mov_b32 s53, 0
	s_mov_b32 s0, s13
	;; [unrolled: 1-line block ×3, first 2 shown]
.LBB72_190:                             ;   in Loop: Header=BB72_12 Depth=1
	s_mov_b32 s12, s1
	s_mov_b32 s13, s0
	;; [unrolled: 1-line block ×3, first 2 shown]
	s_andn2_b64 vcc, exec, s[38:39]
	s_mov_b64 s[48:49], -1
	s_cbranch_vccz .LBB72_193
.LBB72_191:                             ;   in Loop: Header=BB72_12 Depth=1
                                        ; implicit-def: $sgpr38_sgpr39
                                        ; implicit-def: $sgpr42_sgpr43
                                        ; implicit-def: $sgpr40_sgpr41
	s_branch .LBB72_232
.LBB72_192:                             ;   in Loop: Header=BB72_12 Depth=1
	s_mov_b32 s53, 1
	s_andn2_b64 vcc, exec, s[38:39]
	s_mov_b64 s[48:49], -1
	s_cbranch_vccnz .LBB72_191
.LBB72_193:                             ;   in Loop: Header=BB72_12 Depth=1
	s_cmp_eq_u32 s50, 1
	s_cselect_b64 s[0:1], -1, 0
	s_cmp_eq_u32 s52, 1
	s_cselect_b64 s[2:3], -1, 0
	s_and_b64 s[36:37], s[0:1], s[2:3]
	s_mov_b64 s[44:45], -1
	s_and_b64 vcc, exec, s[36:37]
	s_cbranch_vccz .LBB72_204
; %bb.194:                              ;   in Loop: Header=BB72_12 Depth=1
	ds_read_b32 v2, v23 offset:4104
	s_waitcnt lgkmcnt(0)
	s_barrier
	v_readfirstlane_b32 s0, v2
	s_and_saveexec_b64 s[38:39], s[6:7]
	s_cbranch_execz .LBB72_196
; %bb.195:                              ;   in Loop: Header=BB72_12 Depth=1
	ds_write_b8 v0, v23 offset:3072
.LBB72_196:                             ;   in Loop: Header=BB72_12 Depth=1
	s_or_b64 exec, exec, s[38:39]
	s_or_b32 s13, s13, s51
	s_or_b32 s12, s12, s51
	s_cmp_eq_u32 s0, 0
	s_waitcnt lgkmcnt(0)
	s_barrier
	s_cbranch_scc1 .LBB72_205
; %bb.197:                              ;   in Loop: Header=BB72_12 Depth=1
	v_readlane_b32 s1, v42, 11
	s_add_i32 s1, s0, s1
	s_mul_hi_u32 s2, s1, s33
	s_mul_i32 s2, s2, s59
	s_sub_i32 s2, s1, s2
	s_sub_i32 s3, s2, s59
	s_cmp_ge_u32 s2, s59
	s_cselect_b32 s2, s3, s2
	s_sub_i32 s3, s2, s59
	s_cmp_ge_u32 s2, s59
	s_cselect_b32 s2, s3, s2
	s_sub_i32 s1, s1, s2
	v_cmp_gt_u32_e32 vcc, s1, v0
	s_mov_b64 s[44:45], 0
                                        ; implicit-def: $vgpr25
	s_and_saveexec_b64 s[38:39], vcc
	s_cbranch_execz .LBB72_207
; %bb.198:                              ;   in Loop: Header=BB72_12 Depth=1
	v_mov_b32_e32 v2, v0
                                        ; implicit-def: $sgpr42_sgpr43
	s_branch .LBB72_200
.LBB72_199:                             ;   in Loop: Header=BB72_200 Depth=2
	s_or_b64 exec, exec, s[44:45]
	s_waitcnt lgkmcnt(0)
	s_barrier
	ds_read_u16 v3, v23 offset:3072
	v_add_u32_e32 v2, s59, v2
	v_cmp_le_u32_e32 vcc, s1, v2
	s_waitcnt lgkmcnt(0)
	s_barrier
	v_cmp_ne_u16_sdwa s[2:3], v3, v23 src0_sel:BYTE_0 src1_sel:DWORD
	s_or_b64 s[44:45], vcc, s[2:3]
	s_and_b64 s[44:45], exec, s[44:45]
	s_or_b64 s[40:41], s[44:45], s[40:41]
	s_andn2_b64 s[42:43], s[42:43], exec
	s_and_b64 s[2:3], s[2:3], exec
	s_or_b64 s[42:43], s[42:43], s[2:3]
	s_andn2_b64 exec, exec, s[40:41]
	s_cbranch_execz .LBB72_206
.LBB72_200:                             ;   Parent Loop BB72_12 Depth=1
                                        ; =>  This Inner Loop Header: Depth=2
	v_cmp_gt_u32_e32 vcc, s0, v2
	v_mov_b32_e32 v3, 0
	s_and_saveexec_b64 s[44:45], vcc
	s_cbranch_execz .LBB72_202
; %bb.201:                              ;   in Loop: Header=BB72_200 Depth=2
	ds_read_u8 v3, v2
.LBB72_202:                             ;   in Loop: Header=BB72_200 Depth=2
	s_or_b64 exec, exec, s[44:45]
	s_waitcnt lgkmcnt(0)
	v_and_b32_e32 v4, s12, v3
	v_cmp_eq_u32_sdwa s[2:3], v4, s13 src0_sel:BYTE_0 src1_sel:DWORD
	s_and_b64 s[2:3], vcc, s[2:3]
	s_and_saveexec_b64 s[44:45], s[2:3]
	s_cbranch_execz .LBB72_199
; %bb.203:                              ;   in Loop: Header=BB72_200 Depth=2
	v_lshlrev_b16_e32 v3, 8, v3
	v_or_b32_e32 v3, 1, v3
	ds_write_b16 v23, v3 offset:3072
	s_branch .LBB72_199
.LBB72_204:                             ;   in Loop: Header=BB72_12 Depth=1
                                        ; implicit-def: $sgpr38_sgpr39
                                        ; implicit-def: $sgpr42_sgpr43
                                        ; implicit-def: $sgpr40_sgpr41
	s_branch .LBB72_217
.LBB72_205:                             ;   in Loop: Header=BB72_12 Depth=1
	s_mov_b64 s[38:39], -1
	s_mov_b64 s[44:45], 0
                                        ; implicit-def: $sgpr40_sgpr41
                                        ; implicit-def: $vgpr25
	s_mov_b64 s[42:43], s[38:39]
	s_cbranch_execnz .LBB72_208
	s_branch .LBB72_217
.LBB72_206:                             ;   in Loop: Header=BB72_12 Depth=1
	s_or_b64 exec, exec, s[40:41]
	v_lshrrev_b16_e32 v25, 8, v3
	s_and_b64 s[44:45], s[42:43], exec
.LBB72_207:                             ;   in Loop: Header=BB72_12 Depth=1
	s_or_b64 exec, exec, s[38:39]
	s_mov_b64 s[40:41], -1
	s_mov_b64 s[38:39], 0
	s_mov_b64 s[42:43], s[38:39]
	s_branch .LBB72_217
.LBB72_208:                             ;   in Loop: Header=BB72_12 Depth=1
	s_mov_b64 s[44:45], 0
                                        ; implicit-def: $vgpr25
	s_mov_b64 s[38:39], exec
	v_readlane_b32 s0, v42, 28
	v_readlane_b32 s1, v42, 29
	s_and_b64 s[0:1], s[38:39], s[0:1]
	s_mov_b64 exec, s[0:1]
	s_cbranch_execz .LBB72_216
; %bb.209:                              ;   in Loop: Header=BB72_12 Depth=1
	s_mov_b64 s[40:41], 0
	v_mov_b32_e32 v2, v9
	v_mov_b32_e32 v3, v0
                                        ; implicit-def: $sgpr42_sgpr43
	s_branch .LBB72_211
.LBB72_210:                             ;   in Loop: Header=BB72_211 Depth=2
	s_or_b64 exec, exec, s[44:45]
	s_waitcnt lgkmcnt(0)
	s_barrier
	ds_read_u16 v4, v23 offset:3072
	v_add_u32_e32 v3, s59, v3
	v_cmp_le_u32_e32 vcc, s74, v3
	v_add_u32_e32 v2, s81, v2
	s_waitcnt lgkmcnt(0)
	v_cmp_ne_u16_sdwa s[0:1], v4, v23 src0_sel:BYTE_0 src1_sel:DWORD
	s_or_b64 s[2:3], vcc, s[0:1]
	s_and_b64 s[2:3], exec, s[2:3]
	s_or_b64 s[40:41], s[2:3], s[40:41]
	s_andn2_b64 s[2:3], s[42:43], exec
	s_and_b64 s[0:1], s[0:1], exec
	s_or_b64 s[42:43], s[2:3], s[0:1]
	s_barrier
	s_andn2_b64 exec, exec, s[40:41]
	s_cbranch_execz .LBB72_215
.LBB72_211:                             ;   Parent Loop BB72_12 Depth=1
                                        ; =>  This Inner Loop Header: Depth=2
	v_cmp_gt_u32_e32 vcc, s56, v3
	v_mov_b32_e32 v4, 0
	s_and_saveexec_b64 s[44:45], vcc
	s_cbranch_execz .LBB72_213
; %bb.212:                              ;   in Loop: Header=BB72_211 Depth=2
	global_load_ubyte v4, v2, s[62:63]
.LBB72_213:                             ;   in Loop: Header=BB72_211 Depth=2
	s_or_b64 exec, exec, s[44:45]
	s_waitcnt vmcnt(0)
	v_and_b32_e32 v5, s12, v4
	v_cmp_eq_u32_sdwa s[0:1], v5, s13 src0_sel:BYTE_0 src1_sel:DWORD
	s_and_b64 s[0:1], vcc, s[0:1]
	s_and_saveexec_b64 s[44:45], s[0:1]
	s_cbranch_execz .LBB72_210
; %bb.214:                              ;   in Loop: Header=BB72_211 Depth=2
	v_lshlrev_b16_e32 v4, 8, v4
	v_or_b32_e32 v4, 1, v4
	ds_write_b16 v23, v4 offset:3072
	s_branch .LBB72_210
.LBB72_215:                             ;   in Loop: Header=BB72_12 Depth=1
	s_or_b64 exec, exec, s[40:41]
	v_lshrrev_b16_e32 v25, 8, v4
	s_and_b64 s[44:45], s[42:43], exec
.LBB72_216:                             ;   in Loop: Header=BB72_12 Depth=1
	s_or_b64 exec, exec, s[38:39]
	s_mov_b64 s[42:43], -1
	s_mov_b64 s[38:39], 0
	s_mov_b64 s[40:41], 0
.LBB72_217:                             ;   in Loop: Header=BB72_12 Depth=1
	s_mov_b64 s[48:49], 0
                                        ; implicit-def: $sgpr53
	s_and_saveexec_b64 s[46:47], s[44:45]
	s_cbranch_execz .LBB72_231
; %bb.218:                              ;   in Loop: Header=BB72_12 Depth=1
	s_xor_b64 s[0:1], s[36:37], -1
	s_andn2_b64 vcc, exec, s[0:1]
	s_mov_b32 s53, 1
	s_cbranch_vccnz .LBB72_225
; %bb.219:                              ;   in Loop: Header=BB72_12 Depth=1
	s_cmp_gt_u32 s52, s50
	s_cbranch_scc1 .LBB72_226
; %bb.220:                              ;   in Loop: Header=BB72_12 Depth=1
	ds_read_b32 v2, v23 offset:4104
	s_waitcnt lgkmcnt(0)
	v_cmp_ne_u32_e32 vcc, 0, v2
	s_cbranch_vccnz .LBB72_224
; %bb.221:                              ;   in Loop: Header=BB72_12 Depth=1
	s_mov_b64 s[36:37], exec
	v_readlane_b32 s0, v42, 0
	v_readlane_b32 s1, v42, 1
	s_and_b64 s[0:1], s[36:37], s[0:1]
	s_mov_b64 exec, s[0:1]
	s_cbranch_execz .LBB72_223
; %bb.222:                              ;   in Loop: Header=BB72_12 Depth=1
	v_mov_b32_e32 v2, s50
	ds_write_b32 v23, v2 offset:4108
.LBB72_223:                             ;   in Loop: Header=BB72_12 Depth=1
	s_or_b64 exec, exec, s[36:37]
	s_waitcnt lgkmcnt(0)
	s_barrier
.LBB72_224:                             ;   in Loop: Header=BB72_12 Depth=1
	s_or_b32 s0, s13, s51
	s_or_b32 s1, s12, s51
	s_mov_b64 s[36:37], 0
	s_mov_b32 s53, 8
	s_branch .LBB72_227
.LBB72_225:                             ;   in Loop: Header=BB72_12 Depth=1
	s_mov_b32 s52, 1
	s_branch .LBB72_230
.LBB72_226:                             ;   in Loop: Header=BB72_12 Depth=1
	s_mov_b64 s[36:37], -1
                                        ; implicit-def: $sgpr53
                                        ; implicit-def: $sgpr0
                                        ; implicit-def: $sgpr1
.LBB72_227:                             ;   in Loop: Header=BB72_12 Depth=1
	s_andn2_b64 vcc, exec, s[36:37]
	s_cbranch_vccnz .LBB72_229
; %bb.228:                              ;   in Loop: Header=BB72_12 Depth=1
	s_sub_i32 s52, s52, s50
	s_mov_b32 s53, 8
	s_mov_b32 s0, s13
	;; [unrolled: 1-line block ×3, first 2 shown]
.LBB72_229:                             ;   in Loop: Header=BB72_12 Depth=1
	s_mov_b32 s13, s0
	s_mov_b32 s12, s1
.LBB72_230:                             ;   in Loop: Header=BB72_12 Depth=1
	s_mov_b64 s[48:49], exec
.LBB72_231:                             ;   in Loop: Header=BB72_12 Depth=1
	s_or_b64 exec, exec, s[46:47]
.LBB72_232:                             ;   in Loop: Header=BB72_12 Depth=1
	s_andn2_b64 s[0:1], s[26:27], exec
	s_and_b64 s[2:3], s[38:39], exec
	s_or_b64 s[26:27], s[0:1], s[2:3]
	s_andn2_b64 s[0:1], s[30:31], exec
	s_and_b64 s[2:3], s[42:43], exec
	s_or_b64 s[30:31], s[0:1], s[2:3]
	;; [unrolled: 3-line block ×3, first 2 shown]
	s_and_b64 s[40:41], s[48:49], exec
	s_mov_b32 s45, s52
.LBB72_233:                             ;   in Loop: Header=BB72_12 Depth=1
	s_or_b64 exec, exec, s[34:35]
.LBB72_234:                             ;   in Loop: Header=BB72_12 Depth=1
	s_andn2_b64 s[0:1], s[20:21], exec
	s_and_b64 s[2:3], s[26:27], exec
	s_or_b64 s[20:21], s[0:1], s[2:3]
	s_andn2_b64 s[0:1], s[22:23], exec
	s_and_b64 s[2:3], s[30:31], exec
	s_or_b64 s[22:23], s[0:1], s[2:3]
	;; [unrolled: 3-line block ×3, first 2 shown]
	s_and_b64 s[30:31], s[40:41], exec
	s_mov_b32 s35, s45
.LBB72_235:                             ;   in Loop: Header=BB72_12 Depth=1
	s_or_b64 exec, exec, s[24:25]
                                        ; implicit-def: $sgpr70
	s_and_saveexec_b64 s[0:1], s[30:31]
	s_xor_b64 s[24:25], exec, s[0:1]
	s_cbranch_execz .LBB72_10
.LBB72_236:                             ;   in Loop: Header=BB72_12 Depth=1
	s_and_b32 s0, s53, -9
	s_cmp_eq_u32 s0, 0
	s_cbranch_scc1 .LBB72_8
; %bb.237:                              ;   in Loop: Header=BB72_12 Depth=1
	s_mov_b64 s[16:17], -1
                                        ; implicit-def: $sgpr12
                                        ; implicit-def: $sgpr35
                                        ; implicit-def: $sgpr76
                                        ; implicit-def: $sgpr77
	s_mov_b64 s[26:27], -1
	s_branch .LBB72_9
.LBB72_238:
	s_or_b64 exec, exec, s[84:85]
	s_xor_b64 s[8:9], s[90:91], -1
	s_xor_b64 s[0:1], s[86:87], -1
	;; [unrolled: 1-line block ×3, first 2 shown]
	s_mov_b64 s[4:5], 0
	s_and_saveexec_b64 s[2:3], s[0:1]
	s_xor_b64 s[0:1], exec, s[2:3]
	s_cbranch_execnz .LBB72_243
; %bb.239:
	s_andn2_saveexec_b64 s[0:1], s[0:1]
	s_cbranch_execnz .LBB72_256
.LBB72_240:
	s_or_b64 exec, exec, s[0:1]
	s_and_saveexec_b64 s[0:1], s[4:5]
.LBB72_241:
	; divergent unreachable
.LBB72_242:
	s_endpgm
.LBB72_243:
	s_and_saveexec_b64 s[2:3], s[8:9]
	s_xor_b64 s[4:5], exec, s[2:3]
	s_cbranch_execz .LBB72_254
; %bb.244:
	s_and_saveexec_b64 s[2:3], s[6:7]
	s_xor_b64 s[6:7], exec, s[2:3]
; %bb.245:
	v_mov_b32_e32 v25, v2
; %bb.246:
	s_or_b64 exec, exec, s[6:7]
	v_readlane_b32 s18, v42, 8
	v_readlane_b32 s2, v42, 7
	s_mul_i32 s2, s2, s18
	v_mov_b32_e32 v1, s2
	v_readlane_b32 s2, v42, 4
	v_readlane_b32 s3, v42, 5
	s_nop 4
	global_store_byte v1, v25, s[2:3]
	s_mov_b64 s[6:7], exec
	v_readlane_b32 s2, v42, 9
	v_readlane_b32 s3, v42, 10
	s_and_b64 s[2:3], s[6:7], s[2:3]
	s_mov_b64 exec, s[2:3]
	s_cbranch_execz .LBB72_253
; %bb.247:
	s_mov_b64 s[2:3], 0
                                        ; implicit-def: $sgpr8_sgpr9
                                        ; implicit-def: $sgpr12_sgpr13
                                        ; implicit-def: $sgpr10_sgpr11
	s_branch .LBB72_249
.LBB72_248:                             ;   in Loop: Header=BB72_249 Depth=1
	s_or_b64 exec, exec, s[14:15]
	s_and_b64 s[14:15], exec, s[12:13]
	s_or_b64 s[2:3], s[14:15], s[2:3]
	s_andn2_b64 s[8:9], s[8:9], exec
	s_and_b64 s[14:15], s[10:11], exec
	s_or_b64 s[8:9], s[8:9], s[14:15]
	s_andn2_b64 exec, exec, s[2:3]
	s_cbranch_execz .LBB72_251
.LBB72_249:                             ; =>This Inner Loop Header: Depth=1
	global_load_ubyte v1, v9, s[62:63]
	v_mov_b32_e32 v2, v0
	s_or_b64 s[10:11], s[10:11], exec
	s_or_b64 s[12:13], s[12:13], exec
                                        ; implicit-def: $vgpr0
	s_waitcnt vmcnt(0)
	v_cmp_ne_u16_sdwa s[16:17], v1, v25 src0_sel:DWORD src1_sel:BYTE_0
	s_and_saveexec_b64 s[14:15], s[16:17]
	s_cbranch_execz .LBB72_248
; %bb.250:                              ;   in Loop: Header=BB72_249 Depth=1
	v_add_u32_e32 v0, s59, v2
	v_cmp_le_u32_e32 vcc, s56, v0
	s_andn2_b64 s[12:13], s[12:13], exec
	s_and_b64 s[16:17], vcc, exec
	v_add_u32_e32 v9, s81, v9
	s_andn2_b64 s[10:11], s[10:11], exec
	s_or_b64 s[12:13], s[12:13], s[16:17]
	s_branch .LBB72_248
.LBB72_251:
	s_or_b64 exec, exec, s[2:3]
	s_and_saveexec_b64 s[2:3], s[8:9]
	s_xor_b64 s[2:3], exec, s[2:3]
	s_cbranch_execz .LBB72_253
; %bb.252:
	v_readlane_b32 s2, v42, 6
	s_mul_i32 s2, s2, s18
	s_mov_b32 s3, 0
	s_lshl_b64 s[2:3], s[2:3], 3
	v_readlane_b32 s8, v42, 2
	v_readlane_b32 s9, v42, 3
	s_add_u32 s2, s8, s2
	s_addc_u32 s3, s9, s3
	v_mov_b32_e32 v3, 0
	global_store_dwordx2 v3, v[2:3], s[2:3]
.LBB72_253:
	s_or_b64 exec, exec, s[6:7]
.LBB72_254:
	s_or_saveexec_b64 s[2:3], s[4:5]
	s_mov_b64 s[4:5], 0
	s_xor_b64 exec, exec, s[2:3]
	s_cbranch_execnz .LBB72_257
.LBB72_255:
	s_or_b64 exec, exec, s[2:3]
	s_and_b64 s[4:5], s[4:5], exec
	s_andn2_saveexec_b64 s[0:1], s[0:1]
	s_cbranch_execz .LBB72_240
.LBB72_256:
	s_or_b64 s[4:5], s[4:5], exec
	s_trap 2
	s_or_b64 exec, exec, s[0:1]
	s_and_saveexec_b64 s[0:1], s[4:5]
	s_cbranch_execnz .LBB72_241
	s_branch .LBB72_242
.LBB72_257:
	s_mov_b64 s[4:5], exec
	s_trap 2
	s_branch .LBB72_255
	.section	.rodata,"a",@progbits
	.p2align	6, 0x0
	.amdhsa_kernel _ZN2at6native12_GLOBAL__N_112gatherMedianIhjLi1EEEvNS_4cuda6detail10TensorInfoIT_T0_EENS5_IlS7_EENS5_IKS6_S7_EES7_S7_S7_b
		.amdhsa_group_segment_fixed_size 4120
		.amdhsa_private_segment_fixed_size 0
		.amdhsa_kernarg_size 920
		.amdhsa_user_sgpr_count 6
		.amdhsa_user_sgpr_private_segment_buffer 1
		.amdhsa_user_sgpr_dispatch_ptr 0
		.amdhsa_user_sgpr_queue_ptr 0
		.amdhsa_user_sgpr_kernarg_segment_ptr 1
		.amdhsa_user_sgpr_dispatch_id 0
		.amdhsa_user_sgpr_flat_scratch_init 0
		.amdhsa_user_sgpr_kernarg_preload_length 0
		.amdhsa_user_sgpr_kernarg_preload_offset 0
		.amdhsa_user_sgpr_private_segment_size 0
		.amdhsa_uses_dynamic_stack 0
		.amdhsa_system_sgpr_private_segment_wavefront_offset 0
		.amdhsa_system_sgpr_workgroup_id_x 1
		.amdhsa_system_sgpr_workgroup_id_y 1
		.amdhsa_system_sgpr_workgroup_id_z 1
		.amdhsa_system_sgpr_workgroup_info 0
		.amdhsa_system_vgpr_workitem_id 0
		.amdhsa_next_free_vgpr 43
		.amdhsa_next_free_sgpr 96
		.amdhsa_accum_offset 44
		.amdhsa_reserve_vcc 1
		.amdhsa_reserve_flat_scratch 0
		.amdhsa_float_round_mode_32 0
		.amdhsa_float_round_mode_16_64 0
		.amdhsa_float_denorm_mode_32 3
		.amdhsa_float_denorm_mode_16_64 3
		.amdhsa_dx10_clamp 1
		.amdhsa_ieee_mode 1
		.amdhsa_fp16_overflow 0
		.amdhsa_tg_split 0
		.amdhsa_exception_fp_ieee_invalid_op 0
		.amdhsa_exception_fp_denorm_src 0
		.amdhsa_exception_fp_ieee_div_zero 0
		.amdhsa_exception_fp_ieee_overflow 0
		.amdhsa_exception_fp_ieee_underflow 0
		.amdhsa_exception_fp_ieee_inexact 0
		.amdhsa_exception_int_div_zero 0
	.end_amdhsa_kernel
	.section	.text._ZN2at6native12_GLOBAL__N_112gatherMedianIhjLi1EEEvNS_4cuda6detail10TensorInfoIT_T0_EENS5_IlS7_EENS5_IKS6_S7_EES7_S7_S7_b,"axG",@progbits,_ZN2at6native12_GLOBAL__N_112gatherMedianIhjLi1EEEvNS_4cuda6detail10TensorInfoIT_T0_EENS5_IlS7_EENS5_IKS6_S7_EES7_S7_S7_b,comdat
.Lfunc_end72:
	.size	_ZN2at6native12_GLOBAL__N_112gatherMedianIhjLi1EEEvNS_4cuda6detail10TensorInfoIT_T0_EENS5_IlS7_EENS5_IKS6_S7_EES7_S7_S7_b, .Lfunc_end72-_ZN2at6native12_GLOBAL__N_112gatherMedianIhjLi1EEEvNS_4cuda6detail10TensorInfoIT_T0_EENS5_IlS7_EENS5_IKS6_S7_EES7_S7_S7_b
                                        ; -- End function
	.section	.AMDGPU.csdata,"",@progbits
; Kernel info:
; codeLenInByte = 9004
; NumSgprs: 100
; NumVgprs: 43
; NumAgprs: 0
; TotalNumVgprs: 43
; ScratchSize: 0
; MemoryBound: 0
; FloatMode: 240
; IeeeMode: 1
; LDSByteSize: 4120 bytes/workgroup (compile time only)
; SGPRBlocks: 12
; VGPRBlocks: 5
; NumSGPRsForWavesPerEU: 100
; NumVGPRsForWavesPerEU: 43
; AccumOffset: 44
; Occupancy: 8
; WaveLimiterHint : 1
; COMPUTE_PGM_RSRC2:SCRATCH_EN: 0
; COMPUTE_PGM_RSRC2:USER_SGPR: 6
; COMPUTE_PGM_RSRC2:TRAP_HANDLER: 0
; COMPUTE_PGM_RSRC2:TGID_X_EN: 1
; COMPUTE_PGM_RSRC2:TGID_Y_EN: 1
; COMPUTE_PGM_RSRC2:TGID_Z_EN: 1
; COMPUTE_PGM_RSRC2:TIDIG_COMP_CNT: 0
; COMPUTE_PGM_RSRC3_GFX90A:ACCUM_OFFSET: 10
; COMPUTE_PGM_RSRC3_GFX90A:TG_SPLIT: 0
	.section	.text._ZN2at6native12_GLOBAL__N_112gatherMedianIhjLi2EEEvNS_4cuda6detail10TensorInfoIT_T0_EENS5_IlS7_EENS5_IKS6_S7_EES7_S7_S7_b,"axG",@progbits,_ZN2at6native12_GLOBAL__N_112gatherMedianIhjLi2EEEvNS_4cuda6detail10TensorInfoIT_T0_EENS5_IlS7_EENS5_IKS6_S7_EES7_S7_S7_b,comdat
	.globl	_ZN2at6native12_GLOBAL__N_112gatherMedianIhjLi2EEEvNS_4cuda6detail10TensorInfoIT_T0_EENS5_IlS7_EENS5_IKS6_S7_EES7_S7_S7_b ; -- Begin function _ZN2at6native12_GLOBAL__N_112gatherMedianIhjLi2EEEvNS_4cuda6detail10TensorInfoIT_T0_EENS5_IlS7_EENS5_IKS6_S7_EES7_S7_S7_b
	.p2align	8
	.type	_ZN2at6native12_GLOBAL__N_112gatherMedianIhjLi2EEEvNS_4cuda6detail10TensorInfoIT_T0_EENS5_IlS7_EENS5_IKS6_S7_EES7_S7_S7_b,@function
_ZN2at6native12_GLOBAL__N_112gatherMedianIhjLi2EEEvNS_4cuda6detail10TensorInfoIT_T0_EENS5_IlS7_EENS5_IKS6_S7_EES7_S7_S7_b: ; @_ZN2at6native12_GLOBAL__N_112gatherMedianIhjLi2EEEvNS_4cuda6detail10TensorInfoIT_T0_EENS5_IlS7_EENS5_IKS6_S7_EES7_S7_S7_b
; %bb.0:
	s_load_dwordx2 s[12:13], s[4:5], 0x298
	s_load_dwordx4 s[56:59], s[4:5], 0x288
	s_add_u32 s10, s4, 0x298
	s_addc_u32 s11, s5, 0
	s_waitcnt lgkmcnt(0)
	s_mul_i32 s0, s13, s8
	s_add_i32 s0, s0, s7
	s_mul_i32 s0, s0, s12
	s_add_i32 s16, s0, s6
	s_cmp_ge_u32 s16, s57
	s_cbranch_scc1 .LBB73_242
; %bb.1:
	s_load_dword s1, s[4:5], 0xc
	s_load_dword s2, s[4:5], 0xe4
	;; [unrolled: 1-line block ×3, first 2 shown]
                                        ; implicit-def: $vgpr42 : SGPR spill to VGPR lane
	v_cmp_eq_u32_e64 s[14:15], 0, v0
	s_waitcnt lgkmcnt(0)
	v_cvt_f32_u32_e32 v1, s1
	v_cvt_f32_u32_e32 v2, s2
	;; [unrolled: 1-line block ×3, first 2 shown]
	v_writelane_b32 v42, s1, 0
	v_rcp_iflag_f32_e32 v1, v1
	v_rcp_iflag_f32_e32 v2, v2
	;; [unrolled: 1-line block ×3, first 2 shown]
	s_sub_i32 s1, 0, s1
	v_mul_f32_e32 v1, 0x4f7ffffe, v1
	v_mul_f32_e32 v2, 0x4f7ffffe, v2
	v_cvt_u32_f32_e32 v1, v1
	v_cvt_u32_f32_e32 v2, v2
	v_mul_f32_e32 v3, 0x4f7ffffe, v3
	v_cvt_u32_f32_e32 v3, v3
	v_writelane_b32 v42, s2, 1
	s_sub_i32 s2, 0, s2
	v_readfirstlane_b32 s7, v1
	v_readfirstlane_b32 s13, v2
	s_mul_i32 s1, s1, s7
	s_mul_i32 s2, s2, s13
	s_mul_hi_u32 s8, s7, s1
	s_mul_hi_u32 s9, s13, s2
	s_sub_i32 s1, 0, s0
	v_readfirstlane_b32 s2, v3
	s_mul_i32 s1, s1, s2
	s_mul_hi_u32 s1, s2, s1
	s_add_i32 s1, s2, s1
	s_mov_b64 s[2:3], exec
	v_writelane_b32 v42, s14, 2
	v_writelane_b32 v42, s15, 3
	s_and_b64 s[14:15], s[2:3], s[14:15]
	s_mov_b64 exec, s[14:15]
	s_cbranch_execz .LBB73_3
; %bb.2:
	v_mov_b32_e32 v2, 0
	v_mov_b32_e32 v3, v2
	ds_write_b64 v2, v[2:3] offset:4096
.LBB73_3:
	s_or_b64 exec, exec, s[2:3]
	v_mov_b32_e32 v1, 0
	s_waitcnt lgkmcnt(0)
	s_barrier
	s_barrier
	ds_read_b64 v[2:3], v1 offset:4096
	s_add_i32 s7, s7, s8
	s_add_i32 s13, s13, s9
	s_load_dwordx2 s[8:9], s[4:5], 0x21c
	s_load_dwordx2 s[2:3], s[4:5], 0x1b0
	s_bitcmp1_b32 s59, 0
	s_cselect_b64 s[14:15], -1, 0
	s_waitcnt lgkmcnt(0)
	v_cmp_gt_i64_e32 vcc, 1, v[2:3]
	s_or_b64 s[14:15], s[14:15], vcc
	s_mul_hi_u32 s1, s16, s1
	s_andn2_b64 vcc, exec, s[14:15]
	s_mov_b32 s74, s56
	s_cbranch_vccnz .LBB73_5
; %bb.4:
	v_not_b32_e32 v1, v2
	v_not_b32_e32 v2, v3
	v_add_co_u32_e32 v1, vcc, s56, v1
	v_addc_co_u32_e32 v2, vcc, 0, v2, vcc
	v_lshrrev_b32_e32 v3, 31, v2
	v_add_co_u32_e32 v1, vcc, v1, v3
	v_addc_co_u32_e32 v2, vcc, 0, v2, vcc
	v_alignbit_b32 v1, v2, v1, 1
	v_readfirstlane_b32 s14, v1
	s_add_i32 s74, s14, 1
.LBB73_5:
	s_load_dwordx2 s[14:15], s[4:5], 0x144
                                        ; kill: killed $sgpr4 killed $sgpr5
	s_waitcnt lgkmcnt(0)
	v_writelane_b32 v42, s14, 4
	v_writelane_b32 v42, s15, 5
	s_load_dwordx2 s[14:15], s[4:5], 0xd8
	s_waitcnt lgkmcnt(0)
	v_writelane_b32 v42, s14, 6
	v_writelane_b32 v42, s15, 7
	s_load_dwordx2 s[14:15], s[4:5], 0x6c
	;; [unrolled: 4-line block ×3, first 2 shown]
	s_mul_hi_u32 s4, s16, s7
	s_waitcnt lgkmcnt(0)
	v_writelane_b32 v42, s14, 10
	v_writelane_b32 v42, s15, 11
	;; [unrolled: 1-line block ×3, first 2 shown]
	s_mul_hi_u32 s4, s16, s13
	v_writelane_b32 v42, s4, 13
	s_mov_b64 s[4:5], exec
	v_readlane_b32 s14, v42, 2
	v_readlane_b32 s15, v42, 3
	s_and_b64 s[14:15], s[4:5], s[14:15]
	s_mov_b64 exec, s[14:15]
	s_cbranch_execz .LBB73_7
; %bb.6:
	v_mov_b32_e32 v2, 0
	v_mov_b32_e32 v3, s56
	ds_write_b32 v2, v2 offset:4112
	ds_write_b64 v2, v[2:3] offset:4104
.LBB73_7:
	s_or_b64 exec, exec, s[4:5]
	s_mul_i32 s4, s1, s0
	s_sub_i32 s4, s16, s4
	s_add_i32 s5, s1, 1
	s_sub_i32 s7, s4, s0
	s_cmp_ge_u32 s4, s0
	s_cselect_b32 s1, s5, s1
	s_cselect_b32 s4, s7, s4
	s_add_i32 s5, s1, 1
	s_cmp_ge_u32 s4, s0
	s_cselect_b32 s1, s5, s1
	s_mul_i32 s0, s1, s0
	s_sub_i32 s0, s16, s0
	s_mul_i32 s0, s0, s9
	s_mul_i32 s1, s1, s8
	s_add_i32 s1, s1, s0
	s_waitcnt lgkmcnt(0)
	s_barrier
	s_load_dword s0, s[10:11], 0xc
	s_add_u32 s64, s2, s1
	v_writelane_b32 v42, s16, 14
	s_addc_u32 s65, s3, 0
	v_cmp_gt_u32_e64 s[2:3], s56, v0
	v_mbcnt_lo_u32_b32 v1, -1, 0
	v_writelane_b32 v42, s2, 15
	s_waitcnt lgkmcnt(0)
	s_and_b32 s59, s0, 0xffff
	v_mbcnt_hi_u32_b32 v12, -1, v1
	v_writelane_b32 v42, s3, 16
	s_bfe_u32 s3, s0, 0xa0006
	v_cmp_gt_u32_e32 vcc, 64, v0
	v_cmp_gt_i32_e64 s[4:5], 4, v12
	s_add_i32 s0, s59, -1
	s_lshl_b32 s84, s59, 2
	s_and_b64 s[72:73], vcc, s[4:5]
	v_writelane_b32 v42, s0, 17
	s_add_i32 s0, s0, s56
	s_cmpk_gt_u32 s56, 0xc00
	s_cselect_b64 s[4:5], -1, 0
	s_cmp_gt_u32 s59, 63
	s_cselect_b64 s[76:77], -1, 0
	s_cmp_lt_u32 s6, s12
	v_writelane_b32 v42, s4, 18
	s_cselect_b32 s1, 12, 18
	v_writelane_b32 v42, s5, 19
	s_add_u32 s4, s10, s1
	s_addc_u32 s5, s11, 0
	s_add_i32 s1, s3, -2
	s_lshr_b32 s2, s1, 1
	s_add_i32 s2, s2, 1
	v_lshlrev_b64 v[2:3], v12, -1
	v_writelane_b32 v42, s4, 20
	s_cmpk_gt_u32 s59, 0x7f
	v_not_b32_e32 v8, v2
	v_cvt_f32_u32_e32 v2, s84
	v_writelane_b32 v42, s5, 21
	s_cselect_b64 s[4:5], -1, 0
	s_and_b32 s8, s3, 0x3fe
	s_and_b32 s9, s2, 7
	v_writelane_b32 v42, s4, 22
	s_cmp_gt_u32 s1, 13
	v_writelane_b32 v42, s5, 23
	s_cselect_b64 s[10:11], -1, 0
	v_writelane_b32 v42, s10, 24
	v_rcp_iflag_f32_e32 v2, v2
	v_writelane_b32 v42, s11, 25
	s_and_b32 s1, s2, -8
	v_writelane_b32 v42, s1, 26
	s_cmp_lg_u32 s9, 0
	v_writelane_b32 v42, s9, 27
	s_cselect_b64 s[10:11], -1, 0
	v_writelane_b32 v42, s10, 28
	v_mul_f32_e32 v2, 0x4f7ffffe, v2
	v_writelane_b32 v42, s11, 29
	v_cvt_u32_f32_e32 v2, v2
	v_writelane_b32 v42, s3, 30
	s_cmp_lg_u32 s8, s3
	v_writelane_b32 v42, s8, 31
	s_cselect_b64 s[2:3], -1, 0
	v_writelane_b32 v42, s2, 32
	v_writelane_b32 v42, s3, 33
	v_readfirstlane_b32 s2, v2
	v_cvt_f32_u32_e32 v2, s59
	s_sub_i32 s1, 0, s84
	s_mul_i32 s1, s1, s2
	s_mul_hi_u32 s1, s2, s1
	s_add_i32 s87, s2, s1
	v_rcp_iflag_f32_e32 v2, v2
	s_mul_hi_u32 s1, s56, s87
	s_mul_i32 s1, s1, s84
	s_sub_i32 s1, s56, s1
	s_sub_i32 s2, s1, s84
	v_mul_f32_e32 v2, 0x4f7ffffe, v2
	s_cmp_ge_u32 s1, s84
	v_cvt_u32_f32_e32 v2, v2
	s_cselect_b32 s1, s2, s1
	s_sub_i32 s2, s1, s84
	s_cmp_ge_u32 s1, s84
	s_cselect_b32 s1, s2, s1
	s_sub_i32 s2, 0, s59
	v_readfirstlane_b32 s3, v2
	s_mul_i32 s2, s2, s3
	s_mul_hi_u32 s2, s3, s2
	s_add_i32 s33, s3, s2
	s_mul_hi_u32 s2, s0, s33
	s_mul_i32 s2, s2, s59
	s_sub_i32 s2, s0, s2
	s_sub_i32 s85, s56, s1
	;; [unrolled: 1-line block ×3, first 2 shown]
	s_cmp_ge_u32 s2, s59
	s_cselect_b32 s2, s3, s2
	v_lshlrev_b32_e32 v13, 2, v0
	s_sub_i32 s3, s2, s59
	v_mul_lo_u32 v9, v0, s58
	s_cmp_ge_u32 s2, s59
	v_mul_lo_u32 v2, s58, v13
	v_mov_b32_e32 v1, s65
	v_add_co_u32_e32 v6, vcc, s64, v9
	s_cselect_b32 s2, s3, s2
	v_add_u32_e32 v17, s58, v2
	v_or_b32_e32 v2, 2, v13
	v_addc_co_u32_e32 v7, vcc, 0, v1, vcc
	v_lshrrev_b32_e32 v1, 4, v0
	v_add_u32_e32 v16, s85, v0
	s_sub_i32 s78, s0, s2
	v_mul_lo_u32 v18, s58, v2
	v_or_b32_e32 v2, 3, v13
	s_add_i32 s0, s59, s56
	v_and_b32_e32 v14, 60, v1
	v_not_b32_e32 v1, v3
	v_mul_lo_u32 v3, v16, s58
	v_mul_lo_u32 v19, s58, v2
	v_add_u32_e32 v2, s0, v0
	v_lshlrev_b32_e32 v4, 2, v12
	v_mov_b32_e32 v5, s65
	v_add_co_u32_e32 v10, vcc, s64, v3
	v_cmp_gt_u32_e64 s[2:3], s78, v0
	s_mul_i32 s57, s58, s59
	v_subrev_u32_e32 v2, s1, v2
	s_mov_b32 s70, 0
	v_cmp_eq_u32_e64 s[4:5], 0, v12
	v_cmp_gt_u32_e64 s[6:7], 2, v0
	v_and_b32_e32 v15, 0x100, v4
	v_cmp_gt_u32_e64 s[8:9], s85, v13
	v_cmp_gt_u32_e64 s[10:11], s56, v16
	v_addc_co_u32_e32 v11, vcc, 0, v5, vcc
	v_writelane_b32 v42, s2, 34
	s_lshl_b32 s79, s57, 2
	v_lshlrev_b32_e32 v20, 2, v9
	v_mul_lo_u32 v21, s58, v2
	v_or_b32_e32 v22, 0xc00, v4
	s_mov_b32 s80, 6
	s_mov_b64 s[88:89], 0
	v_mov_b32_e32 v23, 0
	v_mov_b32_e32 v24, 0xc00
	;; [unrolled: 1-line block ×3, first 2 shown]
	s_mov_b32 s81, 0
	s_mov_b32 s13, 0
	;; [unrolled: 1-line block ×3, first 2 shown]
	v_writelane_b32 v42, s3, 35
                                        ; implicit-def: $sgpr90_sgpr91
                                        ; implicit-def: $sgpr94_sgpr95
                                        ; implicit-def: $sgpr92_sgpr93
                                        ; implicit-def: $sgpr60_sgpr61
                                        ; implicit-def: $sgpr62_sgpr63
                                        ; implicit-def: $sgpr66_sgpr67
	s_branch .LBB73_12
.LBB73_8:                               ;   in Loop: Header=BB73_12 Depth=1
	s_xor_b32 s81, s81, 1
	s_add_i32 s0, s80, -2
	s_cmp_eq_u32 s80, 0
	s_mov_b64 s[16:17], 0
	s_cselect_b64 s[26:27], -1, 0
	s_mov_b32 s80, s0
.LBB73_9:                               ;   in Loop: Header=BB73_12 Depth=1
	s_andn2_b64 s[0:1], s[20:21], exec
	s_and_b64 s[2:3], s[16:17], exec
	s_or_b64 s[20:21], s[0:1], s[2:3]
	s_andn2_b64 s[22:23], s[22:23], exec
	s_andn2_b64 s[18:19], s[18:19], exec
	s_orn2_b64 s[16:17], s[26:27], exec
	s_mov_b32 s74, s35
.LBB73_10:                              ;   in Loop: Header=BB73_12 Depth=1
	s_or_b64 exec, exec, s[24:25]
	s_andn2_b64 s[0:1], s[66:67], exec
	s_and_b64 s[2:3], s[20:21], exec
	s_or_b64 s[66:67], s[0:1], s[2:3]
	s_andn2_b64 s[0:1], s[62:63], exec
	s_and_b64 s[2:3], s[22:23], exec
	s_or_b64 s[62:63], s[0:1], s[2:3]
	;; [unrolled: 3-line block ×3, first 2 shown]
	s_orn2_b64 s[16:17], s[16:17], exec
.LBB73_11:                              ;   in Loop: Header=BB73_12 Depth=1
	s_or_b64 exec, exec, s[14:15]
	s_and_b64 s[0:1], exec, s[16:17]
	s_or_b64 s[88:89], s[0:1], s[88:89]
	s_andn2_b64 s[0:1], s[92:93], exec
	s_and_b64 s[2:3], s[66:67], exec
	s_or_b64 s[92:93], s[0:1], s[2:3]
	s_andn2_b64 s[0:1], s[94:95], exec
	s_and_b64 s[2:3], s[62:63], exec
	;; [unrolled: 3-line block ×3, first 2 shown]
	v_mov_b32_e32 v2, s13
	s_or_b64 s[90:91], s[0:1], s[2:3]
	s_andn2_b64 exec, exec, s[88:89]
	s_cbranch_execz .LBB73_238
.LBB73_12:                              ; =>This Loop Header: Depth=1
                                        ;     Child Loop BB73_17 Depth 2
                                        ;     Child Loop BB73_35 Depth 2
                                        ;     Child Loop BB73_59 Depth 2
                                        ;     Child Loop BB73_63 Depth 2
                                        ;     Child Loop BB73_48 Depth 2
                                        ;     Child Loop BB73_53 Depth 2
                                        ;     Child Loop BB73_73 Depth 2
                                        ;     Child Loop BB73_77 Depth 2
                                        ;     Child Loop BB73_80 Depth 2
                                        ;     Child Loop BB73_100 Depth 2
                                        ;     Child Loop BB73_89 Depth 2
                                        ;     Child Loop BB73_137 Depth 2
                                        ;     Child Loop BB73_126 Depth 2
                                        ;     Child Loop BB73_174 Depth 2
                                        ;     Child Loop BB73_163 Depth 2
                                        ;     Child Loop BB73_211 Depth 2
                                        ;     Child Loop BB73_200 Depth 2
	ds_read_b64 v[2:3], v23 offset:4104
	s_waitcnt lgkmcnt(0)
	v_readfirstlane_b32 s71, v2
	s_cmp_lg_u32 s71, 0
	s_cbranch_scc1 .LBB73_42
; %bb.13:                               ;   in Loop: Header=BB73_12 Depth=1
	v_readlane_b32 s0, v42, 18
	v_readlane_b32 s1, v42, 19
	s_and_b64 vcc, exec, s[0:1]
	s_cbranch_vccz .LBB73_25
; %bb.14:                               ;   in Loop: Header=BB73_12 Depth=1
	s_movk_i32 s0, 0xc01
	v_cmp_gt_u32_e32 vcc, s0, v3
	s_mov_b64 s[16:17], 0
	s_mov_b64 s[14:15], 0
	s_cbranch_vccz .LBB73_26
; %bb.15:                               ;   in Loop: Header=BB73_12 Depth=1
	v_readlane_b32 s0, v42, 20
	v_readlane_b32 s1, v42, 21
	s_nop 4
	global_load_ushort v2, v23, s[0:1]
	global_load_ubyte v4, v[6:7], off
	s_mov_b64 s[18:19], 0
	v_mov_b32_e32 v26, v0
	s_waitcnt vmcnt(1)
	v_add_u32_e32 v5, v0, v2
	v_mul_lo_u32 v3, s58, v2
	v_mul_lo_u32 v5, s58, v5
	s_branch .LBB73_17
.LBB73_16:                              ;   in Loop: Header=BB73_17 Depth=2
	s_or_b64 exec, exec, s[14:15]
	v_add_u32_e32 v5, v5, v3
	v_mov_b32_e32 v4, v27
	s_andn2_b64 exec, exec, s[18:19]
	s_cbranch_execz .LBB73_27
.LBB73_17:                              ;   Parent Loop BB73_12 Depth=1
                                        ; =>  This Inner Loop Header: Depth=2
	v_add_u32_e32 v26, v26, v2
	v_cmp_gt_u32_e64 s[14:15], s56, v26
	v_cmp_le_u32_e32 vcc, s56, v26
	s_waitcnt lgkmcnt(0)
	v_mov_b32_e32 v28, 0
	v_mov_b32_e32 v27, 0
	s_and_saveexec_b64 s[20:21], s[14:15]
	s_cbranch_execz .LBB73_19
; %bb.18:                               ;   in Loop: Header=BB73_17 Depth=2
	global_load_ubyte v27, v5, s[64:65]
.LBB73_19:                              ;   in Loop: Header=BB73_17 Depth=2
	s_or_b64 exec, exec, s[20:21]
	s_waitcnt vmcnt(0)
	v_and_b32_e32 v29, s12, v4
	v_cmp_eq_u32_sdwa s[20:21], v29, s13 src0_sel:BYTE_0 src1_sel:DWORD
	s_cmp_lg_u64 s[20:21], 0
	s_cselect_b64 s[0:1], -1, 0
	s_and_b64 s[0:1], s[4:5], s[0:1]
	s_and_saveexec_b64 s[22:23], s[0:1]
	s_cbranch_execz .LBB73_23
; %bb.20:                               ;   in Loop: Header=BB73_17 Depth=2
	s_mov_b64 s[26:27], exec
	v_mbcnt_lo_u32_b32 v28, s26, 0
	v_mbcnt_hi_u32_b32 v28, s27, v28
	s_bcnt1_i32_b64 s0, s[20:21]
	v_cmp_eq_u32_e64 s[14:15], 0, v28
                                        ; implicit-def: $vgpr29
	s_and_saveexec_b64 s[24:25], s[14:15]
	s_cbranch_execz .LBB73_22
; %bb.21:                               ;   in Loop: Header=BB73_17 Depth=2
	s_bcnt1_i32_b64 s1, s[26:27]
	s_mul_i32 s1, s0, s1
	v_mov_b32_e32 v29, s1
	ds_add_rtn_u32 v29, v23, v29 offset:4112
.LBB73_22:                              ;   in Loop: Header=BB73_17 Depth=2
	s_or_b64 exec, exec, s[24:25]
	s_waitcnt lgkmcnt(0)
	v_readfirstlane_b32 s1, v29
	v_mov_b32_e32 v29, s1
	v_mad_u32_u24 v28, s0, v28, v29
.LBB73_23:                              ;   in Loop: Header=BB73_17 Depth=2
	s_or_b64 exec, exec, s[22:23]
	ds_bpermute_b32 v28, v15, v28
	s_and_b64 s[0:1], exec, vcc
	s_or_b64 s[18:19], s[0:1], s[18:19]
	s_and_saveexec_b64 s[14:15], s[20:21]
	s_cbranch_execz .LBB73_16
; %bb.24:                               ;   in Loop: Header=BB73_17 Depth=2
	v_and_b32_e32 v30, s20, v8
	v_and_b32_e32 v29, s21, v1
	v_bcnt_u32_b32 v30, v30, 0
	v_bcnt_u32_b32 v29, v29, v30
	s_waitcnt lgkmcnt(0)
	v_add_u32_e32 v28, v28, v29
	ds_write_b8 v28, v4
	s_branch .LBB73_16
.LBB73_25:                              ;   in Loop: Header=BB73_12 Depth=1
	s_mov_b64 s[14:15], 0
                                        ; implicit-def: $sgpr71
	s_cbranch_execnz .LBB73_30
	s_branch .LBB73_40
.LBB73_26:                              ;   in Loop: Header=BB73_12 Depth=1
	s_mov_b32 s71, 0
	s_and_b64 vcc, exec, s[16:17]
	s_cbranch_vccnz .LBB73_30
	s_branch .LBB73_40
.LBB73_27:                              ;   in Loop: Header=BB73_12 Depth=1
	s_or_b64 exec, exec, s[18:19]
	s_waitcnt lgkmcnt(0)
	s_barrier
	s_mov_b64 s[14:15], exec
	v_readlane_b32 s0, v42, 2
	v_readlane_b32 s1, v42, 3
	s_and_b64 s[0:1], s[14:15], s[0:1]
	s_mov_b64 exec, s[0:1]
	s_cbranch_execz .LBB73_29
; %bb.28:                               ;   in Loop: Header=BB73_12 Depth=1
	ds_read_b32 v2, v23 offset:4112
	s_waitcnt lgkmcnt(0)
	ds_write_b32 v23, v2 offset:4104
.LBB73_29:                              ;   in Loop: Header=BB73_12 Depth=1
	s_or_b64 exec, exec, s[14:15]
	s_waitcnt lgkmcnt(0)
	s_barrier
	s_mov_b64 s[14:15], -1
	s_mov_b32 s71, 0
	s_and_b64 vcc, exec, s[16:17]
	s_cbranch_vccz .LBB73_40
.LBB73_30:                              ;   in Loop: Header=BB73_12 Depth=1
	v_mov_b32_e32 v2, 0
	s_mov_b64 s[14:15], exec
	v_readlane_b32 s0, v42, 15
	v_readlane_b32 s1, v42, 16
	s_and_b64 s[0:1], s[14:15], s[0:1]
	s_mov_b64 exec, s[0:1]
	s_cbranch_execz .LBB73_32
; %bb.31:                               ;   in Loop: Header=BB73_12 Depth=1
	global_load_ubyte v2, v[6:7], off
.LBB73_32:                              ;   in Loop: Header=BB73_12 Depth=1
	s_or_b64 exec, exec, s[14:15]
	s_mov_b64 s[16:17], exec
	v_readlane_b32 s0, v42, 15
	v_readlane_b32 s1, v42, 16
	s_and_b64 s[0:1], s[16:17], s[0:1]
	s_mov_b64 exec, s[0:1]
	s_cbranch_execz .LBB73_37
; %bb.33:                               ;   in Loop: Header=BB73_12 Depth=1
	v_readlane_b32 s0, v42, 20
	v_readlane_b32 s1, v42, 21
	s_mov_b64 s[18:19], 0
	v_mov_b32_e32 v26, v0
	s_nop 2
	global_load_ushort v3, v23, s[0:1]
	s_waitcnt vmcnt(0)
	v_add_u32_e32 v5, v0, v3
	v_mul_lo_u32 v4, s58, v3
	v_mul_lo_u32 v5, s58, v5
	s_branch .LBB73_35
.LBB73_34:                              ;   in Loop: Header=BB73_35 Depth=2
	s_or_b64 exec, exec, s[20:21]
	s_and_b64 s[0:1], exec, vcc
	s_or_b64 s[18:19], s[0:1], s[18:19]
	ds_write_b8 v26, v2
	v_add_u32_e32 v5, v5, v4
	s_waitcnt vmcnt(0)
	v_mov_b32_e32 v2, v28
	v_mov_b32_e32 v26, v27
	s_andn2_b64 exec, exec, s[18:19]
	s_cbranch_execz .LBB73_37
.LBB73_35:                              ;   Parent Loop BB73_12 Depth=1
                                        ; =>  This Inner Loop Header: Depth=2
	v_add_u32_e32 v27, v26, v3
	v_cmp_gt_u32_e64 s[14:15], s56, v27
	v_cmp_le_u32_e32 vcc, s56, v27
	v_mov_b32_e32 v28, 0
	s_and_saveexec_b64 s[20:21], s[14:15]
	s_cbranch_execz .LBB73_34
; %bb.36:                               ;   in Loop: Header=BB73_35 Depth=2
	global_load_ubyte v28, v5, s[64:65]
	s_branch .LBB73_34
.LBB73_37:                              ;   in Loop: Header=BB73_12 Depth=1
	s_or_b64 exec, exec, s[16:17]
	s_waitcnt lgkmcnt(0)
	s_barrier
	s_mov_b64 s[14:15], exec
	v_readlane_b32 s0, v42, 2
	v_readlane_b32 s1, v42, 3
	s_and_b64 s[0:1], s[14:15], s[0:1]
	s_mov_b64 exec, s[0:1]
	s_cbranch_execz .LBB73_39
; %bb.38:                               ;   in Loop: Header=BB73_12 Depth=1
	s_waitcnt vmcnt(0)
	v_mov_b32_e32 v2, s56
	ds_write_b32 v23, v2 offset:4104
.LBB73_39:                              ;   in Loop: Header=BB73_12 Depth=1
	s_or_b64 exec, exec, s[14:15]
	s_mov_b64 s[14:15], -1
	s_waitcnt lgkmcnt(0)
	s_barrier
                                        ; implicit-def: $sgpr71
.LBB73_40:                              ;   in Loop: Header=BB73_12 Depth=1
	s_and_b64 vcc, exec, s[14:15]
	s_cbranch_vccz .LBB73_42
; %bb.41:                               ;   in Loop: Header=BB73_12 Depth=1
	s_waitcnt vmcnt(0)
	ds_read_b32 v2, v23 offset:4104
	s_waitcnt lgkmcnt(0)
	v_readfirstlane_b32 s71, v2
.LBB73_42:                              ;   in Loop: Header=BB73_12 Depth=1
	s_cmp_lt_i32 s71, 1
	s_cbranch_scc0 .LBB73_46
; %bb.43:                               ;   in Loop: Header=BB73_12 Depth=1
	s_waitcnt vmcnt(0)
	v_mov_b32_e32 v2, 0
	s_mov_b32 s75, 0
	v_mov_b32_e32 v3, 0
	v_mov_b32_e32 v4, v2
	;; [unrolled: 1-line block ×3, first 2 shown]
	s_and_saveexec_b64 s[68:69], s[8:9]
	s_cbranch_execnz .LBB73_47
; %bb.44:                               ;   in Loop: Header=BB73_12 Depth=1
	s_or_b64 exec, exec, s[68:69]
	v_mov_b32_e32 v28, 0
	s_and_saveexec_b64 s[14:15], s[10:11]
	s_cbranch_execnz .LBB73_50
.LBB73_45:                              ;   in Loop: Header=BB73_12 Depth=1
	s_or_b64 exec, exec, s[14:15]
	s_and_saveexec_b64 s[16:17], s[10:11]
	s_cbranch_execnz .LBB73_51
	s_branch .LBB73_56
.LBB73_46:                              ;   in Loop: Header=BB73_12 Depth=1
                                        ; implicit-def: $vgpr5
	s_cbranch_execnz .LBB73_57
	s_branch .LBB73_66
.LBB73_47:                              ;   in Loop: Header=BB73_12 Depth=1
	s_and_b32 s2, s80, 0xfe
	s_mov_b64 s[82:83], 0
	s_mov_b32 s3, 0
	s_mov_b32 s0, 0
	;; [unrolled: 1-line block ×4, first 2 shown]
	v_mov_b32_e32 v26, v13
.LBB73_48:                              ;   Parent Loop BB73_12 Depth=1
                                        ; =>  This Inner Loop Header: Depth=2
	v_add_u32_e32 v2, s75, v20
	v_add_u32_e32 v3, s75, v17
	;; [unrolled: 1-line block ×4, first 2 shown]
	global_load_ubyte v2, v2, s[64:65]
	s_nop 0
	global_load_ubyte v3, v3, s[64:65]
	s_nop 0
	;; [unrolled: 2-line block ×3, first 2 shown]
	global_load_ubyte v5, v5, s[64:65]
	v_add_u32_e32 v26, s84, v26
	s_add_i32 s75, s75, s79
	v_cmp_le_u32_e32 vcc, s85, v26
	s_waitcnt vmcnt(3)
	v_and_b32_e32 v27, s12, v2
	v_bfe_u32 v2, v2, s2, 2
	s_waitcnt vmcnt(2)
	v_and_b32_e32 v28, s12, v3
	v_bfe_u32 v3, v3, s2, 2
	v_cmp_eq_u32_e64 s[14:15], s13, v27
	v_cmp_eq_u32_e64 s[22:23], 0, v2
	s_waitcnt vmcnt(1)
	v_and_b32_e32 v29, s12, v4
	v_bfe_u32 v4, v4, s2, 2
	v_cmp_eq_u32_e64 s[16:17], s13, v28
	v_cmp_eq_u32_e64 s[24:25], 0, v3
	s_and_b64 s[22:23], s[14:15], s[22:23]
	s_waitcnt vmcnt(0)
	v_and_b32_e32 v30, s12, v5
	v_bfe_u32 v5, v5, s2, 2
	v_cmp_eq_u32_e64 s[18:19], s13, v29
	v_cmp_eq_u32_e64 s[26:27], 0, v4
	;; [unrolled: 1-line block ×5, first 2 shown]
	v_cndmask_b32_e64 v2, 0, 1, s[22:23]
	s_and_b64 s[22:23], s[16:17], s[24:25]
	v_cmp_eq_u32_e64 s[20:21], s13, v30
	v_cmp_eq_u32_e64 s[28:29], 0, v5
	v_cmp_eq_u32_e64 s[34:35], 1, v3
	v_cmp_eq_u32_e64 s[42:43], 2, v3
	v_cmp_eq_u32_e64 s[50:51], 3, v3
	v_cndmask_b32_e64 v3, 0, 1, s[22:23]
	s_and_b64 s[22:23], s[18:19], s[26:27]
	v_cmp_eq_u32_e64 s[36:37], 1, v4
	v_cmp_eq_u32_e64 s[44:45], 2, v4
	;; [unrolled: 1-line block ×3, first 2 shown]
	v_cndmask_b32_e64 v4, 0, 1, s[22:23]
	s_and_b64 s[22:23], s[20:21], s[28:29]
	v_cmp_eq_u32_e64 s[38:39], 1, v5
	v_cmp_eq_u32_e64 s[46:47], 2, v5
	;; [unrolled: 1-line block ×3, first 2 shown]
	v_cndmask_b32_e64 v5, 0, 1, s[22:23]
	s_and_b64 s[22:23], s[14:15], s[30:31]
	v_cndmask_b32_e64 v27, 0, 1, s[22:23]
	s_and_b64 s[22:23], s[16:17], s[34:35]
	;; [unrolled: 2-line block ×5, first 2 shown]
	s_and_b64 s[14:15], s[14:15], s[48:49]
	v_cndmask_b32_e64 v31, 0, 1, s[22:23]
	s_and_b64 s[22:23], s[16:17], s[42:43]
	v_cndmask_b32_e64 v35, 0, 1, s[14:15]
	;; [unrolled: 2-line block ×7, first 2 shown]
	v_cndmask_b32_e64 v38, 0, 1, s[14:15]
	v_cmp_ne_u32_e64 s[14:15], 0, v2
	v_cmp_ne_u32_e64 s[16:17], 0, v3
	;; [unrolled: 1-line block ×11, first 2 shown]
	s_bcnt1_i32_b64 s14, s[14:15]
	s_bcnt1_i32_b64 s15, s[16:17]
	;; [unrolled: 1-line block ×8, first 2 shown]
	v_cmp_ne_u32_e64 s[28:29], 0, v30
	v_cmp_ne_u32_e64 s[36:37], 0, v33
	;; [unrolled: 1-line block ×3, first 2 shown]
	s_bcnt1_i32_b64 s19, s[24:25]
	s_bcnt1_i32_b64 s23, s[34:35]
	;; [unrolled: 1-line block ×3, first 2 shown]
	s_add_i32 s14, s86, s14
	s_add_i32 s1, s1, s18
	;; [unrolled: 1-line block ×4, first 2 shown]
	v_cmp_ne_u32_e64 s[38:39], 0, v34
	v_cmp_ne_u32_e64 s[46:47], 0, v38
	s_bcnt1_i32_b64 s21, s[28:29]
	s_bcnt1_i32_b64 s24, s[36:37]
	;; [unrolled: 1-line block ×3, first 2 shown]
	s_add_i32 s14, s14, s15
	s_add_i32 s1, s1, s19
	;; [unrolled: 1-line block ×4, first 2 shown]
	s_bcnt1_i32_b64 s25, s[38:39]
	s_bcnt1_i32_b64 s29, s[46:47]
	s_add_i32 s14, s14, s16
	s_add_i32 s1, s1, s20
	;; [unrolled: 1-line block ×8, first 2 shown]
	s_or_b64 s[82:83], vcc, s[82:83]
	v_mov_b32_e32 v2, s86
	v_mov_b32_e32 v3, s1
	;; [unrolled: 1-line block ×4, first 2 shown]
	s_andn2_b64 exec, exec, s[82:83]
	s_cbranch_execnz .LBB73_48
; %bb.49:                               ;   in Loop: Header=BB73_12 Depth=1
	s_or_b64 exec, exec, s[82:83]
	s_or_b64 exec, exec, s[68:69]
	v_mov_b32_e32 v28, 0
	s_and_saveexec_b64 s[14:15], s[10:11]
	s_cbranch_execz .LBB73_45
.LBB73_50:                              ;   in Loop: Header=BB73_12 Depth=1
	global_load_ubyte v28, v[10:11], off
	s_or_b64 exec, exec, s[14:15]
	s_and_saveexec_b64 s[16:17], s[10:11]
	s_cbranch_execz .LBB73_56
.LBB73_51:                              ;   in Loop: Header=BB73_12 Depth=1
	s_and_b32 s0, s80, 0xfe
	s_mov_b64 s[18:19], 0
	v_mov_b32_e32 v26, v21
	v_mov_b32_e32 v27, v16
	s_branch .LBB73_53
.LBB73_52:                              ;   in Loop: Header=BB73_53 Depth=2
	s_or_b64 exec, exec, s[20:21]
	s_waitcnt vmcnt(0)
	v_and_b32_e32 v28, 0xff, v28
	s_and_b64 s[2:3], exec, vcc
	v_and_b32_e32 v30, s12, v28
	v_bfe_u32 v28, v28, s0, 2
	s_or_b64 s[18:19], s[2:3], s[18:19]
	v_cmp_eq_u32_e32 vcc, s13, v30
	v_cmp_eq_u32_e64 s[14:15], 0, v28
	s_and_b64 s[2:3], vcc, s[14:15]
	v_cndmask_b32_e64 v30, 0, 1, s[2:3]
	v_cmp_ne_u32_e64 s[14:15], 0, v30
	s_bcnt1_i32_b64 s1, s[14:15]
	v_cmp_eq_u32_e64 s[14:15], 1, v28
	s_and_b64 s[2:3], vcc, s[14:15]
	v_cndmask_b32_e64 v30, 0, 1, s[2:3]
	v_cmp_ne_u32_e64 s[14:15], 0, v30
	v_add_u32_e32 v2, s1, v2
	s_bcnt1_i32_b64 s1, s[14:15]
	v_cmp_eq_u32_e64 s[14:15], 2, v28
	s_and_b64 s[2:3], vcc, s[14:15]
	v_cndmask_b32_e64 v30, 0, 1, s[2:3]
	v_cmp_ne_u32_e64 s[14:15], 0, v30
	v_add_u32_e32 v3, s1, v3
	s_bcnt1_i32_b64 s1, s[14:15]
	v_cmp_eq_u32_e64 s[14:15], 3, v28
	s_and_b64 s[2:3], vcc, s[14:15]
	v_cndmask_b32_e64 v28, 0, 1, s[2:3]
	v_cmp_ne_u32_e32 vcc, 0, v28
	v_add_u32_e32 v4, s1, v4
	s_bcnt1_i32_b64 s1, vcc
	v_add_u32_e32 v5, s1, v5
	v_add_u32_e32 v26, s57, v26
	v_mov_b32_e32 v28, v29
	s_andn2_b64 exec, exec, s[18:19]
	s_cbranch_execz .LBB73_55
.LBB73_53:                              ;   Parent Loop BB73_12 Depth=1
                                        ; =>  This Inner Loop Header: Depth=2
	v_add_u32_e32 v27, s59, v27
	v_cmp_gt_u32_e64 s[14:15], s56, v27
	v_cmp_le_u32_e32 vcc, s56, v27
	v_mov_b32_e32 v29, 0
	s_and_saveexec_b64 s[20:21], s[14:15]
	s_cbranch_execz .LBB73_52
; %bb.54:                               ;   in Loop: Header=BB73_53 Depth=2
	global_load_ubyte v29, v26, s[64:65]
	s_branch .LBB73_52
.LBB73_55:                              ;   in Loop: Header=BB73_12 Depth=1
	s_or_b64 exec, exec, s[18:19]
.LBB73_56:                              ;   in Loop: Header=BB73_12 Depth=1
	s_or_b64 exec, exec, s[16:17]
	s_branch .LBB73_66
.LBB73_57:                              ;   in Loop: Header=BB73_12 Depth=1
	s_mul_hi_u32 s0, s71, s87
	s_mul_i32 s0, s0, s84
	s_sub_i32 s0, s71, s0
	s_sub_i32 s1, s0, s84
	s_cmp_ge_u32 s0, s84
	s_cselect_b32 s0, s1, s0
	s_sub_i32 s1, s0, s84
	s_cmp_ge_u32 s0, s84
	s_cselect_b32 s0, s1, s0
	s_sub_i32 s75, s71, s0
	v_cmp_gt_u32_e32 vcc, s75, v13
	s_mov_b32 s3, 0
	s_waitcnt vmcnt(0)
	v_mov_b32_e32 v2, 0
	v_mov_b32_e32 v3, 0
	;; [unrolled: 1-line block ×4, first 2 shown]
	s_and_saveexec_b64 s[68:69], vcc
	s_cbranch_execz .LBB73_61
; %bb.58:                               ;   in Loop: Header=BB73_12 Depth=1
	s_and_b32 s2, s80, 0xfe
	s_mov_b64 s[82:83], 0
	s_mov_b32 s0, 0
	s_mov_b32 s1, 0
	;; [unrolled: 1-line block ×3, first 2 shown]
	v_mov_b32_e32 v26, v13
.LBB73_59:                              ;   Parent Loop BB73_12 Depth=1
                                        ; =>  This Inner Loop Header: Depth=2
	ds_read_b32 v2, v26
	v_add_u32_e32 v26, s84, v26
	v_cmp_le_u32_e32 vcc, s75, v26
	s_waitcnt lgkmcnt(0)
	v_and_b32_e32 v4, 0xff, v2
	v_bfe_u32 v5, v2, 8, 8
	v_and_b32_e32 v27, s12, v4
	v_bfe_u32 v4, v4, s2, 2
	v_lshrrev_b32_e32 v3, 24, v2
	v_bfe_u32 v2, v2, 16, 8
	v_and_b32_e32 v28, s12, v5
	v_bfe_u32 v5, v5, s2, 2
	v_cmp_eq_u32_e64 s[14:15], s13, v27
	v_cmp_eq_u32_e64 s[22:23], 0, v4
	v_and_b32_e32 v29, s12, v2
	v_bfe_u32 v2, v2, s2, 2
	v_cmp_eq_u32_e64 s[16:17], s13, v28
	v_cmp_eq_u32_e64 s[24:25], 0, v5
	s_and_b64 s[22:23], s[14:15], s[22:23]
	v_and_b32_e32 v30, s12, v3
	v_bfe_u32 v3, v3, s2, 2
	v_cmp_eq_u32_e64 s[18:19], s13, v29
	v_cmp_eq_u32_e64 s[26:27], 0, v2
	;; [unrolled: 1-line block ×5, first 2 shown]
	v_cndmask_b32_e64 v2, 0, 1, s[22:23]
	s_and_b64 s[22:23], s[16:17], s[24:25]
	v_cmp_eq_u32_e64 s[20:21], s13, v30
	v_cmp_eq_u32_e64 s[28:29], 0, v3
	;; [unrolled: 1-line block ×5, first 2 shown]
	v_cndmask_b32_e64 v3, 0, 1, s[22:23]
	s_and_b64 s[22:23], s[18:19], s[26:27]
	v_cmp_eq_u32_e64 s[30:31], 1, v4
	v_cmp_eq_u32_e64 s[40:41], 2, v4
	;; [unrolled: 1-line block ×3, first 2 shown]
	v_cndmask_b32_e64 v4, 0, 1, s[22:23]
	s_and_b64 s[22:23], s[20:21], s[28:29]
	v_cmp_eq_u32_e64 s[34:35], 1, v5
	v_cmp_eq_u32_e64 s[42:43], 2, v5
	;; [unrolled: 1-line block ×3, first 2 shown]
	v_cndmask_b32_e64 v5, 0, 1, s[22:23]
	s_and_b64 s[22:23], s[14:15], s[30:31]
	v_cndmask_b32_e64 v27, 0, 1, s[22:23]
	s_and_b64 s[22:23], s[16:17], s[34:35]
	;; [unrolled: 2-line block ×5, first 2 shown]
	s_and_b64 s[14:15], s[14:15], s[48:49]
	v_cndmask_b32_e64 v31, 0, 1, s[22:23]
	s_and_b64 s[22:23], s[16:17], s[42:43]
	v_cndmask_b32_e64 v35, 0, 1, s[14:15]
	;; [unrolled: 2-line block ×7, first 2 shown]
	v_cndmask_b32_e64 v38, 0, 1, s[14:15]
	v_cmp_ne_u32_e64 s[14:15], 0, v2
	v_cmp_ne_u32_e64 s[16:17], 0, v3
	;; [unrolled: 1-line block ×11, first 2 shown]
	s_bcnt1_i32_b64 s14, s[14:15]
	s_bcnt1_i32_b64 s15, s[16:17]
	;; [unrolled: 1-line block ×8, first 2 shown]
	v_cmp_ne_u32_e64 s[28:29], 0, v30
	v_cmp_ne_u32_e64 s[36:37], 0, v33
	;; [unrolled: 1-line block ×3, first 2 shown]
	s_bcnt1_i32_b64 s19, s[24:25]
	s_bcnt1_i32_b64 s23, s[34:35]
	;; [unrolled: 1-line block ×3, first 2 shown]
	s_add_i32 s14, s86, s14
	s_add_i32 s1, s1, s18
	;; [unrolled: 1-line block ×4, first 2 shown]
	v_cmp_ne_u32_e64 s[38:39], 0, v34
	v_cmp_ne_u32_e64 s[46:47], 0, v38
	s_bcnt1_i32_b64 s21, s[28:29]
	s_bcnt1_i32_b64 s24, s[36:37]
	s_bcnt1_i32_b64 s28, s[44:45]
	s_add_i32 s14, s14, s15
	s_add_i32 s1, s1, s19
	;; [unrolled: 1-line block ×4, first 2 shown]
	s_bcnt1_i32_b64 s25, s[38:39]
	s_bcnt1_i32_b64 s29, s[46:47]
	s_add_i32 s14, s14, s16
	s_add_i32 s1, s1, s20
	s_add_i32 s0, s0, s24
	s_add_i32 s3, s3, s28
	s_add_i32 s86, s14, s17
	s_add_i32 s1, s1, s21
	s_add_i32 s0, s0, s25
	s_add_i32 s3, s3, s29
	s_or_b64 s[82:83], vcc, s[82:83]
	v_mov_b32_e32 v2, s86
	v_mov_b32_e32 v3, s1
	;; [unrolled: 1-line block ×4, first 2 shown]
	s_andn2_b64 exec, exec, s[82:83]
	s_cbranch_execnz .LBB73_59
; %bb.60:                               ;   in Loop: Header=BB73_12 Depth=1
	s_or_b64 exec, exec, s[82:83]
.LBB73_61:                              ;   in Loop: Header=BB73_12 Depth=1
	s_or_b64 exec, exec, s[68:69]
	v_add_u32_e32 v26, s75, v0
	v_cmp_gt_u32_e32 vcc, s71, v26
	s_and_saveexec_b64 s[24:25], vcc
	s_cbranch_execz .LBB73_65
; %bb.62:                               ;   in Loop: Header=BB73_12 Depth=1
	s_and_b32 s0, s80, 0xfe
	s_mov_b64 s[26:27], 0
.LBB73_63:                              ;   Parent Loop BB73_12 Depth=1
                                        ; =>  This Inner Loop Header: Depth=2
	ds_read_u8 v27, v26
	v_add_u32_e32 v26, s59, v26
	v_cmp_le_u32_e32 vcc, s71, v26
	s_waitcnt lgkmcnt(0)
	v_and_b32_e32 v28, s12, v27
	v_bfe_u32 v27, v27, s0, 2
	v_cmp_eq_u32_e64 s[14:15], s13, v28
	v_cmp_eq_u32_e64 s[16:17], 0, v27
	;; [unrolled: 1-line block ×3, first 2 shown]
	s_and_b64 s[2:3], s[14:15], s[16:17]
	v_cmp_eq_u32_e64 s[20:21], 2, v27
	v_cmp_eq_u32_e64 s[22:23], 3, v27
	v_cndmask_b32_e64 v27, 0, 1, s[2:3]
	s_and_b64 s[2:3], s[14:15], s[18:19]
	v_cndmask_b32_e64 v28, 0, 1, s[2:3]
	s_and_b64 s[2:3], s[14:15], s[20:21]
	;; [unrolled: 2-line block ×3, first 2 shown]
	v_cndmask_b32_e64 v30, 0, 1, s[2:3]
	v_cmp_ne_u32_e64 s[14:15], 0, v27
	v_cmp_ne_u32_e64 s[16:17], 0, v28
	;; [unrolled: 1-line block ×4, first 2 shown]
	s_bcnt1_i32_b64 s1, s[14:15]
	s_bcnt1_i32_b64 s2, s[16:17]
	;; [unrolled: 1-line block ×4, first 2 shown]
	v_add_u32_e32 v2, s1, v2
	v_add_u32_e32 v3, s2, v3
	;; [unrolled: 1-line block ×3, first 2 shown]
	s_or_b64 s[26:27], vcc, s[26:27]
	v_add_u32_e32 v5, s14, v5
	s_andn2_b64 exec, exec, s[26:27]
	s_cbranch_execnz .LBB73_63
; %bb.64:                               ;   in Loop: Header=BB73_12 Depth=1
	s_or_b64 exec, exec, s[26:27]
.LBB73_65:                              ;   in Loop: Header=BB73_12 Depth=1
	s_or_b64 exec, exec, s[24:25]
.LBB73_66:                              ;   in Loop: Header=BB73_12 Depth=1
	s_lshl_b32 s0, s81, 6
	s_and_saveexec_b64 s[14:15], s[4:5]
	s_cbranch_execz .LBB73_68
; %bb.67:                               ;   in Loop: Header=BB73_12 Depth=1
	v_or_b32_e32 v26, s0, v14
	v_lshlrev_b32_e32 v26, 2, v26
	s_waitcnt vmcnt(0)
	ds_write_b128 v26, v[2:5] offset:3072
.LBB73_68:                              ;   in Loop: Header=BB73_12 Depth=1
	s_or_b64 exec, exec, s[14:15]
	s_waitcnt lgkmcnt(0)
	s_barrier
	s_and_saveexec_b64 s[14:15], s[72:73]
	s_cbranch_execz .LBB73_82
; %bb.69:                               ;   in Loop: Header=BB73_12 Depth=1
	v_add_u32_e32 v4, s0, v12
	s_andn2_b64 vcc, exec, s[76:77]
	s_waitcnt vmcnt(0)
	v_mov_b32_e32 v2, 0
	s_cbranch_vccnz .LBB73_81
; %bb.70:                               ;   in Loop: Header=BB73_12 Depth=1
	v_readlane_b32 s2, v42, 22
	v_readlane_b32 s3, v42, 23
	s_mov_b32 s1, 0
	s_and_b64 vcc, exec, s[2:3]
	v_mov_b32_e32 v2, 0
	s_cbranch_vccz .LBB73_74
; %bb.71:                               ;   in Loop: Header=BB73_12 Depth=1
	v_readlane_b32 s2, v42, 24
	v_readlane_b32 s3, v42, 25
	v_lshl_add_u32 v5, v4, 2, v24
	s_andn2_b64 vcc, exec, s[2:3]
	s_cbranch_vccnz .LBB73_75
; %bb.72:                               ;   in Loop: Header=BB73_12 Depth=1
	s_mov_b32 s17, 1
	s_mov_b32 s16, 0
	v_mov_b32_e32 v2, 0
	v_readlane_b32 s1, v42, 26
	v_mov_b32_e32 v3, 0
.LBB73_73:                              ;   Parent Loop BB73_12 Depth=1
                                        ; =>  This Inner Loop Header: Depth=2
	v_lshl_add_u32 v38, s16, 4, v5
	v_lshl_add_u32 v40, s17, 4, v5
	ds_read2_b32 v[26:27], v38 offset1:8
	ds_read2_b32 v[28:29], v40 offset1:8
	ds_read2_b32 v[30:31], v38 offset0:16 offset1:24
	ds_read2_b32 v[32:33], v40 offset0:16 offset1:24
	;; [unrolled: 1-line block ×6, first 2 shown]
	s_waitcnt lgkmcnt(7)
	v_add3_u32 v2, v26, v2, v27
	s_waitcnt lgkmcnt(6)
	v_add3_u32 v3, v28, v3, v29
	;; [unrolled: 2-line block ×3, first 2 shown]
	v_add3_u32 v2, v30, v2, v31
	s_add_i32 s17, s17, 16
	s_add_i32 s16, s16, 16
	s_add_i32 s1, s1, -8
	s_waitcnt lgkmcnt(3)
	v_add3_u32 v2, v34, v2, v35
	s_waitcnt lgkmcnt(2)
	v_add3_u32 v3, v36, v3, v37
	s_cmp_lg_u32 s1, 0
	s_waitcnt lgkmcnt(0)
	v_add3_u32 v3, v40, v3, v41
	v_add3_u32 v2, v38, v2, v39
	s_cbranch_scc1 .LBB73_73
	s_branch .LBB73_76
.LBB73_74:                              ;   in Loop: Header=BB73_12 Depth=1
	s_cbranch_execnz .LBB73_79
	s_branch .LBB73_81
.LBB73_75:                              ;   in Loop: Header=BB73_12 Depth=1
	s_mov_b32 s71, s70
	v_pk_mov_b32 v[2:3], s[70:71], s[70:71] op_sel:[0,1]
	s_mov_b32 s71, 1
	s_mov_b64 s[16:17], s[70:71]
.LBB73_76:                              ;   in Loop: Header=BB73_12 Depth=1
	v_readlane_b32 s2, v42, 28
	v_readlane_b32 s3, v42, 29
	s_andn2_b64 vcc, exec, s[2:3]
	v_readlane_b32 s1, v42, 27
	s_cbranch_vccnz .LBB73_78
.LBB73_77:                              ;   Parent Loop BB73_12 Depth=1
                                        ; =>  This Inner Loop Header: Depth=2
	v_lshl_add_u32 v26, s16, 4, v5
	v_lshl_add_u32 v27, s17, 4, v5
	ds_read_b32 v27, v27
	ds_read_b32 v26, v26
	s_add_i32 s17, s17, 2
	s_add_i32 s16, s16, 2
	s_add_i32 s1, s1, -1
	s_cmp_lg_u32 s1, 0
	s_waitcnt lgkmcnt(1)
	v_add_u32_e32 v3, v27, v3
	s_waitcnt lgkmcnt(0)
	v_add_u32_e32 v2, v26, v2
	s_cbranch_scc1 .LBB73_77
.LBB73_78:                              ;   in Loop: Header=BB73_12 Depth=1
	v_readlane_b32 s16, v42, 32
	v_add_u32_e32 v2, v2, v3
	v_readlane_b32 s1, v42, 31
	v_readlane_b32 s17, v42, 33
	s_and_b64 vcc, exec, s[16:17]
	s_cbranch_vccz .LBB73_81
.LBB73_79:                              ;   in Loop: Header=BB73_12 Depth=1
	s_lshl_b32 s2, s81, 8
	s_lshl_b32 s3, s1, 4
	s_add_i32 s2, s2, s3
	v_add_u32_e32 v3, s2, v22
	v_readlane_b32 s2, v42, 30
	s_sub_i32 s1, s2, s1
.LBB73_80:                              ;   Parent Loop BB73_12 Depth=1
                                        ; =>  This Inner Loop Header: Depth=2
	ds_read_b32 v5, v3
	s_add_i32 s1, s1, -1
	v_add_u32_e32 v3, 16, v3
	s_cmp_eq_u32 s1, 0
	s_waitcnt lgkmcnt(0)
	v_add_u32_e32 v2, v5, v2
	s_cbranch_scc0 .LBB73_80
.LBB73_81:                              ;   in Loop: Header=BB73_12 Depth=1
	v_lshlrev_b32_e32 v3, 2, v4
	ds_write_b32 v3, v2 offset:3072
.LBB73_82:                              ;   in Loop: Header=BB73_12 Depth=1
	s_or_b64 exec, exec, s[14:15]
	s_lshl_b32 s0, s0, 2
	s_waitcnt vmcnt(0)
	v_mov_b32_e32 v2, s0
	s_waitcnt lgkmcnt(0)
	s_barrier
	ds_read_b128 v[2:5], v2 offset:3072
	s_and_b32 s43, s80, 0xfe
	s_lshl_b32 s51, 3, s43
	s_not_b32 s44, s51
	s_mov_b64 s[16:17], -1
	s_waitcnt lgkmcnt(0)
	v_readfirstlane_b32 s26, v2
	s_cmp_eq_u32 s26, 1
	s_cselect_b64 s[0:1], -1, 0
	s_cmp_eq_u32 s74, 1
	s_cselect_b64 s[2:3], -1, 0
	s_and_b64 s[18:19], s[0:1], s[2:3]
	v_readfirstlane_b32 s34, v3
	v_readfirstlane_b32 s42, v4
	;; [unrolled: 1-line block ×3, first 2 shown]
	s_and_b64 vcc, exec, s[18:19]
	s_cbranch_vccz .LBB73_93
; %bb.83:                               ;   in Loop: Header=BB73_12 Depth=1
	ds_read_b32 v2, v23 offset:4104
	s_waitcnt lgkmcnt(0)
	s_barrier
	v_readfirstlane_b32 s0, v2
	s_and_saveexec_b64 s[14:15], s[6:7]
	s_cbranch_execz .LBB73_85
; %bb.84:                               ;   in Loop: Header=BB73_12 Depth=1
	ds_write_b8 v0, v23 offset:3072
.LBB73_85:                              ;   in Loop: Header=BB73_12 Depth=1
	s_or_b64 exec, exec, s[14:15]
	s_and_b32 s13, s13, s44
	s_or_b32 s12, s12, s51
	s_cmp_eq_u32 s0, 0
	s_waitcnt lgkmcnt(0)
	s_barrier
	s_cbranch_scc1 .LBB73_94
; %bb.86:                               ;   in Loop: Header=BB73_12 Depth=1
	v_readlane_b32 s1, v42, 17
	s_add_i32 s1, s0, s1
	s_mul_hi_u32 s2, s1, s33
	s_mul_i32 s2, s2, s59
	s_sub_i32 s2, s1, s2
	s_sub_i32 s3, s2, s59
	s_cmp_ge_u32 s2, s59
	s_cselect_b32 s2, s3, s2
	s_sub_i32 s3, s2, s59
	s_cmp_ge_u32 s2, s59
	s_cselect_b32 s2, s3, s2
	s_sub_i32 s1, s1, s2
	v_cmp_gt_u32_e32 vcc, s1, v0
	s_mov_b64 s[20:21], 0
                                        ; implicit-def: $vgpr25
	s_and_saveexec_b64 s[14:15], vcc
	s_cbranch_execz .LBB73_96
; %bb.87:                               ;   in Loop: Header=BB73_12 Depth=1
	v_mov_b32_e32 v2, v0
                                        ; implicit-def: $sgpr22_sgpr23
	s_branch .LBB73_89
.LBB73_88:                              ;   in Loop: Header=BB73_89 Depth=2
	s_or_b64 exec, exec, s[24:25]
	s_waitcnt lgkmcnt(0)
	s_barrier
	ds_read_u16 v3, v23 offset:3072
	v_add_u32_e32 v2, s59, v2
	v_cmp_le_u32_e32 vcc, s1, v2
	s_waitcnt lgkmcnt(0)
	s_barrier
	v_cmp_ne_u16_sdwa s[2:3], v3, v23 src0_sel:BYTE_0 src1_sel:DWORD
	s_or_b64 s[24:25], vcc, s[2:3]
	s_and_b64 s[24:25], exec, s[24:25]
	s_or_b64 s[20:21], s[24:25], s[20:21]
	s_andn2_b64 s[22:23], s[22:23], exec
	s_and_b64 s[2:3], s[2:3], exec
	s_or_b64 s[22:23], s[22:23], s[2:3]
	s_andn2_b64 exec, exec, s[20:21]
	s_cbranch_execz .LBB73_95
.LBB73_89:                              ;   Parent Loop BB73_12 Depth=1
                                        ; =>  This Inner Loop Header: Depth=2
	v_cmp_gt_u32_e32 vcc, s0, v2
	v_mov_b32_e32 v3, 0
	s_and_saveexec_b64 s[24:25], vcc
	s_cbranch_execz .LBB73_91
; %bb.90:                               ;   in Loop: Header=BB73_89 Depth=2
	ds_read_u8 v3, v2
.LBB73_91:                              ;   in Loop: Header=BB73_89 Depth=2
	s_or_b64 exec, exec, s[24:25]
	s_waitcnt lgkmcnt(0)
	v_and_b32_e32 v4, s12, v3
	v_cmp_eq_u32_sdwa s[2:3], v4, s13 src0_sel:BYTE_0 src1_sel:DWORD
	s_and_b64 s[2:3], vcc, s[2:3]
	s_and_saveexec_b64 s[24:25], s[2:3]
	s_cbranch_execz .LBB73_88
; %bb.92:                               ;   in Loop: Header=BB73_89 Depth=2
	v_lshlrev_b16_e32 v3, 8, v3
	v_or_b32_e32 v3, 1, v3
	ds_write_b16 v23, v3 offset:3072
	s_branch .LBB73_88
.LBB73_93:                              ;   in Loop: Header=BB73_12 Depth=1
	s_mov_b64 s[20:21], -1
                                        ; implicit-def: $sgpr14_sgpr15
                                        ; implicit-def: $sgpr24_sgpr25
                                        ; implicit-def: $sgpr22_sgpr23
	s_branch .LBB73_106
.LBB73_94:                              ;   in Loop: Header=BB73_12 Depth=1
	s_mov_b64 s[14:15], -1
	s_mov_b64 s[20:21], 0
                                        ; implicit-def: $sgpr22_sgpr23
                                        ; implicit-def: $vgpr25
	s_mov_b64 s[24:25], s[14:15]
	s_cbranch_execnz .LBB73_97
	s_branch .LBB73_106
.LBB73_95:                              ;   in Loop: Header=BB73_12 Depth=1
	s_or_b64 exec, exec, s[20:21]
	v_lshrrev_b16_e32 v25, 8, v3
	s_and_b64 s[20:21], s[22:23], exec
.LBB73_96:                              ;   in Loop: Header=BB73_12 Depth=1
	s_or_b64 exec, exec, s[14:15]
	s_mov_b64 s[22:23], -1
	s_mov_b64 s[14:15], 0
	s_mov_b64 s[24:25], s[14:15]
	s_branch .LBB73_106
.LBB73_97:                              ;   in Loop: Header=BB73_12 Depth=1
	s_mov_b64 s[20:21], 0
                                        ; implicit-def: $vgpr25
	s_mov_b64 s[14:15], exec
	v_readlane_b32 s0, v42, 34
	v_readlane_b32 s1, v42, 35
	s_and_b64 s[0:1], s[14:15], s[0:1]
	s_mov_b64 exec, s[0:1]
	s_cbranch_execz .LBB73_105
; %bb.98:                               ;   in Loop: Header=BB73_12 Depth=1
	v_mov_b32_e32 v2, v9
	v_mov_b32_e32 v3, v0
                                        ; implicit-def: $sgpr22_sgpr23
	s_branch .LBB73_100
.LBB73_99:                              ;   in Loop: Header=BB73_100 Depth=2
	s_or_b64 exec, exec, s[24:25]
	s_waitcnt lgkmcnt(0)
	s_barrier
	ds_read_u16 v4, v23 offset:3072
	v_add_u32_e32 v3, s59, v3
	v_cmp_le_u32_e32 vcc, s78, v3
	v_add_u32_e32 v2, s57, v2
	s_waitcnt lgkmcnt(0)
	v_cmp_ne_u16_sdwa s[0:1], v4, v23 src0_sel:BYTE_0 src1_sel:DWORD
	s_or_b64 s[2:3], vcc, s[0:1]
	s_and_b64 s[2:3], exec, s[2:3]
	s_or_b64 s[20:21], s[2:3], s[20:21]
	s_andn2_b64 s[2:3], s[22:23], exec
	s_and_b64 s[0:1], s[0:1], exec
	s_or_b64 s[22:23], s[2:3], s[0:1]
	s_barrier
	s_andn2_b64 exec, exec, s[20:21]
	s_cbranch_execz .LBB73_104
.LBB73_100:                             ;   Parent Loop BB73_12 Depth=1
                                        ; =>  This Inner Loop Header: Depth=2
	v_cmp_gt_u32_e32 vcc, s56, v3
	v_mov_b32_e32 v4, 0
	s_and_saveexec_b64 s[24:25], vcc
	s_cbranch_execz .LBB73_102
; %bb.101:                              ;   in Loop: Header=BB73_100 Depth=2
	global_load_ubyte v4, v2, s[64:65]
.LBB73_102:                             ;   in Loop: Header=BB73_100 Depth=2
	s_or_b64 exec, exec, s[24:25]
	s_waitcnt vmcnt(0)
	v_and_b32_e32 v5, s12, v4
	v_cmp_eq_u32_sdwa s[0:1], v5, s13 src0_sel:BYTE_0 src1_sel:DWORD
	s_and_b64 s[0:1], vcc, s[0:1]
	s_and_saveexec_b64 s[24:25], s[0:1]
	s_cbranch_execz .LBB73_99
; %bb.103:                              ;   in Loop: Header=BB73_100 Depth=2
	v_lshlrev_b16_e32 v4, 8, v4
	v_or_b32_e32 v4, 1, v4
	ds_write_b16 v23, v4 offset:3072
	s_branch .LBB73_99
.LBB73_104:                             ;   in Loop: Header=BB73_12 Depth=1
	s_or_b64 exec, exec, s[20:21]
	v_lshrrev_b16_e32 v25, 8, v4
	s_and_b64 s[20:21], s[22:23], exec
.LBB73_105:                             ;   in Loop: Header=BB73_12 Depth=1
	s_or_b64 exec, exec, s[14:15]
	s_mov_b64 s[24:25], -1
	s_mov_b64 s[14:15], 0
	s_mov_b64 s[22:23], 0
.LBB73_106:                             ;   in Loop: Header=BB73_12 Depth=1
	s_andn2_b64 s[0:1], s[66:67], exec
	s_and_b64 s[2:3], s[14:15], exec
	s_or_b64 s[66:67], s[0:1], s[2:3]
	s_andn2_b64 s[0:1], s[62:63], exec
	s_and_b64 s[2:3], s[24:25], exec
	s_or_b64 s[62:63], s[0:1], s[2:3]
	;; [unrolled: 3-line block ×3, first 2 shown]
	s_and_saveexec_b64 s[14:15], s[20:21]
	s_cbranch_execz .LBB73_11
; %bb.107:                              ;   in Loop: Header=BB73_12 Depth=1
	s_xor_b64 s[0:1], s[18:19], -1
	s_mov_b64 s[20:21], 0
	s_andn2_b64 vcc, exec, s[0:1]
	s_mov_b32 s35, 1
	s_cbranch_vccnz .LBB73_118
; %bb.108:                              ;   in Loop: Header=BB73_12 Depth=1
	s_cmp_gt_u32 s74, s26
	s_mov_b64 s[20:21], -1
                                        ; implicit-def: $sgpr53
                                        ; implicit-def: $sgpr0
                                        ; implicit-def: $sgpr1
	s_cbranch_scc1 .LBB73_114
; %bb.109:                              ;   in Loop: Header=BB73_12 Depth=1
	ds_read_b32 v2, v23 offset:4104
	s_waitcnt lgkmcnt(0)
	v_cmp_ne_u32_e32 vcc, 0, v2
	s_cbranch_vccnz .LBB73_113
; %bb.110:                              ;   in Loop: Header=BB73_12 Depth=1
	s_mov_b64 s[16:17], exec
	v_readlane_b32 s0, v42, 2
	v_readlane_b32 s1, v42, 3
	s_and_b64 s[0:1], s[16:17], s[0:1]
	s_mov_b64 exec, s[0:1]
	s_cbranch_execz .LBB73_112
; %bb.111:                              ;   in Loop: Header=BB73_12 Depth=1
	v_mov_b32_e32 v2, s26
	ds_write_b32 v23, v2 offset:4108
.LBB73_112:                             ;   in Loop: Header=BB73_12 Depth=1
	s_or_b64 exec, exec, s[16:17]
	s_waitcnt lgkmcnt(0)
	s_barrier
.LBB73_113:                             ;   in Loop: Header=BB73_12 Depth=1
	s_and_b32 s0, s13, s44
	s_or_b32 s1, s12, s51
	s_mov_b64 s[20:21], 0
	s_mov_b32 s53, 8
.LBB73_114:                             ;   in Loop: Header=BB73_12 Depth=1
	s_andn2_b64 vcc, exec, s[20:21]
	s_cbranch_vccnz .LBB73_116
; %bb.115:                              ;   in Loop: Header=BB73_12 Depth=1
	s_sub_i32 s74, s74, s26
	s_mov_b64 s[20:21], -1
	s_mov_b32 s53, 0
	s_mov_b32 s0, s13
	;; [unrolled: 1-line block ×3, first 2 shown]
.LBB73_116:                             ;   in Loop: Header=BB73_12 Depth=1
	s_mov_b32 s12, s1
	s_mov_b32 s13, s0
	;; [unrolled: 1-line block ×3, first 2 shown]
	s_mov_b64 s[16:17], -1
	s_and_b64 vcc, exec, s[20:21]
	s_cbranch_vccnz .LBB73_119
.LBB73_117:                             ;   in Loop: Header=BB73_12 Depth=1
	s_mov_b64 s[30:31], -1
                                        ; implicit-def: $sgpr18_sgpr19
                                        ; implicit-def: $sgpr22_sgpr23
                                        ; implicit-def: $sgpr20_sgpr21
                                        ; implicit-def: $sgpr74
	s_and_saveexec_b64 s[0:1], s[30:31]
	s_xor_b64 s[24:25], exec, s[0:1]
	s_cbranch_execz .LBB73_10
	s_branch .LBB73_236
.LBB73_118:                             ;   in Loop: Header=BB73_12 Depth=1
	s_mov_b32 s53, 1
	s_mov_b64 s[16:17], -1
	s_and_b64 vcc, exec, s[20:21]
	s_cbranch_vccz .LBB73_117
.LBB73_119:                             ;   in Loop: Header=BB73_12 Depth=1
	s_cmp_eq_u32 s34, 1
	s_cselect_b64 s[0:1], -1, 0
	s_cmp_eq_u32 s35, 1
	s_cselect_b64 s[2:3], -1, 0
	s_and_b64 s[26:27], s[0:1], s[2:3]
	s_mov_b64 s[28:29], -1
	s_and_b64 vcc, exec, s[26:27]
	s_cbranch_vccz .LBB73_130
; %bb.120:                              ;   in Loop: Header=BB73_12 Depth=1
	ds_read_b32 v2, v23 offset:4104
	s_waitcnt lgkmcnt(0)
	s_barrier
	v_readfirstlane_b32 s0, v2
	s_and_saveexec_b64 s[18:19], s[6:7]
	s_cbranch_execz .LBB73_122
; %bb.121:                              ;   in Loop: Header=BB73_12 Depth=1
	ds_write_b8 v0, v23 offset:3072
.LBB73_122:                             ;   in Loop: Header=BB73_12 Depth=1
	s_or_b64 exec, exec, s[18:19]
	s_lshl_b32 s1, 1, s43
	s_and_b32 s2, s13, s44
	s_or_b32 s13, s2, s1
	s_or_b32 s12, s12, s51
	s_cmp_eq_u32 s0, 0
	s_waitcnt lgkmcnt(0)
	s_barrier
	s_cbranch_scc1 .LBB73_131
; %bb.123:                              ;   in Loop: Header=BB73_12 Depth=1
	v_readlane_b32 s1, v42, 17
	s_add_i32 s1, s0, s1
	s_mul_hi_u32 s2, s1, s33
	s_mul_i32 s2, s2, s59
	s_sub_i32 s2, s1, s2
	s_sub_i32 s3, s2, s59
	s_cmp_ge_u32 s2, s59
	s_cselect_b32 s2, s3, s2
	s_sub_i32 s3, s2, s59
	s_cmp_ge_u32 s2, s59
	s_cselect_b32 s2, s3, s2
	s_sub_i32 s1, s1, s2
	v_cmp_gt_u32_e32 vcc, s1, v0
	s_mov_b64 s[28:29], 0
                                        ; implicit-def: $vgpr25
	s_and_saveexec_b64 s[18:19], vcc
	s_cbranch_execz .LBB73_133
; %bb.124:                              ;   in Loop: Header=BB73_12 Depth=1
	s_mov_b64 s[20:21], 0
	v_mov_b32_e32 v2, v0
                                        ; implicit-def: $sgpr22_sgpr23
	s_branch .LBB73_126
.LBB73_125:                             ;   in Loop: Header=BB73_126 Depth=2
	s_or_b64 exec, exec, s[24:25]
	s_waitcnt lgkmcnt(0)
	s_barrier
	ds_read_u16 v3, v23 offset:3072
	v_add_u32_e32 v2, s59, v2
	v_cmp_le_u32_e32 vcc, s1, v2
	s_waitcnt lgkmcnt(0)
	s_barrier
	v_cmp_ne_u16_sdwa s[2:3], v3, v23 src0_sel:BYTE_0 src1_sel:DWORD
	s_or_b64 s[24:25], vcc, s[2:3]
	s_and_b64 s[24:25], exec, s[24:25]
	s_or_b64 s[20:21], s[24:25], s[20:21]
	s_andn2_b64 s[22:23], s[22:23], exec
	s_and_b64 s[2:3], s[2:3], exec
	s_or_b64 s[22:23], s[22:23], s[2:3]
	s_andn2_b64 exec, exec, s[20:21]
	s_cbranch_execz .LBB73_132
.LBB73_126:                             ;   Parent Loop BB73_12 Depth=1
                                        ; =>  This Inner Loop Header: Depth=2
	v_cmp_gt_u32_e32 vcc, s0, v2
	v_mov_b32_e32 v3, 0
	s_and_saveexec_b64 s[24:25], vcc
	s_cbranch_execz .LBB73_128
; %bb.127:                              ;   in Loop: Header=BB73_126 Depth=2
	ds_read_u8 v3, v2
.LBB73_128:                             ;   in Loop: Header=BB73_126 Depth=2
	s_or_b64 exec, exec, s[24:25]
	s_waitcnt lgkmcnt(0)
	v_and_b32_e32 v4, s12, v3
	v_cmp_eq_u32_sdwa s[2:3], v4, s13 src0_sel:BYTE_0 src1_sel:DWORD
	s_and_b64 s[2:3], vcc, s[2:3]
	s_and_saveexec_b64 s[24:25], s[2:3]
	s_cbranch_execz .LBB73_125
; %bb.129:                              ;   in Loop: Header=BB73_126 Depth=2
	v_lshlrev_b16_e32 v3, 8, v3
	v_or_b32_e32 v3, 1, v3
	ds_write_b16 v23, v3 offset:3072
	s_branch .LBB73_125
.LBB73_130:                             ;   in Loop: Header=BB73_12 Depth=1
                                        ; implicit-def: $sgpr20_sgpr21
                                        ; implicit-def: $sgpr22_sgpr23
                                        ; implicit-def: $sgpr18_sgpr19
	s_branch .LBB73_143
.LBB73_131:                             ;   in Loop: Header=BB73_12 Depth=1
	s_mov_b64 s[20:21], -1
	s_mov_b64 s[28:29], 0
                                        ; implicit-def: $sgpr18_sgpr19
                                        ; implicit-def: $vgpr25
	s_mov_b64 s[22:23], s[20:21]
	s_cbranch_execnz .LBB73_134
	s_branch .LBB73_143
.LBB73_132:                             ;   in Loop: Header=BB73_12 Depth=1
	s_or_b64 exec, exec, s[20:21]
	v_lshrrev_b16_e32 v25, 8, v3
	s_and_b64 s[28:29], s[22:23], exec
.LBB73_133:                             ;   in Loop: Header=BB73_12 Depth=1
	s_or_b64 exec, exec, s[18:19]
	s_mov_b64 s[18:19], -1
	s_mov_b64 s[20:21], 0
	s_mov_b64 s[22:23], s[20:21]
	s_branch .LBB73_143
.LBB73_134:                             ;   in Loop: Header=BB73_12 Depth=1
	s_mov_b64 s[28:29], 0
                                        ; implicit-def: $vgpr25
	s_mov_b64 s[18:19], exec
	v_readlane_b32 s0, v42, 34
	v_readlane_b32 s1, v42, 35
	s_and_b64 s[0:1], s[18:19], s[0:1]
	s_mov_b64 exec, s[0:1]
	s_cbranch_execz .LBB73_142
; %bb.135:                              ;   in Loop: Header=BB73_12 Depth=1
	s_mov_b64 s[20:21], 0
	v_mov_b32_e32 v2, v9
	v_mov_b32_e32 v3, v0
                                        ; implicit-def: $sgpr22_sgpr23
	s_branch .LBB73_137
.LBB73_136:                             ;   in Loop: Header=BB73_137 Depth=2
	s_or_b64 exec, exec, s[24:25]
	s_waitcnt lgkmcnt(0)
	s_barrier
	ds_read_u16 v4, v23 offset:3072
	v_add_u32_e32 v3, s59, v3
	v_cmp_le_u32_e32 vcc, s78, v3
	v_add_u32_e32 v2, s57, v2
	s_waitcnt lgkmcnt(0)
	v_cmp_ne_u16_sdwa s[0:1], v4, v23 src0_sel:BYTE_0 src1_sel:DWORD
	s_or_b64 s[2:3], vcc, s[0:1]
	s_and_b64 s[2:3], exec, s[2:3]
	s_or_b64 s[20:21], s[2:3], s[20:21]
	s_andn2_b64 s[2:3], s[22:23], exec
	s_and_b64 s[0:1], s[0:1], exec
	s_or_b64 s[22:23], s[2:3], s[0:1]
	s_barrier
	s_andn2_b64 exec, exec, s[20:21]
	s_cbranch_execz .LBB73_141
.LBB73_137:                             ;   Parent Loop BB73_12 Depth=1
                                        ; =>  This Inner Loop Header: Depth=2
	v_cmp_gt_u32_e32 vcc, s56, v3
	v_mov_b32_e32 v4, 0
	s_and_saveexec_b64 s[24:25], vcc
	s_cbranch_execz .LBB73_139
; %bb.138:                              ;   in Loop: Header=BB73_137 Depth=2
	global_load_ubyte v4, v2, s[64:65]
.LBB73_139:                             ;   in Loop: Header=BB73_137 Depth=2
	s_or_b64 exec, exec, s[24:25]
	s_waitcnt vmcnt(0)
	v_and_b32_e32 v5, s12, v4
	v_cmp_eq_u32_sdwa s[0:1], v5, s13 src0_sel:BYTE_0 src1_sel:DWORD
	s_and_b64 s[0:1], vcc, s[0:1]
	s_and_saveexec_b64 s[24:25], s[0:1]
	s_cbranch_execz .LBB73_136
; %bb.140:                              ;   in Loop: Header=BB73_137 Depth=2
	v_lshlrev_b16_e32 v4, 8, v4
	v_or_b32_e32 v4, 1, v4
	ds_write_b16 v23, v4 offset:3072
	s_branch .LBB73_136
.LBB73_141:                             ;   in Loop: Header=BB73_12 Depth=1
	s_or_b64 exec, exec, s[20:21]
	v_lshrrev_b16_e32 v25, 8, v4
	s_and_b64 s[28:29], s[22:23], exec
.LBB73_142:                             ;   in Loop: Header=BB73_12 Depth=1
	s_or_b64 exec, exec, s[18:19]
	s_mov_b64 s[22:23], -1
	s_mov_b64 s[20:21], 0
	s_mov_b64 s[18:19], 0
.LBB73_143:                             ;   in Loop: Header=BB73_12 Depth=1
	s_mov_b64 s[30:31], 0
                                        ; implicit-def: $sgpr53
	s_and_saveexec_b64 s[24:25], s[28:29]
	s_cbranch_execz .LBB73_235
; %bb.144:                              ;   in Loop: Header=BB73_12 Depth=1
	s_xor_b64 s[0:1], s[26:27], -1
	s_mov_b64 s[28:29], 0
	s_andn2_b64 vcc, exec, s[0:1]
	s_mov_b32 s45, 1
	s_cbranch_vccnz .LBB73_155
; %bb.145:                              ;   in Loop: Header=BB73_12 Depth=1
	s_cmp_gt_u32 s35, s34
	s_mov_b64 s[28:29], -1
                                        ; implicit-def: $sgpr53
                                        ; implicit-def: $sgpr0
                                        ; implicit-def: $sgpr1
	s_cbranch_scc1 .LBB73_151
; %bb.146:                              ;   in Loop: Header=BB73_12 Depth=1
	ds_read_b32 v2, v23 offset:4104
	s_waitcnt lgkmcnt(0)
	v_cmp_ne_u32_e32 vcc, 0, v2
	s_cbranch_vccnz .LBB73_150
; %bb.147:                              ;   in Loop: Header=BB73_12 Depth=1
	s_mov_b64 s[26:27], exec
	v_readlane_b32 s0, v42, 2
	v_readlane_b32 s1, v42, 3
	s_and_b64 s[0:1], s[26:27], s[0:1]
	s_mov_b64 exec, s[0:1]
	s_cbranch_execz .LBB73_149
; %bb.148:                              ;   in Loop: Header=BB73_12 Depth=1
	v_mov_b32_e32 v2, s34
	ds_write_b32 v23, v2 offset:4108
.LBB73_149:                             ;   in Loop: Header=BB73_12 Depth=1
	s_or_b64 exec, exec, s[26:27]
	s_waitcnt lgkmcnt(0)
	s_barrier
.LBB73_150:                             ;   in Loop: Header=BB73_12 Depth=1
	s_lshl_b32 s0, 1, s43
	s_and_b32 s1, s13, s44
	s_or_b32 s0, s1, s0
	s_or_b32 s1, s12, s51
	s_mov_b64 s[28:29], 0
	s_mov_b32 s53, 8
.LBB73_151:                             ;   in Loop: Header=BB73_12 Depth=1
	s_andn2_b64 vcc, exec, s[28:29]
	s_cbranch_vccnz .LBB73_153
; %bb.152:                              ;   in Loop: Header=BB73_12 Depth=1
	s_sub_i32 s35, s35, s34
	s_mov_b64 s[28:29], -1
	s_mov_b32 s53, 0
	s_mov_b32 s0, s13
	;; [unrolled: 1-line block ×3, first 2 shown]
.LBB73_153:                             ;   in Loop: Header=BB73_12 Depth=1
	s_mov_b32 s12, s1
	s_mov_b32 s13, s0
	s_mov_b32 s45, s35
	s_andn2_b64 vcc, exec, s[28:29]
	s_mov_b64 s[40:41], -1
	s_cbranch_vccz .LBB73_156
.LBB73_154:                             ;   in Loop: Header=BB73_12 Depth=1
                                        ; implicit-def: $sgpr28_sgpr29
                                        ; implicit-def: $sgpr30_sgpr31
                                        ; implicit-def: $sgpr26_sgpr27
	s_branch .LBB73_234
.LBB73_155:                             ;   in Loop: Header=BB73_12 Depth=1
	s_mov_b32 s53, 1
	s_andn2_b64 vcc, exec, s[28:29]
	s_mov_b64 s[40:41], -1
	s_cbranch_vccnz .LBB73_154
.LBB73_156:                             ;   in Loop: Header=BB73_12 Depth=1
	s_cmp_eq_u32 s42, 1
	s_cselect_b64 s[0:1], -1, 0
	s_cmp_eq_u32 s45, 1
	s_cselect_b64 s[2:3], -1, 0
	s_and_b64 s[36:37], s[0:1], s[2:3]
	s_mov_b64 s[38:39], -1
	s_and_b64 vcc, exec, s[36:37]
	s_cbranch_vccz .LBB73_167
; %bb.157:                              ;   in Loop: Header=BB73_12 Depth=1
	ds_read_b32 v2, v23 offset:4104
	s_waitcnt lgkmcnt(0)
	s_barrier
	v_readfirstlane_b32 s0, v2
	s_and_saveexec_b64 s[26:27], s[6:7]
	s_cbranch_execz .LBB73_159
; %bb.158:                              ;   in Loop: Header=BB73_12 Depth=1
	ds_write_b8 v0, v23 offset:3072
.LBB73_159:                             ;   in Loop: Header=BB73_12 Depth=1
	s_or_b64 exec, exec, s[26:27]
	s_lshl_b32 s1, 2, s43
	s_and_b32 s2, s13, s44
	s_or_b32 s13, s2, s1
	s_or_b32 s12, s12, s51
	s_cmp_eq_u32 s0, 0
	s_waitcnt lgkmcnt(0)
	s_barrier
	s_cbranch_scc1 .LBB73_168
; %bb.160:                              ;   in Loop: Header=BB73_12 Depth=1
	v_readlane_b32 s1, v42, 17
	s_add_i32 s1, s0, s1
	s_mul_hi_u32 s2, s1, s33
	s_mul_i32 s2, s2, s59
	s_sub_i32 s2, s1, s2
	s_sub_i32 s3, s2, s59
	s_cmp_ge_u32 s2, s59
	s_cselect_b32 s2, s3, s2
	s_sub_i32 s3, s2, s59
	s_cmp_ge_u32 s2, s59
	s_cselect_b32 s2, s3, s2
	s_sub_i32 s1, s1, s2
	v_cmp_gt_u32_e32 vcc, s1, v0
	s_mov_b64 s[38:39], 0
                                        ; implicit-def: $vgpr25
	s_and_saveexec_b64 s[26:27], vcc
	s_cbranch_execz .LBB73_170
; %bb.161:                              ;   in Loop: Header=BB73_12 Depth=1
	s_mov_b64 s[28:29], 0
	v_mov_b32_e32 v2, v0
                                        ; implicit-def: $sgpr30_sgpr31
	s_branch .LBB73_163
.LBB73_162:                             ;   in Loop: Header=BB73_163 Depth=2
	s_or_b64 exec, exec, s[34:35]
	s_waitcnt lgkmcnt(0)
	s_barrier
	ds_read_u16 v3, v23 offset:3072
	v_add_u32_e32 v2, s59, v2
	v_cmp_le_u32_e32 vcc, s1, v2
	s_waitcnt lgkmcnt(0)
	s_barrier
	v_cmp_ne_u16_sdwa s[2:3], v3, v23 src0_sel:BYTE_0 src1_sel:DWORD
	s_or_b64 s[34:35], vcc, s[2:3]
	s_and_b64 s[34:35], exec, s[34:35]
	s_or_b64 s[28:29], s[34:35], s[28:29]
	s_andn2_b64 s[30:31], s[30:31], exec
	s_and_b64 s[2:3], s[2:3], exec
	s_or_b64 s[30:31], s[30:31], s[2:3]
	s_andn2_b64 exec, exec, s[28:29]
	s_cbranch_execz .LBB73_169
.LBB73_163:                             ;   Parent Loop BB73_12 Depth=1
                                        ; =>  This Inner Loop Header: Depth=2
	v_cmp_gt_u32_e32 vcc, s0, v2
	v_mov_b32_e32 v3, 0
	s_and_saveexec_b64 s[34:35], vcc
	s_cbranch_execz .LBB73_165
; %bb.164:                              ;   in Loop: Header=BB73_163 Depth=2
	ds_read_u8 v3, v2
.LBB73_165:                             ;   in Loop: Header=BB73_163 Depth=2
	s_or_b64 exec, exec, s[34:35]
	s_waitcnt lgkmcnt(0)
	v_and_b32_e32 v4, s12, v3
	v_cmp_eq_u32_sdwa s[2:3], v4, s13 src0_sel:BYTE_0 src1_sel:DWORD
	s_and_b64 s[2:3], vcc, s[2:3]
	s_and_saveexec_b64 s[34:35], s[2:3]
	s_cbranch_execz .LBB73_162
; %bb.166:                              ;   in Loop: Header=BB73_163 Depth=2
	v_lshlrev_b16_e32 v3, 8, v3
	v_or_b32_e32 v3, 1, v3
	ds_write_b16 v23, v3 offset:3072
	s_branch .LBB73_162
.LBB73_167:                             ;   in Loop: Header=BB73_12 Depth=1
                                        ; implicit-def: $sgpr26_sgpr27
                                        ; implicit-def: $sgpr30_sgpr31
                                        ; implicit-def: $sgpr28_sgpr29
	s_branch .LBB73_180
.LBB73_168:                             ;   in Loop: Header=BB73_12 Depth=1
	s_mov_b64 s[26:27], -1
	s_mov_b64 s[38:39], 0
                                        ; implicit-def: $sgpr28_sgpr29
                                        ; implicit-def: $vgpr25
	s_mov_b64 s[30:31], s[26:27]
	s_cbranch_execnz .LBB73_171
	s_branch .LBB73_180
.LBB73_169:                             ;   in Loop: Header=BB73_12 Depth=1
	s_or_b64 exec, exec, s[28:29]
	v_lshrrev_b16_e32 v25, 8, v3
	s_and_b64 s[38:39], s[30:31], exec
.LBB73_170:                             ;   in Loop: Header=BB73_12 Depth=1
	s_or_b64 exec, exec, s[26:27]
	s_mov_b64 s[28:29], -1
	s_mov_b64 s[26:27], 0
	s_mov_b64 s[30:31], s[26:27]
	s_branch .LBB73_180
.LBB73_171:                             ;   in Loop: Header=BB73_12 Depth=1
	s_mov_b64 s[38:39], 0
                                        ; implicit-def: $vgpr25
	s_mov_b64 s[26:27], exec
	v_readlane_b32 s0, v42, 34
	v_readlane_b32 s1, v42, 35
	s_and_b64 s[0:1], s[26:27], s[0:1]
	s_mov_b64 exec, s[0:1]
	s_cbranch_execz .LBB73_179
; %bb.172:                              ;   in Loop: Header=BB73_12 Depth=1
	s_mov_b64 s[28:29], 0
	v_mov_b32_e32 v2, v9
	v_mov_b32_e32 v3, v0
                                        ; implicit-def: $sgpr30_sgpr31
	s_branch .LBB73_174
.LBB73_173:                             ;   in Loop: Header=BB73_174 Depth=2
	s_or_b64 exec, exec, s[34:35]
	s_waitcnt lgkmcnt(0)
	s_barrier
	ds_read_u16 v4, v23 offset:3072
	v_add_u32_e32 v3, s59, v3
	v_cmp_le_u32_e32 vcc, s78, v3
	v_add_u32_e32 v2, s57, v2
	s_waitcnt lgkmcnt(0)
	v_cmp_ne_u16_sdwa s[0:1], v4, v23 src0_sel:BYTE_0 src1_sel:DWORD
	s_or_b64 s[2:3], vcc, s[0:1]
	s_and_b64 s[2:3], exec, s[2:3]
	s_or_b64 s[28:29], s[2:3], s[28:29]
	s_andn2_b64 s[2:3], s[30:31], exec
	s_and_b64 s[0:1], s[0:1], exec
	s_or_b64 s[30:31], s[2:3], s[0:1]
	s_barrier
	s_andn2_b64 exec, exec, s[28:29]
	s_cbranch_execz .LBB73_178
.LBB73_174:                             ;   Parent Loop BB73_12 Depth=1
                                        ; =>  This Inner Loop Header: Depth=2
	v_cmp_gt_u32_e32 vcc, s56, v3
	v_mov_b32_e32 v4, 0
	s_and_saveexec_b64 s[34:35], vcc
	s_cbranch_execz .LBB73_176
; %bb.175:                              ;   in Loop: Header=BB73_174 Depth=2
	global_load_ubyte v4, v2, s[64:65]
.LBB73_176:                             ;   in Loop: Header=BB73_174 Depth=2
	s_or_b64 exec, exec, s[34:35]
	s_waitcnt vmcnt(0)
	v_and_b32_e32 v5, s12, v4
	v_cmp_eq_u32_sdwa s[0:1], v5, s13 src0_sel:BYTE_0 src1_sel:DWORD
	s_and_b64 s[0:1], vcc, s[0:1]
	s_and_saveexec_b64 s[34:35], s[0:1]
	s_cbranch_execz .LBB73_173
; %bb.177:                              ;   in Loop: Header=BB73_174 Depth=2
	v_lshlrev_b16_e32 v4, 8, v4
	v_or_b32_e32 v4, 1, v4
	ds_write_b16 v23, v4 offset:3072
	s_branch .LBB73_173
.LBB73_178:                             ;   in Loop: Header=BB73_12 Depth=1
	s_or_b64 exec, exec, s[28:29]
	v_lshrrev_b16_e32 v25, 8, v4
	s_and_b64 s[38:39], s[30:31], exec
.LBB73_179:                             ;   in Loop: Header=BB73_12 Depth=1
	s_or_b64 exec, exec, s[26:27]
	s_mov_b64 s[30:31], -1
	s_mov_b64 s[26:27], 0
	s_mov_b64 s[28:29], 0
.LBB73_180:                             ;   in Loop: Header=BB73_12 Depth=1
	s_mov_b64 s[40:41], 0
                                        ; implicit-def: $sgpr53
	s_and_saveexec_b64 s[34:35], s[38:39]
	s_cbranch_execz .LBB73_233
; %bb.181:                              ;   in Loop: Header=BB73_12 Depth=1
	s_xor_b64 s[0:1], s[36:37], -1
	s_mov_b64 s[38:39], 0
	s_andn2_b64 vcc, exec, s[0:1]
	s_mov_b32 s52, 1
	s_cbranch_vccnz .LBB73_192
; %bb.182:                              ;   in Loop: Header=BB73_12 Depth=1
	s_cmp_gt_u32 s45, s42
	s_mov_b64 s[38:39], -1
                                        ; implicit-def: $sgpr53
                                        ; implicit-def: $sgpr0
                                        ; implicit-def: $sgpr1
	s_cbranch_scc1 .LBB73_188
; %bb.183:                              ;   in Loop: Header=BB73_12 Depth=1
	ds_read_b32 v2, v23 offset:4104
	s_waitcnt lgkmcnt(0)
	v_cmp_ne_u32_e32 vcc, 0, v2
	s_cbranch_vccnz .LBB73_187
; %bb.184:                              ;   in Loop: Header=BB73_12 Depth=1
	s_mov_b64 s[36:37], exec
	v_readlane_b32 s0, v42, 2
	v_readlane_b32 s1, v42, 3
	s_and_b64 s[0:1], s[36:37], s[0:1]
	s_mov_b64 exec, s[0:1]
	s_cbranch_execz .LBB73_186
; %bb.185:                              ;   in Loop: Header=BB73_12 Depth=1
	v_mov_b32_e32 v2, s42
	ds_write_b32 v23, v2 offset:4108
.LBB73_186:                             ;   in Loop: Header=BB73_12 Depth=1
	s_or_b64 exec, exec, s[36:37]
	s_waitcnt lgkmcnt(0)
	s_barrier
.LBB73_187:                             ;   in Loop: Header=BB73_12 Depth=1
	s_lshl_b32 s0, 2, s43
	s_and_b32 s1, s13, s44
	s_or_b32 s0, s1, s0
	s_or_b32 s1, s12, s51
	s_mov_b64 s[38:39], 0
	s_mov_b32 s53, 8
.LBB73_188:                             ;   in Loop: Header=BB73_12 Depth=1
	s_andn2_b64 vcc, exec, s[38:39]
	s_cbranch_vccnz .LBB73_190
; %bb.189:                              ;   in Loop: Header=BB73_12 Depth=1
	s_sub_i32 s45, s45, s42
	s_mov_b64 s[38:39], -1
	s_mov_b32 s53, 0
	s_mov_b32 s0, s13
	;; [unrolled: 1-line block ×3, first 2 shown]
.LBB73_190:                             ;   in Loop: Header=BB73_12 Depth=1
	s_mov_b32 s12, s1
	s_mov_b32 s13, s0
	;; [unrolled: 1-line block ×3, first 2 shown]
	s_andn2_b64 vcc, exec, s[38:39]
	s_mov_b64 s[48:49], -1
	s_cbranch_vccz .LBB73_193
.LBB73_191:                             ;   in Loop: Header=BB73_12 Depth=1
                                        ; implicit-def: $sgpr38_sgpr39
                                        ; implicit-def: $sgpr42_sgpr43
                                        ; implicit-def: $sgpr40_sgpr41
	s_branch .LBB73_232
.LBB73_192:                             ;   in Loop: Header=BB73_12 Depth=1
	s_mov_b32 s53, 1
	s_andn2_b64 vcc, exec, s[38:39]
	s_mov_b64 s[48:49], -1
	s_cbranch_vccnz .LBB73_191
.LBB73_193:                             ;   in Loop: Header=BB73_12 Depth=1
	s_cmp_eq_u32 s50, 1
	s_cselect_b64 s[0:1], -1, 0
	s_cmp_eq_u32 s52, 1
	s_cselect_b64 s[2:3], -1, 0
	s_and_b64 s[36:37], s[0:1], s[2:3]
	s_mov_b64 s[44:45], -1
	s_and_b64 vcc, exec, s[36:37]
	s_cbranch_vccz .LBB73_204
; %bb.194:                              ;   in Loop: Header=BB73_12 Depth=1
	ds_read_b32 v2, v23 offset:4104
	s_waitcnt lgkmcnt(0)
	s_barrier
	v_readfirstlane_b32 s0, v2
	s_and_saveexec_b64 s[38:39], s[6:7]
	s_cbranch_execz .LBB73_196
; %bb.195:                              ;   in Loop: Header=BB73_12 Depth=1
	ds_write_b8 v0, v23 offset:3072
.LBB73_196:                             ;   in Loop: Header=BB73_12 Depth=1
	s_or_b64 exec, exec, s[38:39]
	s_or_b32 s13, s13, s51
	s_or_b32 s12, s12, s51
	s_cmp_eq_u32 s0, 0
	s_waitcnt lgkmcnt(0)
	s_barrier
	s_cbranch_scc1 .LBB73_205
; %bb.197:                              ;   in Loop: Header=BB73_12 Depth=1
	v_readlane_b32 s1, v42, 17
	s_add_i32 s1, s0, s1
	s_mul_hi_u32 s2, s1, s33
	s_mul_i32 s2, s2, s59
	s_sub_i32 s2, s1, s2
	s_sub_i32 s3, s2, s59
	s_cmp_ge_u32 s2, s59
	s_cselect_b32 s2, s3, s2
	s_sub_i32 s3, s2, s59
	s_cmp_ge_u32 s2, s59
	s_cselect_b32 s2, s3, s2
	s_sub_i32 s1, s1, s2
	v_cmp_gt_u32_e32 vcc, s1, v0
	s_mov_b64 s[44:45], 0
                                        ; implicit-def: $vgpr25
	s_and_saveexec_b64 s[38:39], vcc
	s_cbranch_execz .LBB73_207
; %bb.198:                              ;   in Loop: Header=BB73_12 Depth=1
	v_mov_b32_e32 v2, v0
                                        ; implicit-def: $sgpr42_sgpr43
	s_branch .LBB73_200
.LBB73_199:                             ;   in Loop: Header=BB73_200 Depth=2
	s_or_b64 exec, exec, s[44:45]
	s_waitcnt lgkmcnt(0)
	s_barrier
	ds_read_u16 v3, v23 offset:3072
	v_add_u32_e32 v2, s59, v2
	v_cmp_le_u32_e32 vcc, s1, v2
	s_waitcnt lgkmcnt(0)
	s_barrier
	v_cmp_ne_u16_sdwa s[2:3], v3, v23 src0_sel:BYTE_0 src1_sel:DWORD
	s_or_b64 s[44:45], vcc, s[2:3]
	s_and_b64 s[44:45], exec, s[44:45]
	s_or_b64 s[40:41], s[44:45], s[40:41]
	s_andn2_b64 s[42:43], s[42:43], exec
	s_and_b64 s[2:3], s[2:3], exec
	s_or_b64 s[42:43], s[42:43], s[2:3]
	s_andn2_b64 exec, exec, s[40:41]
	s_cbranch_execz .LBB73_206
.LBB73_200:                             ;   Parent Loop BB73_12 Depth=1
                                        ; =>  This Inner Loop Header: Depth=2
	v_cmp_gt_u32_e32 vcc, s0, v2
	v_mov_b32_e32 v3, 0
	s_and_saveexec_b64 s[44:45], vcc
	s_cbranch_execz .LBB73_202
; %bb.201:                              ;   in Loop: Header=BB73_200 Depth=2
	ds_read_u8 v3, v2
.LBB73_202:                             ;   in Loop: Header=BB73_200 Depth=2
	s_or_b64 exec, exec, s[44:45]
	s_waitcnt lgkmcnt(0)
	v_and_b32_e32 v4, s12, v3
	v_cmp_eq_u32_sdwa s[2:3], v4, s13 src0_sel:BYTE_0 src1_sel:DWORD
	s_and_b64 s[2:3], vcc, s[2:3]
	s_and_saveexec_b64 s[44:45], s[2:3]
	s_cbranch_execz .LBB73_199
; %bb.203:                              ;   in Loop: Header=BB73_200 Depth=2
	v_lshlrev_b16_e32 v3, 8, v3
	v_or_b32_e32 v3, 1, v3
	ds_write_b16 v23, v3 offset:3072
	s_branch .LBB73_199
.LBB73_204:                             ;   in Loop: Header=BB73_12 Depth=1
                                        ; implicit-def: $sgpr38_sgpr39
                                        ; implicit-def: $sgpr42_sgpr43
                                        ; implicit-def: $sgpr40_sgpr41
	s_branch .LBB73_217
.LBB73_205:                             ;   in Loop: Header=BB73_12 Depth=1
	s_mov_b64 s[38:39], -1
	s_mov_b64 s[44:45], 0
                                        ; implicit-def: $sgpr40_sgpr41
                                        ; implicit-def: $vgpr25
	s_mov_b64 s[42:43], s[38:39]
	s_cbranch_execnz .LBB73_208
	s_branch .LBB73_217
.LBB73_206:                             ;   in Loop: Header=BB73_12 Depth=1
	s_or_b64 exec, exec, s[40:41]
	v_lshrrev_b16_e32 v25, 8, v3
	s_and_b64 s[44:45], s[42:43], exec
.LBB73_207:                             ;   in Loop: Header=BB73_12 Depth=1
	s_or_b64 exec, exec, s[38:39]
	s_mov_b64 s[40:41], -1
	s_mov_b64 s[38:39], 0
	s_mov_b64 s[42:43], s[38:39]
	s_branch .LBB73_217
.LBB73_208:                             ;   in Loop: Header=BB73_12 Depth=1
	s_mov_b64 s[44:45], 0
                                        ; implicit-def: $vgpr25
	s_mov_b64 s[38:39], exec
	v_readlane_b32 s0, v42, 34
	v_readlane_b32 s1, v42, 35
	s_and_b64 s[0:1], s[38:39], s[0:1]
	s_mov_b64 exec, s[0:1]
	s_cbranch_execz .LBB73_216
; %bb.209:                              ;   in Loop: Header=BB73_12 Depth=1
	s_mov_b64 s[40:41], 0
	v_mov_b32_e32 v2, v9
	v_mov_b32_e32 v3, v0
                                        ; implicit-def: $sgpr42_sgpr43
	s_branch .LBB73_211
.LBB73_210:                             ;   in Loop: Header=BB73_211 Depth=2
	s_or_b64 exec, exec, s[44:45]
	s_waitcnt lgkmcnt(0)
	s_barrier
	ds_read_u16 v4, v23 offset:3072
	v_add_u32_e32 v3, s59, v3
	v_cmp_le_u32_e32 vcc, s78, v3
	v_add_u32_e32 v2, s57, v2
	s_waitcnt lgkmcnt(0)
	v_cmp_ne_u16_sdwa s[0:1], v4, v23 src0_sel:BYTE_0 src1_sel:DWORD
	s_or_b64 s[2:3], vcc, s[0:1]
	s_and_b64 s[2:3], exec, s[2:3]
	s_or_b64 s[40:41], s[2:3], s[40:41]
	s_andn2_b64 s[2:3], s[42:43], exec
	s_and_b64 s[0:1], s[0:1], exec
	s_or_b64 s[42:43], s[2:3], s[0:1]
	s_barrier
	s_andn2_b64 exec, exec, s[40:41]
	s_cbranch_execz .LBB73_215
.LBB73_211:                             ;   Parent Loop BB73_12 Depth=1
                                        ; =>  This Inner Loop Header: Depth=2
	v_cmp_gt_u32_e32 vcc, s56, v3
	v_mov_b32_e32 v4, 0
	s_and_saveexec_b64 s[44:45], vcc
	s_cbranch_execz .LBB73_213
; %bb.212:                              ;   in Loop: Header=BB73_211 Depth=2
	global_load_ubyte v4, v2, s[64:65]
.LBB73_213:                             ;   in Loop: Header=BB73_211 Depth=2
	s_or_b64 exec, exec, s[44:45]
	s_waitcnt vmcnt(0)
	v_and_b32_e32 v5, s12, v4
	v_cmp_eq_u32_sdwa s[0:1], v5, s13 src0_sel:BYTE_0 src1_sel:DWORD
	s_and_b64 s[0:1], vcc, s[0:1]
	s_and_saveexec_b64 s[44:45], s[0:1]
	s_cbranch_execz .LBB73_210
; %bb.214:                              ;   in Loop: Header=BB73_211 Depth=2
	v_lshlrev_b16_e32 v4, 8, v4
	v_or_b32_e32 v4, 1, v4
	ds_write_b16 v23, v4 offset:3072
	s_branch .LBB73_210
.LBB73_215:                             ;   in Loop: Header=BB73_12 Depth=1
	s_or_b64 exec, exec, s[40:41]
	v_lshrrev_b16_e32 v25, 8, v4
	s_and_b64 s[44:45], s[42:43], exec
.LBB73_216:                             ;   in Loop: Header=BB73_12 Depth=1
	s_or_b64 exec, exec, s[38:39]
	s_mov_b64 s[42:43], -1
	s_mov_b64 s[38:39], 0
	s_mov_b64 s[40:41], 0
.LBB73_217:                             ;   in Loop: Header=BB73_12 Depth=1
	s_mov_b64 s[48:49], 0
                                        ; implicit-def: $sgpr53
	s_and_saveexec_b64 s[46:47], s[44:45]
	s_cbranch_execz .LBB73_231
; %bb.218:                              ;   in Loop: Header=BB73_12 Depth=1
	s_xor_b64 s[0:1], s[36:37], -1
	s_andn2_b64 vcc, exec, s[0:1]
	s_mov_b32 s53, 1
	s_cbranch_vccnz .LBB73_225
; %bb.219:                              ;   in Loop: Header=BB73_12 Depth=1
	s_cmp_gt_u32 s52, s50
	s_cbranch_scc1 .LBB73_226
; %bb.220:                              ;   in Loop: Header=BB73_12 Depth=1
	ds_read_b32 v2, v23 offset:4104
	s_waitcnt lgkmcnt(0)
	v_cmp_ne_u32_e32 vcc, 0, v2
	s_cbranch_vccnz .LBB73_224
; %bb.221:                              ;   in Loop: Header=BB73_12 Depth=1
	s_mov_b64 s[36:37], exec
	v_readlane_b32 s0, v42, 2
	v_readlane_b32 s1, v42, 3
	s_and_b64 s[0:1], s[36:37], s[0:1]
	s_mov_b64 exec, s[0:1]
	s_cbranch_execz .LBB73_223
; %bb.222:                              ;   in Loop: Header=BB73_12 Depth=1
	v_mov_b32_e32 v2, s50
	ds_write_b32 v23, v2 offset:4108
.LBB73_223:                             ;   in Loop: Header=BB73_12 Depth=1
	s_or_b64 exec, exec, s[36:37]
	s_waitcnt lgkmcnt(0)
	s_barrier
.LBB73_224:                             ;   in Loop: Header=BB73_12 Depth=1
	s_or_b32 s0, s13, s51
	s_or_b32 s1, s12, s51
	s_mov_b64 s[36:37], 0
	s_mov_b32 s53, 8
	s_branch .LBB73_227
.LBB73_225:                             ;   in Loop: Header=BB73_12 Depth=1
	s_mov_b32 s52, 1
	s_branch .LBB73_230
.LBB73_226:                             ;   in Loop: Header=BB73_12 Depth=1
	s_mov_b64 s[36:37], -1
                                        ; implicit-def: $sgpr53
                                        ; implicit-def: $sgpr0
                                        ; implicit-def: $sgpr1
.LBB73_227:                             ;   in Loop: Header=BB73_12 Depth=1
	s_andn2_b64 vcc, exec, s[36:37]
	s_cbranch_vccnz .LBB73_229
; %bb.228:                              ;   in Loop: Header=BB73_12 Depth=1
	s_sub_i32 s52, s52, s50
	s_mov_b32 s53, 8
	s_mov_b32 s0, s13
	s_mov_b32 s1, s12
.LBB73_229:                             ;   in Loop: Header=BB73_12 Depth=1
	s_mov_b32 s13, s0
	s_mov_b32 s12, s1
.LBB73_230:                             ;   in Loop: Header=BB73_12 Depth=1
	s_mov_b64 s[48:49], exec
.LBB73_231:                             ;   in Loop: Header=BB73_12 Depth=1
	s_or_b64 exec, exec, s[46:47]
.LBB73_232:                             ;   in Loop: Header=BB73_12 Depth=1
	s_andn2_b64 s[0:1], s[26:27], exec
	s_and_b64 s[2:3], s[38:39], exec
	s_or_b64 s[26:27], s[0:1], s[2:3]
	s_andn2_b64 s[0:1], s[30:31], exec
	s_and_b64 s[2:3], s[42:43], exec
	s_or_b64 s[30:31], s[0:1], s[2:3]
	;; [unrolled: 3-line block ×3, first 2 shown]
	s_and_b64 s[40:41], s[48:49], exec
	s_mov_b32 s45, s52
.LBB73_233:                             ;   in Loop: Header=BB73_12 Depth=1
	s_or_b64 exec, exec, s[34:35]
.LBB73_234:                             ;   in Loop: Header=BB73_12 Depth=1
	s_andn2_b64 s[0:1], s[20:21], exec
	s_and_b64 s[2:3], s[26:27], exec
	s_or_b64 s[20:21], s[0:1], s[2:3]
	s_andn2_b64 s[0:1], s[22:23], exec
	s_and_b64 s[2:3], s[30:31], exec
	s_or_b64 s[22:23], s[0:1], s[2:3]
	;; [unrolled: 3-line block ×3, first 2 shown]
	s_and_b64 s[30:31], s[40:41], exec
	s_mov_b32 s35, s45
.LBB73_235:                             ;   in Loop: Header=BB73_12 Depth=1
	s_or_b64 exec, exec, s[24:25]
                                        ; implicit-def: $sgpr74
	s_and_saveexec_b64 s[0:1], s[30:31]
	s_xor_b64 s[24:25], exec, s[0:1]
	s_cbranch_execz .LBB73_10
.LBB73_236:                             ;   in Loop: Header=BB73_12 Depth=1
	s_and_b32 s0, s53, -9
	s_cmp_eq_u32 s0, 0
	s_cbranch_scc1 .LBB73_8
; %bb.237:                              ;   in Loop: Header=BB73_12 Depth=1
	s_mov_b64 s[16:17], -1
                                        ; implicit-def: $sgpr12
                                        ; implicit-def: $sgpr35
                                        ; implicit-def: $sgpr80
                                        ; implicit-def: $sgpr81
	s_mov_b64 s[26:27], -1
	s_branch .LBB73_9
.LBB73_238:
	s_or_b64 exec, exec, s[88:89]
	s_xor_b64 s[8:9], s[94:95], -1
	s_xor_b64 s[0:1], s[90:91], -1
	;; [unrolled: 1-line block ×3, first 2 shown]
	s_mov_b64 s[4:5], 0
	s_and_saveexec_b64 s[2:3], s[0:1]
	s_xor_b64 s[0:1], exec, s[2:3]
	s_cbranch_execnz .LBB73_243
; %bb.239:
	s_andn2_saveexec_b64 s[0:1], s[0:1]
	s_cbranch_execnz .LBB73_256
.LBB73_240:
	s_or_b64 exec, exec, s[0:1]
	s_and_saveexec_b64 s[0:1], s[4:5]
.LBB73_241:
	; divergent unreachable
.LBB73_242:
	s_endpgm
.LBB73_243:
	s_and_saveexec_b64 s[2:3], s[8:9]
	s_xor_b64 s[4:5], exec, s[2:3]
	s_cbranch_execz .LBB73_254
; %bb.244:
	s_and_saveexec_b64 s[2:3], s[6:7]
	s_xor_b64 s[6:7], exec, s[2:3]
; %bb.245:
	v_mov_b32_e32 v25, v2
; %bb.246:
	s_or_b64 exec, exec, s[6:7]
	v_readlane_b32 s7, v42, 0
	v_readlane_b32 s8, v42, 12
	s_mul_i32 s2, s8, s7
	v_readlane_b32 s18, v42, 14
	s_sub_i32 s2, s18, s2
	s_add_i32 s3, s8, 1
	s_sub_i32 s6, s2, s7
	s_cmp_ge_u32 s2, s7
	s_cselect_b32 s3, s3, s8
	s_cselect_b32 s2, s6, s2
	s_add_i32 s6, s3, 1
	s_cmp_ge_u32 s2, s7
	s_cselect_b32 s2, s6, s3
	s_mul_i32 s3, s2, s7
	v_readlane_b32 s6, v42, 8
	s_sub_i32 s3, s18, s3
	v_readlane_b32 s7, v42, 9
	s_mul_i32 s3, s3, s7
	s_mul_i32 s2, s2, s6
	s_add_i32 s2, s2, s3
	v_mov_b32_e32 v1, s2
	v_readlane_b32 s2, v42, 10
	v_readlane_b32 s3, v42, 11
	s_nop 4
	global_store_byte v1, v25, s[2:3]
	s_mov_b64 s[6:7], exec
	v_readlane_b32 s2, v42, 15
	v_readlane_b32 s3, v42, 16
	s_and_b64 s[2:3], s[6:7], s[2:3]
	s_mov_b64 exec, s[2:3]
	s_cbranch_execz .LBB73_253
; %bb.247:
	s_mov_b64 s[2:3], 0
                                        ; implicit-def: $sgpr8_sgpr9
                                        ; implicit-def: $sgpr12_sgpr13
                                        ; implicit-def: $sgpr10_sgpr11
	s_branch .LBB73_249
.LBB73_248:                             ;   in Loop: Header=BB73_249 Depth=1
	s_or_b64 exec, exec, s[14:15]
	s_and_b64 s[14:15], exec, s[12:13]
	s_or_b64 s[2:3], s[14:15], s[2:3]
	s_andn2_b64 s[8:9], s[8:9], exec
	s_and_b64 s[14:15], s[10:11], exec
	s_or_b64 s[8:9], s[8:9], s[14:15]
	s_andn2_b64 exec, exec, s[2:3]
	s_cbranch_execz .LBB73_251
.LBB73_249:                             ; =>This Inner Loop Header: Depth=1
	global_load_ubyte v1, v9, s[64:65]
	v_mov_b32_e32 v2, v0
	s_or_b64 s[10:11], s[10:11], exec
	s_or_b64 s[12:13], s[12:13], exec
                                        ; implicit-def: $vgpr0
	s_waitcnt vmcnt(0)
	v_cmp_ne_u16_sdwa s[16:17], v1, v25 src0_sel:DWORD src1_sel:BYTE_0
	s_and_saveexec_b64 s[14:15], s[16:17]
	s_cbranch_execz .LBB73_248
; %bb.250:                              ;   in Loop: Header=BB73_249 Depth=1
	v_add_u32_e32 v0, s59, v2
	v_cmp_le_u32_e32 vcc, s56, v0
	s_andn2_b64 s[12:13], s[12:13], exec
	s_and_b64 s[16:17], vcc, exec
	v_add_u32_e32 v9, s57, v9
	s_andn2_b64 s[10:11], s[10:11], exec
	s_or_b64 s[12:13], s[12:13], s[16:17]
	s_branch .LBB73_248
.LBB73_251:
	s_or_b64 exec, exec, s[2:3]
	s_and_saveexec_b64 s[2:3], s[8:9]
	s_xor_b64 s[2:3], exec, s[2:3]
	s_cbranch_execz .LBB73_253
; %bb.252:
	v_readlane_b32 s9, v42, 1
	v_readlane_b32 s10, v42, 13
	s_mul_i32 s2, s10, s9
	s_sub_i32 s2, s18, s2
	s_add_i32 s3, s10, 1
	s_sub_i32 s8, s2, s9
	s_cmp_ge_u32 s2, s9
	s_cselect_b32 s3, s3, s10
	s_cselect_b32 s2, s8, s2
	s_add_i32 s8, s3, 1
	s_cmp_ge_u32 s2, s9
	s_cselect_b32 s2, s8, s3
	s_mul_i32 s3, s2, s9
	v_readlane_b32 s8, v42, 4
	s_sub_i32 s3, s18, s3
	v_readlane_b32 s9, v42, 5
	s_mul_i32 s3, s3, s9
	s_mul_i32 s2, s2, s8
	s_add_i32 s2, s2, s3
	s_mov_b32 s3, 0
	s_lshl_b64 s[2:3], s[2:3], 3
	v_readlane_b32 s8, v42, 6
	v_readlane_b32 s9, v42, 7
	s_add_u32 s2, s8, s2
	s_addc_u32 s3, s9, s3
	v_mov_b32_e32 v3, 0
	global_store_dwordx2 v3, v[2:3], s[2:3]
.LBB73_253:
	s_or_b64 exec, exec, s[6:7]
.LBB73_254:
	s_or_saveexec_b64 s[2:3], s[4:5]
	s_mov_b64 s[4:5], 0
	s_xor_b64 exec, exec, s[2:3]
	s_cbranch_execnz .LBB73_257
.LBB73_255:
	s_or_b64 exec, exec, s[2:3]
	s_and_b64 s[4:5], s[4:5], exec
	s_andn2_saveexec_b64 s[0:1], s[0:1]
	s_cbranch_execz .LBB73_240
.LBB73_256:
	s_or_b64 s[4:5], s[4:5], exec
	s_trap 2
	s_or_b64 exec, exec, s[0:1]
	s_and_saveexec_b64 s[0:1], s[4:5]
	s_cbranch_execnz .LBB73_241
	s_branch .LBB73_242
.LBB73_257:
	s_mov_b64 s[4:5], exec
	s_trap 2
	s_branch .LBB73_255
	.section	.rodata,"a",@progbits
	.p2align	6, 0x0
	.amdhsa_kernel _ZN2at6native12_GLOBAL__N_112gatherMedianIhjLi2EEEvNS_4cuda6detail10TensorInfoIT_T0_EENS5_IlS7_EENS5_IKS6_S7_EES7_S7_S7_b
		.amdhsa_group_segment_fixed_size 4120
		.amdhsa_private_segment_fixed_size 0
		.amdhsa_kernarg_size 920
		.amdhsa_user_sgpr_count 6
		.amdhsa_user_sgpr_private_segment_buffer 1
		.amdhsa_user_sgpr_dispatch_ptr 0
		.amdhsa_user_sgpr_queue_ptr 0
		.amdhsa_user_sgpr_kernarg_segment_ptr 1
		.amdhsa_user_sgpr_dispatch_id 0
		.amdhsa_user_sgpr_flat_scratch_init 0
		.amdhsa_user_sgpr_kernarg_preload_length 0
		.amdhsa_user_sgpr_kernarg_preload_offset 0
		.amdhsa_user_sgpr_private_segment_size 0
		.amdhsa_uses_dynamic_stack 0
		.amdhsa_system_sgpr_private_segment_wavefront_offset 0
		.amdhsa_system_sgpr_workgroup_id_x 1
		.amdhsa_system_sgpr_workgroup_id_y 1
		.amdhsa_system_sgpr_workgroup_id_z 1
		.amdhsa_system_sgpr_workgroup_info 0
		.amdhsa_system_vgpr_workitem_id 0
		.amdhsa_next_free_vgpr 43
		.amdhsa_next_free_sgpr 96
		.amdhsa_accum_offset 44
		.amdhsa_reserve_vcc 1
		.amdhsa_reserve_flat_scratch 0
		.amdhsa_float_round_mode_32 0
		.amdhsa_float_round_mode_16_64 0
		.amdhsa_float_denorm_mode_32 3
		.amdhsa_float_denorm_mode_16_64 3
		.amdhsa_dx10_clamp 1
		.amdhsa_ieee_mode 1
		.amdhsa_fp16_overflow 0
		.amdhsa_tg_split 0
		.amdhsa_exception_fp_ieee_invalid_op 0
		.amdhsa_exception_fp_denorm_src 0
		.amdhsa_exception_fp_ieee_div_zero 0
		.amdhsa_exception_fp_ieee_overflow 0
		.amdhsa_exception_fp_ieee_underflow 0
		.amdhsa_exception_fp_ieee_inexact 0
		.amdhsa_exception_int_div_zero 0
	.end_amdhsa_kernel
	.section	.text._ZN2at6native12_GLOBAL__N_112gatherMedianIhjLi2EEEvNS_4cuda6detail10TensorInfoIT_T0_EENS5_IlS7_EENS5_IKS6_S7_EES7_S7_S7_b,"axG",@progbits,_ZN2at6native12_GLOBAL__N_112gatherMedianIhjLi2EEEvNS_4cuda6detail10TensorInfoIT_T0_EENS5_IlS7_EENS5_IKS6_S7_EES7_S7_S7_b,comdat
.Lfunc_end73:
	.size	_ZN2at6native12_GLOBAL__N_112gatherMedianIhjLi2EEEvNS_4cuda6detail10TensorInfoIT_T0_EENS5_IlS7_EENS5_IKS6_S7_EES7_S7_S7_b, .Lfunc_end73-_ZN2at6native12_GLOBAL__N_112gatherMedianIhjLi2EEEvNS_4cuda6detail10TensorInfoIT_T0_EENS5_IlS7_EENS5_IKS6_S7_EES7_S7_S7_b
                                        ; -- End function
	.section	.AMDGPU.csdata,"",@progbits
; Kernel info:
; codeLenInByte = 9432
; NumSgprs: 100
; NumVgprs: 43
; NumAgprs: 0
; TotalNumVgprs: 43
; ScratchSize: 0
; MemoryBound: 0
; FloatMode: 240
; IeeeMode: 1
; LDSByteSize: 4120 bytes/workgroup (compile time only)
; SGPRBlocks: 12
; VGPRBlocks: 5
; NumSGPRsForWavesPerEU: 100
; NumVGPRsForWavesPerEU: 43
; AccumOffset: 44
; Occupancy: 8
; WaveLimiterHint : 1
; COMPUTE_PGM_RSRC2:SCRATCH_EN: 0
; COMPUTE_PGM_RSRC2:USER_SGPR: 6
; COMPUTE_PGM_RSRC2:TRAP_HANDLER: 0
; COMPUTE_PGM_RSRC2:TGID_X_EN: 1
; COMPUTE_PGM_RSRC2:TGID_Y_EN: 1
; COMPUTE_PGM_RSRC2:TGID_Z_EN: 1
; COMPUTE_PGM_RSRC2:TIDIG_COMP_CNT: 0
; COMPUTE_PGM_RSRC3_GFX90A:ACCUM_OFFSET: 10
; COMPUTE_PGM_RSRC3_GFX90A:TG_SPLIT: 0
	.section	.text._ZN2at6native12_GLOBAL__N_112gatherMedianIhjLi3EEEvNS_4cuda6detail10TensorInfoIT_T0_EENS5_IlS7_EENS5_IKS6_S7_EES7_S7_S7_b,"axG",@progbits,_ZN2at6native12_GLOBAL__N_112gatherMedianIhjLi3EEEvNS_4cuda6detail10TensorInfoIT_T0_EENS5_IlS7_EENS5_IKS6_S7_EES7_S7_S7_b,comdat
	.globl	_ZN2at6native12_GLOBAL__N_112gatherMedianIhjLi3EEEvNS_4cuda6detail10TensorInfoIT_T0_EENS5_IlS7_EENS5_IKS6_S7_EES7_S7_S7_b ; -- Begin function _ZN2at6native12_GLOBAL__N_112gatherMedianIhjLi3EEEvNS_4cuda6detail10TensorInfoIT_T0_EENS5_IlS7_EENS5_IKS6_S7_EES7_S7_S7_b
	.p2align	8
	.type	_ZN2at6native12_GLOBAL__N_112gatherMedianIhjLi3EEEvNS_4cuda6detail10TensorInfoIT_T0_EENS5_IlS7_EENS5_IKS6_S7_EES7_S7_S7_b,@function
_ZN2at6native12_GLOBAL__N_112gatherMedianIhjLi3EEEvNS_4cuda6detail10TensorInfoIT_T0_EENS5_IlS7_EENS5_IKS6_S7_EES7_S7_S7_b: ; @_ZN2at6native12_GLOBAL__N_112gatherMedianIhjLi3EEEvNS_4cuda6detail10TensorInfoIT_T0_EENS5_IlS7_EENS5_IKS6_S7_EES7_S7_S7_b
; %bb.0:
	s_load_dwordx2 s[14:15], s[4:5], 0x298
	s_load_dwordx4 s[56:59], s[4:5], 0x288
	s_add_u32 s12, s4, 0x298
	s_addc_u32 s13, s5, 0
	s_waitcnt lgkmcnt(0)
	s_mul_i32 s0, s15, s8
	s_add_i32 s0, s0, s7
	s_mul_i32 s0, s0, s14
	s_add_i32 s22, s0, s6
	s_cmp_ge_u32 s22, s57
	s_cbranch_scc1 .LBB74_242
; %bb.1:
	s_load_dwordx2 s[16:17], s[4:5], 0xc
	s_load_dwordx2 s[2:3], s[4:5], 0x1bc
	;; [unrolled: 1-line block ×3, first 2 shown]
	s_load_dwordx4 s[8:11], s[4:5], 0x21c
                                        ; implicit-def: $vgpr42 : SGPR spill to VGPR lane
	v_cmp_eq_u32_e64 s[20:21], 0, v0
	s_waitcnt lgkmcnt(0)
	v_cvt_f32_u32_e32 v3, s19
	v_cvt_f32_u32_e32 v1, s17
	s_sub_i32 s0, 0, s17
	v_cvt_f32_u32_e32 v2, s16
	v_rcp_iflag_f32_e32 v3, v3
	v_rcp_iflag_f32_e32 v1, v1
	v_rcp_iflag_f32_e32 v2, v2
	v_mul_f32_e32 v1, 0x4f7ffffe, v1
	v_cvt_u32_f32_e32 v1, v1
	v_mul_f32_e32 v2, 0x4f7ffffe, v2
	v_cvt_u32_f32_e32 v2, v2
	v_readfirstlane_b32 s1, v1
	s_mul_i32 s0, s0, s1
	s_mul_hi_u32 s0, s1, s0
	s_add_i32 s1, s1, s0
	s_mul_hi_u32 s0, s22, s1
	s_mul_i32 s1, s0, s17
	s_sub_i32 s1, s22, s1
	s_add_i32 s7, s0, 1
	s_sub_i32 s11, s1, s17
	s_cmp_ge_u32 s1, s17
	s_cselect_b32 s0, s7, s0
	v_mul_f32_e32 v1, 0x4f7ffffe, v3
	s_cselect_b32 s1, s11, s1
	s_add_i32 s7, s0, 1
	v_cvt_u32_f32_e32 v1, v1
	s_cmp_ge_u32 s1, s17
	s_cselect_b32 s0, s7, s0
	v_writelane_b32 v42, s0, 0
	v_writelane_b32 v42, s16, 1
	s_sub_i32 s0, 0, s16
	v_readfirstlane_b32 s1, v2
	v_readfirstlane_b32 s11, v1
	v_cvt_f32_u32_e32 v1, s18
	s_mul_i32 s0, s0, s1
	s_mul_hi_u32 s7, s1, s0
	s_sub_i32 s0, 0, s19
	s_mul_i32 s0, s0, s11
	s_mul_hi_u32 s0, s11, s0
	v_rcp_iflag_f32_e32 v1, v1
	s_add_i32 s11, s11, s0
	v_cvt_f32_u32_e32 v2, s3
	s_mul_hi_u32 s0, s22, s11
	s_mul_i32 s11, s0, s19
	s_sub_i32 s11, s22, s11
	v_mul_f32_e32 v1, 0x4f7ffffe, v1
	v_writelane_b32 v42, s17, 2
	s_add_i32 s15, s0, 1
	s_sub_i32 s16, s11, s19
	v_cvt_u32_f32_e32 v1, v1
	v_rcp_iflag_f32_e32 v2, v2
	s_cmp_ge_u32 s11, s19
	s_cselect_b32 s0, s15, s0
	s_cselect_b32 s11, s16, s11
	s_add_i32 s15, s0, 1
	s_cmp_ge_u32 s11, s19
	v_readfirstlane_b32 s11, v1
	v_mul_f32_e32 v1, 0x4f7ffffe, v2
	v_cvt_u32_f32_e32 v1, v1
	s_cselect_b32 s0, s15, s0
	v_writelane_b32 v42, s0, 3
	v_writelane_b32 v42, s18, 4
	s_sub_i32 s0, 0, s18
	s_mul_i32 s0, s0, s11
	v_readfirstlane_b32 s16, v1
	v_cvt_f32_u32_e32 v1, s2
	s_mul_hi_u32 s15, s11, s0
	s_sub_i32 s0, 0, s3
	s_mul_i32 s0, s0, s16
	s_mul_hi_u32 s0, s16, s0
	s_add_i32 s16, s16, s0
	v_rcp_iflag_f32_e32 v1, v1
	s_mul_hi_u32 s0, s22, s16
	s_mul_i32 s16, s0, s3
	s_sub_i32 s16, s22, s16
	v_writelane_b32 v42, s19, 5
	s_add_i32 s17, s0, 1
	s_sub_i32 s18, s16, s3
	v_mul_f32_e32 v1, 0x4f7ffffe, v1
	s_cmp_ge_u32 s16, s3
	v_cvt_u32_f32_e32 v1, v1
	s_cselect_b32 s0, s17, s0
	s_cselect_b32 s16, s18, s16
	s_add_i32 s17, s0, 1
	s_cmp_ge_u32 s16, s3
	s_cselect_b32 s0, s17, s0
	s_sub_i32 s16, 0, s2
	v_readfirstlane_b32 s18, v1
	s_mul_i32 s16, s16, s18
	s_mul_hi_u32 s16, s18, s16
	s_add_i32 s18, s18, s16
	s_mov_b64 s[16:17], exec
	v_writelane_b32 v42, s20, 6
	v_writelane_b32 v42, s21, 7
	s_and_b64 s[20:21], s[16:17], s[20:21]
	s_mov_b64 exec, s[20:21]
	s_cbranch_execz .LBB74_3
; %bb.2:
	v_mov_b32_e32 v2, 0
	v_mov_b32_e32 v3, v2
	ds_write_b64 v2, v[2:3] offset:4096
.LBB74_3:
	s_or_b64 exec, exec, s[16:17]
	s_load_dwordx4 s[24:27], s[4:5], 0x144
	v_mov_b32_e32 v1, 0
	s_waitcnt lgkmcnt(0)
	s_barrier
	v_writelane_b32 v42, s24, 8
	v_writelane_b32 v42, s25, 9
	;; [unrolled: 1-line block ×4, first 2 shown]
	s_load_dwordx4 s[24:27], s[4:5], 0x6c
	s_load_dwordx2 s[16:17], s[4:5], 0x1b0
	s_waitcnt lgkmcnt(0)
	s_barrier
	ds_read_b64 v[2:3], v1 offset:4096
	s_add_i32 s7, s1, s7
	s_add_i32 s11, s11, s15
	s_bitcmp1_b32 s59, 0
	v_writelane_b32 v42, s24, 12
	s_mul_hi_u32 s1, s0, s18
	s_cselect_b64 s[18:19], -1, 0
	s_waitcnt lgkmcnt(0)
	v_cmp_gt_i64_e32 vcc, 1, v[2:3]
	v_writelane_b32 v42, s25, 13
	s_or_b64 s[18:19], s[18:19], vcc
	v_writelane_b32 v42, s26, 14
	s_andn2_b64 vcc, exec, s[18:19]
	s_mov_b32 s82, s56
	v_writelane_b32 v42, s27, 15
	s_cbranch_vccnz .LBB74_5
; %bb.4:
	v_not_b32_e32 v1, v2
	v_not_b32_e32 v2, v3
	v_add_co_u32_e32 v1, vcc, s56, v1
	v_addc_co_u32_e32 v2, vcc, 0, v2, vcc
	v_lshrrev_b32_e32 v3, 31, v2
	v_add_co_u32_e32 v1, vcc, v1, v3
	v_addc_co_u32_e32 v2, vcc, 0, v2, vcc
	v_alignbit_b32 v1, v2, v1, 1
	v_readfirstlane_b32 s15, v1
	s_add_i32 s82, s15, 1
.LBB74_5:
	s_load_dwordx2 s[18:19], s[4:5], 0xd8
                                        ; kill: killed $sgpr4 killed $sgpr5
	s_waitcnt lgkmcnt(0)
	v_writelane_b32 v42, s18, 16
	v_writelane_b32 v42, s19, 17
	s_load_dwordx2 s[18:19], s[4:5], 0x0
	s_waitcnt lgkmcnt(0)
	v_writelane_b32 v42, s18, 18
	v_writelane_b32 v42, s19, 19
	v_readlane_b32 s4, v42, 0
	s_mul_hi_u32 s4, s4, s7
	v_writelane_b32 v42, s4, 20
	v_readlane_b32 s4, v42, 3
	s_mul_hi_u32 s4, s4, s11
	v_writelane_b32 v42, s4, 21
	s_mov_b64 s[4:5], exec
	v_readlane_b32 s18, v42, 6
	v_readlane_b32 s19, v42, 7
	s_and_b64 s[18:19], s[4:5], s[18:19]
	s_mov_b64 exec, s[18:19]
	s_cbranch_execz .LBB74_7
; %bb.6:
	v_mov_b32_e32 v2, 0
	v_mov_b32_e32 v3, s56
	ds_write_b32 v2, v2 offset:4112
	ds_write_b64 v2, v[2:3] offset:4104
.LBB74_7:
	s_or_b64 exec, exec, s[4:5]
	s_mul_i32 s4, s1, s2
	s_mul_i32 s3, s0, s3
	s_sub_i32 s4, s0, s4
	s_sub_i32 s3, s22, s3
	s_add_i32 s5, s1, 1
	s_sub_i32 s7, s4, s2
	s_cmp_ge_u32 s4, s2
	s_cselect_b32 s1, s5, s1
	s_cselect_b32 s4, s7, s4
	s_add_i32 s5, s1, 1
	s_cmp_ge_u32 s4, s2
	s_cselect_b32 s1, s5, s1
	s_mul_i32 s2, s1, s2
	s_sub_i32 s0, s0, s2
	s_mul_i32 s3, s3, s10
	s_mul_i32 s0, s0, s9
	s_add_i32 s0, s0, s3
	s_mul_i32 s1, s1, s8
	s_add_i32 s0, s0, s1
	s_waitcnt lgkmcnt(0)
	s_barrier
	s_load_dword s1, s[12:13], 0xc
	v_writelane_b32 v42, s22, 22
	s_add_u32 s74, s16, s0
	v_cmp_gt_u32_e64 s[2:3], s56, v0
	v_mbcnt_lo_u32_b32 v1, -1, 0
	s_addc_u32 s75, s17, 0
	v_writelane_b32 v42, s2, 23
	s_waitcnt lgkmcnt(0)
	s_and_b32 s59, s1, 0xffff
	v_mbcnt_hi_u32_b32 v12, -1, v1
	v_writelane_b32 v42, s3, 24
	v_cmp_gt_u32_e32 vcc, 64, v0
	v_cmp_gt_i32_e64 s[4:5], 4, v12
	s_add_i32 s0, s59, -1
	s_lshl_b32 s92, s59, 2
	s_bfe_u32 s3, s1, 0xa0006
	s_and_b64 s[80:81], vcc, s[4:5]
	v_writelane_b32 v42, s0, 25
	s_add_i32 s0, s0, s56
	s_cmpk_gt_u32 s56, 0xc00
	s_cselect_b64 s[4:5], -1, 0
	s_cmp_gt_u32 s59, 63
	s_cselect_b64 s[84:85], -1, 0
	s_cmp_lt_u32 s6, s14
	v_writelane_b32 v42, s4, 26
	s_cselect_b32 s1, 12, 18
	v_writelane_b32 v42, s5, 27
	s_add_u32 s4, s12, s1
	s_addc_u32 s5, s13, 0
	s_add_i32 s1, s3, -2
	s_lshr_b32 s2, s1, 1
	s_add_i32 s2, s2, 1
	v_lshlrev_b64 v[2:3], v12, -1
	v_writelane_b32 v42, s4, 28
	s_cmpk_gt_u32 s59, 0x7f
	v_not_b32_e32 v8, v2
	v_cvt_f32_u32_e32 v2, s92
	v_writelane_b32 v42, s5, 29
	s_cselect_b64 s[4:5], -1, 0
	s_and_b32 s8, s3, 0x3fe
	s_and_b32 s9, s2, 7
	v_writelane_b32 v42, s4, 30
	s_cmp_gt_u32 s1, 13
	v_writelane_b32 v42, s5, 31
	s_cselect_b64 s[10:11], -1, 0
	v_writelane_b32 v42, s10, 32
	v_rcp_iflag_f32_e32 v2, v2
	v_writelane_b32 v42, s11, 33
	s_and_b32 s1, s2, -8
	v_writelane_b32 v42, s1, 34
	s_cmp_lg_u32 s9, 0
	v_writelane_b32 v42, s9, 35
	s_cselect_b64 s[10:11], -1, 0
	v_writelane_b32 v42, s10, 36
	v_mul_f32_e32 v2, 0x4f7ffffe, v2
	v_writelane_b32 v42, s11, 37
	v_cvt_u32_f32_e32 v2, v2
	v_writelane_b32 v42, s3, 38
	s_cmp_lg_u32 s8, s3
	v_writelane_b32 v42, s8, 39
	s_cselect_b64 s[2:3], -1, 0
	v_writelane_b32 v42, s2, 40
	v_writelane_b32 v42, s3, 41
	v_readfirstlane_b32 s2, v2
	v_cvt_f32_u32_e32 v2, s59
	s_sub_i32 s1, 0, s92
	s_mul_i32 s1, s1, s2
	s_mul_hi_u32 s1, s2, s1
	s_add_i32 s95, s2, s1
	v_rcp_iflag_f32_e32 v2, v2
	s_mul_hi_u32 s1, s56, s95
	s_mul_i32 s1, s1, s92
	s_sub_i32 s1, s56, s1
	s_sub_i32 s2, s1, s92
	v_mul_f32_e32 v2, 0x4f7ffffe, v2
	s_cmp_ge_u32 s1, s92
	v_cvt_u32_f32_e32 v2, v2
	s_cselect_b32 s1, s2, s1
	s_sub_i32 s2, s1, s92
	s_cmp_ge_u32 s1, s92
	s_cselect_b32 s1, s2, s1
	s_sub_i32 s2, 0, s59
	v_readfirstlane_b32 s3, v2
	s_mul_i32 s2, s2, s3
	s_mul_hi_u32 s2, s3, s2
	s_add_i32 s86, s3, s2
	s_mul_hi_u32 s2, s0, s86
	s_mul_i32 s2, s2, s59
	s_sub_i32 s2, s0, s2
	s_sub_i32 s93, s56, s1
	;; [unrolled: 1-line block ×3, first 2 shown]
	s_cmp_ge_u32 s2, s59
	s_cselect_b32 s2, s3, s2
	v_lshlrev_b32_e32 v13, 2, v0
	s_sub_i32 s3, s2, s59
	v_mul_lo_u32 v9, v0, s58
	s_cmp_ge_u32 s2, s59
	v_mul_lo_u32 v2, s58, v13
	v_mov_b32_e32 v1, s75
	v_add_co_u32_e32 v6, vcc, s74, v9
	s_cselect_b32 s2, s3, s2
	v_add_u32_e32 v17, s58, v2
	v_or_b32_e32 v2, 2, v13
	v_addc_co_u32_e32 v7, vcc, 0, v1, vcc
	v_lshrrev_b32_e32 v1, 4, v0
	v_add_u32_e32 v16, s93, v0
	s_sub_i32 s87, s0, s2
	v_mul_lo_u32 v18, s58, v2
	v_or_b32_e32 v2, 3, v13
	s_add_i32 s0, s59, s56
	v_and_b32_e32 v14, 60, v1
	v_not_b32_e32 v1, v3
	v_mul_lo_u32 v3, v16, s58
	v_mul_lo_u32 v19, s58, v2
	v_add_u32_e32 v2, s0, v0
	v_lshlrev_b32_e32 v4, 2, v12
	v_mov_b32_e32 v5, s75
	v_add_co_u32_e32 v10, vcc, s74, v3
	v_cmp_gt_u32_e64 s[2:3], s87, v0
	s_mul_i32 s57, s58, s59
	v_subrev_u32_e32 v2, s1, v2
	s_mov_b32 s78, 0
	v_cmp_eq_u32_e64 s[4:5], 0, v12
	v_cmp_gt_u32_e64 s[6:7], 2, v0
	v_and_b32_e32 v15, 0x100, v4
	v_cmp_gt_u32_e64 s[8:9], s93, v13
	v_cmp_gt_u32_e64 s[10:11], s56, v16
	v_addc_co_u32_e32 v11, vcc, 0, v5, vcc
	v_writelane_b32 v42, s2, 42
	s_lshl_b32 s88, s57, 2
	v_lshlrev_b32_e32 v20, 2, v9
	v_mul_lo_u32 v21, s58, v2
	v_or_b32_e32 v22, 0xc00, v4
	s_mov_b32 s89, 6
	s_mov_b64 s[72:73], 0
	v_mov_b32_e32 v23, 0
	v_mov_b32_e32 v24, 0xc00
	;; [unrolled: 1-line block ×3, first 2 shown]
	s_mov_b32 s33, 0
	s_mov_b32 s13, 0
	s_mov_b32 s12, 0
	v_writelane_b32 v42, s3, 43
                                        ; implicit-def: $sgpr60_sgpr61
                                        ; implicit-def: $sgpr76_sgpr77
                                        ; implicit-def: $sgpr62_sgpr63
                                        ; implicit-def: $sgpr64_sgpr65
                                        ; implicit-def: $sgpr66_sgpr67
                                        ; implicit-def: $sgpr68_sgpr69
	s_branch .LBB74_12
.LBB74_8:                               ;   in Loop: Header=BB74_12 Depth=1
	s_xor_b32 s33, s33, 1
	s_add_i32 s0, s89, -2
	s_cmp_eq_u32 s89, 0
	s_mov_b64 s[16:17], 0
	s_cselect_b64 s[26:27], -1, 0
	s_mov_b32 s89, s0
.LBB74_9:                               ;   in Loop: Header=BB74_12 Depth=1
	s_andn2_b64 s[0:1], s[20:21], exec
	s_and_b64 s[2:3], s[16:17], exec
	s_or_b64 s[20:21], s[0:1], s[2:3]
	s_andn2_b64 s[22:23], s[22:23], exec
	s_andn2_b64 s[18:19], s[18:19], exec
	s_orn2_b64 s[16:17], s[26:27], exec
	s_mov_b32 s82, s35
.LBB74_10:                              ;   in Loop: Header=BB74_12 Depth=1
	s_or_b64 exec, exec, s[24:25]
	s_andn2_b64 s[0:1], s[68:69], exec
	s_and_b64 s[2:3], s[20:21], exec
	s_or_b64 s[68:69], s[0:1], s[2:3]
	s_andn2_b64 s[0:1], s[66:67], exec
	s_and_b64 s[2:3], s[22:23], exec
	s_or_b64 s[66:67], s[0:1], s[2:3]
	;; [unrolled: 3-line block ×3, first 2 shown]
	s_orn2_b64 s[16:17], s[16:17], exec
.LBB74_11:                              ;   in Loop: Header=BB74_12 Depth=1
	s_or_b64 exec, exec, s[14:15]
	s_and_b64 s[0:1], exec, s[16:17]
	s_or_b64 s[72:73], s[0:1], s[72:73]
	s_andn2_b64 s[0:1], s[62:63], exec
	s_and_b64 s[2:3], s[68:69], exec
	s_or_b64 s[62:63], s[0:1], s[2:3]
	s_andn2_b64 s[0:1], s[76:77], exec
	s_and_b64 s[2:3], s[66:67], exec
	;; [unrolled: 3-line block ×3, first 2 shown]
	v_mov_b32_e32 v2, s13
	s_or_b64 s[60:61], s[0:1], s[2:3]
	s_andn2_b64 exec, exec, s[72:73]
	s_cbranch_execz .LBB74_238
.LBB74_12:                              ; =>This Loop Header: Depth=1
                                        ;     Child Loop BB74_17 Depth 2
                                        ;     Child Loop BB74_35 Depth 2
	;; [unrolled: 1-line block ×17, first 2 shown]
	ds_read_b64 v[2:3], v23 offset:4104
	s_waitcnt lgkmcnt(0)
	v_readfirstlane_b32 s79, v2
	s_cmp_lg_u32 s79, 0
	s_cbranch_scc1 .LBB74_42
; %bb.13:                               ;   in Loop: Header=BB74_12 Depth=1
	v_readlane_b32 s0, v42, 26
	v_readlane_b32 s1, v42, 27
	s_and_b64 vcc, exec, s[0:1]
	s_cbranch_vccz .LBB74_25
; %bb.14:                               ;   in Loop: Header=BB74_12 Depth=1
	s_movk_i32 s0, 0xc01
	v_cmp_gt_u32_e32 vcc, s0, v3
	s_mov_b64 s[16:17], 0
	s_mov_b64 s[14:15], 0
	s_cbranch_vccz .LBB74_26
; %bb.15:                               ;   in Loop: Header=BB74_12 Depth=1
	v_readlane_b32 s0, v42, 28
	v_readlane_b32 s1, v42, 29
	s_nop 4
	global_load_ushort v2, v23, s[0:1]
	global_load_ubyte v4, v[6:7], off
	s_mov_b64 s[18:19], 0
	v_mov_b32_e32 v26, v0
	s_waitcnt vmcnt(1)
	v_add_u32_e32 v5, v0, v2
	v_mul_lo_u32 v3, s58, v2
	v_mul_lo_u32 v5, s58, v5
	s_branch .LBB74_17
.LBB74_16:                              ;   in Loop: Header=BB74_17 Depth=2
	s_or_b64 exec, exec, s[14:15]
	v_add_u32_e32 v5, v5, v3
	v_mov_b32_e32 v4, v27
	s_andn2_b64 exec, exec, s[18:19]
	s_cbranch_execz .LBB74_27
.LBB74_17:                              ;   Parent Loop BB74_12 Depth=1
                                        ; =>  This Inner Loop Header: Depth=2
	v_add_u32_e32 v26, v26, v2
	v_cmp_gt_u32_e64 s[14:15], s56, v26
	v_cmp_le_u32_e32 vcc, s56, v26
	s_waitcnt lgkmcnt(0)
	v_mov_b32_e32 v28, 0
	v_mov_b32_e32 v27, 0
	s_and_saveexec_b64 s[20:21], s[14:15]
	s_cbranch_execz .LBB74_19
; %bb.18:                               ;   in Loop: Header=BB74_17 Depth=2
	global_load_ubyte v27, v5, s[74:75]
.LBB74_19:                              ;   in Loop: Header=BB74_17 Depth=2
	s_or_b64 exec, exec, s[20:21]
	s_waitcnt vmcnt(0)
	v_and_b32_e32 v29, s12, v4
	v_cmp_eq_u32_sdwa s[20:21], v29, s13 src0_sel:BYTE_0 src1_sel:DWORD
	s_cmp_lg_u64 s[20:21], 0
	s_cselect_b64 s[0:1], -1, 0
	s_and_b64 s[0:1], s[4:5], s[0:1]
	s_and_saveexec_b64 s[22:23], s[0:1]
	s_cbranch_execz .LBB74_23
; %bb.20:                               ;   in Loop: Header=BB74_17 Depth=2
	s_mov_b64 s[26:27], exec
	v_mbcnt_lo_u32_b32 v28, s26, 0
	v_mbcnt_hi_u32_b32 v28, s27, v28
	s_bcnt1_i32_b64 s0, s[20:21]
	v_cmp_eq_u32_e64 s[14:15], 0, v28
                                        ; implicit-def: $vgpr29
	s_and_saveexec_b64 s[24:25], s[14:15]
	s_cbranch_execz .LBB74_22
; %bb.21:                               ;   in Loop: Header=BB74_17 Depth=2
	s_bcnt1_i32_b64 s1, s[26:27]
	s_mul_i32 s1, s0, s1
	v_mov_b32_e32 v29, s1
	ds_add_rtn_u32 v29, v23, v29 offset:4112
.LBB74_22:                              ;   in Loop: Header=BB74_17 Depth=2
	s_or_b64 exec, exec, s[24:25]
	s_waitcnt lgkmcnt(0)
	v_readfirstlane_b32 s1, v29
	v_mov_b32_e32 v29, s1
	v_mad_u32_u24 v28, s0, v28, v29
.LBB74_23:                              ;   in Loop: Header=BB74_17 Depth=2
	s_or_b64 exec, exec, s[22:23]
	ds_bpermute_b32 v28, v15, v28
	s_and_b64 s[0:1], exec, vcc
	s_or_b64 s[18:19], s[0:1], s[18:19]
	s_and_saveexec_b64 s[14:15], s[20:21]
	s_cbranch_execz .LBB74_16
; %bb.24:                               ;   in Loop: Header=BB74_17 Depth=2
	v_and_b32_e32 v30, s20, v8
	v_and_b32_e32 v29, s21, v1
	v_bcnt_u32_b32 v30, v30, 0
	v_bcnt_u32_b32 v29, v29, v30
	s_waitcnt lgkmcnt(0)
	v_add_u32_e32 v28, v28, v29
	ds_write_b8 v28, v4
	s_branch .LBB74_16
.LBB74_25:                              ;   in Loop: Header=BB74_12 Depth=1
	s_mov_b64 s[14:15], 0
                                        ; implicit-def: $sgpr79
	s_cbranch_execnz .LBB74_30
	s_branch .LBB74_40
.LBB74_26:                              ;   in Loop: Header=BB74_12 Depth=1
	s_mov_b32 s79, 0
	s_and_b64 vcc, exec, s[16:17]
	s_cbranch_vccnz .LBB74_30
	s_branch .LBB74_40
.LBB74_27:                              ;   in Loop: Header=BB74_12 Depth=1
	s_or_b64 exec, exec, s[18:19]
	s_waitcnt lgkmcnt(0)
	s_barrier
	s_mov_b64 s[14:15], exec
	v_readlane_b32 s0, v42, 6
	v_readlane_b32 s1, v42, 7
	s_and_b64 s[0:1], s[14:15], s[0:1]
	s_mov_b64 exec, s[0:1]
	s_cbranch_execz .LBB74_29
; %bb.28:                               ;   in Loop: Header=BB74_12 Depth=1
	ds_read_b32 v2, v23 offset:4112
	s_waitcnt lgkmcnt(0)
	ds_write_b32 v23, v2 offset:4104
.LBB74_29:                              ;   in Loop: Header=BB74_12 Depth=1
	s_or_b64 exec, exec, s[14:15]
	s_waitcnt lgkmcnt(0)
	s_barrier
	s_mov_b64 s[14:15], -1
	s_mov_b32 s79, 0
	s_and_b64 vcc, exec, s[16:17]
	s_cbranch_vccz .LBB74_40
.LBB74_30:                              ;   in Loop: Header=BB74_12 Depth=1
	v_mov_b32_e32 v2, 0
	s_mov_b64 s[14:15], exec
	v_readlane_b32 s0, v42, 23
	v_readlane_b32 s1, v42, 24
	s_and_b64 s[0:1], s[14:15], s[0:1]
	s_mov_b64 exec, s[0:1]
	s_cbranch_execz .LBB74_32
; %bb.31:                               ;   in Loop: Header=BB74_12 Depth=1
	global_load_ubyte v2, v[6:7], off
.LBB74_32:                              ;   in Loop: Header=BB74_12 Depth=1
	s_or_b64 exec, exec, s[14:15]
	s_mov_b64 s[16:17], exec
	v_readlane_b32 s0, v42, 23
	v_readlane_b32 s1, v42, 24
	s_and_b64 s[0:1], s[16:17], s[0:1]
	s_mov_b64 exec, s[0:1]
	s_cbranch_execz .LBB74_37
; %bb.33:                               ;   in Loop: Header=BB74_12 Depth=1
	v_readlane_b32 s0, v42, 28
	v_readlane_b32 s1, v42, 29
	s_mov_b64 s[18:19], 0
	v_mov_b32_e32 v26, v0
	s_nop 2
	global_load_ushort v3, v23, s[0:1]
	s_waitcnt vmcnt(0)
	v_add_u32_e32 v5, v0, v3
	v_mul_lo_u32 v4, s58, v3
	v_mul_lo_u32 v5, s58, v5
	s_branch .LBB74_35
.LBB74_34:                              ;   in Loop: Header=BB74_35 Depth=2
	s_or_b64 exec, exec, s[20:21]
	s_and_b64 s[0:1], exec, vcc
	s_or_b64 s[18:19], s[0:1], s[18:19]
	ds_write_b8 v26, v2
	v_add_u32_e32 v5, v5, v4
	s_waitcnt vmcnt(0)
	v_mov_b32_e32 v2, v28
	v_mov_b32_e32 v26, v27
	s_andn2_b64 exec, exec, s[18:19]
	s_cbranch_execz .LBB74_37
.LBB74_35:                              ;   Parent Loop BB74_12 Depth=1
                                        ; =>  This Inner Loop Header: Depth=2
	v_add_u32_e32 v27, v26, v3
	v_cmp_gt_u32_e64 s[14:15], s56, v27
	v_cmp_le_u32_e32 vcc, s56, v27
	v_mov_b32_e32 v28, 0
	s_and_saveexec_b64 s[20:21], s[14:15]
	s_cbranch_execz .LBB74_34
; %bb.36:                               ;   in Loop: Header=BB74_35 Depth=2
	global_load_ubyte v28, v5, s[74:75]
	s_branch .LBB74_34
.LBB74_37:                              ;   in Loop: Header=BB74_12 Depth=1
	s_or_b64 exec, exec, s[16:17]
	s_waitcnt lgkmcnt(0)
	s_barrier
	s_mov_b64 s[14:15], exec
	v_readlane_b32 s0, v42, 6
	v_readlane_b32 s1, v42, 7
	s_and_b64 s[0:1], s[14:15], s[0:1]
	s_mov_b64 exec, s[0:1]
	s_cbranch_execz .LBB74_39
; %bb.38:                               ;   in Loop: Header=BB74_12 Depth=1
	s_waitcnt vmcnt(0)
	v_mov_b32_e32 v2, s56
	ds_write_b32 v23, v2 offset:4104
.LBB74_39:                              ;   in Loop: Header=BB74_12 Depth=1
	s_or_b64 exec, exec, s[14:15]
	s_mov_b64 s[14:15], -1
	s_waitcnt lgkmcnt(0)
	s_barrier
                                        ; implicit-def: $sgpr79
.LBB74_40:                              ;   in Loop: Header=BB74_12 Depth=1
	s_and_b64 vcc, exec, s[14:15]
	s_cbranch_vccz .LBB74_42
; %bb.41:                               ;   in Loop: Header=BB74_12 Depth=1
	s_waitcnt vmcnt(0)
	ds_read_b32 v2, v23 offset:4104
	s_waitcnt lgkmcnt(0)
	v_readfirstlane_b32 s79, v2
.LBB74_42:                              ;   in Loop: Header=BB74_12 Depth=1
	s_cmp_lt_i32 s79, 1
	s_cbranch_scc0 .LBB74_46
; %bb.43:                               ;   in Loop: Header=BB74_12 Depth=1
	s_waitcnt vmcnt(0)
	v_mov_b32_e32 v2, 0
	s_mov_b32 s83, 0
	v_mov_b32_e32 v3, 0
	v_mov_b32_e32 v4, v2
	;; [unrolled: 1-line block ×3, first 2 shown]
	s_and_saveexec_b64 s[70:71], s[8:9]
	s_cbranch_execnz .LBB74_47
; %bb.44:                               ;   in Loop: Header=BB74_12 Depth=1
	s_or_b64 exec, exec, s[70:71]
	v_mov_b32_e32 v28, 0
	s_and_saveexec_b64 s[14:15], s[10:11]
	s_cbranch_execnz .LBB74_50
.LBB74_45:                              ;   in Loop: Header=BB74_12 Depth=1
	s_or_b64 exec, exec, s[14:15]
	s_and_saveexec_b64 s[16:17], s[10:11]
	s_cbranch_execnz .LBB74_51
	s_branch .LBB74_56
.LBB74_46:                              ;   in Loop: Header=BB74_12 Depth=1
                                        ; implicit-def: $vgpr5
	s_cbranch_execnz .LBB74_57
	s_branch .LBB74_66
.LBB74_47:                              ;   in Loop: Header=BB74_12 Depth=1
	s_and_b32 s2, s89, 0xfe
	s_mov_b64 s[90:91], 0
	s_mov_b32 s3, 0
	s_mov_b32 s0, 0
	;; [unrolled: 1-line block ×4, first 2 shown]
	v_mov_b32_e32 v26, v13
.LBB74_48:                              ;   Parent Loop BB74_12 Depth=1
                                        ; =>  This Inner Loop Header: Depth=2
	v_add_u32_e32 v2, s83, v20
	v_add_u32_e32 v3, s83, v17
	;; [unrolled: 1-line block ×4, first 2 shown]
	global_load_ubyte v2, v2, s[74:75]
	s_nop 0
	global_load_ubyte v3, v3, s[74:75]
	s_nop 0
	global_load_ubyte v4, v4, s[74:75]
	s_nop 0
	global_load_ubyte v5, v5, s[74:75]
	v_add_u32_e32 v26, s92, v26
	s_add_i32 s83, s83, s88
	v_cmp_le_u32_e32 vcc, s93, v26
	s_waitcnt vmcnt(3)
	v_and_b32_e32 v27, s12, v2
	v_bfe_u32 v2, v2, s2, 2
	s_waitcnt vmcnt(2)
	v_and_b32_e32 v28, s12, v3
	v_bfe_u32 v3, v3, s2, 2
	v_cmp_eq_u32_e64 s[14:15], s13, v27
	v_cmp_eq_u32_e64 s[22:23], 0, v2
	s_waitcnt vmcnt(1)
	v_and_b32_e32 v29, s12, v4
	v_bfe_u32 v4, v4, s2, 2
	v_cmp_eq_u32_e64 s[16:17], s13, v28
	v_cmp_eq_u32_e64 s[24:25], 0, v3
	s_and_b64 s[22:23], s[14:15], s[22:23]
	s_waitcnt vmcnt(0)
	v_and_b32_e32 v30, s12, v5
	v_bfe_u32 v5, v5, s2, 2
	v_cmp_eq_u32_e64 s[18:19], s13, v29
	v_cmp_eq_u32_e64 s[26:27], 0, v4
	;; [unrolled: 1-line block ×5, first 2 shown]
	v_cndmask_b32_e64 v2, 0, 1, s[22:23]
	s_and_b64 s[22:23], s[16:17], s[24:25]
	v_cmp_eq_u32_e64 s[20:21], s13, v30
	v_cmp_eq_u32_e64 s[28:29], 0, v5
	;; [unrolled: 1-line block ×5, first 2 shown]
	v_cndmask_b32_e64 v3, 0, 1, s[22:23]
	s_and_b64 s[22:23], s[18:19], s[26:27]
	v_cmp_eq_u32_e64 s[36:37], 1, v4
	v_cmp_eq_u32_e64 s[44:45], 2, v4
	;; [unrolled: 1-line block ×3, first 2 shown]
	v_cndmask_b32_e64 v4, 0, 1, s[22:23]
	s_and_b64 s[22:23], s[20:21], s[28:29]
	v_cmp_eq_u32_e64 s[38:39], 1, v5
	v_cmp_eq_u32_e64 s[46:47], 2, v5
	;; [unrolled: 1-line block ×3, first 2 shown]
	v_cndmask_b32_e64 v5, 0, 1, s[22:23]
	s_and_b64 s[22:23], s[14:15], s[30:31]
	v_cndmask_b32_e64 v27, 0, 1, s[22:23]
	s_and_b64 s[22:23], s[16:17], s[34:35]
	;; [unrolled: 2-line block ×5, first 2 shown]
	s_and_b64 s[14:15], s[14:15], s[48:49]
	v_cndmask_b32_e64 v31, 0, 1, s[22:23]
	s_and_b64 s[22:23], s[16:17], s[42:43]
	v_cndmask_b32_e64 v35, 0, 1, s[14:15]
	;; [unrolled: 2-line block ×7, first 2 shown]
	v_cndmask_b32_e64 v38, 0, 1, s[14:15]
	v_cmp_ne_u32_e64 s[14:15], 0, v2
	v_cmp_ne_u32_e64 s[16:17], 0, v3
	;; [unrolled: 1-line block ×11, first 2 shown]
	s_bcnt1_i32_b64 s14, s[14:15]
	s_bcnt1_i32_b64 s15, s[16:17]
	s_bcnt1_i32_b64 s16, s[18:19]
	s_bcnt1_i32_b64 s17, s[20:21]
	s_bcnt1_i32_b64 s18, s[22:23]
	s_bcnt1_i32_b64 s20, s[26:27]
	s_bcnt1_i32_b64 s22, s[30:31]
	s_bcnt1_i32_b64 s26, s[40:41]
	v_cmp_ne_u32_e64 s[28:29], 0, v30
	v_cmp_ne_u32_e64 s[36:37], 0, v33
	;; [unrolled: 1-line block ×3, first 2 shown]
	s_bcnt1_i32_b64 s19, s[24:25]
	s_bcnt1_i32_b64 s23, s[34:35]
	;; [unrolled: 1-line block ×3, first 2 shown]
	s_add_i32 s14, s94, s14
	s_add_i32 s1, s1, s18
	;; [unrolled: 1-line block ×4, first 2 shown]
	v_cmp_ne_u32_e64 s[38:39], 0, v34
	v_cmp_ne_u32_e64 s[46:47], 0, v38
	s_bcnt1_i32_b64 s21, s[28:29]
	s_bcnt1_i32_b64 s24, s[36:37]
	;; [unrolled: 1-line block ×3, first 2 shown]
	s_add_i32 s14, s14, s15
	s_add_i32 s1, s1, s19
	;; [unrolled: 1-line block ×4, first 2 shown]
	s_bcnt1_i32_b64 s25, s[38:39]
	s_bcnt1_i32_b64 s29, s[46:47]
	s_add_i32 s14, s14, s16
	s_add_i32 s1, s1, s20
	;; [unrolled: 1-line block ×8, first 2 shown]
	s_or_b64 s[90:91], vcc, s[90:91]
	v_mov_b32_e32 v2, s94
	v_mov_b32_e32 v3, s1
	;; [unrolled: 1-line block ×4, first 2 shown]
	s_andn2_b64 exec, exec, s[90:91]
	s_cbranch_execnz .LBB74_48
; %bb.49:                               ;   in Loop: Header=BB74_12 Depth=1
	s_or_b64 exec, exec, s[90:91]
	s_or_b64 exec, exec, s[70:71]
	v_mov_b32_e32 v28, 0
	s_and_saveexec_b64 s[14:15], s[10:11]
	s_cbranch_execz .LBB74_45
.LBB74_50:                              ;   in Loop: Header=BB74_12 Depth=1
	global_load_ubyte v28, v[10:11], off
	s_or_b64 exec, exec, s[14:15]
	s_and_saveexec_b64 s[16:17], s[10:11]
	s_cbranch_execz .LBB74_56
.LBB74_51:                              ;   in Loop: Header=BB74_12 Depth=1
	s_and_b32 s0, s89, 0xfe
	s_mov_b64 s[18:19], 0
	v_mov_b32_e32 v26, v21
	v_mov_b32_e32 v27, v16
	s_branch .LBB74_53
.LBB74_52:                              ;   in Loop: Header=BB74_53 Depth=2
	s_or_b64 exec, exec, s[20:21]
	s_waitcnt vmcnt(0)
	v_and_b32_e32 v28, 0xff, v28
	s_and_b64 s[2:3], exec, vcc
	v_and_b32_e32 v30, s12, v28
	v_bfe_u32 v28, v28, s0, 2
	s_or_b64 s[18:19], s[2:3], s[18:19]
	v_cmp_eq_u32_e32 vcc, s13, v30
	v_cmp_eq_u32_e64 s[14:15], 0, v28
	s_and_b64 s[2:3], vcc, s[14:15]
	v_cndmask_b32_e64 v30, 0, 1, s[2:3]
	v_cmp_ne_u32_e64 s[14:15], 0, v30
	s_bcnt1_i32_b64 s1, s[14:15]
	v_cmp_eq_u32_e64 s[14:15], 1, v28
	s_and_b64 s[2:3], vcc, s[14:15]
	v_cndmask_b32_e64 v30, 0, 1, s[2:3]
	v_cmp_ne_u32_e64 s[14:15], 0, v30
	v_add_u32_e32 v2, s1, v2
	s_bcnt1_i32_b64 s1, s[14:15]
	v_cmp_eq_u32_e64 s[14:15], 2, v28
	s_and_b64 s[2:3], vcc, s[14:15]
	v_cndmask_b32_e64 v30, 0, 1, s[2:3]
	v_cmp_ne_u32_e64 s[14:15], 0, v30
	v_add_u32_e32 v3, s1, v3
	s_bcnt1_i32_b64 s1, s[14:15]
	v_cmp_eq_u32_e64 s[14:15], 3, v28
	s_and_b64 s[2:3], vcc, s[14:15]
	v_cndmask_b32_e64 v28, 0, 1, s[2:3]
	v_cmp_ne_u32_e32 vcc, 0, v28
	v_add_u32_e32 v4, s1, v4
	s_bcnt1_i32_b64 s1, vcc
	v_add_u32_e32 v5, s1, v5
	v_add_u32_e32 v26, s57, v26
	v_mov_b32_e32 v28, v29
	s_andn2_b64 exec, exec, s[18:19]
	s_cbranch_execz .LBB74_55
.LBB74_53:                              ;   Parent Loop BB74_12 Depth=1
                                        ; =>  This Inner Loop Header: Depth=2
	v_add_u32_e32 v27, s59, v27
	v_cmp_gt_u32_e64 s[14:15], s56, v27
	v_cmp_le_u32_e32 vcc, s56, v27
	v_mov_b32_e32 v29, 0
	s_and_saveexec_b64 s[20:21], s[14:15]
	s_cbranch_execz .LBB74_52
; %bb.54:                               ;   in Loop: Header=BB74_53 Depth=2
	global_load_ubyte v29, v26, s[74:75]
	s_branch .LBB74_52
.LBB74_55:                              ;   in Loop: Header=BB74_12 Depth=1
	s_or_b64 exec, exec, s[18:19]
.LBB74_56:                              ;   in Loop: Header=BB74_12 Depth=1
	s_or_b64 exec, exec, s[16:17]
	s_branch .LBB74_66
.LBB74_57:                              ;   in Loop: Header=BB74_12 Depth=1
	s_mul_hi_u32 s0, s79, s95
	s_mul_i32 s0, s0, s92
	s_sub_i32 s0, s79, s0
	s_sub_i32 s1, s0, s92
	s_cmp_ge_u32 s0, s92
	s_cselect_b32 s0, s1, s0
	s_sub_i32 s1, s0, s92
	s_cmp_ge_u32 s0, s92
	s_cselect_b32 s0, s1, s0
	s_sub_i32 s83, s79, s0
	v_cmp_gt_u32_e32 vcc, s83, v13
	s_mov_b32 s3, 0
	s_waitcnt vmcnt(0)
	v_mov_b32_e32 v2, 0
	v_mov_b32_e32 v3, 0
	;; [unrolled: 1-line block ×4, first 2 shown]
	s_and_saveexec_b64 s[70:71], vcc
	s_cbranch_execz .LBB74_61
; %bb.58:                               ;   in Loop: Header=BB74_12 Depth=1
	s_and_b32 s2, s89, 0xfe
	s_mov_b64 s[90:91], 0
	s_mov_b32 s0, 0
	s_mov_b32 s1, 0
	;; [unrolled: 1-line block ×3, first 2 shown]
	v_mov_b32_e32 v26, v13
.LBB74_59:                              ;   Parent Loop BB74_12 Depth=1
                                        ; =>  This Inner Loop Header: Depth=2
	ds_read_b32 v2, v26
	v_add_u32_e32 v26, s92, v26
	v_cmp_le_u32_e32 vcc, s83, v26
	s_waitcnt lgkmcnt(0)
	v_and_b32_e32 v4, 0xff, v2
	v_bfe_u32 v5, v2, 8, 8
	v_and_b32_e32 v27, s12, v4
	v_bfe_u32 v4, v4, s2, 2
	v_lshrrev_b32_e32 v3, 24, v2
	v_bfe_u32 v2, v2, 16, 8
	v_and_b32_e32 v28, s12, v5
	v_bfe_u32 v5, v5, s2, 2
	v_cmp_eq_u32_e64 s[14:15], s13, v27
	v_cmp_eq_u32_e64 s[22:23], 0, v4
	v_and_b32_e32 v29, s12, v2
	v_bfe_u32 v2, v2, s2, 2
	v_cmp_eq_u32_e64 s[16:17], s13, v28
	v_cmp_eq_u32_e64 s[24:25], 0, v5
	s_and_b64 s[22:23], s[14:15], s[22:23]
	v_and_b32_e32 v30, s12, v3
	v_bfe_u32 v3, v3, s2, 2
	v_cmp_eq_u32_e64 s[18:19], s13, v29
	v_cmp_eq_u32_e64 s[26:27], 0, v2
	;; [unrolled: 1-line block ×5, first 2 shown]
	v_cndmask_b32_e64 v2, 0, 1, s[22:23]
	s_and_b64 s[22:23], s[16:17], s[24:25]
	v_cmp_eq_u32_e64 s[20:21], s13, v30
	v_cmp_eq_u32_e64 s[28:29], 0, v3
	;; [unrolled: 1-line block ×5, first 2 shown]
	v_cndmask_b32_e64 v3, 0, 1, s[22:23]
	s_and_b64 s[22:23], s[18:19], s[26:27]
	v_cmp_eq_u32_e64 s[30:31], 1, v4
	v_cmp_eq_u32_e64 s[40:41], 2, v4
	;; [unrolled: 1-line block ×3, first 2 shown]
	v_cndmask_b32_e64 v4, 0, 1, s[22:23]
	s_and_b64 s[22:23], s[20:21], s[28:29]
	v_cmp_eq_u32_e64 s[34:35], 1, v5
	v_cmp_eq_u32_e64 s[42:43], 2, v5
	;; [unrolled: 1-line block ×3, first 2 shown]
	v_cndmask_b32_e64 v5, 0, 1, s[22:23]
	s_and_b64 s[22:23], s[14:15], s[30:31]
	v_cndmask_b32_e64 v27, 0, 1, s[22:23]
	s_and_b64 s[22:23], s[16:17], s[34:35]
	v_cndmask_b32_e64 v28, 0, 1, s[22:23]
	s_and_b64 s[22:23], s[18:19], s[36:37]
	v_cndmask_b32_e64 v29, 0, 1, s[22:23]
	s_and_b64 s[22:23], s[20:21], s[38:39]
	v_cndmask_b32_e64 v30, 0, 1, s[22:23]
	s_and_b64 s[22:23], s[14:15], s[40:41]
	s_and_b64 s[14:15], s[14:15], s[48:49]
	v_cndmask_b32_e64 v31, 0, 1, s[22:23]
	s_and_b64 s[22:23], s[16:17], s[42:43]
	v_cndmask_b32_e64 v35, 0, 1, s[14:15]
	;; [unrolled: 2-line block ×7, first 2 shown]
	v_cndmask_b32_e64 v38, 0, 1, s[14:15]
	v_cmp_ne_u32_e64 s[14:15], 0, v2
	v_cmp_ne_u32_e64 s[16:17], 0, v3
	;; [unrolled: 1-line block ×11, first 2 shown]
	s_bcnt1_i32_b64 s14, s[14:15]
	s_bcnt1_i32_b64 s15, s[16:17]
	;; [unrolled: 1-line block ×8, first 2 shown]
	v_cmp_ne_u32_e64 s[28:29], 0, v30
	v_cmp_ne_u32_e64 s[36:37], 0, v33
	;; [unrolled: 1-line block ×3, first 2 shown]
	s_bcnt1_i32_b64 s19, s[24:25]
	s_bcnt1_i32_b64 s23, s[34:35]
	;; [unrolled: 1-line block ×3, first 2 shown]
	s_add_i32 s14, s94, s14
	s_add_i32 s1, s1, s18
	;; [unrolled: 1-line block ×4, first 2 shown]
	v_cmp_ne_u32_e64 s[38:39], 0, v34
	v_cmp_ne_u32_e64 s[46:47], 0, v38
	s_bcnt1_i32_b64 s21, s[28:29]
	s_bcnt1_i32_b64 s24, s[36:37]
	s_bcnt1_i32_b64 s28, s[44:45]
	s_add_i32 s14, s14, s15
	s_add_i32 s1, s1, s19
	;; [unrolled: 1-line block ×4, first 2 shown]
	s_bcnt1_i32_b64 s25, s[38:39]
	s_bcnt1_i32_b64 s29, s[46:47]
	s_add_i32 s14, s14, s16
	s_add_i32 s1, s1, s20
	;; [unrolled: 1-line block ×8, first 2 shown]
	s_or_b64 s[90:91], vcc, s[90:91]
	v_mov_b32_e32 v2, s94
	v_mov_b32_e32 v3, s1
	;; [unrolled: 1-line block ×4, first 2 shown]
	s_andn2_b64 exec, exec, s[90:91]
	s_cbranch_execnz .LBB74_59
; %bb.60:                               ;   in Loop: Header=BB74_12 Depth=1
	s_or_b64 exec, exec, s[90:91]
.LBB74_61:                              ;   in Loop: Header=BB74_12 Depth=1
	s_or_b64 exec, exec, s[70:71]
	v_add_u32_e32 v26, s83, v0
	v_cmp_gt_u32_e32 vcc, s79, v26
	s_and_saveexec_b64 s[24:25], vcc
	s_cbranch_execz .LBB74_65
; %bb.62:                               ;   in Loop: Header=BB74_12 Depth=1
	s_and_b32 s0, s89, 0xfe
	s_mov_b64 s[26:27], 0
.LBB74_63:                              ;   Parent Loop BB74_12 Depth=1
                                        ; =>  This Inner Loop Header: Depth=2
	ds_read_u8 v27, v26
	v_add_u32_e32 v26, s59, v26
	v_cmp_le_u32_e32 vcc, s79, v26
	s_waitcnt lgkmcnt(0)
	v_and_b32_e32 v28, s12, v27
	v_bfe_u32 v27, v27, s0, 2
	v_cmp_eq_u32_e64 s[14:15], s13, v28
	v_cmp_eq_u32_e64 s[16:17], 0, v27
	;; [unrolled: 1-line block ×3, first 2 shown]
	s_and_b64 s[2:3], s[14:15], s[16:17]
	v_cmp_eq_u32_e64 s[20:21], 2, v27
	v_cmp_eq_u32_e64 s[22:23], 3, v27
	v_cndmask_b32_e64 v27, 0, 1, s[2:3]
	s_and_b64 s[2:3], s[14:15], s[18:19]
	v_cndmask_b32_e64 v28, 0, 1, s[2:3]
	s_and_b64 s[2:3], s[14:15], s[20:21]
	;; [unrolled: 2-line block ×3, first 2 shown]
	v_cndmask_b32_e64 v30, 0, 1, s[2:3]
	v_cmp_ne_u32_e64 s[14:15], 0, v27
	v_cmp_ne_u32_e64 s[16:17], 0, v28
	v_cmp_ne_u32_e64 s[18:19], 0, v29
	v_cmp_ne_u32_e64 s[20:21], 0, v30
	s_bcnt1_i32_b64 s1, s[14:15]
	s_bcnt1_i32_b64 s2, s[16:17]
	s_bcnt1_i32_b64 s3, s[18:19]
	s_bcnt1_i32_b64 s14, s[20:21]
	v_add_u32_e32 v2, s1, v2
	v_add_u32_e32 v3, s2, v3
	;; [unrolled: 1-line block ×3, first 2 shown]
	s_or_b64 s[26:27], vcc, s[26:27]
	v_add_u32_e32 v5, s14, v5
	s_andn2_b64 exec, exec, s[26:27]
	s_cbranch_execnz .LBB74_63
; %bb.64:                               ;   in Loop: Header=BB74_12 Depth=1
	s_or_b64 exec, exec, s[26:27]
.LBB74_65:                              ;   in Loop: Header=BB74_12 Depth=1
	s_or_b64 exec, exec, s[24:25]
.LBB74_66:                              ;   in Loop: Header=BB74_12 Depth=1
	s_lshl_b32 s0, s33, 6
	s_and_saveexec_b64 s[14:15], s[4:5]
	s_cbranch_execz .LBB74_68
; %bb.67:                               ;   in Loop: Header=BB74_12 Depth=1
	v_or_b32_e32 v26, s0, v14
	v_lshlrev_b32_e32 v26, 2, v26
	s_waitcnt vmcnt(0)
	ds_write_b128 v26, v[2:5] offset:3072
.LBB74_68:                              ;   in Loop: Header=BB74_12 Depth=1
	s_or_b64 exec, exec, s[14:15]
	s_waitcnt lgkmcnt(0)
	s_barrier
	s_and_saveexec_b64 s[14:15], s[80:81]
	s_cbranch_execz .LBB74_82
; %bb.69:                               ;   in Loop: Header=BB74_12 Depth=1
	v_add_u32_e32 v4, s0, v12
	s_andn2_b64 vcc, exec, s[84:85]
	s_waitcnt vmcnt(0)
	v_mov_b32_e32 v2, 0
	s_cbranch_vccnz .LBB74_81
; %bb.70:                               ;   in Loop: Header=BB74_12 Depth=1
	v_readlane_b32 s2, v42, 30
	v_readlane_b32 s3, v42, 31
	s_mov_b32 s1, 0
	s_and_b64 vcc, exec, s[2:3]
	v_mov_b32_e32 v2, 0
	s_cbranch_vccz .LBB74_74
; %bb.71:                               ;   in Loop: Header=BB74_12 Depth=1
	v_readlane_b32 s2, v42, 32
	v_readlane_b32 s3, v42, 33
	v_lshl_add_u32 v5, v4, 2, v24
	s_andn2_b64 vcc, exec, s[2:3]
	s_cbranch_vccnz .LBB74_75
; %bb.72:                               ;   in Loop: Header=BB74_12 Depth=1
	s_mov_b32 s17, 1
	s_mov_b32 s16, 0
	v_mov_b32_e32 v2, 0
	v_readlane_b32 s1, v42, 34
	v_mov_b32_e32 v3, 0
.LBB74_73:                              ;   Parent Loop BB74_12 Depth=1
                                        ; =>  This Inner Loop Header: Depth=2
	v_lshl_add_u32 v38, s16, 4, v5
	v_lshl_add_u32 v40, s17, 4, v5
	ds_read2_b32 v[26:27], v38 offset1:8
	ds_read2_b32 v[28:29], v40 offset1:8
	ds_read2_b32 v[30:31], v38 offset0:16 offset1:24
	ds_read2_b32 v[32:33], v40 offset0:16 offset1:24
	;; [unrolled: 1-line block ×6, first 2 shown]
	s_waitcnt lgkmcnt(7)
	v_add3_u32 v2, v26, v2, v27
	s_waitcnt lgkmcnt(6)
	v_add3_u32 v3, v28, v3, v29
	;; [unrolled: 2-line block ×3, first 2 shown]
	v_add3_u32 v2, v30, v2, v31
	s_add_i32 s17, s17, 16
	s_add_i32 s16, s16, 16
	s_add_i32 s1, s1, -8
	s_waitcnt lgkmcnt(3)
	v_add3_u32 v2, v34, v2, v35
	s_waitcnt lgkmcnt(2)
	v_add3_u32 v3, v36, v3, v37
	s_cmp_lg_u32 s1, 0
	s_waitcnt lgkmcnt(0)
	v_add3_u32 v3, v40, v3, v41
	v_add3_u32 v2, v38, v2, v39
	s_cbranch_scc1 .LBB74_73
	s_branch .LBB74_76
.LBB74_74:                              ;   in Loop: Header=BB74_12 Depth=1
	s_cbranch_execnz .LBB74_79
	s_branch .LBB74_81
.LBB74_75:                              ;   in Loop: Header=BB74_12 Depth=1
	s_mov_b32 s79, s78
	v_pk_mov_b32 v[2:3], s[78:79], s[78:79] op_sel:[0,1]
	s_mov_b32 s79, 1
	s_mov_b64 s[16:17], s[78:79]
.LBB74_76:                              ;   in Loop: Header=BB74_12 Depth=1
	v_readlane_b32 s2, v42, 36
	v_readlane_b32 s3, v42, 37
	s_andn2_b64 vcc, exec, s[2:3]
	v_readlane_b32 s1, v42, 35
	s_cbranch_vccnz .LBB74_78
.LBB74_77:                              ;   Parent Loop BB74_12 Depth=1
                                        ; =>  This Inner Loop Header: Depth=2
	v_lshl_add_u32 v26, s16, 4, v5
	v_lshl_add_u32 v27, s17, 4, v5
	ds_read_b32 v27, v27
	ds_read_b32 v26, v26
	s_add_i32 s17, s17, 2
	s_add_i32 s16, s16, 2
	s_add_i32 s1, s1, -1
	s_cmp_lg_u32 s1, 0
	s_waitcnt lgkmcnt(1)
	v_add_u32_e32 v3, v27, v3
	s_waitcnt lgkmcnt(0)
	v_add_u32_e32 v2, v26, v2
	s_cbranch_scc1 .LBB74_77
.LBB74_78:                              ;   in Loop: Header=BB74_12 Depth=1
	v_readlane_b32 s16, v42, 40
	v_add_u32_e32 v2, v2, v3
	v_readlane_b32 s1, v42, 39
	v_readlane_b32 s17, v42, 41
	s_and_b64 vcc, exec, s[16:17]
	s_cbranch_vccz .LBB74_81
.LBB74_79:                              ;   in Loop: Header=BB74_12 Depth=1
	s_lshl_b32 s2, s33, 8
	s_lshl_b32 s3, s1, 4
	s_add_i32 s2, s2, s3
	v_add_u32_e32 v3, s2, v22
	v_readlane_b32 s2, v42, 38
	s_sub_i32 s1, s2, s1
.LBB74_80:                              ;   Parent Loop BB74_12 Depth=1
                                        ; =>  This Inner Loop Header: Depth=2
	ds_read_b32 v5, v3
	s_add_i32 s1, s1, -1
	v_add_u32_e32 v3, 16, v3
	s_cmp_eq_u32 s1, 0
	s_waitcnt lgkmcnt(0)
	v_add_u32_e32 v2, v5, v2
	s_cbranch_scc0 .LBB74_80
.LBB74_81:                              ;   in Loop: Header=BB74_12 Depth=1
	v_lshlrev_b32_e32 v3, 2, v4
	ds_write_b32 v3, v2 offset:3072
.LBB74_82:                              ;   in Loop: Header=BB74_12 Depth=1
	s_or_b64 exec, exec, s[14:15]
	s_lshl_b32 s0, s0, 2
	s_waitcnt vmcnt(0)
	v_mov_b32_e32 v2, s0
	s_waitcnt lgkmcnt(0)
	s_barrier
	ds_read_b128 v[2:5], v2 offset:3072
	s_and_b32 s43, s89, 0xfe
	s_lshl_b32 s51, 3, s43
	s_not_b32 s44, s51
	s_mov_b64 s[16:17], -1
	s_waitcnt lgkmcnt(0)
	v_readfirstlane_b32 s26, v2
	s_cmp_eq_u32 s26, 1
	s_cselect_b64 s[0:1], -1, 0
	s_cmp_eq_u32 s82, 1
	s_cselect_b64 s[2:3], -1, 0
	s_and_b64 s[18:19], s[0:1], s[2:3]
	v_readfirstlane_b32 s34, v3
	v_readfirstlane_b32 s42, v4
	;; [unrolled: 1-line block ×3, first 2 shown]
	s_and_b64 vcc, exec, s[18:19]
	s_cbranch_vccz .LBB74_93
; %bb.83:                               ;   in Loop: Header=BB74_12 Depth=1
	ds_read_b32 v2, v23 offset:4104
	s_waitcnt lgkmcnt(0)
	s_barrier
	v_readfirstlane_b32 s0, v2
	s_and_saveexec_b64 s[14:15], s[6:7]
	s_cbranch_execz .LBB74_85
; %bb.84:                               ;   in Loop: Header=BB74_12 Depth=1
	ds_write_b8 v0, v23 offset:3072
.LBB74_85:                              ;   in Loop: Header=BB74_12 Depth=1
	s_or_b64 exec, exec, s[14:15]
	s_and_b32 s13, s13, s44
	s_or_b32 s12, s12, s51
	s_cmp_eq_u32 s0, 0
	s_waitcnt lgkmcnt(0)
	s_barrier
	s_cbranch_scc1 .LBB74_94
; %bb.86:                               ;   in Loop: Header=BB74_12 Depth=1
	v_readlane_b32 s1, v42, 25
	s_add_i32 s1, s0, s1
	s_mul_hi_u32 s2, s1, s86
	s_mul_i32 s2, s2, s59
	s_sub_i32 s2, s1, s2
	s_sub_i32 s3, s2, s59
	s_cmp_ge_u32 s2, s59
	s_cselect_b32 s2, s3, s2
	s_sub_i32 s3, s2, s59
	s_cmp_ge_u32 s2, s59
	s_cselect_b32 s2, s3, s2
	s_sub_i32 s1, s1, s2
	v_cmp_gt_u32_e32 vcc, s1, v0
	s_mov_b64 s[20:21], 0
                                        ; implicit-def: $vgpr25
	s_and_saveexec_b64 s[14:15], vcc
	s_cbranch_execz .LBB74_96
; %bb.87:                               ;   in Loop: Header=BB74_12 Depth=1
	v_mov_b32_e32 v2, v0
                                        ; implicit-def: $sgpr22_sgpr23
	s_branch .LBB74_89
.LBB74_88:                              ;   in Loop: Header=BB74_89 Depth=2
	s_or_b64 exec, exec, s[24:25]
	s_waitcnt lgkmcnt(0)
	s_barrier
	ds_read_u16 v3, v23 offset:3072
	v_add_u32_e32 v2, s59, v2
	v_cmp_le_u32_e32 vcc, s1, v2
	s_waitcnt lgkmcnt(0)
	s_barrier
	v_cmp_ne_u16_sdwa s[2:3], v3, v23 src0_sel:BYTE_0 src1_sel:DWORD
	s_or_b64 s[24:25], vcc, s[2:3]
	s_and_b64 s[24:25], exec, s[24:25]
	s_or_b64 s[20:21], s[24:25], s[20:21]
	s_andn2_b64 s[22:23], s[22:23], exec
	s_and_b64 s[2:3], s[2:3], exec
	s_or_b64 s[22:23], s[22:23], s[2:3]
	s_andn2_b64 exec, exec, s[20:21]
	s_cbranch_execz .LBB74_95
.LBB74_89:                              ;   Parent Loop BB74_12 Depth=1
                                        ; =>  This Inner Loop Header: Depth=2
	v_cmp_gt_u32_e32 vcc, s0, v2
	v_mov_b32_e32 v3, 0
	s_and_saveexec_b64 s[24:25], vcc
	s_cbranch_execz .LBB74_91
; %bb.90:                               ;   in Loop: Header=BB74_89 Depth=2
	ds_read_u8 v3, v2
.LBB74_91:                              ;   in Loop: Header=BB74_89 Depth=2
	s_or_b64 exec, exec, s[24:25]
	s_waitcnt lgkmcnt(0)
	v_and_b32_e32 v4, s12, v3
	v_cmp_eq_u32_sdwa s[2:3], v4, s13 src0_sel:BYTE_0 src1_sel:DWORD
	s_and_b64 s[2:3], vcc, s[2:3]
	s_and_saveexec_b64 s[24:25], s[2:3]
	s_cbranch_execz .LBB74_88
; %bb.92:                               ;   in Loop: Header=BB74_89 Depth=2
	v_lshlrev_b16_e32 v3, 8, v3
	v_or_b32_e32 v3, 1, v3
	ds_write_b16 v23, v3 offset:3072
	s_branch .LBB74_88
.LBB74_93:                              ;   in Loop: Header=BB74_12 Depth=1
	s_mov_b64 s[20:21], -1
                                        ; implicit-def: $sgpr14_sgpr15
                                        ; implicit-def: $sgpr24_sgpr25
                                        ; implicit-def: $sgpr22_sgpr23
	s_branch .LBB74_106
.LBB74_94:                              ;   in Loop: Header=BB74_12 Depth=1
	s_mov_b64 s[14:15], -1
	s_mov_b64 s[20:21], 0
                                        ; implicit-def: $sgpr22_sgpr23
                                        ; implicit-def: $vgpr25
	s_mov_b64 s[24:25], s[14:15]
	s_cbranch_execnz .LBB74_97
	s_branch .LBB74_106
.LBB74_95:                              ;   in Loop: Header=BB74_12 Depth=1
	s_or_b64 exec, exec, s[20:21]
	v_lshrrev_b16_e32 v25, 8, v3
	s_and_b64 s[20:21], s[22:23], exec
.LBB74_96:                              ;   in Loop: Header=BB74_12 Depth=1
	s_or_b64 exec, exec, s[14:15]
	s_mov_b64 s[22:23], -1
	s_mov_b64 s[14:15], 0
	s_mov_b64 s[24:25], s[14:15]
	s_branch .LBB74_106
.LBB74_97:                              ;   in Loop: Header=BB74_12 Depth=1
	s_mov_b64 s[20:21], 0
                                        ; implicit-def: $vgpr25
	s_mov_b64 s[14:15], exec
	v_readlane_b32 s0, v42, 42
	v_readlane_b32 s1, v42, 43
	s_and_b64 s[0:1], s[14:15], s[0:1]
	s_mov_b64 exec, s[0:1]
	s_cbranch_execz .LBB74_105
; %bb.98:                               ;   in Loop: Header=BB74_12 Depth=1
	v_mov_b32_e32 v2, v9
	v_mov_b32_e32 v3, v0
                                        ; implicit-def: $sgpr22_sgpr23
	s_branch .LBB74_100
.LBB74_99:                              ;   in Loop: Header=BB74_100 Depth=2
	s_or_b64 exec, exec, s[24:25]
	s_waitcnt lgkmcnt(0)
	s_barrier
	ds_read_u16 v4, v23 offset:3072
	v_add_u32_e32 v3, s59, v3
	v_cmp_le_u32_e32 vcc, s87, v3
	v_add_u32_e32 v2, s57, v2
	s_waitcnt lgkmcnt(0)
	v_cmp_ne_u16_sdwa s[0:1], v4, v23 src0_sel:BYTE_0 src1_sel:DWORD
	s_or_b64 s[2:3], vcc, s[0:1]
	s_and_b64 s[2:3], exec, s[2:3]
	s_or_b64 s[20:21], s[2:3], s[20:21]
	s_andn2_b64 s[2:3], s[22:23], exec
	s_and_b64 s[0:1], s[0:1], exec
	s_or_b64 s[22:23], s[2:3], s[0:1]
	s_barrier
	s_andn2_b64 exec, exec, s[20:21]
	s_cbranch_execz .LBB74_104
.LBB74_100:                             ;   Parent Loop BB74_12 Depth=1
                                        ; =>  This Inner Loop Header: Depth=2
	v_cmp_gt_u32_e32 vcc, s56, v3
	v_mov_b32_e32 v4, 0
	s_and_saveexec_b64 s[24:25], vcc
	s_cbranch_execz .LBB74_102
; %bb.101:                              ;   in Loop: Header=BB74_100 Depth=2
	global_load_ubyte v4, v2, s[74:75]
.LBB74_102:                             ;   in Loop: Header=BB74_100 Depth=2
	s_or_b64 exec, exec, s[24:25]
	s_waitcnt vmcnt(0)
	v_and_b32_e32 v5, s12, v4
	v_cmp_eq_u32_sdwa s[0:1], v5, s13 src0_sel:BYTE_0 src1_sel:DWORD
	s_and_b64 s[0:1], vcc, s[0:1]
	s_and_saveexec_b64 s[24:25], s[0:1]
	s_cbranch_execz .LBB74_99
; %bb.103:                              ;   in Loop: Header=BB74_100 Depth=2
	v_lshlrev_b16_e32 v4, 8, v4
	v_or_b32_e32 v4, 1, v4
	ds_write_b16 v23, v4 offset:3072
	s_branch .LBB74_99
.LBB74_104:                             ;   in Loop: Header=BB74_12 Depth=1
	s_or_b64 exec, exec, s[20:21]
	v_lshrrev_b16_e32 v25, 8, v4
	s_and_b64 s[20:21], s[22:23], exec
.LBB74_105:                             ;   in Loop: Header=BB74_12 Depth=1
	s_or_b64 exec, exec, s[14:15]
	s_mov_b64 s[24:25], -1
	s_mov_b64 s[14:15], 0
	s_mov_b64 s[22:23], 0
.LBB74_106:                             ;   in Loop: Header=BB74_12 Depth=1
	s_andn2_b64 s[0:1], s[68:69], exec
	s_and_b64 s[2:3], s[14:15], exec
	s_or_b64 s[68:69], s[0:1], s[2:3]
	s_andn2_b64 s[0:1], s[66:67], exec
	s_and_b64 s[2:3], s[24:25], exec
	s_or_b64 s[66:67], s[0:1], s[2:3]
	;; [unrolled: 3-line block ×3, first 2 shown]
	s_and_saveexec_b64 s[14:15], s[20:21]
	s_cbranch_execz .LBB74_11
; %bb.107:                              ;   in Loop: Header=BB74_12 Depth=1
	s_xor_b64 s[0:1], s[18:19], -1
	s_mov_b64 s[20:21], 0
	s_andn2_b64 vcc, exec, s[0:1]
	s_mov_b32 s35, 1
	s_cbranch_vccnz .LBB74_118
; %bb.108:                              ;   in Loop: Header=BB74_12 Depth=1
	s_cmp_gt_u32 s82, s26
	s_mov_b64 s[20:21], -1
                                        ; implicit-def: $sgpr53
                                        ; implicit-def: $sgpr0
                                        ; implicit-def: $sgpr1
	s_cbranch_scc1 .LBB74_114
; %bb.109:                              ;   in Loop: Header=BB74_12 Depth=1
	ds_read_b32 v2, v23 offset:4104
	s_waitcnt lgkmcnt(0)
	v_cmp_ne_u32_e32 vcc, 0, v2
	s_cbranch_vccnz .LBB74_113
; %bb.110:                              ;   in Loop: Header=BB74_12 Depth=1
	s_mov_b64 s[16:17], exec
	v_readlane_b32 s0, v42, 6
	v_readlane_b32 s1, v42, 7
	s_and_b64 s[0:1], s[16:17], s[0:1]
	s_mov_b64 exec, s[0:1]
	s_cbranch_execz .LBB74_112
; %bb.111:                              ;   in Loop: Header=BB74_12 Depth=1
	v_mov_b32_e32 v2, s26
	ds_write_b32 v23, v2 offset:4108
.LBB74_112:                             ;   in Loop: Header=BB74_12 Depth=1
	s_or_b64 exec, exec, s[16:17]
	s_waitcnt lgkmcnt(0)
	s_barrier
.LBB74_113:                             ;   in Loop: Header=BB74_12 Depth=1
	s_and_b32 s0, s13, s44
	s_or_b32 s1, s12, s51
	s_mov_b64 s[20:21], 0
	s_mov_b32 s53, 8
.LBB74_114:                             ;   in Loop: Header=BB74_12 Depth=1
	s_andn2_b64 vcc, exec, s[20:21]
	s_cbranch_vccnz .LBB74_116
; %bb.115:                              ;   in Loop: Header=BB74_12 Depth=1
	s_sub_i32 s82, s82, s26
	s_mov_b64 s[20:21], -1
	s_mov_b32 s53, 0
	s_mov_b32 s0, s13
	;; [unrolled: 1-line block ×3, first 2 shown]
.LBB74_116:                             ;   in Loop: Header=BB74_12 Depth=1
	s_mov_b32 s12, s1
	s_mov_b32 s13, s0
	;; [unrolled: 1-line block ×3, first 2 shown]
	s_mov_b64 s[16:17], -1
	s_and_b64 vcc, exec, s[20:21]
	s_cbranch_vccnz .LBB74_119
.LBB74_117:                             ;   in Loop: Header=BB74_12 Depth=1
	s_mov_b64 s[30:31], -1
                                        ; implicit-def: $sgpr18_sgpr19
                                        ; implicit-def: $sgpr22_sgpr23
                                        ; implicit-def: $sgpr20_sgpr21
                                        ; implicit-def: $sgpr82
	s_and_saveexec_b64 s[0:1], s[30:31]
	s_xor_b64 s[24:25], exec, s[0:1]
	s_cbranch_execz .LBB74_10
	s_branch .LBB74_236
.LBB74_118:                             ;   in Loop: Header=BB74_12 Depth=1
	s_mov_b32 s53, 1
	s_mov_b64 s[16:17], -1
	s_and_b64 vcc, exec, s[20:21]
	s_cbranch_vccz .LBB74_117
.LBB74_119:                             ;   in Loop: Header=BB74_12 Depth=1
	s_cmp_eq_u32 s34, 1
	s_cselect_b64 s[0:1], -1, 0
	s_cmp_eq_u32 s35, 1
	s_cselect_b64 s[2:3], -1, 0
	s_and_b64 s[26:27], s[0:1], s[2:3]
	s_mov_b64 s[28:29], -1
	s_and_b64 vcc, exec, s[26:27]
	s_cbranch_vccz .LBB74_130
; %bb.120:                              ;   in Loop: Header=BB74_12 Depth=1
	ds_read_b32 v2, v23 offset:4104
	s_waitcnt lgkmcnt(0)
	s_barrier
	v_readfirstlane_b32 s0, v2
	s_and_saveexec_b64 s[18:19], s[6:7]
	s_cbranch_execz .LBB74_122
; %bb.121:                              ;   in Loop: Header=BB74_12 Depth=1
	ds_write_b8 v0, v23 offset:3072
.LBB74_122:                             ;   in Loop: Header=BB74_12 Depth=1
	s_or_b64 exec, exec, s[18:19]
	s_lshl_b32 s1, 1, s43
	s_and_b32 s2, s13, s44
	s_or_b32 s13, s2, s1
	s_or_b32 s12, s12, s51
	s_cmp_eq_u32 s0, 0
	s_waitcnt lgkmcnt(0)
	s_barrier
	s_cbranch_scc1 .LBB74_131
; %bb.123:                              ;   in Loop: Header=BB74_12 Depth=1
	v_readlane_b32 s1, v42, 25
	s_add_i32 s1, s0, s1
	s_mul_hi_u32 s2, s1, s86
	s_mul_i32 s2, s2, s59
	s_sub_i32 s2, s1, s2
	s_sub_i32 s3, s2, s59
	s_cmp_ge_u32 s2, s59
	s_cselect_b32 s2, s3, s2
	s_sub_i32 s3, s2, s59
	s_cmp_ge_u32 s2, s59
	s_cselect_b32 s2, s3, s2
	s_sub_i32 s1, s1, s2
	v_cmp_gt_u32_e32 vcc, s1, v0
	s_mov_b64 s[28:29], 0
                                        ; implicit-def: $vgpr25
	s_and_saveexec_b64 s[18:19], vcc
	s_cbranch_execz .LBB74_133
; %bb.124:                              ;   in Loop: Header=BB74_12 Depth=1
	s_mov_b64 s[20:21], 0
	v_mov_b32_e32 v2, v0
                                        ; implicit-def: $sgpr22_sgpr23
	s_branch .LBB74_126
.LBB74_125:                             ;   in Loop: Header=BB74_126 Depth=2
	s_or_b64 exec, exec, s[24:25]
	s_waitcnt lgkmcnt(0)
	s_barrier
	ds_read_u16 v3, v23 offset:3072
	v_add_u32_e32 v2, s59, v2
	v_cmp_le_u32_e32 vcc, s1, v2
	s_waitcnt lgkmcnt(0)
	s_barrier
	v_cmp_ne_u16_sdwa s[2:3], v3, v23 src0_sel:BYTE_0 src1_sel:DWORD
	s_or_b64 s[24:25], vcc, s[2:3]
	s_and_b64 s[24:25], exec, s[24:25]
	s_or_b64 s[20:21], s[24:25], s[20:21]
	s_andn2_b64 s[22:23], s[22:23], exec
	s_and_b64 s[2:3], s[2:3], exec
	s_or_b64 s[22:23], s[22:23], s[2:3]
	s_andn2_b64 exec, exec, s[20:21]
	s_cbranch_execz .LBB74_132
.LBB74_126:                             ;   Parent Loop BB74_12 Depth=1
                                        ; =>  This Inner Loop Header: Depth=2
	v_cmp_gt_u32_e32 vcc, s0, v2
	v_mov_b32_e32 v3, 0
	s_and_saveexec_b64 s[24:25], vcc
	s_cbranch_execz .LBB74_128
; %bb.127:                              ;   in Loop: Header=BB74_126 Depth=2
	ds_read_u8 v3, v2
.LBB74_128:                             ;   in Loop: Header=BB74_126 Depth=2
	s_or_b64 exec, exec, s[24:25]
	s_waitcnt lgkmcnt(0)
	v_and_b32_e32 v4, s12, v3
	v_cmp_eq_u32_sdwa s[2:3], v4, s13 src0_sel:BYTE_0 src1_sel:DWORD
	s_and_b64 s[2:3], vcc, s[2:3]
	s_and_saveexec_b64 s[24:25], s[2:3]
	s_cbranch_execz .LBB74_125
; %bb.129:                              ;   in Loop: Header=BB74_126 Depth=2
	v_lshlrev_b16_e32 v3, 8, v3
	v_or_b32_e32 v3, 1, v3
	ds_write_b16 v23, v3 offset:3072
	s_branch .LBB74_125
.LBB74_130:                             ;   in Loop: Header=BB74_12 Depth=1
                                        ; implicit-def: $sgpr20_sgpr21
                                        ; implicit-def: $sgpr22_sgpr23
                                        ; implicit-def: $sgpr18_sgpr19
	s_branch .LBB74_143
.LBB74_131:                             ;   in Loop: Header=BB74_12 Depth=1
	s_mov_b64 s[20:21], -1
	s_mov_b64 s[28:29], 0
                                        ; implicit-def: $sgpr18_sgpr19
                                        ; implicit-def: $vgpr25
	s_mov_b64 s[22:23], s[20:21]
	s_cbranch_execnz .LBB74_134
	s_branch .LBB74_143
.LBB74_132:                             ;   in Loop: Header=BB74_12 Depth=1
	s_or_b64 exec, exec, s[20:21]
	v_lshrrev_b16_e32 v25, 8, v3
	s_and_b64 s[28:29], s[22:23], exec
.LBB74_133:                             ;   in Loop: Header=BB74_12 Depth=1
	s_or_b64 exec, exec, s[18:19]
	s_mov_b64 s[18:19], -1
	s_mov_b64 s[20:21], 0
	s_mov_b64 s[22:23], s[20:21]
	s_branch .LBB74_143
.LBB74_134:                             ;   in Loop: Header=BB74_12 Depth=1
	s_mov_b64 s[28:29], 0
                                        ; implicit-def: $vgpr25
	s_mov_b64 s[18:19], exec
	v_readlane_b32 s0, v42, 42
	v_readlane_b32 s1, v42, 43
	s_and_b64 s[0:1], s[18:19], s[0:1]
	s_mov_b64 exec, s[0:1]
	s_cbranch_execz .LBB74_142
; %bb.135:                              ;   in Loop: Header=BB74_12 Depth=1
	s_mov_b64 s[20:21], 0
	v_mov_b32_e32 v2, v9
	v_mov_b32_e32 v3, v0
                                        ; implicit-def: $sgpr22_sgpr23
	s_branch .LBB74_137
.LBB74_136:                             ;   in Loop: Header=BB74_137 Depth=2
	s_or_b64 exec, exec, s[24:25]
	s_waitcnt lgkmcnt(0)
	s_barrier
	ds_read_u16 v4, v23 offset:3072
	v_add_u32_e32 v3, s59, v3
	v_cmp_le_u32_e32 vcc, s87, v3
	v_add_u32_e32 v2, s57, v2
	s_waitcnt lgkmcnt(0)
	v_cmp_ne_u16_sdwa s[0:1], v4, v23 src0_sel:BYTE_0 src1_sel:DWORD
	s_or_b64 s[2:3], vcc, s[0:1]
	s_and_b64 s[2:3], exec, s[2:3]
	s_or_b64 s[20:21], s[2:3], s[20:21]
	s_andn2_b64 s[2:3], s[22:23], exec
	s_and_b64 s[0:1], s[0:1], exec
	s_or_b64 s[22:23], s[2:3], s[0:1]
	s_barrier
	s_andn2_b64 exec, exec, s[20:21]
	s_cbranch_execz .LBB74_141
.LBB74_137:                             ;   Parent Loop BB74_12 Depth=1
                                        ; =>  This Inner Loop Header: Depth=2
	v_cmp_gt_u32_e32 vcc, s56, v3
	v_mov_b32_e32 v4, 0
	s_and_saveexec_b64 s[24:25], vcc
	s_cbranch_execz .LBB74_139
; %bb.138:                              ;   in Loop: Header=BB74_137 Depth=2
	global_load_ubyte v4, v2, s[74:75]
.LBB74_139:                             ;   in Loop: Header=BB74_137 Depth=2
	s_or_b64 exec, exec, s[24:25]
	s_waitcnt vmcnt(0)
	v_and_b32_e32 v5, s12, v4
	v_cmp_eq_u32_sdwa s[0:1], v5, s13 src0_sel:BYTE_0 src1_sel:DWORD
	s_and_b64 s[0:1], vcc, s[0:1]
	s_and_saveexec_b64 s[24:25], s[0:1]
	s_cbranch_execz .LBB74_136
; %bb.140:                              ;   in Loop: Header=BB74_137 Depth=2
	v_lshlrev_b16_e32 v4, 8, v4
	v_or_b32_e32 v4, 1, v4
	ds_write_b16 v23, v4 offset:3072
	s_branch .LBB74_136
.LBB74_141:                             ;   in Loop: Header=BB74_12 Depth=1
	s_or_b64 exec, exec, s[20:21]
	v_lshrrev_b16_e32 v25, 8, v4
	s_and_b64 s[28:29], s[22:23], exec
.LBB74_142:                             ;   in Loop: Header=BB74_12 Depth=1
	s_or_b64 exec, exec, s[18:19]
	s_mov_b64 s[22:23], -1
	s_mov_b64 s[20:21], 0
	s_mov_b64 s[18:19], 0
.LBB74_143:                             ;   in Loop: Header=BB74_12 Depth=1
	s_mov_b64 s[30:31], 0
                                        ; implicit-def: $sgpr53
	s_and_saveexec_b64 s[24:25], s[28:29]
	s_cbranch_execz .LBB74_235
; %bb.144:                              ;   in Loop: Header=BB74_12 Depth=1
	s_xor_b64 s[0:1], s[26:27], -1
	s_mov_b64 s[28:29], 0
	s_andn2_b64 vcc, exec, s[0:1]
	s_mov_b32 s45, 1
	s_cbranch_vccnz .LBB74_155
; %bb.145:                              ;   in Loop: Header=BB74_12 Depth=1
	s_cmp_gt_u32 s35, s34
	s_mov_b64 s[28:29], -1
                                        ; implicit-def: $sgpr53
                                        ; implicit-def: $sgpr0
                                        ; implicit-def: $sgpr1
	s_cbranch_scc1 .LBB74_151
; %bb.146:                              ;   in Loop: Header=BB74_12 Depth=1
	ds_read_b32 v2, v23 offset:4104
	s_waitcnt lgkmcnt(0)
	v_cmp_ne_u32_e32 vcc, 0, v2
	s_cbranch_vccnz .LBB74_150
; %bb.147:                              ;   in Loop: Header=BB74_12 Depth=1
	s_mov_b64 s[26:27], exec
	v_readlane_b32 s0, v42, 6
	v_readlane_b32 s1, v42, 7
	s_and_b64 s[0:1], s[26:27], s[0:1]
	s_mov_b64 exec, s[0:1]
	s_cbranch_execz .LBB74_149
; %bb.148:                              ;   in Loop: Header=BB74_12 Depth=1
	v_mov_b32_e32 v2, s34
	ds_write_b32 v23, v2 offset:4108
.LBB74_149:                             ;   in Loop: Header=BB74_12 Depth=1
	s_or_b64 exec, exec, s[26:27]
	s_waitcnt lgkmcnt(0)
	s_barrier
.LBB74_150:                             ;   in Loop: Header=BB74_12 Depth=1
	s_lshl_b32 s0, 1, s43
	s_and_b32 s1, s13, s44
	s_or_b32 s0, s1, s0
	s_or_b32 s1, s12, s51
	s_mov_b64 s[28:29], 0
	s_mov_b32 s53, 8
.LBB74_151:                             ;   in Loop: Header=BB74_12 Depth=1
	s_andn2_b64 vcc, exec, s[28:29]
	s_cbranch_vccnz .LBB74_153
; %bb.152:                              ;   in Loop: Header=BB74_12 Depth=1
	s_sub_i32 s35, s35, s34
	s_mov_b64 s[28:29], -1
	s_mov_b32 s53, 0
	s_mov_b32 s0, s13
	;; [unrolled: 1-line block ×3, first 2 shown]
.LBB74_153:                             ;   in Loop: Header=BB74_12 Depth=1
	s_mov_b32 s12, s1
	s_mov_b32 s13, s0
	;; [unrolled: 1-line block ×3, first 2 shown]
	s_andn2_b64 vcc, exec, s[28:29]
	s_mov_b64 s[40:41], -1
	s_cbranch_vccz .LBB74_156
.LBB74_154:                             ;   in Loop: Header=BB74_12 Depth=1
                                        ; implicit-def: $sgpr28_sgpr29
                                        ; implicit-def: $sgpr30_sgpr31
                                        ; implicit-def: $sgpr26_sgpr27
	s_branch .LBB74_234
.LBB74_155:                             ;   in Loop: Header=BB74_12 Depth=1
	s_mov_b32 s53, 1
	s_andn2_b64 vcc, exec, s[28:29]
	s_mov_b64 s[40:41], -1
	s_cbranch_vccnz .LBB74_154
.LBB74_156:                             ;   in Loop: Header=BB74_12 Depth=1
	s_cmp_eq_u32 s42, 1
	s_cselect_b64 s[0:1], -1, 0
	s_cmp_eq_u32 s45, 1
	s_cselect_b64 s[2:3], -1, 0
	s_and_b64 s[36:37], s[0:1], s[2:3]
	s_mov_b64 s[38:39], -1
	s_and_b64 vcc, exec, s[36:37]
	s_cbranch_vccz .LBB74_167
; %bb.157:                              ;   in Loop: Header=BB74_12 Depth=1
	ds_read_b32 v2, v23 offset:4104
	s_waitcnt lgkmcnt(0)
	s_barrier
	v_readfirstlane_b32 s0, v2
	s_and_saveexec_b64 s[26:27], s[6:7]
	s_cbranch_execz .LBB74_159
; %bb.158:                              ;   in Loop: Header=BB74_12 Depth=1
	ds_write_b8 v0, v23 offset:3072
.LBB74_159:                             ;   in Loop: Header=BB74_12 Depth=1
	s_or_b64 exec, exec, s[26:27]
	s_lshl_b32 s1, 2, s43
	s_and_b32 s2, s13, s44
	s_or_b32 s13, s2, s1
	s_or_b32 s12, s12, s51
	s_cmp_eq_u32 s0, 0
	s_waitcnt lgkmcnt(0)
	s_barrier
	s_cbranch_scc1 .LBB74_168
; %bb.160:                              ;   in Loop: Header=BB74_12 Depth=1
	v_readlane_b32 s1, v42, 25
	s_add_i32 s1, s0, s1
	s_mul_hi_u32 s2, s1, s86
	s_mul_i32 s2, s2, s59
	s_sub_i32 s2, s1, s2
	s_sub_i32 s3, s2, s59
	s_cmp_ge_u32 s2, s59
	s_cselect_b32 s2, s3, s2
	s_sub_i32 s3, s2, s59
	s_cmp_ge_u32 s2, s59
	s_cselect_b32 s2, s3, s2
	s_sub_i32 s1, s1, s2
	v_cmp_gt_u32_e32 vcc, s1, v0
	s_mov_b64 s[38:39], 0
                                        ; implicit-def: $vgpr25
	s_and_saveexec_b64 s[26:27], vcc
	s_cbranch_execz .LBB74_170
; %bb.161:                              ;   in Loop: Header=BB74_12 Depth=1
	s_mov_b64 s[28:29], 0
	v_mov_b32_e32 v2, v0
                                        ; implicit-def: $sgpr30_sgpr31
	s_branch .LBB74_163
.LBB74_162:                             ;   in Loop: Header=BB74_163 Depth=2
	s_or_b64 exec, exec, s[34:35]
	s_waitcnt lgkmcnt(0)
	s_barrier
	ds_read_u16 v3, v23 offset:3072
	v_add_u32_e32 v2, s59, v2
	v_cmp_le_u32_e32 vcc, s1, v2
	s_waitcnt lgkmcnt(0)
	s_barrier
	v_cmp_ne_u16_sdwa s[2:3], v3, v23 src0_sel:BYTE_0 src1_sel:DWORD
	s_or_b64 s[34:35], vcc, s[2:3]
	s_and_b64 s[34:35], exec, s[34:35]
	s_or_b64 s[28:29], s[34:35], s[28:29]
	s_andn2_b64 s[30:31], s[30:31], exec
	s_and_b64 s[2:3], s[2:3], exec
	s_or_b64 s[30:31], s[30:31], s[2:3]
	s_andn2_b64 exec, exec, s[28:29]
	s_cbranch_execz .LBB74_169
.LBB74_163:                             ;   Parent Loop BB74_12 Depth=1
                                        ; =>  This Inner Loop Header: Depth=2
	v_cmp_gt_u32_e32 vcc, s0, v2
	v_mov_b32_e32 v3, 0
	s_and_saveexec_b64 s[34:35], vcc
	s_cbranch_execz .LBB74_165
; %bb.164:                              ;   in Loop: Header=BB74_163 Depth=2
	ds_read_u8 v3, v2
.LBB74_165:                             ;   in Loop: Header=BB74_163 Depth=2
	s_or_b64 exec, exec, s[34:35]
	s_waitcnt lgkmcnt(0)
	v_and_b32_e32 v4, s12, v3
	v_cmp_eq_u32_sdwa s[2:3], v4, s13 src0_sel:BYTE_0 src1_sel:DWORD
	s_and_b64 s[2:3], vcc, s[2:3]
	s_and_saveexec_b64 s[34:35], s[2:3]
	s_cbranch_execz .LBB74_162
; %bb.166:                              ;   in Loop: Header=BB74_163 Depth=2
	v_lshlrev_b16_e32 v3, 8, v3
	v_or_b32_e32 v3, 1, v3
	ds_write_b16 v23, v3 offset:3072
	s_branch .LBB74_162
.LBB74_167:                             ;   in Loop: Header=BB74_12 Depth=1
                                        ; implicit-def: $sgpr26_sgpr27
                                        ; implicit-def: $sgpr30_sgpr31
                                        ; implicit-def: $sgpr28_sgpr29
	s_branch .LBB74_180
.LBB74_168:                             ;   in Loop: Header=BB74_12 Depth=1
	s_mov_b64 s[26:27], -1
	s_mov_b64 s[38:39], 0
                                        ; implicit-def: $sgpr28_sgpr29
                                        ; implicit-def: $vgpr25
	s_mov_b64 s[30:31], s[26:27]
	s_cbranch_execnz .LBB74_171
	s_branch .LBB74_180
.LBB74_169:                             ;   in Loop: Header=BB74_12 Depth=1
	s_or_b64 exec, exec, s[28:29]
	v_lshrrev_b16_e32 v25, 8, v3
	s_and_b64 s[38:39], s[30:31], exec
.LBB74_170:                             ;   in Loop: Header=BB74_12 Depth=1
	s_or_b64 exec, exec, s[26:27]
	s_mov_b64 s[28:29], -1
	s_mov_b64 s[26:27], 0
	s_mov_b64 s[30:31], s[26:27]
	s_branch .LBB74_180
.LBB74_171:                             ;   in Loop: Header=BB74_12 Depth=1
	s_mov_b64 s[38:39], 0
                                        ; implicit-def: $vgpr25
	s_mov_b64 s[26:27], exec
	v_readlane_b32 s0, v42, 42
	v_readlane_b32 s1, v42, 43
	s_and_b64 s[0:1], s[26:27], s[0:1]
	s_mov_b64 exec, s[0:1]
	s_cbranch_execz .LBB74_179
; %bb.172:                              ;   in Loop: Header=BB74_12 Depth=1
	s_mov_b64 s[28:29], 0
	v_mov_b32_e32 v2, v9
	v_mov_b32_e32 v3, v0
                                        ; implicit-def: $sgpr30_sgpr31
	s_branch .LBB74_174
.LBB74_173:                             ;   in Loop: Header=BB74_174 Depth=2
	s_or_b64 exec, exec, s[34:35]
	s_waitcnt lgkmcnt(0)
	s_barrier
	ds_read_u16 v4, v23 offset:3072
	v_add_u32_e32 v3, s59, v3
	v_cmp_le_u32_e32 vcc, s87, v3
	v_add_u32_e32 v2, s57, v2
	s_waitcnt lgkmcnt(0)
	v_cmp_ne_u16_sdwa s[0:1], v4, v23 src0_sel:BYTE_0 src1_sel:DWORD
	s_or_b64 s[2:3], vcc, s[0:1]
	s_and_b64 s[2:3], exec, s[2:3]
	s_or_b64 s[28:29], s[2:3], s[28:29]
	s_andn2_b64 s[2:3], s[30:31], exec
	s_and_b64 s[0:1], s[0:1], exec
	s_or_b64 s[30:31], s[2:3], s[0:1]
	s_barrier
	s_andn2_b64 exec, exec, s[28:29]
	s_cbranch_execz .LBB74_178
.LBB74_174:                             ;   Parent Loop BB74_12 Depth=1
                                        ; =>  This Inner Loop Header: Depth=2
	v_cmp_gt_u32_e32 vcc, s56, v3
	v_mov_b32_e32 v4, 0
	s_and_saveexec_b64 s[34:35], vcc
	s_cbranch_execz .LBB74_176
; %bb.175:                              ;   in Loop: Header=BB74_174 Depth=2
	global_load_ubyte v4, v2, s[74:75]
.LBB74_176:                             ;   in Loop: Header=BB74_174 Depth=2
	s_or_b64 exec, exec, s[34:35]
	s_waitcnt vmcnt(0)
	v_and_b32_e32 v5, s12, v4
	v_cmp_eq_u32_sdwa s[0:1], v5, s13 src0_sel:BYTE_0 src1_sel:DWORD
	s_and_b64 s[0:1], vcc, s[0:1]
	s_and_saveexec_b64 s[34:35], s[0:1]
	s_cbranch_execz .LBB74_173
; %bb.177:                              ;   in Loop: Header=BB74_174 Depth=2
	v_lshlrev_b16_e32 v4, 8, v4
	v_or_b32_e32 v4, 1, v4
	ds_write_b16 v23, v4 offset:3072
	s_branch .LBB74_173
.LBB74_178:                             ;   in Loop: Header=BB74_12 Depth=1
	s_or_b64 exec, exec, s[28:29]
	v_lshrrev_b16_e32 v25, 8, v4
	s_and_b64 s[38:39], s[30:31], exec
.LBB74_179:                             ;   in Loop: Header=BB74_12 Depth=1
	s_or_b64 exec, exec, s[26:27]
	s_mov_b64 s[30:31], -1
	s_mov_b64 s[26:27], 0
	s_mov_b64 s[28:29], 0
.LBB74_180:                             ;   in Loop: Header=BB74_12 Depth=1
	s_mov_b64 s[40:41], 0
                                        ; implicit-def: $sgpr53
	s_and_saveexec_b64 s[34:35], s[38:39]
	s_cbranch_execz .LBB74_233
; %bb.181:                              ;   in Loop: Header=BB74_12 Depth=1
	s_xor_b64 s[0:1], s[36:37], -1
	s_mov_b64 s[38:39], 0
	s_andn2_b64 vcc, exec, s[0:1]
	s_mov_b32 s52, 1
	s_cbranch_vccnz .LBB74_192
; %bb.182:                              ;   in Loop: Header=BB74_12 Depth=1
	s_cmp_gt_u32 s45, s42
	s_mov_b64 s[38:39], -1
                                        ; implicit-def: $sgpr53
                                        ; implicit-def: $sgpr0
                                        ; implicit-def: $sgpr1
	s_cbranch_scc1 .LBB74_188
; %bb.183:                              ;   in Loop: Header=BB74_12 Depth=1
	ds_read_b32 v2, v23 offset:4104
	s_waitcnt lgkmcnt(0)
	v_cmp_ne_u32_e32 vcc, 0, v2
	s_cbranch_vccnz .LBB74_187
; %bb.184:                              ;   in Loop: Header=BB74_12 Depth=1
	s_mov_b64 s[36:37], exec
	v_readlane_b32 s0, v42, 6
	v_readlane_b32 s1, v42, 7
	s_and_b64 s[0:1], s[36:37], s[0:1]
	s_mov_b64 exec, s[0:1]
	s_cbranch_execz .LBB74_186
; %bb.185:                              ;   in Loop: Header=BB74_12 Depth=1
	v_mov_b32_e32 v2, s42
	ds_write_b32 v23, v2 offset:4108
.LBB74_186:                             ;   in Loop: Header=BB74_12 Depth=1
	s_or_b64 exec, exec, s[36:37]
	s_waitcnt lgkmcnt(0)
	s_barrier
.LBB74_187:                             ;   in Loop: Header=BB74_12 Depth=1
	s_lshl_b32 s0, 2, s43
	s_and_b32 s1, s13, s44
	s_or_b32 s0, s1, s0
	s_or_b32 s1, s12, s51
	s_mov_b64 s[38:39], 0
	s_mov_b32 s53, 8
.LBB74_188:                             ;   in Loop: Header=BB74_12 Depth=1
	s_andn2_b64 vcc, exec, s[38:39]
	s_cbranch_vccnz .LBB74_190
; %bb.189:                              ;   in Loop: Header=BB74_12 Depth=1
	s_sub_i32 s45, s45, s42
	s_mov_b64 s[38:39], -1
	s_mov_b32 s53, 0
	s_mov_b32 s0, s13
	;; [unrolled: 1-line block ×3, first 2 shown]
.LBB74_190:                             ;   in Loop: Header=BB74_12 Depth=1
	s_mov_b32 s12, s1
	s_mov_b32 s13, s0
	;; [unrolled: 1-line block ×3, first 2 shown]
	s_andn2_b64 vcc, exec, s[38:39]
	s_mov_b64 s[48:49], -1
	s_cbranch_vccz .LBB74_193
.LBB74_191:                             ;   in Loop: Header=BB74_12 Depth=1
                                        ; implicit-def: $sgpr38_sgpr39
                                        ; implicit-def: $sgpr42_sgpr43
                                        ; implicit-def: $sgpr40_sgpr41
	s_branch .LBB74_232
.LBB74_192:                             ;   in Loop: Header=BB74_12 Depth=1
	s_mov_b32 s53, 1
	s_andn2_b64 vcc, exec, s[38:39]
	s_mov_b64 s[48:49], -1
	s_cbranch_vccnz .LBB74_191
.LBB74_193:                             ;   in Loop: Header=BB74_12 Depth=1
	s_cmp_eq_u32 s50, 1
	s_cselect_b64 s[0:1], -1, 0
	s_cmp_eq_u32 s52, 1
	s_cselect_b64 s[2:3], -1, 0
	s_and_b64 s[36:37], s[0:1], s[2:3]
	s_mov_b64 s[44:45], -1
	s_and_b64 vcc, exec, s[36:37]
	s_cbranch_vccz .LBB74_204
; %bb.194:                              ;   in Loop: Header=BB74_12 Depth=1
	ds_read_b32 v2, v23 offset:4104
	s_waitcnt lgkmcnt(0)
	s_barrier
	v_readfirstlane_b32 s0, v2
	s_and_saveexec_b64 s[38:39], s[6:7]
	s_cbranch_execz .LBB74_196
; %bb.195:                              ;   in Loop: Header=BB74_12 Depth=1
	ds_write_b8 v0, v23 offset:3072
.LBB74_196:                             ;   in Loop: Header=BB74_12 Depth=1
	s_or_b64 exec, exec, s[38:39]
	s_or_b32 s13, s13, s51
	s_or_b32 s12, s12, s51
	s_cmp_eq_u32 s0, 0
	s_waitcnt lgkmcnt(0)
	s_barrier
	s_cbranch_scc1 .LBB74_205
; %bb.197:                              ;   in Loop: Header=BB74_12 Depth=1
	v_readlane_b32 s1, v42, 25
	s_add_i32 s1, s0, s1
	s_mul_hi_u32 s2, s1, s86
	s_mul_i32 s2, s2, s59
	s_sub_i32 s2, s1, s2
	s_sub_i32 s3, s2, s59
	s_cmp_ge_u32 s2, s59
	s_cselect_b32 s2, s3, s2
	s_sub_i32 s3, s2, s59
	s_cmp_ge_u32 s2, s59
	s_cselect_b32 s2, s3, s2
	s_sub_i32 s1, s1, s2
	v_cmp_gt_u32_e32 vcc, s1, v0
	s_mov_b64 s[44:45], 0
                                        ; implicit-def: $vgpr25
	s_and_saveexec_b64 s[38:39], vcc
	s_cbranch_execz .LBB74_207
; %bb.198:                              ;   in Loop: Header=BB74_12 Depth=1
	v_mov_b32_e32 v2, v0
                                        ; implicit-def: $sgpr42_sgpr43
	s_branch .LBB74_200
.LBB74_199:                             ;   in Loop: Header=BB74_200 Depth=2
	s_or_b64 exec, exec, s[44:45]
	s_waitcnt lgkmcnt(0)
	s_barrier
	ds_read_u16 v3, v23 offset:3072
	v_add_u32_e32 v2, s59, v2
	v_cmp_le_u32_e32 vcc, s1, v2
	s_waitcnt lgkmcnt(0)
	s_barrier
	v_cmp_ne_u16_sdwa s[2:3], v3, v23 src0_sel:BYTE_0 src1_sel:DWORD
	s_or_b64 s[44:45], vcc, s[2:3]
	s_and_b64 s[44:45], exec, s[44:45]
	s_or_b64 s[40:41], s[44:45], s[40:41]
	s_andn2_b64 s[42:43], s[42:43], exec
	s_and_b64 s[2:3], s[2:3], exec
	s_or_b64 s[42:43], s[42:43], s[2:3]
	s_andn2_b64 exec, exec, s[40:41]
	s_cbranch_execz .LBB74_206
.LBB74_200:                             ;   Parent Loop BB74_12 Depth=1
                                        ; =>  This Inner Loop Header: Depth=2
	v_cmp_gt_u32_e32 vcc, s0, v2
	v_mov_b32_e32 v3, 0
	s_and_saveexec_b64 s[44:45], vcc
	s_cbranch_execz .LBB74_202
; %bb.201:                              ;   in Loop: Header=BB74_200 Depth=2
	ds_read_u8 v3, v2
.LBB74_202:                             ;   in Loop: Header=BB74_200 Depth=2
	s_or_b64 exec, exec, s[44:45]
	s_waitcnt lgkmcnt(0)
	v_and_b32_e32 v4, s12, v3
	v_cmp_eq_u32_sdwa s[2:3], v4, s13 src0_sel:BYTE_0 src1_sel:DWORD
	s_and_b64 s[2:3], vcc, s[2:3]
	s_and_saveexec_b64 s[44:45], s[2:3]
	s_cbranch_execz .LBB74_199
; %bb.203:                              ;   in Loop: Header=BB74_200 Depth=2
	v_lshlrev_b16_e32 v3, 8, v3
	v_or_b32_e32 v3, 1, v3
	ds_write_b16 v23, v3 offset:3072
	s_branch .LBB74_199
.LBB74_204:                             ;   in Loop: Header=BB74_12 Depth=1
                                        ; implicit-def: $sgpr38_sgpr39
                                        ; implicit-def: $sgpr42_sgpr43
                                        ; implicit-def: $sgpr40_sgpr41
	s_branch .LBB74_217
.LBB74_205:                             ;   in Loop: Header=BB74_12 Depth=1
	s_mov_b64 s[38:39], -1
	s_mov_b64 s[44:45], 0
                                        ; implicit-def: $sgpr40_sgpr41
                                        ; implicit-def: $vgpr25
	s_mov_b64 s[42:43], s[38:39]
	s_cbranch_execnz .LBB74_208
	s_branch .LBB74_217
.LBB74_206:                             ;   in Loop: Header=BB74_12 Depth=1
	s_or_b64 exec, exec, s[40:41]
	v_lshrrev_b16_e32 v25, 8, v3
	s_and_b64 s[44:45], s[42:43], exec
.LBB74_207:                             ;   in Loop: Header=BB74_12 Depth=1
	s_or_b64 exec, exec, s[38:39]
	s_mov_b64 s[40:41], -1
	s_mov_b64 s[38:39], 0
	s_mov_b64 s[42:43], s[38:39]
	s_branch .LBB74_217
.LBB74_208:                             ;   in Loop: Header=BB74_12 Depth=1
	s_mov_b64 s[44:45], 0
                                        ; implicit-def: $vgpr25
	s_mov_b64 s[38:39], exec
	v_readlane_b32 s0, v42, 42
	v_readlane_b32 s1, v42, 43
	s_and_b64 s[0:1], s[38:39], s[0:1]
	s_mov_b64 exec, s[0:1]
	s_cbranch_execz .LBB74_216
; %bb.209:                              ;   in Loop: Header=BB74_12 Depth=1
	s_mov_b64 s[40:41], 0
	v_mov_b32_e32 v2, v9
	v_mov_b32_e32 v3, v0
                                        ; implicit-def: $sgpr42_sgpr43
	s_branch .LBB74_211
.LBB74_210:                             ;   in Loop: Header=BB74_211 Depth=2
	s_or_b64 exec, exec, s[44:45]
	s_waitcnt lgkmcnt(0)
	s_barrier
	ds_read_u16 v4, v23 offset:3072
	v_add_u32_e32 v3, s59, v3
	v_cmp_le_u32_e32 vcc, s87, v3
	v_add_u32_e32 v2, s57, v2
	s_waitcnt lgkmcnt(0)
	v_cmp_ne_u16_sdwa s[0:1], v4, v23 src0_sel:BYTE_0 src1_sel:DWORD
	s_or_b64 s[2:3], vcc, s[0:1]
	s_and_b64 s[2:3], exec, s[2:3]
	s_or_b64 s[40:41], s[2:3], s[40:41]
	s_andn2_b64 s[2:3], s[42:43], exec
	s_and_b64 s[0:1], s[0:1], exec
	s_or_b64 s[42:43], s[2:3], s[0:1]
	s_barrier
	s_andn2_b64 exec, exec, s[40:41]
	s_cbranch_execz .LBB74_215
.LBB74_211:                             ;   Parent Loop BB74_12 Depth=1
                                        ; =>  This Inner Loop Header: Depth=2
	v_cmp_gt_u32_e32 vcc, s56, v3
	v_mov_b32_e32 v4, 0
	s_and_saveexec_b64 s[44:45], vcc
	s_cbranch_execz .LBB74_213
; %bb.212:                              ;   in Loop: Header=BB74_211 Depth=2
	global_load_ubyte v4, v2, s[74:75]
.LBB74_213:                             ;   in Loop: Header=BB74_211 Depth=2
	s_or_b64 exec, exec, s[44:45]
	s_waitcnt vmcnt(0)
	v_and_b32_e32 v5, s12, v4
	v_cmp_eq_u32_sdwa s[0:1], v5, s13 src0_sel:BYTE_0 src1_sel:DWORD
	s_and_b64 s[0:1], vcc, s[0:1]
	s_and_saveexec_b64 s[44:45], s[0:1]
	s_cbranch_execz .LBB74_210
; %bb.214:                              ;   in Loop: Header=BB74_211 Depth=2
	v_lshlrev_b16_e32 v4, 8, v4
	v_or_b32_e32 v4, 1, v4
	ds_write_b16 v23, v4 offset:3072
	s_branch .LBB74_210
.LBB74_215:                             ;   in Loop: Header=BB74_12 Depth=1
	s_or_b64 exec, exec, s[40:41]
	v_lshrrev_b16_e32 v25, 8, v4
	s_and_b64 s[44:45], s[42:43], exec
.LBB74_216:                             ;   in Loop: Header=BB74_12 Depth=1
	s_or_b64 exec, exec, s[38:39]
	s_mov_b64 s[42:43], -1
	s_mov_b64 s[38:39], 0
	s_mov_b64 s[40:41], 0
.LBB74_217:                             ;   in Loop: Header=BB74_12 Depth=1
	s_mov_b64 s[48:49], 0
                                        ; implicit-def: $sgpr53
	s_and_saveexec_b64 s[46:47], s[44:45]
	s_cbranch_execz .LBB74_231
; %bb.218:                              ;   in Loop: Header=BB74_12 Depth=1
	s_xor_b64 s[0:1], s[36:37], -1
	s_andn2_b64 vcc, exec, s[0:1]
	s_mov_b32 s53, 1
	s_cbranch_vccnz .LBB74_225
; %bb.219:                              ;   in Loop: Header=BB74_12 Depth=1
	s_cmp_gt_u32 s52, s50
	s_cbranch_scc1 .LBB74_226
; %bb.220:                              ;   in Loop: Header=BB74_12 Depth=1
	ds_read_b32 v2, v23 offset:4104
	s_waitcnt lgkmcnt(0)
	v_cmp_ne_u32_e32 vcc, 0, v2
	s_cbranch_vccnz .LBB74_224
; %bb.221:                              ;   in Loop: Header=BB74_12 Depth=1
	s_mov_b64 s[36:37], exec
	v_readlane_b32 s0, v42, 6
	v_readlane_b32 s1, v42, 7
	s_and_b64 s[0:1], s[36:37], s[0:1]
	s_mov_b64 exec, s[0:1]
	s_cbranch_execz .LBB74_223
; %bb.222:                              ;   in Loop: Header=BB74_12 Depth=1
	v_mov_b32_e32 v2, s50
	ds_write_b32 v23, v2 offset:4108
.LBB74_223:                             ;   in Loop: Header=BB74_12 Depth=1
	s_or_b64 exec, exec, s[36:37]
	s_waitcnt lgkmcnt(0)
	s_barrier
.LBB74_224:                             ;   in Loop: Header=BB74_12 Depth=1
	s_or_b32 s0, s13, s51
	s_or_b32 s1, s12, s51
	s_mov_b64 s[36:37], 0
	s_mov_b32 s53, 8
	s_branch .LBB74_227
.LBB74_225:                             ;   in Loop: Header=BB74_12 Depth=1
	s_mov_b32 s52, 1
	s_branch .LBB74_230
.LBB74_226:                             ;   in Loop: Header=BB74_12 Depth=1
	s_mov_b64 s[36:37], -1
                                        ; implicit-def: $sgpr53
                                        ; implicit-def: $sgpr0
                                        ; implicit-def: $sgpr1
.LBB74_227:                             ;   in Loop: Header=BB74_12 Depth=1
	s_andn2_b64 vcc, exec, s[36:37]
	s_cbranch_vccnz .LBB74_229
; %bb.228:                              ;   in Loop: Header=BB74_12 Depth=1
	s_sub_i32 s52, s52, s50
	s_mov_b32 s53, 8
	s_mov_b32 s0, s13
	;; [unrolled: 1-line block ×3, first 2 shown]
.LBB74_229:                             ;   in Loop: Header=BB74_12 Depth=1
	s_mov_b32 s13, s0
	s_mov_b32 s12, s1
.LBB74_230:                             ;   in Loop: Header=BB74_12 Depth=1
	s_mov_b64 s[48:49], exec
.LBB74_231:                             ;   in Loop: Header=BB74_12 Depth=1
	s_or_b64 exec, exec, s[46:47]
.LBB74_232:                             ;   in Loop: Header=BB74_12 Depth=1
	s_andn2_b64 s[0:1], s[26:27], exec
	s_and_b64 s[2:3], s[38:39], exec
	s_or_b64 s[26:27], s[0:1], s[2:3]
	s_andn2_b64 s[0:1], s[30:31], exec
	s_and_b64 s[2:3], s[42:43], exec
	s_or_b64 s[30:31], s[0:1], s[2:3]
	;; [unrolled: 3-line block ×3, first 2 shown]
	s_and_b64 s[40:41], s[48:49], exec
	s_mov_b32 s45, s52
.LBB74_233:                             ;   in Loop: Header=BB74_12 Depth=1
	s_or_b64 exec, exec, s[34:35]
.LBB74_234:                             ;   in Loop: Header=BB74_12 Depth=1
	s_andn2_b64 s[0:1], s[20:21], exec
	s_and_b64 s[2:3], s[26:27], exec
	s_or_b64 s[20:21], s[0:1], s[2:3]
	s_andn2_b64 s[0:1], s[22:23], exec
	s_and_b64 s[2:3], s[30:31], exec
	s_or_b64 s[22:23], s[0:1], s[2:3]
	;; [unrolled: 3-line block ×3, first 2 shown]
	s_and_b64 s[30:31], s[40:41], exec
	s_mov_b32 s35, s45
.LBB74_235:                             ;   in Loop: Header=BB74_12 Depth=1
	s_or_b64 exec, exec, s[24:25]
                                        ; implicit-def: $sgpr82
	s_and_saveexec_b64 s[0:1], s[30:31]
	s_xor_b64 s[24:25], exec, s[0:1]
	s_cbranch_execz .LBB74_10
.LBB74_236:                             ;   in Loop: Header=BB74_12 Depth=1
	s_and_b32 s0, s53, -9
	s_cmp_eq_u32 s0, 0
	s_cbranch_scc1 .LBB74_8
; %bb.237:                              ;   in Loop: Header=BB74_12 Depth=1
	s_mov_b64 s[16:17], -1
                                        ; implicit-def: $sgpr12
                                        ; implicit-def: $sgpr35
                                        ; implicit-def: $sgpr89
                                        ; implicit-def: $sgpr33
	s_mov_b64 s[26:27], -1
	s_branch .LBB74_9
.LBB74_238:
	s_or_b64 exec, exec, s[72:73]
	s_xor_b64 s[8:9], s[76:77], -1
	s_xor_b64 s[0:1], s[60:61], -1
	;; [unrolled: 1-line block ×3, first 2 shown]
	s_mov_b64 s[4:5], 0
	s_and_saveexec_b64 s[2:3], s[0:1]
	s_xor_b64 s[0:1], exec, s[2:3]
	s_cbranch_execnz .LBB74_243
; %bb.239:
	s_andn2_saveexec_b64 s[0:1], s[0:1]
	s_cbranch_execnz .LBB74_256
.LBB74_240:
	s_or_b64 exec, exec, s[0:1]
	s_and_saveexec_b64 s[0:1], s[4:5]
.LBB74_241:
	; divergent unreachable
.LBB74_242:
	s_endpgm
.LBB74_243:
	s_and_saveexec_b64 s[2:3], s[8:9]
	s_xor_b64 s[4:5], exec, s[2:3]
	s_cbranch_execz .LBB74_254
; %bb.244:
	s_and_saveexec_b64 s[2:3], s[6:7]
	s_xor_b64 s[6:7], exec, s[2:3]
; %bb.245:
	v_mov_b32_e32 v25, v2
; %bb.246:
	s_or_b64 exec, exec, s[6:7]
	v_readlane_b32 s8, v42, 1
	v_readlane_b32 s9, v42, 2
	;; [unrolled: 1-line block ×3, first 2 shown]
	s_mul_i32 s2, s10, s9
	v_readlane_b32 s9, v42, 20
	s_mul_i32 s3, s9, s8
	v_readlane_b32 s18, v42, 22
	s_sub_i32 s3, s10, s3
	s_sub_i32 s2, s18, s2
	s_add_i32 s6, s9, 1
	s_sub_i32 s7, s3, s8
	s_cmp_ge_u32 s3, s8
	s_cselect_b32 s6, s6, s9
	s_cselect_b32 s3, s7, s3
	s_add_i32 s7, s6, 1
	s_cmp_ge_u32 s3, s8
	s_cselect_b32 s3, s7, s6
	v_readlane_b32 s12, v42, 12
	s_mul_i32 s6, s3, s8
	v_readlane_b32 s13, v42, 13
	v_readlane_b32 s14, v42, 14
	s_sub_i32 s6, s10, s6
	s_mul_i32 s2, s2, s14
	s_mul_i32 s6, s6, s13
	s_add_i32 s2, s6, s2
	s_mul_i32 s3, s3, s12
	s_add_i32 s2, s2, s3
	v_mov_b32_e32 v1, s2
	v_readlane_b32 s2, v42, 18
	v_readlane_b32 s3, v42, 19
	;; [unrolled: 1-line block ×3, first 2 shown]
	s_nop 3
	global_store_byte v1, v25, s[2:3]
	s_mov_b64 s[6:7], exec
	v_readlane_b32 s2, v42, 23
	v_readlane_b32 s3, v42, 24
	s_and_b64 s[2:3], s[6:7], s[2:3]
	s_mov_b64 exec, s[2:3]
	s_cbranch_execz .LBB74_253
; %bb.247:
	s_mov_b64 s[2:3], 0
                                        ; implicit-def: $sgpr8_sgpr9
                                        ; implicit-def: $sgpr12_sgpr13
                                        ; implicit-def: $sgpr10_sgpr11
	s_branch .LBB74_249
.LBB74_248:                             ;   in Loop: Header=BB74_249 Depth=1
	s_or_b64 exec, exec, s[14:15]
	s_and_b64 s[14:15], exec, s[12:13]
	s_or_b64 s[2:3], s[14:15], s[2:3]
	s_andn2_b64 s[8:9], s[8:9], exec
	s_and_b64 s[14:15], s[10:11], exec
	s_or_b64 s[8:9], s[8:9], s[14:15]
	s_andn2_b64 exec, exec, s[2:3]
	s_cbranch_execz .LBB74_251
.LBB74_249:                             ; =>This Inner Loop Header: Depth=1
	global_load_ubyte v1, v9, s[74:75]
	v_mov_b32_e32 v2, v0
	s_or_b64 s[10:11], s[10:11], exec
	s_or_b64 s[12:13], s[12:13], exec
                                        ; implicit-def: $vgpr0
	s_waitcnt vmcnt(0)
	v_cmp_ne_u16_sdwa s[16:17], v1, v25 src0_sel:DWORD src1_sel:BYTE_0
	s_and_saveexec_b64 s[14:15], s[16:17]
	s_cbranch_execz .LBB74_248
; %bb.250:                              ;   in Loop: Header=BB74_249 Depth=1
	v_add_u32_e32 v0, s59, v2
	v_cmp_le_u32_e32 vcc, s56, v0
	s_andn2_b64 s[12:13], s[12:13], exec
	s_and_b64 s[16:17], vcc, exec
	v_add_u32_e32 v9, s57, v9
	s_andn2_b64 s[10:11], s[10:11], exec
	s_or_b64 s[12:13], s[12:13], s[16:17]
	s_branch .LBB74_248
.LBB74_251:
	s_or_b64 exec, exec, s[2:3]
	s_and_saveexec_b64 s[2:3], s[8:9]
	s_xor_b64 s[2:3], exec, s[2:3]
	s_cbranch_execz .LBB74_253
; %bb.252:
	v_readlane_b32 s10, v42, 4
	v_readlane_b32 s11, v42, 5
	;; [unrolled: 1-line block ×3, first 2 shown]
	s_mul_i32 s2, s12, s11
	v_readlane_b32 s11, v42, 21
	s_mul_i32 s3, s11, s10
	s_sub_i32 s3, s12, s3
	s_sub_i32 s2, s18, s2
	s_add_i32 s8, s11, 1
	s_sub_i32 s9, s3, s10
	s_cmp_ge_u32 s3, s10
	s_cselect_b32 s8, s8, s11
	s_cselect_b32 s3, s9, s3
	s_add_i32 s9, s8, 1
	s_cmp_ge_u32 s3, s10
	s_cselect_b32 s3, s9, s8
	v_readlane_b32 s16, v42, 8
	s_mul_i32 s8, s3, s10
	v_readlane_b32 s17, v42, 9
	v_readlane_b32 s18, v42, 10
	s_sub_i32 s8, s12, s8
	s_mul_i32 s2, s2, s18
	s_mul_i32 s8, s8, s17
	s_add_i32 s2, s8, s2
	s_mul_i32 s3, s3, s16
	s_add_i32 s2, s2, s3
	s_mov_b32 s3, 0
	s_lshl_b64 s[2:3], s[2:3], 3
	v_readlane_b32 s8, v42, 16
	v_readlane_b32 s9, v42, 17
	s_add_u32 s2, s8, s2
	s_addc_u32 s3, s9, s3
	v_mov_b32_e32 v3, 0
	v_readlane_b32 s19, v42, 11
	global_store_dwordx2 v3, v[2:3], s[2:3]
.LBB74_253:
	s_or_b64 exec, exec, s[6:7]
.LBB74_254:
	s_or_saveexec_b64 s[2:3], s[4:5]
	s_mov_b64 s[4:5], 0
	s_xor_b64 exec, exec, s[2:3]
	s_cbranch_execnz .LBB74_257
.LBB74_255:
	s_or_b64 exec, exec, s[2:3]
	s_and_b64 s[4:5], s[4:5], exec
	s_andn2_saveexec_b64 s[0:1], s[0:1]
	s_cbranch_execz .LBB74_240
.LBB74_256:
	s_or_b64 s[4:5], s[4:5], exec
	s_trap 2
	s_or_b64 exec, exec, s[0:1]
	s_and_saveexec_b64 s[0:1], s[4:5]
	s_cbranch_execnz .LBB74_241
	s_branch .LBB74_242
.LBB74_257:
	s_mov_b64 s[4:5], exec
	s_trap 2
	s_branch .LBB74_255
	.section	.rodata,"a",@progbits
	.p2align	6, 0x0
	.amdhsa_kernel _ZN2at6native12_GLOBAL__N_112gatherMedianIhjLi3EEEvNS_4cuda6detail10TensorInfoIT_T0_EENS5_IlS7_EENS5_IKS6_S7_EES7_S7_S7_b
		.amdhsa_group_segment_fixed_size 4120
		.amdhsa_private_segment_fixed_size 0
		.amdhsa_kernarg_size 920
		.amdhsa_user_sgpr_count 6
		.amdhsa_user_sgpr_private_segment_buffer 1
		.amdhsa_user_sgpr_dispatch_ptr 0
		.amdhsa_user_sgpr_queue_ptr 0
		.amdhsa_user_sgpr_kernarg_segment_ptr 1
		.amdhsa_user_sgpr_dispatch_id 0
		.amdhsa_user_sgpr_flat_scratch_init 0
		.amdhsa_user_sgpr_kernarg_preload_length 0
		.amdhsa_user_sgpr_kernarg_preload_offset 0
		.amdhsa_user_sgpr_private_segment_size 0
		.amdhsa_uses_dynamic_stack 0
		.amdhsa_system_sgpr_private_segment_wavefront_offset 0
		.amdhsa_system_sgpr_workgroup_id_x 1
		.amdhsa_system_sgpr_workgroup_id_y 1
		.amdhsa_system_sgpr_workgroup_id_z 1
		.amdhsa_system_sgpr_workgroup_info 0
		.amdhsa_system_vgpr_workitem_id 0
		.amdhsa_next_free_vgpr 43
		.amdhsa_next_free_sgpr 96
		.amdhsa_accum_offset 44
		.amdhsa_reserve_vcc 1
		.amdhsa_reserve_flat_scratch 0
		.amdhsa_float_round_mode_32 0
		.amdhsa_float_round_mode_16_64 0
		.amdhsa_float_denorm_mode_32 3
		.amdhsa_float_denorm_mode_16_64 3
		.amdhsa_dx10_clamp 1
		.amdhsa_ieee_mode 1
		.amdhsa_fp16_overflow 0
		.amdhsa_tg_split 0
		.amdhsa_exception_fp_ieee_invalid_op 0
		.amdhsa_exception_fp_denorm_src 0
		.amdhsa_exception_fp_ieee_div_zero 0
		.amdhsa_exception_fp_ieee_overflow 0
		.amdhsa_exception_fp_ieee_underflow 0
		.amdhsa_exception_fp_ieee_inexact 0
		.amdhsa_exception_int_div_zero 0
	.end_amdhsa_kernel
	.section	.text._ZN2at6native12_GLOBAL__N_112gatherMedianIhjLi3EEEvNS_4cuda6detail10TensorInfoIT_T0_EENS5_IlS7_EENS5_IKS6_S7_EES7_S7_S7_b,"axG",@progbits,_ZN2at6native12_GLOBAL__N_112gatherMedianIhjLi3EEEvNS_4cuda6detail10TensorInfoIT_T0_EENS5_IlS7_EENS5_IKS6_S7_EES7_S7_S7_b,comdat
.Lfunc_end74:
	.size	_ZN2at6native12_GLOBAL__N_112gatherMedianIhjLi3EEEvNS_4cuda6detail10TensorInfoIT_T0_EENS5_IlS7_EENS5_IKS6_S7_EES7_S7_S7_b, .Lfunc_end74-_ZN2at6native12_GLOBAL__N_112gatherMedianIhjLi3EEEvNS_4cuda6detail10TensorInfoIT_T0_EENS5_IlS7_EENS5_IKS6_S7_EES7_S7_S7_b
                                        ; -- End function
	.section	.AMDGPU.csdata,"",@progbits
; Kernel info:
; codeLenInByte = 9872
; NumSgprs: 100
; NumVgprs: 43
; NumAgprs: 0
; TotalNumVgprs: 43
; ScratchSize: 0
; MemoryBound: 0
; FloatMode: 240
; IeeeMode: 1
; LDSByteSize: 4120 bytes/workgroup (compile time only)
; SGPRBlocks: 12
; VGPRBlocks: 5
; NumSGPRsForWavesPerEU: 100
; NumVGPRsForWavesPerEU: 43
; AccumOffset: 44
; Occupancy: 8
; WaveLimiterHint : 1
; COMPUTE_PGM_RSRC2:SCRATCH_EN: 0
; COMPUTE_PGM_RSRC2:USER_SGPR: 6
; COMPUTE_PGM_RSRC2:TRAP_HANDLER: 0
; COMPUTE_PGM_RSRC2:TGID_X_EN: 1
; COMPUTE_PGM_RSRC2:TGID_Y_EN: 1
; COMPUTE_PGM_RSRC2:TGID_Z_EN: 1
; COMPUTE_PGM_RSRC2:TIDIG_COMP_CNT: 0
; COMPUTE_PGM_RSRC3_GFX90A:ACCUM_OFFSET: 10
; COMPUTE_PGM_RSRC3_GFX90A:TG_SPLIT: 0
	.section	.text._ZN2at6native12_GLOBAL__N_112gatherMedianIhjLin1EEEvNS_4cuda6detail10TensorInfoIT_T0_EENS5_IlS7_EENS5_IKS6_S7_EES7_S7_S7_b,"axG",@progbits,_ZN2at6native12_GLOBAL__N_112gatherMedianIhjLin1EEEvNS_4cuda6detail10TensorInfoIT_T0_EENS5_IlS7_EENS5_IKS6_S7_EES7_S7_S7_b,comdat
	.globl	_ZN2at6native12_GLOBAL__N_112gatherMedianIhjLin1EEEvNS_4cuda6detail10TensorInfoIT_T0_EENS5_IlS7_EENS5_IKS6_S7_EES7_S7_S7_b ; -- Begin function _ZN2at6native12_GLOBAL__N_112gatherMedianIhjLin1EEEvNS_4cuda6detail10TensorInfoIT_T0_EENS5_IlS7_EENS5_IKS6_S7_EES7_S7_S7_b
	.p2align	8
	.type	_ZN2at6native12_GLOBAL__N_112gatherMedianIhjLin1EEEvNS_4cuda6detail10TensorInfoIT_T0_EENS5_IlS7_EENS5_IKS6_S7_EES7_S7_S7_b,@function
_ZN2at6native12_GLOBAL__N_112gatherMedianIhjLin1EEEvNS_4cuda6detail10TensorInfoIT_T0_EENS5_IlS7_EENS5_IKS6_S7_EES7_S7_S7_b: ; @_ZN2at6native12_GLOBAL__N_112gatherMedianIhjLin1EEEvNS_4cuda6detail10TensorInfoIT_T0_EENS5_IlS7_EENS5_IKS6_S7_EES7_S7_S7_b
; %bb.0:
	s_load_dwordx2 s[12:13], s[4:5], 0x298
	s_load_dwordx4 s[56:59], s[4:5], 0x288
	s_add_u32 s10, s4, 0x298
	s_addc_u32 s11, s5, 0
	s_waitcnt lgkmcnt(0)
	s_mul_i32 s0, s13, s8
	s_add_i32 s0, s0, s7
	s_mul_i32 s0, s0, s12
	s_add_i32 s7, s0, s6
	s_cmp_ge_u32 s7, s57
	s_cbranch_scc1 .LBB75_251
; %bb.1:
	s_load_dword s0, s[4:5], 0xd0
	s_mov_b32 s61, 0
	s_mov_b32 s33, s7
	s_waitcnt lgkmcnt(0)
	s_cmp_lt_i32 s0, 2
	s_cbranch_scc1 .LBB75_4
; %bb.2:
	s_add_i32 s60, s0, -1
	s_add_i32 s2, s0, 1
	s_lshl_b64 s[0:1], s[60:61], 2
	s_add_u32 s0, s0, s4
	s_addc_u32 s1, s1, s5
	s_add_u32 s0, s0, 8
	s_addc_u32 s1, s1, 0
	s_mov_b32 s33, s7
.LBB75_3:                               ; =>This Inner Loop Header: Depth=1
	s_load_dword s3, s[0:1], 0x0
	s_load_dword s9, s[0:1], 0x64
	s_mov_b32 s8, s33
	s_waitcnt lgkmcnt(0)
	v_cvt_f32_u32_e32 v1, s3
	s_sub_i32 s13, 0, s3
	v_rcp_iflag_f32_e32 v1, v1
	v_mul_f32_e32 v1, 0x4f7ffffe, v1
	v_cvt_u32_f32_e32 v1, v1
	v_readfirstlane_b32 s14, v1
	s_mul_i32 s13, s13, s14
	s_mul_hi_u32 s13, s14, s13
	s_add_i32 s14, s14, s13
	s_mul_hi_u32 s13, s33, s14
	s_mul_i32 s14, s13, s3
	s_sub_i32 s14, s33, s14
	s_add_i32 s15, s13, 1
	s_sub_i32 s16, s14, s3
	s_cmp_ge_u32 s14, s3
	s_cselect_b32 s13, s15, s13
	s_cselect_b32 s14, s16, s14
	s_add_i32 s15, s13, 1
	s_cmp_ge_u32 s14, s3
	s_cselect_b32 s33, s15, s13
	s_mul_i32 s3, s33, s3
	s_sub_i32 s3, s8, s3
	s_mul_i32 s3, s9, s3
	s_add_i32 s2, s2, -1
	s_add_i32 s61, s3, s61
	s_add_u32 s0, s0, -4
	s_addc_u32 s1, s1, -1
	s_cmp_gt_u32 s2, 2
	s_cbranch_scc1 .LBB75_3
.LBB75_4:
	s_load_dword s2, s[4:5], 0x1a8
	s_add_u32 s0, s4, 0xd8
	s_addc_u32 s1, s5, 0
	s_mov_b32 s63, 0
	s_mov_b32 s57, s7
	s_waitcnt lgkmcnt(0)
	s_cmp_lt_i32 s2, 2
	s_cbranch_scc1 .LBB75_7
; %bb.5:
	s_add_i32 s62, s2, -1
	s_add_i32 s8, s2, 1
	s_lshl_b64 s[2:3], s[62:63], 2
	s_add_u32 s2, s2, s0
	s_addc_u32 s3, s3, s1
	s_add_u32 s2, s2, 8
	s_addc_u32 s3, s3, 0
	s_mov_b32 s57, s7
.LBB75_6:                               ; =>This Inner Loop Header: Depth=1
	s_load_dword s9, s[2:3], 0x0
	s_load_dword s14, s[2:3], 0x64
	s_mov_b32 s13, s57
	s_waitcnt lgkmcnt(0)
	v_cvt_f32_u32_e32 v1, s9
	s_sub_i32 s15, 0, s9
	v_rcp_iflag_f32_e32 v1, v1
	v_mul_f32_e32 v1, 0x4f7ffffe, v1
	v_cvt_u32_f32_e32 v1, v1
	v_readfirstlane_b32 s16, v1
	s_mul_i32 s15, s15, s16
	s_mul_hi_u32 s15, s16, s15
	s_add_i32 s16, s16, s15
	s_mul_hi_u32 s15, s57, s16
	s_mul_i32 s16, s15, s9
	s_sub_i32 s16, s57, s16
	s_add_i32 s17, s15, 1
	s_sub_i32 s18, s16, s9
	s_cmp_ge_u32 s16, s9
	s_cselect_b32 s15, s17, s15
	s_cselect_b32 s16, s18, s16
	s_add_i32 s17, s15, 1
	s_cmp_ge_u32 s16, s9
	s_cselect_b32 s57, s17, s15
	s_mul_i32 s9, s57, s9
	s_sub_i32 s9, s13, s9
	s_mul_i32 s9, s14, s9
	s_add_i32 s8, s8, -1
	s_add_i32 s63, s9, s63
	s_add_u32 s2, s2, -4
	s_addc_u32 s3, s3, -1
	s_cmp_gt_u32 s8, 2
	s_cbranch_scc1 .LBB75_6
.LBB75_7:
	s_load_dword s2, s[4:5], 0x6c
                                        ; implicit-def: $vgpr42 : SGPR spill to VGPR lane
	s_add_u32 s8, s4, 0x1b0
	s_addc_u32 s9, s5, 0
	s_mov_b32 s3, 0
	s_waitcnt lgkmcnt(0)
	v_writelane_b32 v42, s2, 0
	s_load_dword s2, s[4:5], 0x280
	s_waitcnt lgkmcnt(0)
	s_cmp_lt_i32 s2, 2
	s_cbranch_scc1 .LBB75_10
; %bb.8:
	s_add_i32 s13, s2, 1
	s_add_i32 s2, s2, -1
	s_lshl_b64 s[14:15], s[2:3], 2
	s_add_u32 s2, s14, s8
	s_addc_u32 s9, s15, s9
	s_add_u32 s8, s2, 8
	s_addc_u32 s9, s9, 0
.LBB75_9:                               ; =>This Inner Loop Header: Depth=1
	s_load_dword s2, s[8:9], 0x0
	s_load_dword s15, s[8:9], 0x64
	s_mov_b32 s14, s7
	s_waitcnt lgkmcnt(0)
	v_cvt_f32_u32_e32 v1, s2
	s_sub_i32 s7, 0, s2
	v_rcp_iflag_f32_e32 v1, v1
	v_mul_f32_e32 v1, 0x4f7ffffe, v1
	v_cvt_u32_f32_e32 v1, v1
	v_readfirstlane_b32 s16, v1
	s_mul_i32 s7, s7, s16
	s_mul_hi_u32 s7, s16, s7
	s_add_i32 s16, s16, s7
	s_mul_hi_u32 s7, s14, s16
	s_mul_i32 s16, s7, s2
	s_sub_i32 s16, s14, s16
	s_add_i32 s17, s7, 1
	s_sub_i32 s18, s16, s2
	s_cmp_ge_u32 s16, s2
	s_cselect_b32 s7, s17, s7
	s_cselect_b32 s16, s18, s16
	s_add_i32 s17, s7, 1
	s_cmp_ge_u32 s16, s2
	s_cselect_b32 s7, s17, s7
	s_mul_i32 s2, s7, s2
	s_sub_i32 s2, s14, s2
	s_mul_i32 s2, s15, s2
	s_add_i32 s13, s13, -1
	s_add_i32 s3, s2, s3
	s_add_u32 s8, s8, -4
	s_addc_u32 s9, s9, -1
	s_cmp_gt_u32 s13, 2
	s_cbranch_scc1 .LBB75_9
.LBB75_10:
	s_load_dword s0, s[0:1], 0x6c
	s_waitcnt lgkmcnt(0)
	v_writelane_b32 v42, s0, 1
	v_cmp_eq_u32_e64 s[0:1], 0, v0
	s_mov_b64 s[8:9], exec
	v_writelane_b32 v42, s0, 2
	v_writelane_b32 v42, s1, 3
	s_and_b64 s[0:1], s[8:9], s[0:1]
	s_mov_b64 exec, s[0:1]
	s_cbranch_execz .LBB75_12
; %bb.11:
	v_mov_b32_e32 v2, 0
	v_mov_b32_e32 v3, v2
	ds_write_b64 v2, v[2:3] offset:4096
.LBB75_12:
	s_or_b64 exec, exec, s[8:9]
	v_mov_b32_e32 v1, 0
	s_waitcnt lgkmcnt(0)
	s_barrier
	s_barrier
	ds_read_b64 v[2:3], v1 offset:4096
	s_load_dwordx2 s[8:9], s[4:5], 0x1b0
	s_bitcmp1_b32 s59, 0
	s_cselect_b64 s[0:1], -1, 0
	s_waitcnt lgkmcnt(0)
	v_cmp_gt_i64_e32 vcc, 1, v[2:3]
	s_or_b64 s[0:1], s[0:1], vcc
	s_andn2_b64 vcc, exec, s[0:1]
	s_mov_b32 s0, s56
	s_cbranch_vccnz .LBB75_14
; %bb.13:
	v_not_b32_e32 v1, v2
	v_not_b32_e32 v2, v3
	v_add_co_u32_e32 v1, vcc, s56, v1
	v_addc_co_u32_e32 v2, vcc, 0, v2, vcc
	v_lshrrev_b32_e32 v3, 31, v2
	v_add_co_u32_e32 v1, vcc, v1, v3
	v_addc_co_u32_e32 v2, vcc, 0, v2, vcc
	v_alignbit_b32 v1, v2, v1, 1
	v_readfirstlane_b32 s0, v1
	s_add_i32 s0, s0, 1
.LBB75_14:
	s_load_dwordx2 s[14:15], s[4:5], 0x0
	s_load_dword s1, s[4:5], 0x21c
                                        ; kill: killed $sgpr4 killed $sgpr5
	s_waitcnt lgkmcnt(0)
	v_writelane_b32 v42, s14, 4
	v_writelane_b32 v42, s15, 5
	s_load_dwordx2 s[14:15], s[4:5], 0xd8
	s_waitcnt lgkmcnt(0)
	v_writelane_b32 v42, s14, 6
	v_writelane_b32 v42, s15, 7
	s_mov_b64 s[4:5], exec
	v_readlane_b32 s14, v42, 2
	v_readlane_b32 s15, v42, 3
	s_and_b64 s[14:15], s[4:5], s[14:15]
	s_mov_b64 exec, s[14:15]
	s_cbranch_execz .LBB75_16
; %bb.15:
	v_mov_b32_e32 v2, 0
	v_mov_b32_e32 v3, s56
	ds_write_b32 v2, v2 offset:4112
	ds_write_b64 v2, v[2:3] offset:4104
.LBB75_16:
	s_or_b64 exec, exec, s[4:5]
	s_waitcnt lgkmcnt(0)
	s_barrier
	s_load_dword s2, s[10:11], 0xc
	s_mul_i32 s1, s1, s7
	s_add_i32 s1, s1, s3
	s_add_u32 s66, s8, s1
	v_cmp_gt_u32_e64 s[4:5], s56, v0
	v_mbcnt_lo_u32_b32 v1, -1, 0
	s_addc_u32 s67, s9, 0
	v_writelane_b32 v42, s4, 8
	s_waitcnt lgkmcnt(0)
	s_and_b32 s59, s2, 0xffff
	v_mbcnt_hi_u32_b32 v12, -1, v1
	v_writelane_b32 v42, s5, 9
	v_cmp_gt_u32_e32 vcc, 64, v0
	v_cmp_gt_i32_e64 s[4:5], 4, v12
	s_add_i32 s1, s59, -1
	s_lshl_b32 s62, s59, 2
	s_bfe_u32 s8, s2, 0xa0006
	s_and_b64 s[72:73], vcc, s[4:5]
	v_writelane_b32 v42, s1, 10
	s_add_i32 s1, s1, s56
	s_cmpk_gt_u32 s56, 0xc00
	s_cselect_b64 s[2:3], -1, 0
	v_writelane_b32 v42, s2, 11
	s_cmp_gt_u32 s59, 63
	v_writelane_b32 v42, s3, 12
	s_cselect_b64 s[2:3], -1, 0
	v_writelane_b32 v42, s2, 13
	s_cmp_lt_u32 s6, s12
	v_writelane_b32 v42, s3, 14
	s_cselect_b32 s2, 12, 18
	s_add_u32 s2, s10, s2
	s_addc_u32 s3, s11, 0
	v_writelane_b32 v42, s2, 15
	v_writelane_b32 v42, s3, 16
	s_add_i32 s2, s8, -2
	s_lshr_b32 s3, s2, 1
	s_add_i32 s3, s3, 1
	v_lshlrev_b64 v[2:3], v12, -1
	s_cmpk_gt_u32 s59, 0x7f
	v_not_b32_e32 v8, v2
	v_cvt_f32_u32_e32 v2, s62
	s_cselect_b64 s[4:5], -1, 0
	s_and_b32 s9, s8, 0x3fe
	s_and_b32 s10, s3, 7
	v_writelane_b32 v42, s4, 17
	s_cmp_gt_u32 s2, 13
	v_writelane_b32 v42, s5, 18
	s_cselect_b64 s[12:13], -1, 0
	v_writelane_b32 v42, s12, 19
	v_rcp_iflag_f32_e32 v2, v2
	v_writelane_b32 v42, s13, 20
	s_and_b32 s2, s3, -8
	v_writelane_b32 v42, s2, 21
	s_cmp_lg_u32 s10, 0
	v_writelane_b32 v42, s10, 22
	s_cselect_b64 s[2:3], -1, 0
	v_writelane_b32 v42, s2, 23
	v_mul_f32_e32 v2, 0x4f7ffffe, v2
	v_writelane_b32 v42, s3, 24
	v_cvt_u32_f32_e32 v2, v2
	v_writelane_b32 v42, s8, 25
	s_cmp_lg_u32 s9, s8
	v_writelane_b32 v42, s9, 26
	s_cselect_b64 s[2:3], -1, 0
	v_writelane_b32 v42, s2, 27
	v_writelane_b32 v42, s3, 28
	s_sub_i32 s2, 0, s62
	v_readfirstlane_b32 s3, v2
	s_mul_i32 s2, s2, s3
	s_mul_hi_u32 s2, s3, s2
	s_add_i32 s79, s3, s2
	v_cvt_f32_u32_e32 v2, s59
	s_mul_hi_u32 s2, s56, s79
	s_mul_i32 s2, s2, s62
	s_sub_i32 s2, s56, s2
	s_sub_i32 s3, s2, s62
	v_rcp_iflag_f32_e32 v2, v2
	s_cmp_ge_u32 s2, s62
	s_cselect_b32 s2, s3, s2
	s_sub_i32 s3, s2, s62
	s_cmp_ge_u32 s2, s62
	v_mul_f32_e32 v2, 0x4f7ffffe, v2
	s_cselect_b32 s2, s3, s2
	v_cvt_u32_f32_e32 v2, v2
	v_lshlrev_b32_e32 v13, 2, v0
	s_sub_i32 s80, s56, s2
	v_cmp_gt_u32_e64 s[8:9], s80, v13
	v_writelane_b32 v42, s8, 29
	v_writelane_b32 v42, s9, 30
	s_sub_i32 s3, 0, s59
	v_readfirstlane_b32 s8, v2
	s_mul_i32 s3, s3, s8
	s_mul_hi_u32 s3, s8, s3
	s_add_i32 s3, s8, s3
	v_writelane_b32 v42, s3, 31
	s_mul_hi_u32 s3, s1, s3
	s_mul_i32 s3, s3, s59
	s_sub_i32 s3, s1, s3
	s_sub_i32 s8, s3, s59
	s_cmp_ge_u32 s3, s59
	s_cselect_b32 s3, s8, s3
	s_sub_i32 s8, s3, s59
	v_mul_lo_u32 v9, v0, s58
	s_cmp_ge_u32 s3, s59
	v_mul_lo_u32 v2, s58, v13
	v_mov_b32_e32 v1, s67
	v_add_co_u32_e32 v6, vcc, s66, v9
	s_cselect_b32 s3, s8, s3
	v_add_u32_e32 v17, s58, v2
	v_or_b32_e32 v2, 2, v13
	v_addc_co_u32_e32 v7, vcc, 0, v1, vcc
	v_lshrrev_b32_e32 v1, 4, v0
	v_add_u32_e32 v16, s80, v0
	s_sub_i32 s12, s1, s3
	v_mul_lo_u32 v18, s58, v2
	v_or_b32_e32 v2, 3, v13
	s_add_i32 s1, s59, s56
	v_and_b32_e32 v14, 60, v1
	v_not_b32_e32 v1, v3
	v_mul_lo_u32 v3, v16, s58
	v_mul_lo_u32 v19, s58, v2
	v_add_u32_e32 v2, s1, v0
	v_lshlrev_b32_e32 v4, 2, v12
	v_mov_b32_e32 v5, s67
	v_add_co_u32_e32 v10, vcc, s66, v3
	v_cmp_gt_u32_e64 s[8:9], s12, v0
	s_mul_i32 s78, s58, s59
	v_subrev_u32_e32 v2, s2, v2
	s_mov_b32 s70, 0
	v_cmp_eq_u32_e64 s[4:5], 0, v12
	v_cmp_gt_u32_e64 s[6:7], 2, v0
	v_and_b32_e32 v15, 0x100, v4
	v_cmp_gt_u32_e64 s[10:11], s56, v16
	v_addc_co_u32_e32 v11, vcc, 0, v5, vcc
	v_writelane_b32 v42, s8, 32
	s_lshl_b32 s13, s78, 2
	v_lshlrev_b32_e32 v20, 2, v9
	v_mul_lo_u32 v21, s58, v2
	v_or_b32_e32 v22, 0xc00, v4
	s_mov_b32 s74, 6
	s_mov_b64 s[88:89], 0
	v_mov_b32_e32 v23, 0
	v_mov_b32_e32 v24, 0xc00
	;; [unrolled: 1-line block ×3, first 2 shown]
	s_mov_b32 s75, 0
	s_mov_b32 s3, 0
	;; [unrolled: 1-line block ×3, first 2 shown]
	v_writelane_b32 v42, s9, 33
                                        ; implicit-def: $sgpr90_sgpr91
                                        ; implicit-def: $sgpr94_sgpr95
                                        ; implicit-def: $sgpr92_sgpr93
                                        ; implicit-def: $sgpr64_sgpr65
                                        ; implicit-def: $sgpr68_sgpr69
                                        ; implicit-def: $sgpr82_sgpr83
	s_branch .LBB75_21
.LBB75_17:                              ;   in Loop: Header=BB75_21 Depth=1
	s_xor_b32 s75, s75, 1
	s_add_i32 s0, s74, -2
	s_cmp_eq_u32 s74, 0
	s_mov_b64 s[16:17], 0
	s_cselect_b64 s[26:27], -1, 0
	s_mov_b32 s74, s0
.LBB75_18:                              ;   in Loop: Header=BB75_21 Depth=1
	s_andn2_b64 s[0:1], s[20:21], exec
	s_and_b64 s[8:9], s[16:17], exec
	s_or_b64 s[20:21], s[0:1], s[8:9]
	s_andn2_b64 s[22:23], s[22:23], exec
	s_andn2_b64 s[18:19], s[18:19], exec
	s_orn2_b64 s[16:17], s[26:27], exec
	s_mov_b32 s0, s35
.LBB75_19:                              ;   in Loop: Header=BB75_21 Depth=1
	s_or_b64 exec, exec, s[24:25]
	s_andn2_b64 s[8:9], s[82:83], exec
	s_and_b64 s[20:21], s[20:21], exec
	s_or_b64 s[82:83], s[8:9], s[20:21]
	s_andn2_b64 s[8:9], s[68:69], exec
	s_and_b64 s[20:21], s[22:23], exec
	s_or_b64 s[68:69], s[8:9], s[20:21]
	s_andn2_b64 s[8:9], s[64:65], exec
	s_and_b64 s[18:19], s[18:19], exec
	s_or_b64 s[64:65], s[8:9], s[18:19]
	s_orn2_b64 s[16:17], s[16:17], exec
.LBB75_20:                              ;   in Loop: Header=BB75_21 Depth=1
	s_or_b64 exec, exec, s[14:15]
	s_and_b64 s[8:9], exec, s[16:17]
	s_or_b64 s[88:89], s[8:9], s[88:89]
	s_andn2_b64 s[8:9], s[92:93], exec
	s_and_b64 s[14:15], s[82:83], exec
	s_or_b64 s[92:93], s[8:9], s[14:15]
	s_andn2_b64 s[8:9], s[94:95], exec
	s_and_b64 s[14:15], s[68:69], exec
	;; [unrolled: 3-line block ×3, first 2 shown]
	v_mov_b32_e32 v2, s3
	s_or_b64 s[90:91], s[8:9], s[14:15]
	s_andn2_b64 exec, exec, s[88:89]
	s_cbranch_execz .LBB75_247
.LBB75_21:                              ; =>This Loop Header: Depth=1
                                        ;     Child Loop BB75_26 Depth 2
                                        ;     Child Loop BB75_44 Depth 2
	;; [unrolled: 1-line block ×17, first 2 shown]
	ds_read_b64 v[2:3], v23 offset:4104
	s_waitcnt lgkmcnt(0)
	v_readfirstlane_b32 s1, v2
	s_cmp_lg_u32 s1, 0
	s_cbranch_scc1 .LBB75_51
; %bb.22:                               ;   in Loop: Header=BB75_21 Depth=1
	v_readlane_b32 s8, v42, 11
	v_readlane_b32 s9, v42, 12
	s_and_b64 vcc, exec, s[8:9]
	s_cbranch_vccz .LBB75_34
; %bb.23:                               ;   in Loop: Header=BB75_21 Depth=1
	s_movk_i32 s1, 0xc01
	v_cmp_gt_u32_e32 vcc, s1, v3
	s_mov_b64 s[16:17], 0
	s_mov_b64 s[14:15], 0
	s_cbranch_vccz .LBB75_35
; %bb.24:                               ;   in Loop: Header=BB75_21 Depth=1
	v_readlane_b32 s8, v42, 15
	v_readlane_b32 s9, v42, 16
	s_nop 4
	global_load_ushort v2, v23, s[8:9]
	global_load_ubyte v4, v[6:7], off
	s_mov_b64 s[18:19], 0
	v_mov_b32_e32 v26, v0
	s_waitcnt vmcnt(1)
	v_add_u32_e32 v5, v0, v2
	v_mul_lo_u32 v3, s58, v2
	v_mul_lo_u32 v5, s58, v5
	s_branch .LBB75_26
.LBB75_25:                              ;   in Loop: Header=BB75_26 Depth=2
	s_or_b64 exec, exec, s[14:15]
	v_add_u32_e32 v5, v5, v3
	v_mov_b32_e32 v4, v27
	s_andn2_b64 exec, exec, s[18:19]
	s_cbranch_execz .LBB75_36
.LBB75_26:                              ;   Parent Loop BB75_21 Depth=1
                                        ; =>  This Inner Loop Header: Depth=2
	v_add_u32_e32 v26, v26, v2
	v_cmp_gt_u32_e64 s[14:15], s56, v26
	v_cmp_le_u32_e32 vcc, s56, v26
	s_waitcnt lgkmcnt(0)
	v_mov_b32_e32 v28, 0
	v_mov_b32_e32 v27, 0
	s_and_saveexec_b64 s[20:21], s[14:15]
	s_cbranch_execz .LBB75_28
; %bb.27:                               ;   in Loop: Header=BB75_26 Depth=2
	global_load_ubyte v27, v5, s[66:67]
.LBB75_28:                              ;   in Loop: Header=BB75_26 Depth=2
	s_or_b64 exec, exec, s[20:21]
	s_waitcnt vmcnt(0)
	v_and_b32_e32 v29, s2, v4
	v_cmp_eq_u32_sdwa s[20:21], v29, s3 src0_sel:BYTE_0 src1_sel:DWORD
	s_cmp_lg_u64 s[20:21], 0
	s_cselect_b64 s[8:9], -1, 0
	s_and_b64 s[8:9], s[4:5], s[8:9]
	s_and_saveexec_b64 s[22:23], s[8:9]
	s_cbranch_execz .LBB75_32
; %bb.29:                               ;   in Loop: Header=BB75_26 Depth=2
	s_mov_b64 s[26:27], exec
	v_mbcnt_lo_u32_b32 v28, s26, 0
	v_mbcnt_hi_u32_b32 v28, s27, v28
	s_bcnt1_i32_b64 s1, s[20:21]
	v_cmp_eq_u32_e64 s[14:15], 0, v28
                                        ; implicit-def: $vgpr29
	s_and_saveexec_b64 s[24:25], s[14:15]
	s_cbranch_execz .LBB75_31
; %bb.30:                               ;   in Loop: Header=BB75_26 Depth=2
	s_bcnt1_i32_b64 s8, s[26:27]
	s_mul_i32 s8, s1, s8
	v_mov_b32_e32 v29, s8
	ds_add_rtn_u32 v29, v23, v29 offset:4112
.LBB75_31:                              ;   in Loop: Header=BB75_26 Depth=2
	s_or_b64 exec, exec, s[24:25]
	s_waitcnt lgkmcnt(0)
	v_readfirstlane_b32 s8, v29
	v_mov_b32_e32 v29, s8
	v_mad_u32_u24 v28, s1, v28, v29
.LBB75_32:                              ;   in Loop: Header=BB75_26 Depth=2
	s_or_b64 exec, exec, s[22:23]
	ds_bpermute_b32 v28, v15, v28
	s_and_b64 s[8:9], exec, vcc
	s_or_b64 s[18:19], s[8:9], s[18:19]
	s_and_saveexec_b64 s[14:15], s[20:21]
	s_cbranch_execz .LBB75_25
; %bb.33:                               ;   in Loop: Header=BB75_26 Depth=2
	v_and_b32_e32 v30, s20, v8
	v_and_b32_e32 v29, s21, v1
	v_bcnt_u32_b32 v30, v30, 0
	v_bcnt_u32_b32 v29, v29, v30
	s_waitcnt lgkmcnt(0)
	v_add_u32_e32 v28, v28, v29
	ds_write_b8 v28, v4
	s_branch .LBB75_25
.LBB75_34:                              ;   in Loop: Header=BB75_21 Depth=1
	s_mov_b64 s[14:15], 0
                                        ; implicit-def: $sgpr1
	s_cbranch_execnz .LBB75_39
	s_branch .LBB75_49
.LBB75_35:                              ;   in Loop: Header=BB75_21 Depth=1
	s_mov_b32 s1, 0
	s_and_b64 vcc, exec, s[16:17]
	s_cbranch_vccnz .LBB75_39
	s_branch .LBB75_49
.LBB75_36:                              ;   in Loop: Header=BB75_21 Depth=1
	s_or_b64 exec, exec, s[18:19]
	s_waitcnt lgkmcnt(0)
	s_barrier
	s_mov_b64 s[14:15], exec
	v_readlane_b32 s8, v42, 2
	v_readlane_b32 s9, v42, 3
	s_and_b64 s[8:9], s[14:15], s[8:9]
	s_mov_b64 exec, s[8:9]
	s_cbranch_execz .LBB75_38
; %bb.37:                               ;   in Loop: Header=BB75_21 Depth=1
	ds_read_b32 v2, v23 offset:4112
	s_waitcnt lgkmcnt(0)
	ds_write_b32 v23, v2 offset:4104
.LBB75_38:                              ;   in Loop: Header=BB75_21 Depth=1
	s_or_b64 exec, exec, s[14:15]
	s_waitcnt lgkmcnt(0)
	s_barrier
	s_mov_b64 s[14:15], -1
	s_mov_b32 s1, 0
	s_and_b64 vcc, exec, s[16:17]
	s_cbranch_vccz .LBB75_49
.LBB75_39:                              ;   in Loop: Header=BB75_21 Depth=1
	v_mov_b32_e32 v2, 0
	s_mov_b64 s[14:15], exec
	v_readlane_b32 s8, v42, 8
	v_readlane_b32 s9, v42, 9
	s_and_b64 s[8:9], s[14:15], s[8:9]
	s_mov_b64 exec, s[8:9]
	s_cbranch_execz .LBB75_41
; %bb.40:                               ;   in Loop: Header=BB75_21 Depth=1
	global_load_ubyte v2, v[6:7], off
.LBB75_41:                              ;   in Loop: Header=BB75_21 Depth=1
	s_or_b64 exec, exec, s[14:15]
	s_mov_b64 s[16:17], exec
	v_readlane_b32 s8, v42, 8
	v_readlane_b32 s9, v42, 9
	s_and_b64 s[8:9], s[16:17], s[8:9]
	s_mov_b64 exec, s[8:9]
	s_cbranch_execz .LBB75_46
; %bb.42:                               ;   in Loop: Header=BB75_21 Depth=1
	v_readlane_b32 s8, v42, 15
	v_readlane_b32 s9, v42, 16
	s_mov_b64 s[18:19], 0
	v_mov_b32_e32 v26, v0
	s_nop 2
	global_load_ushort v3, v23, s[8:9]
	s_waitcnt vmcnt(0)
	v_add_u32_e32 v5, v0, v3
	v_mul_lo_u32 v4, s58, v3
	v_mul_lo_u32 v5, s58, v5
	s_branch .LBB75_44
.LBB75_43:                              ;   in Loop: Header=BB75_44 Depth=2
	s_or_b64 exec, exec, s[20:21]
	s_and_b64 s[8:9], exec, vcc
	s_or_b64 s[18:19], s[8:9], s[18:19]
	ds_write_b8 v26, v2
	v_add_u32_e32 v5, v5, v4
	s_waitcnt vmcnt(0)
	v_mov_b32_e32 v2, v28
	v_mov_b32_e32 v26, v27
	s_andn2_b64 exec, exec, s[18:19]
	s_cbranch_execz .LBB75_46
.LBB75_44:                              ;   Parent Loop BB75_21 Depth=1
                                        ; =>  This Inner Loop Header: Depth=2
	v_add_u32_e32 v27, v26, v3
	v_cmp_gt_u32_e64 s[14:15], s56, v27
	v_cmp_le_u32_e32 vcc, s56, v27
	v_mov_b32_e32 v28, 0
	s_and_saveexec_b64 s[20:21], s[14:15]
	s_cbranch_execz .LBB75_43
; %bb.45:                               ;   in Loop: Header=BB75_44 Depth=2
	global_load_ubyte v28, v5, s[66:67]
	s_branch .LBB75_43
.LBB75_46:                              ;   in Loop: Header=BB75_21 Depth=1
	s_or_b64 exec, exec, s[16:17]
	s_waitcnt lgkmcnt(0)
	s_barrier
	s_mov_b64 s[14:15], exec
	v_readlane_b32 s8, v42, 2
	v_readlane_b32 s9, v42, 3
	s_and_b64 s[8:9], s[14:15], s[8:9]
	s_mov_b64 exec, s[8:9]
	s_cbranch_execz .LBB75_48
; %bb.47:                               ;   in Loop: Header=BB75_21 Depth=1
	s_waitcnt vmcnt(0)
	v_mov_b32_e32 v2, s56
	ds_write_b32 v23, v2 offset:4104
.LBB75_48:                              ;   in Loop: Header=BB75_21 Depth=1
	s_or_b64 exec, exec, s[14:15]
	s_mov_b64 s[14:15], -1
	s_waitcnt lgkmcnt(0)
	s_barrier
                                        ; implicit-def: $sgpr1
.LBB75_49:                              ;   in Loop: Header=BB75_21 Depth=1
	s_and_b64 vcc, exec, s[14:15]
	s_cbranch_vccz .LBB75_51
; %bb.50:                               ;   in Loop: Header=BB75_21 Depth=1
	s_waitcnt vmcnt(0)
	ds_read_b32 v2, v23 offset:4104
	s_waitcnt lgkmcnt(0)
	v_readfirstlane_b32 s1, v2
.LBB75_51:                              ;   in Loop: Header=BB75_21 Depth=1
	s_cmp_lt_i32 s1, 1
	s_cbranch_scc0 .LBB75_55
; %bb.52:                               ;   in Loop: Header=BB75_21 Depth=1
	s_waitcnt vmcnt(0)
	v_mov_b32_e32 v2, 0
	s_mov_b32 s71, 0
	v_mov_b32_e32 v3, 0
	v_mov_b32_e32 v4, v2
	;; [unrolled: 1-line block ×3, first 2 shown]
	s_mov_b64 s[84:85], exec
	v_readlane_b32 s8, v42, 29
	v_readlane_b32 s9, v42, 30
	s_and_b64 s[8:9], s[84:85], s[8:9]
	s_mov_b64 exec, s[8:9]
	s_cbranch_execnz .LBB75_56
; %bb.53:                               ;   in Loop: Header=BB75_21 Depth=1
	s_or_b64 exec, exec, s[84:85]
	v_mov_b32_e32 v28, 0
	s_and_saveexec_b64 s[14:15], s[10:11]
	s_cbranch_execnz .LBB75_59
.LBB75_54:                              ;   in Loop: Header=BB75_21 Depth=1
	s_or_b64 exec, exec, s[14:15]
	s_and_saveexec_b64 s[16:17], s[10:11]
	s_cbranch_execnz .LBB75_60
	s_branch .LBB75_65
.LBB75_55:                              ;   in Loop: Header=BB75_21 Depth=1
                                        ; implicit-def: $vgpr5
	s_cbranch_execnz .LBB75_66
	s_branch .LBB75_75
.LBB75_56:                              ;   in Loop: Header=BB75_21 Depth=1
	s_and_b32 s60, s74, 0xfe
	s_mov_b64 s[86:87], 0
	s_mov_b32 s81, 0
	s_mov_b32 s76, 0
	;; [unrolled: 1-line block ×4, first 2 shown]
	v_mov_b32_e32 v26, v13
.LBB75_57:                              ;   Parent Loop BB75_21 Depth=1
                                        ; =>  This Inner Loop Header: Depth=2
	v_add_u32_e32 v2, s71, v20
	v_add_u32_e32 v3, s71, v17
	v_add_u32_e32 v4, s71, v18
	v_add_u32_e32 v5, s71, v19
	global_load_ubyte v2, v2, s[66:67]
	s_nop 0
	global_load_ubyte v3, v3, s[66:67]
	s_nop 0
	;; [unrolled: 2-line block ×3, first 2 shown]
	global_load_ubyte v5, v5, s[66:67]
	v_add_u32_e32 v26, s62, v26
	s_add_i32 s71, s71, s13
	v_cmp_le_u32_e32 vcc, s80, v26
	s_waitcnt vmcnt(3)
	v_and_b32_e32 v27, s2, v2
	v_bfe_u32 v2, v2, s60, 2
	s_waitcnt vmcnt(2)
	v_and_b32_e32 v28, s2, v3
	v_bfe_u32 v3, v3, s60, 2
	v_cmp_eq_u32_e64 s[14:15], s3, v27
	v_cmp_eq_u32_e64 s[22:23], 0, v2
	s_waitcnt vmcnt(1)
	v_and_b32_e32 v29, s2, v4
	v_bfe_u32 v4, v4, s60, 2
	v_cmp_eq_u32_e64 s[16:17], s3, v28
	v_cmp_eq_u32_e64 s[24:25], 0, v3
	s_and_b64 s[22:23], s[14:15], s[22:23]
	s_waitcnt vmcnt(0)
	v_and_b32_e32 v30, s2, v5
	v_bfe_u32 v5, v5, s60, 2
	v_cmp_eq_u32_e64 s[18:19], s3, v29
	v_cmp_eq_u32_e64 s[26:27], 0, v4
	;; [unrolled: 1-line block ×5, first 2 shown]
	v_cndmask_b32_e64 v2, 0, 1, s[22:23]
	s_and_b64 s[22:23], s[16:17], s[24:25]
	v_cmp_eq_u32_e64 s[20:21], s3, v30
	v_cmp_eq_u32_e64 s[28:29], 0, v5
	;; [unrolled: 1-line block ×5, first 2 shown]
	v_cndmask_b32_e64 v3, 0, 1, s[22:23]
	s_and_b64 s[22:23], s[18:19], s[26:27]
	v_cmp_eq_u32_e64 s[36:37], 1, v4
	v_cmp_eq_u32_e64 s[44:45], 2, v4
	;; [unrolled: 1-line block ×3, first 2 shown]
	v_cndmask_b32_e64 v4, 0, 1, s[22:23]
	s_and_b64 s[22:23], s[20:21], s[28:29]
	v_cmp_eq_u32_e64 s[38:39], 1, v5
	v_cmp_eq_u32_e64 s[46:47], 2, v5
	;; [unrolled: 1-line block ×3, first 2 shown]
	v_cndmask_b32_e64 v5, 0, 1, s[22:23]
	s_and_b64 s[22:23], s[14:15], s[30:31]
	v_cndmask_b32_e64 v27, 0, 1, s[22:23]
	s_and_b64 s[22:23], s[16:17], s[34:35]
	;; [unrolled: 2-line block ×5, first 2 shown]
	s_and_b64 s[14:15], s[14:15], s[48:49]
	v_cndmask_b32_e64 v31, 0, 1, s[22:23]
	s_and_b64 s[22:23], s[16:17], s[42:43]
	v_cndmask_b32_e64 v35, 0, 1, s[14:15]
	;; [unrolled: 2-line block ×7, first 2 shown]
	v_cndmask_b32_e64 v38, 0, 1, s[14:15]
	v_cmp_ne_u32_e64 s[14:15], 0, v2
	v_cmp_ne_u32_e64 s[16:17], 0, v3
	;; [unrolled: 1-line block ×11, first 2 shown]
	s_bcnt1_i32_b64 s9, s[14:15]
	s_bcnt1_i32_b64 s14, s[16:17]
	;; [unrolled: 1-line block ×8, first 2 shown]
	v_cmp_ne_u32_e64 s[36:37], 0, v33
	v_cmp_ne_u32_e64 s[44:45], 0, v37
	s_bcnt1_i32_b64 s19, s[26:27]
	s_bcnt1_i32_b64 s22, s[34:35]
	;; [unrolled: 1-line block ×3, first 2 shown]
	s_add_i32 s8, s8, s9
	s_add_i32 s9, s77, s17
	s_add_i32 s17, s76, s21
	s_add_i32 s21, s81, s25
	v_cmp_ne_u32_e64 s[28:29], 0, v30
	v_cmp_ne_u32_e64 s[38:39], 0, v34
	v_cmp_ne_u32_e64 s[46:47], 0, v38
	s_bcnt1_i32_b64 s23, s[36:37]
	s_bcnt1_i32_b64 s27, s[44:45]
	s_add_i32 s8, s8, s14
	s_add_i32 s9, s9, s18
	;; [unrolled: 1-line block ×4, first 2 shown]
	s_bcnt1_i32_b64 s20, s[28:29]
	s_bcnt1_i32_b64 s24, s[38:39]
	;; [unrolled: 1-line block ×3, first 2 shown]
	s_add_i32 s8, s8, s15
	s_add_i32 s9, s9, s19
	;; [unrolled: 1-line block ×8, first 2 shown]
	s_or_b64 s[86:87], vcc, s[86:87]
	v_mov_b32_e32 v2, s8
	v_mov_b32_e32 v3, s77
	;; [unrolled: 1-line block ×4, first 2 shown]
	s_andn2_b64 exec, exec, s[86:87]
	s_cbranch_execnz .LBB75_57
; %bb.58:                               ;   in Loop: Header=BB75_21 Depth=1
	s_or_b64 exec, exec, s[86:87]
	s_or_b64 exec, exec, s[84:85]
	v_mov_b32_e32 v28, 0
	s_and_saveexec_b64 s[14:15], s[10:11]
	s_cbranch_execz .LBB75_54
.LBB75_59:                              ;   in Loop: Header=BB75_21 Depth=1
	global_load_ubyte v28, v[10:11], off
	s_or_b64 exec, exec, s[14:15]
	s_and_saveexec_b64 s[16:17], s[10:11]
	s_cbranch_execz .LBB75_65
.LBB75_60:                              ;   in Loop: Header=BB75_21 Depth=1
	s_and_b32 s8, s74, 0xfe
	s_mov_b64 s[18:19], 0
	v_mov_b32_e32 v26, v21
	v_mov_b32_e32 v27, v16
	s_branch .LBB75_62
.LBB75_61:                              ;   in Loop: Header=BB75_62 Depth=2
	s_or_b64 exec, exec, s[20:21]
	s_waitcnt vmcnt(0)
	v_and_b32_e32 v28, 0xff, v28
	s_and_b64 s[14:15], exec, vcc
	v_and_b32_e32 v30, s2, v28
	v_bfe_u32 v28, v28, s8, 2
	s_or_b64 s[18:19], s[14:15], s[18:19]
	v_cmp_eq_u32_e32 vcc, s3, v30
	v_cmp_eq_u32_e64 s[14:15], 0, v28
	s_and_b64 s[14:15], vcc, s[14:15]
	v_cndmask_b32_e64 v30, 0, 1, s[14:15]
	v_cmp_ne_u32_e64 s[14:15], 0, v30
	s_bcnt1_i32_b64 s9, s[14:15]
	v_cmp_eq_u32_e64 s[14:15], 1, v28
	s_and_b64 s[14:15], vcc, s[14:15]
	v_cndmask_b32_e64 v30, 0, 1, s[14:15]
	v_cmp_ne_u32_e64 s[14:15], 0, v30
	v_add_u32_e32 v2, s9, v2
	s_bcnt1_i32_b64 s9, s[14:15]
	v_cmp_eq_u32_e64 s[14:15], 2, v28
	s_and_b64 s[14:15], vcc, s[14:15]
	v_cndmask_b32_e64 v30, 0, 1, s[14:15]
	v_cmp_ne_u32_e64 s[14:15], 0, v30
	v_add_u32_e32 v3, s9, v3
	s_bcnt1_i32_b64 s9, s[14:15]
	v_cmp_eq_u32_e64 s[14:15], 3, v28
	s_and_b64 s[14:15], vcc, s[14:15]
	v_cndmask_b32_e64 v28, 0, 1, s[14:15]
	v_cmp_ne_u32_e32 vcc, 0, v28
	v_add_u32_e32 v4, s9, v4
	s_bcnt1_i32_b64 s9, vcc
	v_add_u32_e32 v5, s9, v5
	v_add_u32_e32 v26, s78, v26
	v_mov_b32_e32 v28, v29
	s_andn2_b64 exec, exec, s[18:19]
	s_cbranch_execz .LBB75_64
.LBB75_62:                              ;   Parent Loop BB75_21 Depth=1
                                        ; =>  This Inner Loop Header: Depth=2
	v_add_u32_e32 v27, s59, v27
	v_cmp_gt_u32_e64 s[14:15], s56, v27
	v_cmp_le_u32_e32 vcc, s56, v27
	v_mov_b32_e32 v29, 0
	s_and_saveexec_b64 s[20:21], s[14:15]
	s_cbranch_execz .LBB75_61
; %bb.63:                               ;   in Loop: Header=BB75_62 Depth=2
	global_load_ubyte v29, v26, s[66:67]
	s_branch .LBB75_61
.LBB75_64:                              ;   in Loop: Header=BB75_21 Depth=1
	s_or_b64 exec, exec, s[18:19]
.LBB75_65:                              ;   in Loop: Header=BB75_21 Depth=1
	s_or_b64 exec, exec, s[16:17]
	s_branch .LBB75_75
.LBB75_66:                              ;   in Loop: Header=BB75_21 Depth=1
	s_mul_hi_u32 s8, s1, s79
	s_mul_i32 s8, s8, s62
	s_sub_i32 s8, s1, s8
	s_sub_i32 s9, s8, s62
	s_cmp_ge_u32 s8, s62
	s_cselect_b32 s8, s9, s8
	s_sub_i32 s9, s8, s62
	s_cmp_ge_u32 s8, s62
	s_cselect_b32 s8, s9, s8
	s_sub_i32 s71, s1, s8
	v_cmp_gt_u32_e32 vcc, s71, v13
	s_mov_b32 s81, 0
	s_waitcnt vmcnt(0)
	v_mov_b32_e32 v2, 0
	v_mov_b32_e32 v3, 0
	;; [unrolled: 1-line block ×4, first 2 shown]
	s_and_saveexec_b64 s[84:85], vcc
	s_cbranch_execz .LBB75_70
; %bb.67:                               ;   in Loop: Header=BB75_21 Depth=1
	s_and_b32 s60, s74, 0xfe
	s_mov_b64 s[86:87], 0
	s_mov_b32 s8, 0
	s_mov_b32 s9, 0
	;; [unrolled: 1-line block ×3, first 2 shown]
	v_mov_b32_e32 v26, v13
.LBB75_68:                              ;   Parent Loop BB75_21 Depth=1
                                        ; =>  This Inner Loop Header: Depth=2
	ds_read_b32 v2, v26
	v_add_u32_e32 v26, s62, v26
	v_cmp_le_u32_e32 vcc, s71, v26
	s_waitcnt lgkmcnt(0)
	v_and_b32_e32 v4, 0xff, v2
	v_bfe_u32 v5, v2, 8, 8
	v_and_b32_e32 v27, s2, v4
	v_bfe_u32 v4, v4, s60, 2
	v_lshrrev_b32_e32 v3, 24, v2
	v_bfe_u32 v2, v2, 16, 8
	v_and_b32_e32 v28, s2, v5
	v_bfe_u32 v5, v5, s60, 2
	v_cmp_eq_u32_e64 s[14:15], s3, v27
	v_cmp_eq_u32_e64 s[22:23], 0, v4
	v_and_b32_e32 v29, s2, v2
	v_bfe_u32 v2, v2, s60, 2
	v_cmp_eq_u32_e64 s[16:17], s3, v28
	v_cmp_eq_u32_e64 s[24:25], 0, v5
	s_and_b64 s[22:23], s[14:15], s[22:23]
	v_and_b32_e32 v30, s2, v3
	v_bfe_u32 v3, v3, s60, 2
	v_cmp_eq_u32_e64 s[18:19], s3, v29
	v_cmp_eq_u32_e64 s[26:27], 0, v2
	;; [unrolled: 1-line block ×5, first 2 shown]
	v_cndmask_b32_e64 v2, 0, 1, s[22:23]
	s_and_b64 s[22:23], s[16:17], s[24:25]
	v_cmp_eq_u32_e64 s[20:21], s3, v30
	v_cmp_eq_u32_e64 s[28:29], 0, v3
	;; [unrolled: 1-line block ×5, first 2 shown]
	v_cndmask_b32_e64 v3, 0, 1, s[22:23]
	s_and_b64 s[22:23], s[18:19], s[26:27]
	v_cmp_eq_u32_e64 s[30:31], 1, v4
	v_cmp_eq_u32_e64 s[40:41], 2, v4
	;; [unrolled: 1-line block ×3, first 2 shown]
	v_cndmask_b32_e64 v4, 0, 1, s[22:23]
	s_and_b64 s[22:23], s[20:21], s[28:29]
	v_cmp_eq_u32_e64 s[34:35], 1, v5
	v_cmp_eq_u32_e64 s[42:43], 2, v5
	;; [unrolled: 1-line block ×3, first 2 shown]
	v_cndmask_b32_e64 v5, 0, 1, s[22:23]
	s_and_b64 s[22:23], s[14:15], s[30:31]
	v_cndmask_b32_e64 v27, 0, 1, s[22:23]
	s_and_b64 s[22:23], s[16:17], s[34:35]
	v_cndmask_b32_e64 v28, 0, 1, s[22:23]
	s_and_b64 s[22:23], s[18:19], s[36:37]
	v_cndmask_b32_e64 v29, 0, 1, s[22:23]
	s_and_b64 s[22:23], s[20:21], s[38:39]
	v_cndmask_b32_e64 v30, 0, 1, s[22:23]
	s_and_b64 s[22:23], s[14:15], s[40:41]
	s_and_b64 s[14:15], s[14:15], s[48:49]
	v_cndmask_b32_e64 v31, 0, 1, s[22:23]
	s_and_b64 s[22:23], s[16:17], s[42:43]
	v_cndmask_b32_e64 v35, 0, 1, s[14:15]
	;; [unrolled: 2-line block ×7, first 2 shown]
	v_cndmask_b32_e64 v38, 0, 1, s[14:15]
	v_cmp_ne_u32_e64 s[14:15], 0, v2
	v_cmp_ne_u32_e64 s[16:17], 0, v3
	;; [unrolled: 1-line block ×11, first 2 shown]
	s_bcnt1_i32_b64 s14, s[14:15]
	s_bcnt1_i32_b64 s15, s[16:17]
	;; [unrolled: 1-line block ×8, first 2 shown]
	v_cmp_ne_u32_e64 s[28:29], 0, v30
	v_cmp_ne_u32_e64 s[36:37], 0, v33
	;; [unrolled: 1-line block ×3, first 2 shown]
	s_bcnt1_i32_b64 s19, s[24:25]
	s_bcnt1_i32_b64 s23, s[34:35]
	;; [unrolled: 1-line block ×3, first 2 shown]
	s_add_i32 s14, s76, s14
	s_add_i32 s9, s9, s18
	;; [unrolled: 1-line block ×4, first 2 shown]
	v_cmp_ne_u32_e64 s[38:39], 0, v34
	v_cmp_ne_u32_e64 s[46:47], 0, v38
	s_bcnt1_i32_b64 s21, s[28:29]
	s_bcnt1_i32_b64 s24, s[36:37]
	;; [unrolled: 1-line block ×3, first 2 shown]
	s_add_i32 s14, s14, s15
	s_add_i32 s9, s9, s19
	;; [unrolled: 1-line block ×4, first 2 shown]
	s_bcnt1_i32_b64 s25, s[38:39]
	s_bcnt1_i32_b64 s29, s[46:47]
	s_add_i32 s14, s14, s16
	s_add_i32 s9, s9, s20
	;; [unrolled: 1-line block ×8, first 2 shown]
	s_or_b64 s[86:87], vcc, s[86:87]
	v_mov_b32_e32 v2, s76
	v_mov_b32_e32 v3, s9
	;; [unrolled: 1-line block ×4, first 2 shown]
	s_andn2_b64 exec, exec, s[86:87]
	s_cbranch_execnz .LBB75_68
; %bb.69:                               ;   in Loop: Header=BB75_21 Depth=1
	s_or_b64 exec, exec, s[86:87]
.LBB75_70:                              ;   in Loop: Header=BB75_21 Depth=1
	s_or_b64 exec, exec, s[84:85]
	v_add_u32_e32 v26, s71, v0
	v_cmp_gt_u32_e32 vcc, s1, v26
	s_and_saveexec_b64 s[24:25], vcc
	s_cbranch_execz .LBB75_74
; %bb.71:                               ;   in Loop: Header=BB75_21 Depth=1
	s_and_b32 s8, s74, 0xfe
	s_mov_b64 s[26:27], 0
.LBB75_72:                              ;   Parent Loop BB75_21 Depth=1
                                        ; =>  This Inner Loop Header: Depth=2
	ds_read_u8 v27, v26
	v_add_u32_e32 v26, s59, v26
	v_cmp_le_u32_e32 vcc, s1, v26
	s_waitcnt lgkmcnt(0)
	v_and_b32_e32 v28, s2, v27
	v_bfe_u32 v27, v27, s8, 2
	v_cmp_eq_u32_e64 s[14:15], s3, v28
	v_cmp_eq_u32_e64 s[16:17], 0, v27
	v_cmp_eq_u32_e64 s[18:19], 1, v27
	s_and_b64 s[16:17], s[14:15], s[16:17]
	v_cmp_eq_u32_e64 s[20:21], 2, v27
	v_cmp_eq_u32_e64 s[22:23], 3, v27
	v_cndmask_b32_e64 v27, 0, 1, s[16:17]
	s_and_b64 s[16:17], s[14:15], s[18:19]
	v_cndmask_b32_e64 v28, 0, 1, s[16:17]
	s_and_b64 s[16:17], s[14:15], s[20:21]
	s_and_b64 s[14:15], s[14:15], s[22:23]
	v_cndmask_b32_e64 v29, 0, 1, s[16:17]
	v_cndmask_b32_e64 v30, 0, 1, s[14:15]
	v_cmp_ne_u32_e64 s[14:15], 0, v27
	v_cmp_ne_u32_e64 s[16:17], 0, v28
	;; [unrolled: 1-line block ×4, first 2 shown]
	s_bcnt1_i32_b64 s9, s[14:15]
	s_bcnt1_i32_b64 s14, s[16:17]
	;; [unrolled: 1-line block ×4, first 2 shown]
	v_add_u32_e32 v2, s9, v2
	v_add_u32_e32 v3, s14, v3
	;; [unrolled: 1-line block ×3, first 2 shown]
	s_or_b64 s[26:27], vcc, s[26:27]
	v_add_u32_e32 v5, s16, v5
	s_andn2_b64 exec, exec, s[26:27]
	s_cbranch_execnz .LBB75_72
; %bb.73:                               ;   in Loop: Header=BB75_21 Depth=1
	s_or_b64 exec, exec, s[26:27]
.LBB75_74:                              ;   in Loop: Header=BB75_21 Depth=1
	s_or_b64 exec, exec, s[24:25]
.LBB75_75:                              ;   in Loop: Header=BB75_21 Depth=1
	s_lshl_b32 s1, s75, 6
	s_and_saveexec_b64 s[14:15], s[4:5]
	s_cbranch_execz .LBB75_77
; %bb.76:                               ;   in Loop: Header=BB75_21 Depth=1
	v_or_b32_e32 v26, s1, v14
	v_lshlrev_b32_e32 v26, 2, v26
	s_waitcnt vmcnt(0)
	ds_write_b128 v26, v[2:5] offset:3072
.LBB75_77:                              ;   in Loop: Header=BB75_21 Depth=1
	s_or_b64 exec, exec, s[14:15]
	s_waitcnt lgkmcnt(0)
	s_barrier
	s_and_saveexec_b64 s[14:15], s[72:73]
	s_cbranch_execz .LBB75_91
; %bb.78:                               ;   in Loop: Header=BB75_21 Depth=1
	v_readlane_b32 s8, v42, 13
	v_readlane_b32 s9, v42, 14
	v_add_u32_e32 v4, s1, v12
	s_andn2_b64 vcc, exec, s[8:9]
	s_waitcnt vmcnt(0)
	v_mov_b32_e32 v2, 0
	s_cbranch_vccnz .LBB75_90
; %bb.79:                               ;   in Loop: Header=BB75_21 Depth=1
	v_readlane_b32 s16, v42, 17
	v_readlane_b32 s17, v42, 18
	s_mov_b32 s8, 0
	s_and_b64 vcc, exec, s[16:17]
	v_mov_b32_e32 v2, 0
	s_cbranch_vccz .LBB75_83
; %bb.80:                               ;   in Loop: Header=BB75_21 Depth=1
	v_readlane_b32 s8, v42, 19
	v_readlane_b32 s9, v42, 20
	v_lshl_add_u32 v5, v4, 2, v24
	s_andn2_b64 vcc, exec, s[8:9]
	s_cbranch_vccnz .LBB75_84
; %bb.81:                               ;   in Loop: Header=BB75_21 Depth=1
	s_mov_b32 s17, 1
	s_mov_b32 s16, 0
	v_mov_b32_e32 v2, 0
	v_readlane_b32 s8, v42, 21
	v_mov_b32_e32 v3, 0
.LBB75_82:                              ;   Parent Loop BB75_21 Depth=1
                                        ; =>  This Inner Loop Header: Depth=2
	v_lshl_add_u32 v38, s16, 4, v5
	v_lshl_add_u32 v40, s17, 4, v5
	ds_read2_b32 v[26:27], v38 offset1:8
	ds_read2_b32 v[28:29], v40 offset1:8
	ds_read2_b32 v[30:31], v38 offset0:16 offset1:24
	ds_read2_b32 v[32:33], v40 offset0:16 offset1:24
	;; [unrolled: 1-line block ×6, first 2 shown]
	s_waitcnt lgkmcnt(7)
	v_add3_u32 v2, v26, v2, v27
	s_waitcnt lgkmcnt(6)
	v_add3_u32 v3, v28, v3, v29
	;; [unrolled: 2-line block ×3, first 2 shown]
	v_add3_u32 v2, v30, v2, v31
	s_add_i32 s17, s17, 16
	s_add_i32 s16, s16, 16
	s_add_i32 s8, s8, -8
	s_waitcnt lgkmcnt(3)
	v_add3_u32 v2, v34, v2, v35
	s_waitcnt lgkmcnt(2)
	v_add3_u32 v3, v36, v3, v37
	s_cmp_lg_u32 s8, 0
	s_waitcnt lgkmcnt(0)
	v_add3_u32 v3, v40, v3, v41
	v_add3_u32 v2, v38, v2, v39
	s_cbranch_scc1 .LBB75_82
	s_branch .LBB75_85
.LBB75_83:                              ;   in Loop: Header=BB75_21 Depth=1
	s_cbranch_execnz .LBB75_88
	s_branch .LBB75_90
.LBB75_84:                              ;   in Loop: Header=BB75_21 Depth=1
	s_mov_b32 s71, s70
	v_pk_mov_b32 v[2:3], s[70:71], s[70:71] op_sel:[0,1]
	s_mov_b32 s71, 1
	s_mov_b64 s[16:17], s[70:71]
.LBB75_85:                              ;   in Loop: Header=BB75_21 Depth=1
	v_readlane_b32 s8, v42, 23
	v_readlane_b32 s9, v42, 24
	s_andn2_b64 vcc, exec, s[8:9]
	v_readlane_b32 s8, v42, 22
	s_cbranch_vccnz .LBB75_87
.LBB75_86:                              ;   Parent Loop BB75_21 Depth=1
                                        ; =>  This Inner Loop Header: Depth=2
	v_lshl_add_u32 v26, s16, 4, v5
	v_lshl_add_u32 v27, s17, 4, v5
	ds_read_b32 v27, v27
	ds_read_b32 v26, v26
	s_add_i32 s17, s17, 2
	s_add_i32 s16, s16, 2
	s_add_i32 s8, s8, -1
	s_cmp_lg_u32 s8, 0
	s_waitcnt lgkmcnt(1)
	v_add_u32_e32 v3, v27, v3
	s_waitcnt lgkmcnt(0)
	v_add_u32_e32 v2, v26, v2
	s_cbranch_scc1 .LBB75_86
.LBB75_87:                              ;   in Loop: Header=BB75_21 Depth=1
	v_readlane_b32 s16, v42, 27
	v_add_u32_e32 v2, v2, v3
	v_readlane_b32 s8, v42, 26
	v_readlane_b32 s17, v42, 28
	s_and_b64 vcc, exec, s[16:17]
	s_cbranch_vccz .LBB75_90
.LBB75_88:                              ;   in Loop: Header=BB75_21 Depth=1
	s_lshl_b32 s9, s75, 8
	s_lshl_b32 s16, s8, 4
	s_add_i32 s9, s9, s16
	v_add_u32_e32 v3, s9, v22
	v_readlane_b32 s9, v42, 25
	s_sub_i32 s8, s9, s8
.LBB75_89:                              ;   Parent Loop BB75_21 Depth=1
                                        ; =>  This Inner Loop Header: Depth=2
	ds_read_b32 v5, v3
	s_add_i32 s8, s8, -1
	v_add_u32_e32 v3, 16, v3
	s_cmp_eq_u32 s8, 0
	s_waitcnt lgkmcnt(0)
	v_add_u32_e32 v2, v5, v2
	s_cbranch_scc0 .LBB75_89
.LBB75_90:                              ;   in Loop: Header=BB75_21 Depth=1
	v_lshlrev_b32_e32 v3, 2, v4
	ds_write_b32 v3, v2 offset:3072
.LBB75_91:                              ;   in Loop: Header=BB75_21 Depth=1
	s_or_b64 exec, exec, s[14:15]
	s_lshl_b32 s1, s1, 2
	s_waitcnt vmcnt(0)
	v_mov_b32_e32 v2, s1
	s_waitcnt lgkmcnt(0)
	s_barrier
	ds_read_b128 v[2:5], v2 offset:3072
	s_and_b32 s43, s74, 0xfe
	s_lshl_b32 s50, 3, s43
	s_not_b32 s44, s50
	s_mov_b64 s[16:17], -1
	s_waitcnt lgkmcnt(0)
	v_readfirstlane_b32 s26, v2
	s_cmp_eq_u32 s26, 1
	s_cselect_b64 s[8:9], -1, 0
	s_cmp_eq_u32 s0, 1
	s_cselect_b64 s[14:15], -1, 0
	s_and_b64 s[18:19], s[8:9], s[14:15]
	v_readfirstlane_b32 s34, v3
	v_readfirstlane_b32 s42, v4
	;; [unrolled: 1-line block ×3, first 2 shown]
	s_and_b64 vcc, exec, s[18:19]
	s_cbranch_vccz .LBB75_102
; %bb.92:                               ;   in Loop: Header=BB75_21 Depth=1
	ds_read_b32 v2, v23 offset:4104
	s_waitcnt lgkmcnt(0)
	s_barrier
	v_readfirstlane_b32 s8, v2
	s_and_saveexec_b64 s[14:15], s[6:7]
	s_cbranch_execz .LBB75_94
; %bb.93:                               ;   in Loop: Header=BB75_21 Depth=1
	ds_write_b8 v0, v23 offset:3072
.LBB75_94:                              ;   in Loop: Header=BB75_21 Depth=1
	s_or_b64 exec, exec, s[14:15]
	s_and_b32 s3, s3, s44
	s_or_b32 s2, s2, s50
	s_cmp_eq_u32 s8, 0
	s_waitcnt lgkmcnt(0)
	s_barrier
	s_cbranch_scc1 .LBB75_103
; %bb.95:                               ;   in Loop: Header=BB75_21 Depth=1
	v_readlane_b32 s9, v42, 10
	s_add_i32 s9, s8, s9
	v_readlane_b32 s14, v42, 31
	s_mul_hi_u32 s14, s9, s14
	s_mul_i32 s14, s14, s59
	s_sub_i32 s14, s9, s14
	s_sub_i32 s15, s14, s59
	s_cmp_ge_u32 s14, s59
	s_cselect_b32 s14, s15, s14
	s_sub_i32 s15, s14, s59
	s_cmp_ge_u32 s14, s59
	s_cselect_b32 s14, s15, s14
	s_sub_i32 s9, s9, s14
	v_cmp_gt_u32_e32 vcc, s9, v0
	s_mov_b64 s[20:21], 0
                                        ; implicit-def: $vgpr25
	s_and_saveexec_b64 s[14:15], vcc
	s_cbranch_execz .LBB75_105
; %bb.96:                               ;   in Loop: Header=BB75_21 Depth=1
	v_mov_b32_e32 v2, v0
                                        ; implicit-def: $sgpr22_sgpr23
	s_branch .LBB75_98
.LBB75_97:                              ;   in Loop: Header=BB75_98 Depth=2
	s_or_b64 exec, exec, s[24:25]
	s_waitcnt lgkmcnt(0)
	s_barrier
	ds_read_u16 v3, v23 offset:3072
	v_add_u32_e32 v2, s59, v2
	v_cmp_le_u32_e32 vcc, s9, v2
	s_waitcnt lgkmcnt(0)
	s_barrier
	v_cmp_ne_u16_sdwa s[24:25], v3, v23 src0_sel:BYTE_0 src1_sel:DWORD
	s_or_b64 s[28:29], vcc, s[24:25]
	s_and_b64 s[28:29], exec, s[28:29]
	s_or_b64 s[20:21], s[28:29], s[20:21]
	s_andn2_b64 s[22:23], s[22:23], exec
	s_and_b64 s[24:25], s[24:25], exec
	s_or_b64 s[22:23], s[22:23], s[24:25]
	s_andn2_b64 exec, exec, s[20:21]
	s_cbranch_execz .LBB75_104
.LBB75_98:                              ;   Parent Loop BB75_21 Depth=1
                                        ; =>  This Inner Loop Header: Depth=2
	v_cmp_gt_u32_e32 vcc, s8, v2
	v_mov_b32_e32 v3, 0
	s_and_saveexec_b64 s[24:25], vcc
	s_cbranch_execz .LBB75_100
; %bb.99:                               ;   in Loop: Header=BB75_98 Depth=2
	ds_read_u8 v3, v2
.LBB75_100:                             ;   in Loop: Header=BB75_98 Depth=2
	s_or_b64 exec, exec, s[24:25]
	s_waitcnt lgkmcnt(0)
	v_and_b32_e32 v4, s2, v3
	v_cmp_eq_u32_sdwa s[24:25], v4, s3 src0_sel:BYTE_0 src1_sel:DWORD
	s_and_b64 s[28:29], vcc, s[24:25]
	s_and_saveexec_b64 s[24:25], s[28:29]
	s_cbranch_execz .LBB75_97
; %bb.101:                              ;   in Loop: Header=BB75_98 Depth=2
	v_lshlrev_b16_e32 v3, 8, v3
	v_or_b32_e32 v3, 1, v3
	ds_write_b16 v23, v3 offset:3072
	s_branch .LBB75_97
.LBB75_102:                             ;   in Loop: Header=BB75_21 Depth=1
	s_mov_b64 s[20:21], -1
                                        ; implicit-def: $sgpr14_sgpr15
                                        ; implicit-def: $sgpr24_sgpr25
                                        ; implicit-def: $sgpr22_sgpr23
	s_branch .LBB75_115
.LBB75_103:                             ;   in Loop: Header=BB75_21 Depth=1
	s_mov_b64 s[14:15], -1
	s_mov_b64 s[20:21], 0
                                        ; implicit-def: $sgpr22_sgpr23
                                        ; implicit-def: $vgpr25
	s_mov_b64 s[24:25], s[14:15]
	s_cbranch_execnz .LBB75_106
	s_branch .LBB75_115
.LBB75_104:                             ;   in Loop: Header=BB75_21 Depth=1
	s_or_b64 exec, exec, s[20:21]
	v_lshrrev_b16_e32 v25, 8, v3
	s_and_b64 s[20:21], s[22:23], exec
.LBB75_105:                             ;   in Loop: Header=BB75_21 Depth=1
	s_or_b64 exec, exec, s[14:15]
	s_mov_b64 s[22:23], -1
	s_mov_b64 s[14:15], 0
	s_mov_b64 s[24:25], s[14:15]
	s_branch .LBB75_115
.LBB75_106:                             ;   in Loop: Header=BB75_21 Depth=1
	s_mov_b64 s[20:21], 0
                                        ; implicit-def: $vgpr25
	s_mov_b64 s[14:15], exec
	v_readlane_b32 s8, v42, 32
	v_readlane_b32 s9, v42, 33
	s_and_b64 s[8:9], s[14:15], s[8:9]
	s_mov_b64 exec, s[8:9]
	s_cbranch_execz .LBB75_114
; %bb.107:                              ;   in Loop: Header=BB75_21 Depth=1
	v_mov_b32_e32 v2, v9
	v_mov_b32_e32 v3, v0
                                        ; implicit-def: $sgpr22_sgpr23
	s_branch .LBB75_109
.LBB75_108:                             ;   in Loop: Header=BB75_109 Depth=2
	s_or_b64 exec, exec, s[24:25]
	s_waitcnt lgkmcnt(0)
	s_barrier
	ds_read_u16 v4, v23 offset:3072
	v_add_u32_e32 v3, s59, v3
	v_cmp_le_u32_e32 vcc, s12, v3
	v_add_u32_e32 v2, s78, v2
	s_waitcnt lgkmcnt(0)
	v_cmp_ne_u16_sdwa s[8:9], v4, v23 src0_sel:BYTE_0 src1_sel:DWORD
	s_or_b64 s[24:25], vcc, s[8:9]
	s_and_b64 s[24:25], exec, s[24:25]
	s_or_b64 s[20:21], s[24:25], s[20:21]
	s_andn2_b64 s[22:23], s[22:23], exec
	s_and_b64 s[8:9], s[8:9], exec
	s_or_b64 s[22:23], s[22:23], s[8:9]
	s_barrier
	s_andn2_b64 exec, exec, s[20:21]
	s_cbranch_execz .LBB75_113
.LBB75_109:                             ;   Parent Loop BB75_21 Depth=1
                                        ; =>  This Inner Loop Header: Depth=2
	v_cmp_gt_u32_e32 vcc, s56, v3
	v_mov_b32_e32 v4, 0
	s_and_saveexec_b64 s[24:25], vcc
	s_cbranch_execz .LBB75_111
; %bb.110:                              ;   in Loop: Header=BB75_109 Depth=2
	global_load_ubyte v4, v2, s[66:67]
.LBB75_111:                             ;   in Loop: Header=BB75_109 Depth=2
	s_or_b64 exec, exec, s[24:25]
	s_waitcnt vmcnt(0)
	v_and_b32_e32 v5, s2, v4
	v_cmp_eq_u32_sdwa s[8:9], v5, s3 src0_sel:BYTE_0 src1_sel:DWORD
	s_and_b64 s[8:9], vcc, s[8:9]
	s_and_saveexec_b64 s[24:25], s[8:9]
	s_cbranch_execz .LBB75_108
; %bb.112:                              ;   in Loop: Header=BB75_109 Depth=2
	v_lshlrev_b16_e32 v4, 8, v4
	v_or_b32_e32 v4, 1, v4
	ds_write_b16 v23, v4 offset:3072
	s_branch .LBB75_108
.LBB75_113:                             ;   in Loop: Header=BB75_21 Depth=1
	s_or_b64 exec, exec, s[20:21]
	v_lshrrev_b16_e32 v25, 8, v4
	s_and_b64 s[20:21], s[22:23], exec
.LBB75_114:                             ;   in Loop: Header=BB75_21 Depth=1
	s_or_b64 exec, exec, s[14:15]
	s_mov_b64 s[24:25], -1
	s_mov_b64 s[14:15], 0
	s_mov_b64 s[22:23], 0
.LBB75_115:                             ;   in Loop: Header=BB75_21 Depth=1
	s_andn2_b64 s[8:9], s[82:83], exec
	s_and_b64 s[14:15], s[14:15], exec
	s_or_b64 s[82:83], s[8:9], s[14:15]
	s_andn2_b64 s[8:9], s[68:69], exec
	s_and_b64 s[14:15], s[24:25], exec
	s_or_b64 s[68:69], s[8:9], s[14:15]
	;; [unrolled: 3-line block ×3, first 2 shown]
	s_and_saveexec_b64 s[14:15], s[20:21]
	s_cbranch_execz .LBB75_20
; %bb.116:                              ;   in Loop: Header=BB75_21 Depth=1
	s_xor_b64 s[8:9], s[18:19], -1
	s_mov_b64 s[20:21], 0
	s_andn2_b64 vcc, exec, s[8:9]
	s_mov_b32 s35, 1
	s_cbranch_vccnz .LBB75_127
; %bb.117:                              ;   in Loop: Header=BB75_21 Depth=1
	s_cmp_gt_u32 s0, s26
	s_mov_b64 s[20:21], -1
                                        ; implicit-def: $sgpr51
                                        ; implicit-def: $sgpr8
                                        ; implicit-def: $sgpr9
	s_cbranch_scc1 .LBB75_123
; %bb.118:                              ;   in Loop: Header=BB75_21 Depth=1
	ds_read_b32 v2, v23 offset:4104
	s_waitcnt lgkmcnt(0)
	v_cmp_ne_u32_e32 vcc, 0, v2
	s_cbranch_vccnz .LBB75_122
; %bb.119:                              ;   in Loop: Header=BB75_21 Depth=1
	s_mov_b64 s[16:17], exec
	v_readlane_b32 s8, v42, 2
	v_readlane_b32 s9, v42, 3
	s_and_b64 s[8:9], s[16:17], s[8:9]
	s_mov_b64 exec, s[8:9]
	s_cbranch_execz .LBB75_121
; %bb.120:                              ;   in Loop: Header=BB75_21 Depth=1
	v_mov_b32_e32 v2, s26
	ds_write_b32 v23, v2 offset:4108
.LBB75_121:                             ;   in Loop: Header=BB75_21 Depth=1
	s_or_b64 exec, exec, s[16:17]
	s_waitcnt lgkmcnt(0)
	s_barrier
.LBB75_122:                             ;   in Loop: Header=BB75_21 Depth=1
	s_and_b32 s8, s3, s44
	s_or_b32 s9, s2, s50
	s_mov_b64 s[20:21], 0
	s_mov_b32 s51, 8
.LBB75_123:                             ;   in Loop: Header=BB75_21 Depth=1
	s_andn2_b64 vcc, exec, s[20:21]
	s_cbranch_vccnz .LBB75_125
; %bb.124:                              ;   in Loop: Header=BB75_21 Depth=1
	s_sub_i32 s0, s0, s26
	s_mov_b64 s[20:21], -1
	s_mov_b32 s51, 0
	s_mov_b32 s8, s3
	;; [unrolled: 1-line block ×3, first 2 shown]
.LBB75_125:                             ;   in Loop: Header=BB75_21 Depth=1
	s_mov_b32 s2, s9
	s_mov_b32 s3, s8
	;; [unrolled: 1-line block ×3, first 2 shown]
	s_mov_b64 s[16:17], -1
	s_and_b64 vcc, exec, s[20:21]
	s_cbranch_vccnz .LBB75_128
.LBB75_126:                             ;   in Loop: Header=BB75_21 Depth=1
	s_mov_b64 s[30:31], -1
                                        ; implicit-def: $sgpr18_sgpr19
                                        ; implicit-def: $sgpr22_sgpr23
                                        ; implicit-def: $sgpr20_sgpr21
                                        ; implicit-def: $sgpr0
	s_and_saveexec_b64 s[8:9], s[30:31]
	s_xor_b64 s[24:25], exec, s[8:9]
	s_cbranch_execz .LBB75_19
	s_branch .LBB75_245
.LBB75_127:                             ;   in Loop: Header=BB75_21 Depth=1
	s_mov_b32 s51, 1
	s_mov_b64 s[16:17], -1
	s_and_b64 vcc, exec, s[20:21]
	s_cbranch_vccz .LBB75_126
.LBB75_128:                             ;   in Loop: Header=BB75_21 Depth=1
	s_cmp_eq_u32 s34, 1
	s_cselect_b64 s[8:9], -1, 0
	s_cmp_eq_u32 s35, 1
	s_cselect_b64 s[18:19], -1, 0
	s_and_b64 s[26:27], s[8:9], s[18:19]
	s_mov_b64 s[28:29], -1
	s_and_b64 vcc, exec, s[26:27]
	s_cbranch_vccz .LBB75_139
; %bb.129:                              ;   in Loop: Header=BB75_21 Depth=1
	ds_read_b32 v2, v23 offset:4104
	s_waitcnt lgkmcnt(0)
	s_barrier
	v_readfirstlane_b32 s0, v2
	s_and_saveexec_b64 s[18:19], s[6:7]
	s_cbranch_execz .LBB75_131
; %bb.130:                              ;   in Loop: Header=BB75_21 Depth=1
	ds_write_b8 v0, v23 offset:3072
.LBB75_131:                             ;   in Loop: Header=BB75_21 Depth=1
	s_or_b64 exec, exec, s[18:19]
	s_lshl_b32 s8, 1, s43
	s_and_b32 s3, s3, s44
	s_or_b32 s3, s3, s8
	s_or_b32 s2, s2, s50
	s_cmp_eq_u32 s0, 0
	s_waitcnt lgkmcnt(0)
	s_barrier
	s_cbranch_scc1 .LBB75_140
; %bb.132:                              ;   in Loop: Header=BB75_21 Depth=1
	v_readlane_b32 s8, v42, 10
	s_add_i32 s8, s0, s8
	v_readlane_b32 s9, v42, 31
	s_mul_hi_u32 s9, s8, s9
	s_mul_i32 s9, s9, s59
	s_sub_i32 s9, s8, s9
	s_sub_i32 s18, s9, s59
	s_cmp_ge_u32 s9, s59
	s_cselect_b32 s9, s18, s9
	s_sub_i32 s18, s9, s59
	s_cmp_ge_u32 s9, s59
	s_cselect_b32 s9, s18, s9
	s_sub_i32 s8, s8, s9
	v_cmp_gt_u32_e32 vcc, s8, v0
	s_mov_b64 s[28:29], 0
                                        ; implicit-def: $vgpr25
	s_and_saveexec_b64 s[18:19], vcc
	s_cbranch_execz .LBB75_142
; %bb.133:                              ;   in Loop: Header=BB75_21 Depth=1
	s_mov_b64 s[20:21], 0
	v_mov_b32_e32 v2, v0
                                        ; implicit-def: $sgpr22_sgpr23
	s_branch .LBB75_135
.LBB75_134:                             ;   in Loop: Header=BB75_135 Depth=2
	s_or_b64 exec, exec, s[24:25]
	s_waitcnt lgkmcnt(0)
	s_barrier
	ds_read_u16 v3, v23 offset:3072
	v_add_u32_e32 v2, s59, v2
	v_cmp_le_u32_e32 vcc, s8, v2
	s_waitcnt lgkmcnt(0)
	s_barrier
	v_cmp_ne_u16_sdwa s[24:25], v3, v23 src0_sel:BYTE_0 src1_sel:DWORD
	s_or_b64 s[28:29], vcc, s[24:25]
	s_and_b64 s[28:29], exec, s[28:29]
	s_or_b64 s[20:21], s[28:29], s[20:21]
	s_andn2_b64 s[22:23], s[22:23], exec
	s_and_b64 s[24:25], s[24:25], exec
	s_or_b64 s[22:23], s[22:23], s[24:25]
	s_andn2_b64 exec, exec, s[20:21]
	s_cbranch_execz .LBB75_141
.LBB75_135:                             ;   Parent Loop BB75_21 Depth=1
                                        ; =>  This Inner Loop Header: Depth=2
	v_cmp_gt_u32_e32 vcc, s0, v2
	v_mov_b32_e32 v3, 0
	s_and_saveexec_b64 s[24:25], vcc
	s_cbranch_execz .LBB75_137
; %bb.136:                              ;   in Loop: Header=BB75_135 Depth=2
	ds_read_u8 v3, v2
.LBB75_137:                             ;   in Loop: Header=BB75_135 Depth=2
	s_or_b64 exec, exec, s[24:25]
	s_waitcnt lgkmcnt(0)
	v_and_b32_e32 v4, s2, v3
	v_cmp_eq_u32_sdwa s[24:25], v4, s3 src0_sel:BYTE_0 src1_sel:DWORD
	s_and_b64 s[28:29], vcc, s[24:25]
	s_and_saveexec_b64 s[24:25], s[28:29]
	s_cbranch_execz .LBB75_134
; %bb.138:                              ;   in Loop: Header=BB75_135 Depth=2
	v_lshlrev_b16_e32 v3, 8, v3
	v_or_b32_e32 v3, 1, v3
	ds_write_b16 v23, v3 offset:3072
	s_branch .LBB75_134
.LBB75_139:                             ;   in Loop: Header=BB75_21 Depth=1
                                        ; implicit-def: $sgpr20_sgpr21
                                        ; implicit-def: $sgpr22_sgpr23
                                        ; implicit-def: $sgpr18_sgpr19
	s_branch .LBB75_152
.LBB75_140:                             ;   in Loop: Header=BB75_21 Depth=1
	s_mov_b64 s[20:21], -1
	s_mov_b64 s[28:29], 0
                                        ; implicit-def: $sgpr18_sgpr19
                                        ; implicit-def: $vgpr25
	s_mov_b64 s[22:23], s[20:21]
	s_cbranch_execnz .LBB75_143
	s_branch .LBB75_152
.LBB75_141:                             ;   in Loop: Header=BB75_21 Depth=1
	s_or_b64 exec, exec, s[20:21]
	v_lshrrev_b16_e32 v25, 8, v3
	s_and_b64 s[28:29], s[22:23], exec
.LBB75_142:                             ;   in Loop: Header=BB75_21 Depth=1
	s_or_b64 exec, exec, s[18:19]
	s_mov_b64 s[18:19], -1
	s_mov_b64 s[20:21], 0
	s_mov_b64 s[22:23], s[20:21]
	s_branch .LBB75_152
.LBB75_143:                             ;   in Loop: Header=BB75_21 Depth=1
	s_mov_b64 s[28:29], 0
                                        ; implicit-def: $vgpr25
	s_mov_b64 s[18:19], exec
	v_readlane_b32 s8, v42, 32
	v_readlane_b32 s9, v42, 33
	s_and_b64 s[8:9], s[18:19], s[8:9]
	s_mov_b64 exec, s[8:9]
	s_cbranch_execz .LBB75_151
; %bb.144:                              ;   in Loop: Header=BB75_21 Depth=1
	s_mov_b64 s[20:21], 0
	v_mov_b32_e32 v2, v9
	v_mov_b32_e32 v3, v0
                                        ; implicit-def: $sgpr22_sgpr23
	s_branch .LBB75_146
.LBB75_145:                             ;   in Loop: Header=BB75_146 Depth=2
	s_or_b64 exec, exec, s[24:25]
	s_waitcnt lgkmcnt(0)
	s_barrier
	ds_read_u16 v4, v23 offset:3072
	v_add_u32_e32 v3, s59, v3
	v_cmp_le_u32_e32 vcc, s12, v3
	v_add_u32_e32 v2, s78, v2
	s_waitcnt lgkmcnt(0)
	v_cmp_ne_u16_sdwa s[8:9], v4, v23 src0_sel:BYTE_0 src1_sel:DWORD
	s_or_b64 s[24:25], vcc, s[8:9]
	s_and_b64 s[24:25], exec, s[24:25]
	s_or_b64 s[20:21], s[24:25], s[20:21]
	s_andn2_b64 s[22:23], s[22:23], exec
	s_and_b64 s[8:9], s[8:9], exec
	s_or_b64 s[22:23], s[22:23], s[8:9]
	s_barrier
	s_andn2_b64 exec, exec, s[20:21]
	s_cbranch_execz .LBB75_150
.LBB75_146:                             ;   Parent Loop BB75_21 Depth=1
                                        ; =>  This Inner Loop Header: Depth=2
	v_cmp_gt_u32_e32 vcc, s56, v3
	v_mov_b32_e32 v4, 0
	s_and_saveexec_b64 s[24:25], vcc
	s_cbranch_execz .LBB75_148
; %bb.147:                              ;   in Loop: Header=BB75_146 Depth=2
	global_load_ubyte v4, v2, s[66:67]
.LBB75_148:                             ;   in Loop: Header=BB75_146 Depth=2
	s_or_b64 exec, exec, s[24:25]
	s_waitcnt vmcnt(0)
	v_and_b32_e32 v5, s2, v4
	v_cmp_eq_u32_sdwa s[8:9], v5, s3 src0_sel:BYTE_0 src1_sel:DWORD
	s_and_b64 s[8:9], vcc, s[8:9]
	s_and_saveexec_b64 s[24:25], s[8:9]
	s_cbranch_execz .LBB75_145
; %bb.149:                              ;   in Loop: Header=BB75_146 Depth=2
	v_lshlrev_b16_e32 v4, 8, v4
	v_or_b32_e32 v4, 1, v4
	ds_write_b16 v23, v4 offset:3072
	s_branch .LBB75_145
.LBB75_150:                             ;   in Loop: Header=BB75_21 Depth=1
	s_or_b64 exec, exec, s[20:21]
	v_lshrrev_b16_e32 v25, 8, v4
	s_and_b64 s[28:29], s[22:23], exec
.LBB75_151:                             ;   in Loop: Header=BB75_21 Depth=1
	s_or_b64 exec, exec, s[18:19]
	s_mov_b64 s[22:23], -1
	s_mov_b64 s[20:21], 0
	s_mov_b64 s[18:19], 0
.LBB75_152:                             ;   in Loop: Header=BB75_21 Depth=1
	s_mov_b64 s[30:31], 0
                                        ; implicit-def: $sgpr51
	s_and_saveexec_b64 s[24:25], s[28:29]
	s_cbranch_execz .LBB75_244
; %bb.153:                              ;   in Loop: Header=BB75_21 Depth=1
	s_xor_b64 s[8:9], s[26:27], -1
	s_mov_b64 s[28:29], 0
	s_andn2_b64 vcc, exec, s[8:9]
	s_mov_b32 s45, 1
	s_cbranch_vccnz .LBB75_164
; %bb.154:                              ;   in Loop: Header=BB75_21 Depth=1
	s_cmp_gt_u32 s35, s34
	s_mov_b64 s[28:29], -1
                                        ; implicit-def: $sgpr51
                                        ; implicit-def: $sgpr0
                                        ; implicit-def: $sgpr8
	s_cbranch_scc1 .LBB75_160
; %bb.155:                              ;   in Loop: Header=BB75_21 Depth=1
	ds_read_b32 v2, v23 offset:4104
	s_waitcnt lgkmcnt(0)
	v_cmp_ne_u32_e32 vcc, 0, v2
	s_cbranch_vccnz .LBB75_159
; %bb.156:                              ;   in Loop: Header=BB75_21 Depth=1
	s_mov_b64 s[26:27], exec
	v_readlane_b32 s8, v42, 2
	v_readlane_b32 s9, v42, 3
	s_and_b64 s[8:9], s[26:27], s[8:9]
	s_mov_b64 exec, s[8:9]
	s_cbranch_execz .LBB75_158
; %bb.157:                              ;   in Loop: Header=BB75_21 Depth=1
	v_mov_b32_e32 v2, s34
	ds_write_b32 v23, v2 offset:4108
.LBB75_158:                             ;   in Loop: Header=BB75_21 Depth=1
	s_or_b64 exec, exec, s[26:27]
	s_waitcnt lgkmcnt(0)
	s_barrier
.LBB75_159:                             ;   in Loop: Header=BB75_21 Depth=1
	s_lshl_b32 s0, 1, s43
	s_and_b32 s8, s3, s44
	s_or_b32 s0, s8, s0
	s_or_b32 s8, s2, s50
	s_mov_b64 s[28:29], 0
	s_mov_b32 s51, 8
.LBB75_160:                             ;   in Loop: Header=BB75_21 Depth=1
	s_andn2_b64 vcc, exec, s[28:29]
	s_cbranch_vccnz .LBB75_162
; %bb.161:                              ;   in Loop: Header=BB75_21 Depth=1
	s_sub_i32 s35, s35, s34
	s_mov_b64 s[28:29], -1
	s_mov_b32 s51, 0
	s_mov_b32 s0, s3
	s_mov_b32 s8, s2
.LBB75_162:                             ;   in Loop: Header=BB75_21 Depth=1
	s_mov_b32 s2, s8
	s_mov_b32 s3, s0
	;; [unrolled: 1-line block ×3, first 2 shown]
	s_andn2_b64 vcc, exec, s[28:29]
	s_mov_b64 s[40:41], -1
	s_cbranch_vccz .LBB75_165
.LBB75_163:                             ;   in Loop: Header=BB75_21 Depth=1
                                        ; implicit-def: $sgpr28_sgpr29
                                        ; implicit-def: $sgpr30_sgpr31
                                        ; implicit-def: $sgpr26_sgpr27
	s_branch .LBB75_243
.LBB75_164:                             ;   in Loop: Header=BB75_21 Depth=1
	s_mov_b32 s51, 1
	s_andn2_b64 vcc, exec, s[28:29]
	s_mov_b64 s[40:41], -1
	s_cbranch_vccnz .LBB75_163
.LBB75_165:                             ;   in Loop: Header=BB75_21 Depth=1
	s_cmp_eq_u32 s42, 1
	s_cselect_b64 s[8:9], -1, 0
	s_cmp_eq_u32 s45, 1
	s_cselect_b64 s[26:27], -1, 0
	s_and_b64 s[36:37], s[8:9], s[26:27]
	s_mov_b64 s[38:39], -1
	s_and_b64 vcc, exec, s[36:37]
	s_cbranch_vccz .LBB75_176
; %bb.166:                              ;   in Loop: Header=BB75_21 Depth=1
	ds_read_b32 v2, v23 offset:4104
	s_waitcnt lgkmcnt(0)
	s_barrier
	v_readfirstlane_b32 s0, v2
	s_and_saveexec_b64 s[26:27], s[6:7]
	s_cbranch_execz .LBB75_168
; %bb.167:                              ;   in Loop: Header=BB75_21 Depth=1
	ds_write_b8 v0, v23 offset:3072
.LBB75_168:                             ;   in Loop: Header=BB75_21 Depth=1
	s_or_b64 exec, exec, s[26:27]
	s_lshl_b32 s8, 2, s43
	s_and_b32 s3, s3, s44
	s_or_b32 s3, s3, s8
	s_or_b32 s2, s2, s50
	s_cmp_eq_u32 s0, 0
	s_waitcnt lgkmcnt(0)
	s_barrier
	s_cbranch_scc1 .LBB75_177
; %bb.169:                              ;   in Loop: Header=BB75_21 Depth=1
	v_readlane_b32 s8, v42, 10
	s_add_i32 s8, s0, s8
	v_readlane_b32 s9, v42, 31
	s_mul_hi_u32 s9, s8, s9
	s_mul_i32 s9, s9, s59
	s_sub_i32 s9, s8, s9
	s_sub_i32 s26, s9, s59
	s_cmp_ge_u32 s9, s59
	s_cselect_b32 s9, s26, s9
	s_sub_i32 s26, s9, s59
	s_cmp_ge_u32 s9, s59
	s_cselect_b32 s9, s26, s9
	s_sub_i32 s8, s8, s9
	v_cmp_gt_u32_e32 vcc, s8, v0
	s_mov_b64 s[38:39], 0
                                        ; implicit-def: $vgpr25
	s_and_saveexec_b64 s[26:27], vcc
	s_cbranch_execz .LBB75_179
; %bb.170:                              ;   in Loop: Header=BB75_21 Depth=1
	s_mov_b64 s[28:29], 0
	v_mov_b32_e32 v2, v0
                                        ; implicit-def: $sgpr30_sgpr31
	s_branch .LBB75_172
.LBB75_171:                             ;   in Loop: Header=BB75_172 Depth=2
	s_or_b64 exec, exec, s[34:35]
	s_waitcnt lgkmcnt(0)
	s_barrier
	ds_read_u16 v3, v23 offset:3072
	v_add_u32_e32 v2, s59, v2
	v_cmp_le_u32_e32 vcc, s8, v2
	s_waitcnt lgkmcnt(0)
	s_barrier
	v_cmp_ne_u16_sdwa s[34:35], v3, v23 src0_sel:BYTE_0 src1_sel:DWORD
	s_or_b64 s[38:39], vcc, s[34:35]
	s_and_b64 s[38:39], exec, s[38:39]
	s_or_b64 s[28:29], s[38:39], s[28:29]
	s_andn2_b64 s[30:31], s[30:31], exec
	s_and_b64 s[34:35], s[34:35], exec
	s_or_b64 s[30:31], s[30:31], s[34:35]
	s_andn2_b64 exec, exec, s[28:29]
	s_cbranch_execz .LBB75_178
.LBB75_172:                             ;   Parent Loop BB75_21 Depth=1
                                        ; =>  This Inner Loop Header: Depth=2
	v_cmp_gt_u32_e32 vcc, s0, v2
	v_mov_b32_e32 v3, 0
	s_and_saveexec_b64 s[34:35], vcc
	s_cbranch_execz .LBB75_174
; %bb.173:                              ;   in Loop: Header=BB75_172 Depth=2
	ds_read_u8 v3, v2
.LBB75_174:                             ;   in Loop: Header=BB75_172 Depth=2
	s_or_b64 exec, exec, s[34:35]
	s_waitcnt lgkmcnt(0)
	v_and_b32_e32 v4, s2, v3
	v_cmp_eq_u32_sdwa s[34:35], v4, s3 src0_sel:BYTE_0 src1_sel:DWORD
	s_and_b64 s[38:39], vcc, s[34:35]
	s_and_saveexec_b64 s[34:35], s[38:39]
	s_cbranch_execz .LBB75_171
; %bb.175:                              ;   in Loop: Header=BB75_172 Depth=2
	v_lshlrev_b16_e32 v3, 8, v3
	v_or_b32_e32 v3, 1, v3
	ds_write_b16 v23, v3 offset:3072
	s_branch .LBB75_171
.LBB75_176:                             ;   in Loop: Header=BB75_21 Depth=1
                                        ; implicit-def: $sgpr26_sgpr27
                                        ; implicit-def: $sgpr30_sgpr31
                                        ; implicit-def: $sgpr28_sgpr29
	s_branch .LBB75_189
.LBB75_177:                             ;   in Loop: Header=BB75_21 Depth=1
	s_mov_b64 s[26:27], -1
	s_mov_b64 s[38:39], 0
                                        ; implicit-def: $sgpr28_sgpr29
                                        ; implicit-def: $vgpr25
	s_mov_b64 s[30:31], s[26:27]
	s_cbranch_execnz .LBB75_180
	s_branch .LBB75_189
.LBB75_178:                             ;   in Loop: Header=BB75_21 Depth=1
	s_or_b64 exec, exec, s[28:29]
	v_lshrrev_b16_e32 v25, 8, v3
	s_and_b64 s[38:39], s[30:31], exec
.LBB75_179:                             ;   in Loop: Header=BB75_21 Depth=1
	s_or_b64 exec, exec, s[26:27]
	s_mov_b64 s[28:29], -1
	s_mov_b64 s[26:27], 0
	s_mov_b64 s[30:31], s[26:27]
	s_branch .LBB75_189
.LBB75_180:                             ;   in Loop: Header=BB75_21 Depth=1
	s_mov_b64 s[38:39], 0
                                        ; implicit-def: $vgpr25
	s_mov_b64 s[26:27], exec
	v_readlane_b32 s8, v42, 32
	v_readlane_b32 s9, v42, 33
	s_and_b64 s[8:9], s[26:27], s[8:9]
	s_mov_b64 exec, s[8:9]
	s_cbranch_execz .LBB75_188
; %bb.181:                              ;   in Loop: Header=BB75_21 Depth=1
	s_mov_b64 s[28:29], 0
	v_mov_b32_e32 v2, v9
	v_mov_b32_e32 v3, v0
                                        ; implicit-def: $sgpr30_sgpr31
	s_branch .LBB75_183
.LBB75_182:                             ;   in Loop: Header=BB75_183 Depth=2
	s_or_b64 exec, exec, s[34:35]
	s_waitcnt lgkmcnt(0)
	s_barrier
	ds_read_u16 v4, v23 offset:3072
	v_add_u32_e32 v3, s59, v3
	v_cmp_le_u32_e32 vcc, s12, v3
	v_add_u32_e32 v2, s78, v2
	s_waitcnt lgkmcnt(0)
	v_cmp_ne_u16_sdwa s[8:9], v4, v23 src0_sel:BYTE_0 src1_sel:DWORD
	s_or_b64 s[34:35], vcc, s[8:9]
	s_and_b64 s[34:35], exec, s[34:35]
	s_or_b64 s[28:29], s[34:35], s[28:29]
	s_andn2_b64 s[30:31], s[30:31], exec
	s_and_b64 s[8:9], s[8:9], exec
	s_or_b64 s[30:31], s[30:31], s[8:9]
	s_barrier
	s_andn2_b64 exec, exec, s[28:29]
	s_cbranch_execz .LBB75_187
.LBB75_183:                             ;   Parent Loop BB75_21 Depth=1
                                        ; =>  This Inner Loop Header: Depth=2
	v_cmp_gt_u32_e32 vcc, s56, v3
	v_mov_b32_e32 v4, 0
	s_and_saveexec_b64 s[34:35], vcc
	s_cbranch_execz .LBB75_185
; %bb.184:                              ;   in Loop: Header=BB75_183 Depth=2
	global_load_ubyte v4, v2, s[66:67]
.LBB75_185:                             ;   in Loop: Header=BB75_183 Depth=2
	s_or_b64 exec, exec, s[34:35]
	s_waitcnt vmcnt(0)
	v_and_b32_e32 v5, s2, v4
	v_cmp_eq_u32_sdwa s[8:9], v5, s3 src0_sel:BYTE_0 src1_sel:DWORD
	s_and_b64 s[8:9], vcc, s[8:9]
	s_and_saveexec_b64 s[34:35], s[8:9]
	s_cbranch_execz .LBB75_182
; %bb.186:                              ;   in Loop: Header=BB75_183 Depth=2
	v_lshlrev_b16_e32 v4, 8, v4
	v_or_b32_e32 v4, 1, v4
	ds_write_b16 v23, v4 offset:3072
	s_branch .LBB75_182
.LBB75_187:                             ;   in Loop: Header=BB75_21 Depth=1
	s_or_b64 exec, exec, s[28:29]
	v_lshrrev_b16_e32 v25, 8, v4
	s_and_b64 s[38:39], s[30:31], exec
.LBB75_188:                             ;   in Loop: Header=BB75_21 Depth=1
	s_or_b64 exec, exec, s[26:27]
	s_mov_b64 s[30:31], -1
	s_mov_b64 s[26:27], 0
	s_mov_b64 s[28:29], 0
.LBB75_189:                             ;   in Loop: Header=BB75_21 Depth=1
	s_mov_b64 s[40:41], 0
                                        ; implicit-def: $sgpr51
	s_and_saveexec_b64 s[34:35], s[38:39]
	s_cbranch_execz .LBB75_242
; %bb.190:                              ;   in Loop: Header=BB75_21 Depth=1
	s_xor_b64 s[8:9], s[36:37], -1
	s_mov_b64 s[38:39], 0
	s_andn2_b64 vcc, exec, s[8:9]
	s_mov_b32 s0, 1
	s_cbranch_vccnz .LBB75_201
; %bb.191:                              ;   in Loop: Header=BB75_21 Depth=1
	s_cmp_gt_u32 s45, s42
	s_mov_b64 s[38:39], -1
                                        ; implicit-def: $sgpr51
                                        ; implicit-def: $sgpr0
                                        ; implicit-def: $sgpr8
	s_cbranch_scc1 .LBB75_197
; %bb.192:                              ;   in Loop: Header=BB75_21 Depth=1
	ds_read_b32 v2, v23 offset:4104
	s_waitcnt lgkmcnt(0)
	v_cmp_ne_u32_e32 vcc, 0, v2
	s_cbranch_vccnz .LBB75_196
; %bb.193:                              ;   in Loop: Header=BB75_21 Depth=1
	s_mov_b64 s[36:37], exec
	v_readlane_b32 s8, v42, 2
	v_readlane_b32 s9, v42, 3
	s_and_b64 s[8:9], s[36:37], s[8:9]
	s_mov_b64 exec, s[8:9]
	s_cbranch_execz .LBB75_195
; %bb.194:                              ;   in Loop: Header=BB75_21 Depth=1
	v_mov_b32_e32 v2, s42
	ds_write_b32 v23, v2 offset:4108
.LBB75_195:                             ;   in Loop: Header=BB75_21 Depth=1
	s_or_b64 exec, exec, s[36:37]
	s_waitcnt lgkmcnt(0)
	s_barrier
.LBB75_196:                             ;   in Loop: Header=BB75_21 Depth=1
	s_lshl_b32 s0, 2, s43
	s_and_b32 s8, s3, s44
	s_or_b32 s0, s8, s0
	s_or_b32 s8, s2, s50
	s_mov_b64 s[38:39], 0
	s_mov_b32 s51, 8
.LBB75_197:                             ;   in Loop: Header=BB75_21 Depth=1
	s_andn2_b64 vcc, exec, s[38:39]
	s_cbranch_vccnz .LBB75_199
; %bb.198:                              ;   in Loop: Header=BB75_21 Depth=1
	s_sub_i32 s45, s45, s42
	s_mov_b64 s[38:39], -1
	s_mov_b32 s51, 0
	s_mov_b32 s0, s3
	;; [unrolled: 1-line block ×3, first 2 shown]
.LBB75_199:                             ;   in Loop: Header=BB75_21 Depth=1
	s_mov_b32 s2, s8
	s_mov_b32 s3, s0
	;; [unrolled: 1-line block ×3, first 2 shown]
	s_andn2_b64 vcc, exec, s[38:39]
	s_mov_b64 s[48:49], -1
	s_cbranch_vccz .LBB75_202
.LBB75_200:                             ;   in Loop: Header=BB75_21 Depth=1
                                        ; implicit-def: $sgpr38_sgpr39
                                        ; implicit-def: $sgpr42_sgpr43
                                        ; implicit-def: $sgpr40_sgpr41
	s_branch .LBB75_241
.LBB75_201:                             ;   in Loop: Header=BB75_21 Depth=1
	s_mov_b32 s51, 1
	s_andn2_b64 vcc, exec, s[38:39]
	s_mov_b64 s[48:49], -1
	s_cbranch_vccnz .LBB75_200
.LBB75_202:                             ;   in Loop: Header=BB75_21 Depth=1
	s_cmp_eq_u32 s1, 1
	s_cselect_b64 s[8:9], -1, 0
	s_cmp_eq_u32 s0, 1
	s_cselect_b64 s[36:37], -1, 0
	s_and_b64 s[36:37], s[8:9], s[36:37]
	s_mov_b64 s[44:45], -1
	s_and_b64 vcc, exec, s[36:37]
	s_cbranch_vccz .LBB75_213
; %bb.203:                              ;   in Loop: Header=BB75_21 Depth=1
	ds_read_b32 v2, v23 offset:4104
	s_waitcnt lgkmcnt(0)
	s_barrier
	v_readfirstlane_b32 s8, v2
	s_and_saveexec_b64 s[38:39], s[6:7]
	s_cbranch_execz .LBB75_205
; %bb.204:                              ;   in Loop: Header=BB75_21 Depth=1
	ds_write_b8 v0, v23 offset:3072
.LBB75_205:                             ;   in Loop: Header=BB75_21 Depth=1
	s_or_b64 exec, exec, s[38:39]
	s_or_b32 s3, s3, s50
	s_or_b32 s2, s2, s50
	s_cmp_eq_u32 s8, 0
	s_waitcnt lgkmcnt(0)
	s_barrier
	s_cbranch_scc1 .LBB75_214
; %bb.206:                              ;   in Loop: Header=BB75_21 Depth=1
	v_readlane_b32 s9, v42, 10
	s_add_i32 s9, s8, s9
	v_readlane_b32 s38, v42, 31
	s_mul_hi_u32 s38, s9, s38
	s_mul_i32 s38, s38, s59
	s_sub_i32 s38, s9, s38
	s_sub_i32 s39, s38, s59
	s_cmp_ge_u32 s38, s59
	s_cselect_b32 s38, s39, s38
	s_sub_i32 s39, s38, s59
	s_cmp_ge_u32 s38, s59
	s_cselect_b32 s38, s39, s38
	s_sub_i32 s9, s9, s38
	v_cmp_gt_u32_e32 vcc, s9, v0
	s_mov_b64 s[44:45], 0
                                        ; implicit-def: $vgpr25
	s_and_saveexec_b64 s[38:39], vcc
	s_cbranch_execz .LBB75_216
; %bb.207:                              ;   in Loop: Header=BB75_21 Depth=1
	v_mov_b32_e32 v2, v0
                                        ; implicit-def: $sgpr42_sgpr43
	s_branch .LBB75_209
.LBB75_208:                             ;   in Loop: Header=BB75_209 Depth=2
	s_or_b64 exec, exec, s[44:45]
	s_waitcnt lgkmcnt(0)
	s_barrier
	ds_read_u16 v3, v23 offset:3072
	v_add_u32_e32 v2, s59, v2
	v_cmp_le_u32_e32 vcc, s9, v2
	s_waitcnt lgkmcnt(0)
	s_barrier
	v_cmp_ne_u16_sdwa s[44:45], v3, v23 src0_sel:BYTE_0 src1_sel:DWORD
	s_or_b64 s[46:47], vcc, s[44:45]
	s_and_b64 s[46:47], exec, s[46:47]
	s_or_b64 s[40:41], s[46:47], s[40:41]
	s_andn2_b64 s[42:43], s[42:43], exec
	s_and_b64 s[44:45], s[44:45], exec
	s_or_b64 s[42:43], s[42:43], s[44:45]
	s_andn2_b64 exec, exec, s[40:41]
	s_cbranch_execz .LBB75_215
.LBB75_209:                             ;   Parent Loop BB75_21 Depth=1
                                        ; =>  This Inner Loop Header: Depth=2
	v_cmp_gt_u32_e32 vcc, s8, v2
	v_mov_b32_e32 v3, 0
	s_and_saveexec_b64 s[44:45], vcc
	s_cbranch_execz .LBB75_211
; %bb.210:                              ;   in Loop: Header=BB75_209 Depth=2
	ds_read_u8 v3, v2
.LBB75_211:                             ;   in Loop: Header=BB75_209 Depth=2
	s_or_b64 exec, exec, s[44:45]
	s_waitcnt lgkmcnt(0)
	v_and_b32_e32 v4, s2, v3
	v_cmp_eq_u32_sdwa s[44:45], v4, s3 src0_sel:BYTE_0 src1_sel:DWORD
	s_and_b64 s[46:47], vcc, s[44:45]
	s_and_saveexec_b64 s[44:45], s[46:47]
	s_cbranch_execz .LBB75_208
; %bb.212:                              ;   in Loop: Header=BB75_209 Depth=2
	v_lshlrev_b16_e32 v3, 8, v3
	v_or_b32_e32 v3, 1, v3
	ds_write_b16 v23, v3 offset:3072
	s_branch .LBB75_208
.LBB75_213:                             ;   in Loop: Header=BB75_21 Depth=1
                                        ; implicit-def: $sgpr38_sgpr39
                                        ; implicit-def: $sgpr42_sgpr43
                                        ; implicit-def: $sgpr40_sgpr41
	s_branch .LBB75_226
.LBB75_214:                             ;   in Loop: Header=BB75_21 Depth=1
	s_mov_b64 s[38:39], -1
	s_mov_b64 s[44:45], 0
                                        ; implicit-def: $sgpr40_sgpr41
                                        ; implicit-def: $vgpr25
	s_mov_b64 s[42:43], s[38:39]
	s_cbranch_execnz .LBB75_217
	s_branch .LBB75_226
.LBB75_215:                             ;   in Loop: Header=BB75_21 Depth=1
	s_or_b64 exec, exec, s[40:41]
	v_lshrrev_b16_e32 v25, 8, v3
	s_and_b64 s[44:45], s[42:43], exec
.LBB75_216:                             ;   in Loop: Header=BB75_21 Depth=1
	s_or_b64 exec, exec, s[38:39]
	s_mov_b64 s[40:41], -1
	s_mov_b64 s[38:39], 0
	s_mov_b64 s[42:43], s[38:39]
	s_branch .LBB75_226
.LBB75_217:                             ;   in Loop: Header=BB75_21 Depth=1
	s_mov_b64 s[44:45], 0
                                        ; implicit-def: $vgpr25
	s_mov_b64 s[38:39], exec
	v_readlane_b32 s8, v42, 32
	v_readlane_b32 s9, v42, 33
	s_and_b64 s[8:9], s[38:39], s[8:9]
	s_mov_b64 exec, s[8:9]
	s_cbranch_execz .LBB75_225
; %bb.218:                              ;   in Loop: Header=BB75_21 Depth=1
	s_mov_b64 s[40:41], 0
	v_mov_b32_e32 v2, v9
	v_mov_b32_e32 v3, v0
                                        ; implicit-def: $sgpr42_sgpr43
	s_branch .LBB75_220
.LBB75_219:                             ;   in Loop: Header=BB75_220 Depth=2
	s_or_b64 exec, exec, s[44:45]
	s_waitcnt lgkmcnt(0)
	s_barrier
	ds_read_u16 v4, v23 offset:3072
	v_add_u32_e32 v3, s59, v3
	v_cmp_le_u32_e32 vcc, s12, v3
	v_add_u32_e32 v2, s78, v2
	s_waitcnt lgkmcnt(0)
	v_cmp_ne_u16_sdwa s[8:9], v4, v23 src0_sel:BYTE_0 src1_sel:DWORD
	s_or_b64 s[44:45], vcc, s[8:9]
	s_and_b64 s[44:45], exec, s[44:45]
	s_or_b64 s[40:41], s[44:45], s[40:41]
	s_andn2_b64 s[42:43], s[42:43], exec
	s_and_b64 s[8:9], s[8:9], exec
	s_or_b64 s[42:43], s[42:43], s[8:9]
	s_barrier
	s_andn2_b64 exec, exec, s[40:41]
	s_cbranch_execz .LBB75_224
.LBB75_220:                             ;   Parent Loop BB75_21 Depth=1
                                        ; =>  This Inner Loop Header: Depth=2
	v_cmp_gt_u32_e32 vcc, s56, v3
	v_mov_b32_e32 v4, 0
	s_and_saveexec_b64 s[44:45], vcc
	s_cbranch_execz .LBB75_222
; %bb.221:                              ;   in Loop: Header=BB75_220 Depth=2
	global_load_ubyte v4, v2, s[66:67]
.LBB75_222:                             ;   in Loop: Header=BB75_220 Depth=2
	s_or_b64 exec, exec, s[44:45]
	s_waitcnt vmcnt(0)
	v_and_b32_e32 v5, s2, v4
	v_cmp_eq_u32_sdwa s[8:9], v5, s3 src0_sel:BYTE_0 src1_sel:DWORD
	s_and_b64 s[8:9], vcc, s[8:9]
	s_and_saveexec_b64 s[44:45], s[8:9]
	s_cbranch_execz .LBB75_219
; %bb.223:                              ;   in Loop: Header=BB75_220 Depth=2
	v_lshlrev_b16_e32 v4, 8, v4
	v_or_b32_e32 v4, 1, v4
	ds_write_b16 v23, v4 offset:3072
	s_branch .LBB75_219
.LBB75_224:                             ;   in Loop: Header=BB75_21 Depth=1
	s_or_b64 exec, exec, s[40:41]
	v_lshrrev_b16_e32 v25, 8, v4
	s_and_b64 s[44:45], s[42:43], exec
.LBB75_225:                             ;   in Loop: Header=BB75_21 Depth=1
	s_or_b64 exec, exec, s[38:39]
	s_mov_b64 s[42:43], -1
	s_mov_b64 s[38:39], 0
	s_mov_b64 s[40:41], 0
.LBB75_226:                             ;   in Loop: Header=BB75_21 Depth=1
	s_mov_b64 s[48:49], 0
                                        ; implicit-def: $sgpr51
	s_and_saveexec_b64 s[46:47], s[44:45]
	s_cbranch_execz .LBB75_240
; %bb.227:                              ;   in Loop: Header=BB75_21 Depth=1
	s_xor_b64 s[8:9], s[36:37], -1
	s_andn2_b64 vcc, exec, s[8:9]
	s_mov_b32 s51, 1
	s_cbranch_vccnz .LBB75_234
; %bb.228:                              ;   in Loop: Header=BB75_21 Depth=1
	s_cmp_gt_u32 s0, s1
	s_cbranch_scc1 .LBB75_235
; %bb.229:                              ;   in Loop: Header=BB75_21 Depth=1
	ds_read_b32 v2, v23 offset:4104
	s_waitcnt lgkmcnt(0)
	v_cmp_ne_u32_e32 vcc, 0, v2
	s_cbranch_vccnz .LBB75_233
; %bb.230:                              ;   in Loop: Header=BB75_21 Depth=1
	s_mov_b64 s[36:37], exec
	v_readlane_b32 s8, v42, 2
	v_readlane_b32 s9, v42, 3
	s_and_b64 s[8:9], s[36:37], s[8:9]
	s_mov_b64 exec, s[8:9]
	s_cbranch_execz .LBB75_232
; %bb.231:                              ;   in Loop: Header=BB75_21 Depth=1
	v_mov_b32_e32 v2, s1
	ds_write_b32 v23, v2 offset:4108
.LBB75_232:                             ;   in Loop: Header=BB75_21 Depth=1
	s_or_b64 exec, exec, s[36:37]
	s_waitcnt lgkmcnt(0)
	s_barrier
.LBB75_233:                             ;   in Loop: Header=BB75_21 Depth=1
	s_or_b32 s8, s3, s50
	s_or_b32 s9, s2, s50
	s_mov_b64 s[36:37], 0
	s_mov_b32 s51, 8
	s_branch .LBB75_236
.LBB75_234:                             ;   in Loop: Header=BB75_21 Depth=1
	s_mov_b32 s0, 1
	s_branch .LBB75_239
.LBB75_235:                             ;   in Loop: Header=BB75_21 Depth=1
	s_mov_b64 s[36:37], -1
                                        ; implicit-def: $sgpr51
                                        ; implicit-def: $sgpr8
                                        ; implicit-def: $sgpr9
.LBB75_236:                             ;   in Loop: Header=BB75_21 Depth=1
	s_andn2_b64 vcc, exec, s[36:37]
	s_cbranch_vccnz .LBB75_238
; %bb.237:                              ;   in Loop: Header=BB75_21 Depth=1
	s_sub_i32 s0, s0, s1
	s_mov_b32 s51, 8
	s_mov_b32 s8, s3
	;; [unrolled: 1-line block ×3, first 2 shown]
.LBB75_238:                             ;   in Loop: Header=BB75_21 Depth=1
	s_mov_b32 s3, s8
	s_mov_b32 s2, s9
.LBB75_239:                             ;   in Loop: Header=BB75_21 Depth=1
	s_mov_b64 s[48:49], exec
.LBB75_240:                             ;   in Loop: Header=BB75_21 Depth=1
	s_or_b64 exec, exec, s[46:47]
.LBB75_241:                             ;   in Loop: Header=BB75_21 Depth=1
	s_andn2_b64 s[8:9], s[26:27], exec
	s_and_b64 s[26:27], s[38:39], exec
	s_or_b64 s[26:27], s[8:9], s[26:27]
	s_andn2_b64 s[8:9], s[30:31], exec
	s_and_b64 s[30:31], s[42:43], exec
	s_or_b64 s[30:31], s[8:9], s[30:31]
	;; [unrolled: 3-line block ×3, first 2 shown]
	s_and_b64 s[40:41], s[48:49], exec
	s_mov_b32 s45, s0
.LBB75_242:                             ;   in Loop: Header=BB75_21 Depth=1
	s_or_b64 exec, exec, s[34:35]
.LBB75_243:                             ;   in Loop: Header=BB75_21 Depth=1
	s_andn2_b64 s[0:1], s[20:21], exec
	s_and_b64 s[8:9], s[26:27], exec
	s_or_b64 s[20:21], s[0:1], s[8:9]
	s_andn2_b64 s[0:1], s[22:23], exec
	s_and_b64 s[8:9], s[30:31], exec
	s_or_b64 s[22:23], s[0:1], s[8:9]
	;; [unrolled: 3-line block ×3, first 2 shown]
	s_and_b64 s[30:31], s[40:41], exec
	s_mov_b32 s35, s45
.LBB75_244:                             ;   in Loop: Header=BB75_21 Depth=1
	s_or_b64 exec, exec, s[24:25]
                                        ; implicit-def: $sgpr0
	s_and_saveexec_b64 s[8:9], s[30:31]
	s_xor_b64 s[24:25], exec, s[8:9]
	s_cbranch_execz .LBB75_19
.LBB75_245:                             ;   in Loop: Header=BB75_21 Depth=1
	s_and_b32 s0, s51, -9
	s_cmp_eq_u32 s0, 0
	s_cbranch_scc1 .LBB75_17
; %bb.246:                              ;   in Loop: Header=BB75_21 Depth=1
	s_mov_b64 s[16:17], -1
                                        ; implicit-def: $sgpr2
                                        ; implicit-def: $sgpr35
                                        ; implicit-def: $sgpr74
                                        ; implicit-def: $sgpr75
	s_mov_b64 s[26:27], -1
	s_branch .LBB75_18
.LBB75_247:
	s_or_b64 exec, exec, s[88:89]
	s_xor_b64 s[8:9], s[94:95], -1
	s_xor_b64 s[0:1], s[90:91], -1
	;; [unrolled: 1-line block ×3, first 2 shown]
	s_mov_b64 s[4:5], 0
	s_and_saveexec_b64 s[2:3], s[0:1]
	s_xor_b64 s[0:1], exec, s[2:3]
	s_cbranch_execnz .LBB75_252
; %bb.248:
	s_andn2_saveexec_b64 s[0:1], s[0:1]
	s_cbranch_execnz .LBB75_265
.LBB75_249:
	s_or_b64 exec, exec, s[0:1]
	s_and_saveexec_b64 s[0:1], s[4:5]
.LBB75_250:
	; divergent unreachable
.LBB75_251:
	s_endpgm
.LBB75_252:
	s_and_saveexec_b64 s[2:3], s[8:9]
	s_xor_b64 s[4:5], exec, s[2:3]
	s_cbranch_execz .LBB75_263
; %bb.253:
	s_and_saveexec_b64 s[2:3], s[6:7]
	s_xor_b64 s[6:7], exec, s[2:3]
; %bb.254:
	v_mov_b32_e32 v25, v2
; %bb.255:
	s_or_b64 exec, exec, s[6:7]
	v_readlane_b32 s2, v42, 0
	s_mul_i32 s2, s2, s33
	s_add_i32 s2, s2, s61
	v_mov_b32_e32 v1, s2
	v_readlane_b32 s2, v42, 4
	v_readlane_b32 s3, v42, 5
	s_nop 4
	global_store_byte v1, v25, s[2:3]
	s_mov_b64 s[6:7], exec
	v_readlane_b32 s2, v42, 8
	v_readlane_b32 s3, v42, 9
	s_and_b64 s[2:3], s[6:7], s[2:3]
	s_mov_b64 exec, s[2:3]
	s_cbranch_execz .LBB75_262
; %bb.256:
	s_mov_b64 s[2:3], 0
                                        ; implicit-def: $sgpr8_sgpr9
                                        ; implicit-def: $sgpr12_sgpr13
                                        ; implicit-def: $sgpr10_sgpr11
	s_branch .LBB75_258
.LBB75_257:                             ;   in Loop: Header=BB75_258 Depth=1
	s_or_b64 exec, exec, s[14:15]
	s_and_b64 s[14:15], exec, s[12:13]
	s_or_b64 s[2:3], s[14:15], s[2:3]
	s_andn2_b64 s[8:9], s[8:9], exec
	s_and_b64 s[14:15], s[10:11], exec
	s_or_b64 s[8:9], s[8:9], s[14:15]
	s_andn2_b64 exec, exec, s[2:3]
	s_cbranch_execz .LBB75_260
.LBB75_258:                             ; =>This Inner Loop Header: Depth=1
	global_load_ubyte v1, v9, s[66:67]
	v_mov_b32_e32 v2, v0
	s_or_b64 s[10:11], s[10:11], exec
	s_or_b64 s[12:13], s[12:13], exec
                                        ; implicit-def: $vgpr0
	s_waitcnt vmcnt(0)
	v_cmp_ne_u16_sdwa s[16:17], v1, v25 src0_sel:DWORD src1_sel:BYTE_0
	s_and_saveexec_b64 s[14:15], s[16:17]
	s_cbranch_execz .LBB75_257
; %bb.259:                              ;   in Loop: Header=BB75_258 Depth=1
	v_add_u32_e32 v0, s59, v2
	v_cmp_le_u32_e32 vcc, s56, v0
	s_andn2_b64 s[12:13], s[12:13], exec
	s_and_b64 s[16:17], vcc, exec
	v_add_u32_e32 v9, s78, v9
	s_andn2_b64 s[10:11], s[10:11], exec
	s_or_b64 s[12:13], s[12:13], s[16:17]
	s_branch .LBB75_257
.LBB75_260:
	s_or_b64 exec, exec, s[2:3]
	s_and_saveexec_b64 s[2:3], s[8:9]
	s_xor_b64 s[2:3], exec, s[2:3]
	s_cbranch_execz .LBB75_262
; %bb.261:
	v_readlane_b32 s2, v42, 1
	s_mul_i32 s2, s2, s57
	s_add_i32 s2, s2, s63
	s_mov_b32 s3, 0
	s_lshl_b64 s[2:3], s[2:3], 3
	v_readlane_b32 s8, v42, 6
	v_readlane_b32 s9, v42, 7
	s_add_u32 s2, s8, s2
	s_addc_u32 s3, s9, s3
	v_mov_b32_e32 v3, 0
	global_store_dwordx2 v3, v[2:3], s[2:3]
.LBB75_262:
	s_or_b64 exec, exec, s[6:7]
.LBB75_263:
	s_or_saveexec_b64 s[2:3], s[4:5]
	s_mov_b64 s[4:5], 0
	s_xor_b64 exec, exec, s[2:3]
	s_cbranch_execnz .LBB75_266
.LBB75_264:
	s_or_b64 exec, exec, s[2:3]
	s_and_b64 s[4:5], s[4:5], exec
	s_andn2_saveexec_b64 s[0:1], s[0:1]
	s_cbranch_execz .LBB75_249
.LBB75_265:
	s_or_b64 s[4:5], s[4:5], exec
	s_trap 2
	s_or_b64 exec, exec, s[0:1]
	s_and_saveexec_b64 s[0:1], s[4:5]
	s_cbranch_execnz .LBB75_250
	s_branch .LBB75_251
.LBB75_266:
	s_mov_b64 s[4:5], exec
	s_trap 2
	s_branch .LBB75_264
	.section	.rodata,"a",@progbits
	.p2align	6, 0x0
	.amdhsa_kernel _ZN2at6native12_GLOBAL__N_112gatherMedianIhjLin1EEEvNS_4cuda6detail10TensorInfoIT_T0_EENS5_IlS7_EENS5_IKS6_S7_EES7_S7_S7_b
		.amdhsa_group_segment_fixed_size 4120
		.amdhsa_private_segment_fixed_size 0
		.amdhsa_kernarg_size 920
		.amdhsa_user_sgpr_count 6
		.amdhsa_user_sgpr_private_segment_buffer 1
		.amdhsa_user_sgpr_dispatch_ptr 0
		.amdhsa_user_sgpr_queue_ptr 0
		.amdhsa_user_sgpr_kernarg_segment_ptr 1
		.amdhsa_user_sgpr_dispatch_id 0
		.amdhsa_user_sgpr_flat_scratch_init 0
		.amdhsa_user_sgpr_kernarg_preload_length 0
		.amdhsa_user_sgpr_kernarg_preload_offset 0
		.amdhsa_user_sgpr_private_segment_size 0
		.amdhsa_uses_dynamic_stack 0
		.amdhsa_system_sgpr_private_segment_wavefront_offset 0
		.amdhsa_system_sgpr_workgroup_id_x 1
		.amdhsa_system_sgpr_workgroup_id_y 1
		.amdhsa_system_sgpr_workgroup_id_z 1
		.amdhsa_system_sgpr_workgroup_info 0
		.amdhsa_system_vgpr_workitem_id 0
		.amdhsa_next_free_vgpr 43
		.amdhsa_next_free_sgpr 96
		.amdhsa_accum_offset 44
		.amdhsa_reserve_vcc 1
		.amdhsa_reserve_flat_scratch 0
		.amdhsa_float_round_mode_32 0
		.amdhsa_float_round_mode_16_64 0
		.amdhsa_float_denorm_mode_32 3
		.amdhsa_float_denorm_mode_16_64 3
		.amdhsa_dx10_clamp 1
		.amdhsa_ieee_mode 1
		.amdhsa_fp16_overflow 0
		.amdhsa_tg_split 0
		.amdhsa_exception_fp_ieee_invalid_op 0
		.amdhsa_exception_fp_denorm_src 0
		.amdhsa_exception_fp_ieee_div_zero 0
		.amdhsa_exception_fp_ieee_overflow 0
		.amdhsa_exception_fp_ieee_underflow 0
		.amdhsa_exception_fp_ieee_inexact 0
		.amdhsa_exception_int_div_zero 0
	.end_amdhsa_kernel
	.section	.text._ZN2at6native12_GLOBAL__N_112gatherMedianIhjLin1EEEvNS_4cuda6detail10TensorInfoIT_T0_EENS5_IlS7_EENS5_IKS6_S7_EES7_S7_S7_b,"axG",@progbits,_ZN2at6native12_GLOBAL__N_112gatherMedianIhjLin1EEEvNS_4cuda6detail10TensorInfoIT_T0_EENS5_IlS7_EENS5_IKS6_S7_EES7_S7_S7_b,comdat
.Lfunc_end75:
	.size	_ZN2at6native12_GLOBAL__N_112gatherMedianIhjLin1EEEvNS_4cuda6detail10TensorInfoIT_T0_EENS5_IlS7_EENS5_IKS6_S7_EES7_S7_S7_b, .Lfunc_end75-_ZN2at6native12_GLOBAL__N_112gatherMedianIhjLin1EEEvNS_4cuda6detail10TensorInfoIT_T0_EENS5_IlS7_EENS5_IKS6_S7_EES7_S7_S7_b
                                        ; -- End function
	.section	.AMDGPU.csdata,"",@progbits
; Kernel info:
; codeLenInByte = 9744
; NumSgprs: 100
; NumVgprs: 43
; NumAgprs: 0
; TotalNumVgprs: 43
; ScratchSize: 0
; MemoryBound: 0
; FloatMode: 240
; IeeeMode: 1
; LDSByteSize: 4120 bytes/workgroup (compile time only)
; SGPRBlocks: 12
; VGPRBlocks: 5
; NumSGPRsForWavesPerEU: 100
; NumVGPRsForWavesPerEU: 43
; AccumOffset: 44
; Occupancy: 8
; WaveLimiterHint : 1
; COMPUTE_PGM_RSRC2:SCRATCH_EN: 0
; COMPUTE_PGM_RSRC2:USER_SGPR: 6
; COMPUTE_PGM_RSRC2:TRAP_HANDLER: 0
; COMPUTE_PGM_RSRC2:TGID_X_EN: 1
; COMPUTE_PGM_RSRC2:TGID_Y_EN: 1
; COMPUTE_PGM_RSRC2:TGID_Z_EN: 1
; COMPUTE_PGM_RSRC2:TIDIG_COMP_CNT: 0
; COMPUTE_PGM_RSRC3_GFX90A:ACCUM_OFFSET: 10
; COMPUTE_PGM_RSRC3_GFX90A:TG_SPLIT: 0
	.section	.text._ZN2at6native12_GLOBAL__N_112gatherMedianIhmLi1EEEvNS_4cuda6detail10TensorInfoIT_T0_EENS5_IlS7_EENS5_IKS6_S7_EES7_S7_S7_b,"axG",@progbits,_ZN2at6native12_GLOBAL__N_112gatherMedianIhmLi1EEEvNS_4cuda6detail10TensorInfoIT_T0_EENS5_IlS7_EENS5_IKS6_S7_EES7_S7_S7_b,comdat
	.globl	_ZN2at6native12_GLOBAL__N_112gatherMedianIhmLi1EEEvNS_4cuda6detail10TensorInfoIT_T0_EENS5_IlS7_EENS5_IKS6_S7_EES7_S7_S7_b ; -- Begin function _ZN2at6native12_GLOBAL__N_112gatherMedianIhmLi1EEEvNS_4cuda6detail10TensorInfoIT_T0_EENS5_IlS7_EENS5_IKS6_S7_EES7_S7_S7_b
	.p2align	8
	.type	_ZN2at6native12_GLOBAL__N_112gatherMedianIhmLi1EEEvNS_4cuda6detail10TensorInfoIT_T0_EENS5_IlS7_EENS5_IKS6_S7_EES7_S7_S7_b,@function
_ZN2at6native12_GLOBAL__N_112gatherMedianIhmLi1EEEvNS_4cuda6detail10TensorInfoIT_T0_EENS5_IlS7_EENS5_IKS6_S7_EES7_S7_S7_b: ; @_ZN2at6native12_GLOBAL__N_112gatherMedianIhmLi1EEEvNS_4cuda6detail10TensorInfoIT_T0_EENS5_IlS7_EENS5_IKS6_S7_EES7_S7_S7_b
; %bb.0:
	s_load_dwordx4 s[52:55], s[4:5], 0x4e0
	s_load_dwordx2 s[0:1], s[4:5], 0x500
	s_add_u32 s2, s4, 0x500
	s_addc_u32 s3, s5, 0
	s_mov_b32 s19, 0
	s_waitcnt lgkmcnt(0)
	v_mov_b32_e32 v2, s54
	s_mul_i32 s1, s1, s8
	s_add_i32 s1, s1, s7
	s_mul_i32 s1, s1, s0
	v_mov_b32_e32 v3, s55
	s_add_i32 s18, s1, s6
	v_cmp_ge_u64_e32 vcc, s[18:19], v[2:3]
	s_cbranch_vccnz .LBB76_272
; %bb.1:
	s_load_dwordx2 s[64:65], s[4:5], 0x4f0
	s_load_dwordx2 s[10:11], s[4:5], 0x410
	;; [unrolled: 1-line block ×3, first 2 shown]
	v_cmp_eq_u32_e64 s[14:15], 0, v0
	s_mov_b64 s[12:13], exec
                                        ; implicit-def: $vgpr44 : SGPR spill to VGPR lane
	v_writelane_b32 v44, s14, 0
	v_writelane_b32 v44, s15, 1
	s_and_b64 s[14:15], s[12:13], s[14:15]
	s_mov_b64 exec, s[14:15]
	s_cbranch_execz .LBB76_3
; %bb.2:
	v_mov_b32_e32 v2, 0
	v_mov_b32_e32 v3, v2
	ds_write_b64 v2, v[2:3] offset:5136
.LBB76_3:
	s_or_b64 exec, exec, s[12:13]
	s_load_dwordx2 s[12:13], s[4:5], 0x270
	v_mov_b32_e32 v13, 0
	s_waitcnt lgkmcnt(0)
	s_barrier
	v_writelane_b32 v44, s12, 2
	v_writelane_b32 v44, s13, 3
	s_load_dwordx2 s[12:13], s[4:5], 0x1a0
	s_waitcnt lgkmcnt(0)
	s_barrier
	ds_read_b64 v[2:3], v13 offset:5136
	v_writelane_b32 v44, s12, 4
	v_writelane_b32 v44, s13, 5
	s_load_dwordx2 s[12:13], s[4:5], 0xd0
	s_waitcnt lgkmcnt(0)
	v_writelane_b32 v44, s12, 6
	v_writelane_b32 v44, s13, 7
	s_load_dwordx2 s[12:13], s[4:5], 0x0
	s_waitcnt lgkmcnt(0)
	v_writelane_b32 v44, s12, 8
	v_writelane_b32 v44, s13, 9
	v_readfirstlane_b32 s12, v2
	v_readfirstlane_b32 s13, v3
	s_mov_b64 s[14:15], exec
	v_readlane_b32 s16, v44, 0
	v_readlane_b32 s17, v44, 1
	s_and_b64 s[16:17], s[14:15], s[16:17]
	s_mov_b64 exec, s[16:17]
	s_cbranch_execz .LBB76_5
; %bb.4:
	v_mov_b32_e32 v2, 0
	v_mov_b32_e32 v4, s52
	;; [unrolled: 1-line block ×4, first 2 shown]
	ds_write_b32 v2, v2 offset:5144
	ds_write_b128 v2, v[2:5] offset:5120
.LBB76_5:
	s_or_b64 exec, exec, s[14:15]
	s_load_dword s1, s[4:5], 0x4f8
	v_cmp_lt_i64_e64 s[4:5], s[12:13], 1
	s_mul_i32 s7, s11, s18
	v_mov_b32_e32 v1, 0
	v_mbcnt_lo_u32_b32 v2, -1, 0
	s_waitcnt lgkmcnt(0)
	s_bitcmp1_b32 s1, 0
	s_cselect_b64 s[14:15], -1, 0
	s_not_b64 s[12:13], s[12:13]
	s_or_b64 s[4:5], s[14:15], s[4:5]
	s_add_u32 s12, s12, s52
	s_addc_u32 s13, s13, s53
	s_lshr_b64 s[12:13], s[12:13], 1
	s_add_u32 s1, s12, 1
	s_addc_u32 s11, s13, 0
	s_and_b64 s[4:5], s[4:5], exec
	s_mov_b32 s4, s18
	s_cselect_b32 s72, s1, s52
	s_mul_hi_u32 s1, s10, s18
	v_writelane_b32 v44, s4, 10
	s_cselect_b32 s73, s11, s53
	s_add_i32 s1, s1, s7
	v_writelane_b32 v44, s5, 11
	s_mul_i32 s4, s10, s18
	s_add_u32 s82, s8, s4
	v_cmp_gt_u64_e64 s[4:5], s[52:53], v[0:1]
	v_mbcnt_hi_u32_b32 v30, -1, v2
	s_addc_u32 s83, s9, s1
	v_writelane_b32 v44, s4, 12
	v_cmp_gt_u32_e32 vcc, 64, v0
	v_cmp_gt_i32_e64 s[8:9], 4, v30
	v_writelane_b32 v44, s5, 13
	s_barrier
	s_and_b64 s[46:47], vcc, s[8:9]
	v_cmp_gt_u32_e64 s[8:9], 2, v0
	v_mov_b32_e32 v2, 0xc00
	s_load_dword s1, s[2:3], 0xc
	v_writelane_b32 v44, s8, 14
	v_mov_b32_e32 v3, 0
	v_writelane_b32 v44, s9, 15
	v_cmp_gt_u64_e64 s[8:9], s[52:53], v[2:3]
	v_writelane_b32 v44, s8, 16
	v_pk_mov_b32 v[4:5], s[82:83], s[82:83] op_sel:[0,1]
	v_writelane_b32 v44, s9, 17
	v_mad_u64_u32 v[2:3], s[8:9], v0, s64, 0
	v_mad_u64_u32 v[10:11], s[8:9], v0, s64, v[4:5]
	s_waitcnt lgkmcnt(0)
	s_and_b32 s33, s1, 0xffff
	s_bfe_u32 s7, s1, 0xa0006
	v_cmp_gt_u16_e64 s[8:9], s1, 63
	v_writelane_b32 v44, s8, 18
	s_add_u32 s1, s33, -1
	v_writelane_b32 v44, s9, 19
	s_addc_u32 s8, 0, -1
	v_writelane_b32 v44, s1, 20
	s_add_u32 s1, s1, s52
	s_addc_u32 s77, s8, s53
	s_cmp_lt_u32 s6, s0
	s_cselect_b32 s0, 12, 18
	s_add_u32 s48, s2, s0
	v_writelane_b32 v44, s1, 21
	s_addc_u32 s49, s3, 0
	s_add_i32 s0, s7, -1
	s_bfe_u32 s1, s33, 0x30006
	s_cmp_gt_u32 s0, 6
	v_writelane_b32 v44, s8, 22
	s_cselect_b64 s[2:3], -1, 0
	v_lshrrev_b32_e32 v4, 4, v0
	v_writelane_b32 v44, s2, 23
	s_and_b32 s84, s7, 0x3f8
	v_and_b32_e32 v31, 60, v4
	v_lshlrev_b32_e32 v4, 2, v30
	v_writelane_b32 v44, s3, 24
	s_cmp_lg_u32 s1, 0
	v_lshlrev_b32_e32 v14, 2, v0
	v_and_b32_e32 v32, 0x100, v4
	v_lshlrev_b64 v[4:5], v30, -1
	v_writelane_b32 v44, s1, 25
	s_cselect_b64 s[0:1], -1, 0
	v_not_b32_e32 v17, v5
	v_writelane_b32 v44, s0, 26
	v_or_b32_e32 v5, 3, v14
	v_writelane_b32 v44, s1, 27
	v_mad_u64_u32 v[18:19], s[0:1], s64, v5, 0
	v_not_b32_e32 v16, v4
	v_mov_b32_e32 v4, v19
	v_mad_u64_u32 v[4:5], s[0:1], s65, v5, v[4:5]
	s_lshl_b64 s[0:1], s[64:65], 2
	v_writelane_b32 v44, s0, 28
	v_or_b32_e32 v5, 2, v14
	v_writelane_b32 v44, s1, 29
	v_mad_u64_u32 v[20:21], s[0:1], s64, v5, 0
	v_mov_b32_e32 v19, v4
	v_mov_b32_e32 v4, v21
	v_mad_u64_u32 v[4:5], s[0:1], s65, v5, v[4:5]
	v_mov_b32_e32 v21, v4
	v_pk_mov_b32 v[4:5], s[64:65], s[64:65] op_sel:[0,1]
	v_mad_u64_u32 v[22:23], s[0:1], s64, v14, v[4:5]
	v_mul_lo_u32 v6, v0, s65
	v_mov_b32_e32 v4, v23
	v_add_u32_e32 v3, v3, v6
	v_mad_u64_u32 v[4:5], s[0:1], s65, v14, v[4:5]
	v_writelane_b32 v44, s46, 30
	s_mov_b32 s69, 0
	v_lshlrev_b64 v[24:25], 2, v[2:3]
	v_mov_b32_e32 v2, 0xc00
	s_mul_i32 s0, s65, s33
	s_mul_hi_u32 s1, s64, s33
	v_writelane_b32 v44, s47, 31
	v_cmp_eq_u32_e64 s[4:5], 0, v30
	v_add_u32_e32 v11, v6, v11
	v_mov_b32_e32 v15, v1
	s_mov_b32 s74, s69
	s_mov_b32 s85, 6
	v_mov_b32_e32 v23, v4
	v_lshl_or_b32 v33, v30, 3, v2
	s_add_i32 s75, s1, s0
	s_mul_i32 s26, s64, s33
	s_mov_b64 s[86:87], 0
	v_mov_b32_e32 v34, 0x4f800000
	v_mov_b32_e32 v35, 0
	s_mov_b32 s79, 0
	s_mov_b32 s78, 0
	;; [unrolled: 1-line block ×3, first 2 shown]
	v_writelane_b32 v44, s48, 32
                                        ; implicit-def: $sgpr90_sgpr91
                                        ; implicit-def: $sgpr94_sgpr95
                                        ; implicit-def: $sgpr92_sgpr93
                                        ; implicit-def: $sgpr56_sgpr57
                                        ; implicit-def: $sgpr58_sgpr59
                                        ; implicit-def: $sgpr60_sgpr61
	v_writelane_b32 v44, s49, 33
	s_branch .LBB76_10
.LBB76_6:                               ;   in Loop: Header=BB76_10 Depth=1
	s_xor_b32 s79, s79, 1
	s_add_i32 s8, s85, -2
	s_cmp_eq_u32 s85, 0
	s_mov_b64 s[2:3], 0
	s_cselect_b64 s[6:7], -1, 0
	s_mov_b32 s85, s8
.LBB76_7:                               ;   in Loop: Header=BB76_10 Depth=1
	s_andn2_b64 s[8:9], s[18:19], exec
	s_and_b64 s[2:3], s[2:3], exec
	s_or_b64 s[18:19], s[8:9], s[2:3]
	s_andn2_b64 s[20:21], s[20:21], exec
	s_andn2_b64 s[16:17], s[16:17], exec
	s_orn2_b64 s[12:13], s[6:7], exec
.LBB76_8:                               ;   in Loop: Header=BB76_10 Depth=1
	s_or_b64 exec, exec, s[0:1]
	s_andn2_b64 s[0:1], s[60:61], exec
	s_and_b64 s[2:3], s[18:19], exec
	s_or_b64 s[60:61], s[0:1], s[2:3]
	s_andn2_b64 s[0:1], s[58:59], exec
	s_and_b64 s[2:3], s[20:21], exec
	s_or_b64 s[58:59], s[0:1], s[2:3]
	;; [unrolled: 3-line block ×3, first 2 shown]
	s_orn2_b64 s[16:17], s[12:13], exec
.LBB76_9:                               ;   in Loop: Header=BB76_10 Depth=1
	s_or_b64 exec, exec, s[10:11]
	s_and_b64 s[0:1], exec, s[16:17]
	s_or_b64 s[86:87], s[0:1], s[86:87]
	s_andn2_b64 s[0:1], s[92:93], exec
	s_and_b64 s[2:3], s[60:61], exec
	s_or_b64 s[92:93], s[0:1], s[2:3]
	s_andn2_b64 s[0:1], s[94:95], exec
	s_and_b64 s[2:3], s[58:59], exec
	;; [unrolled: 3-line block ×3, first 2 shown]
	v_mov_b32_e32 v2, s78
	s_or_b64 s[90:91], s[0:1], s[2:3]
	s_andn2_b64 exec, exec, s[86:87]
	s_cbranch_execz .LBB76_268
.LBB76_10:                              ; =>This Loop Header: Depth=1
                                        ;     Child Loop BB76_15 Depth 2
                                        ;     Child Loop BB76_30 Depth 2
	;; [unrolled: 1-line block ×16, first 2 shown]
	ds_read_b128 v[2:5], v13 offset:5120
	s_waitcnt lgkmcnt(0)
	v_readfirstlane_b32 s63, v3
	v_readfirstlane_b32 s62, v2
	s_cmp_lg_u64 s[62:63], 0
	s_cbranch_scc1 .LBB76_37
; %bb.11:                               ;   in Loop: Header=BB76_10 Depth=1
	v_readlane_b32 s0, v44, 16
	v_readlane_b32 s1, v44, 17
	s_and_b64 vcc, exec, s[0:1]
	s_cbranch_vccz .LBB76_23
; %bb.12:                               ;   in Loop: Header=BB76_10 Depth=1
	s_mov_b64 s[0:1], 0xc01
	v_cmp_gt_u64_e32 vcc, s[0:1], v[4:5]
	s_mov_b64 s[62:63], 0
	s_mov_b64 s[0:1], 0
	s_cbranch_vccz .LBB76_24
; %bb.13:                               ;   in Loop: Header=BB76_10 Depth=1
	global_load_ushort v6, v13, s[48:49]
	global_load_ubyte v7, v[10:11], off
	v_pk_mov_b32 v[2:3], s[82:83], s[82:83] op_sel:[0,1]
	s_waitcnt vmcnt(1)
	v_readfirstlane_b32 s2, v6
	s_and_b32 s2, 0xffff, s2
	v_add_u32_e32 v5, s2, v0
	s_mul_i32 s6, s65, s2
	s_mul_hi_u32 s7, s64, s2
	s_mul_i32 s14, s64, s2
	v_mad_u64_u32 v[2:3], s[2:3], s64, v5, v[2:3]
	v_mov_b32_e32 v4, v3
	v_mad_u64_u32 v[4:5], s[2:3], s65, v5, v[4:5]
	s_add_i32 s15, s7, s6
	v_mov_b32_e32 v3, v4
	v_pk_mov_b32 v[4:5], v[0:1], v[0:1] op_sel:[0,1]
	s_branch .LBB76_15
.LBB76_14:                              ;   in Loop: Header=BB76_15 Depth=2
	s_or_b64 exec, exec, s[6:7]
	v_mov_b32_e32 v7, s15
	v_add_co_u32_e32 v2, vcc, s14, v2
	v_addc_co_u32_e32 v3, vcc, v3, v7, vcc
	v_mov_b32_e32 v7, v8
	s_andn2_b64 exec, exec, s[0:1]
	s_cbranch_execz .LBB76_137
.LBB76_15:                              ;   Parent Loop BB76_10 Depth=1
                                        ; =>  This Inner Loop Header: Depth=2
	v_add_co_u32_sdwa v4, vcc, v4, v6 dst_sel:DWORD dst_unused:UNUSED_PAD src0_sel:DWORD src1_sel:WORD_0
	v_addc_co_u32_e32 v5, vcc, 0, v5, vcc
	v_cmp_gt_u64_e64 s[6:7], s[52:53], v[4:5]
	v_cmp_le_u64_e32 vcc, s[52:53], v[4:5]
	s_waitcnt lgkmcnt(0)
	v_mov_b32_e32 v9, 0
	v_mov_b32_e32 v8, 0
	s_and_saveexec_b64 s[2:3], s[6:7]
	s_cbranch_execz .LBB76_17
; %bb.16:                               ;   in Loop: Header=BB76_15 Depth=2
	global_load_ubyte v8, v[2:3], off
.LBB76_17:                              ;   in Loop: Header=BB76_15 Depth=2
	s_or_b64 exec, exec, s[2:3]
	s_waitcnt vmcnt(0)
	v_and_b32_e32 v12, s71, v7
	v_cmp_eq_u32_sdwa s[2:3], v12, s78 src0_sel:BYTE_0 src1_sel:DWORD
	s_cmp_lg_u64 s[2:3], 0
	s_cselect_b64 s[6:7], -1, 0
	s_and_b64 s[6:7], s[4:5], s[6:7]
	s_and_saveexec_b64 s[8:9], s[6:7]
	s_cbranch_execz .LBB76_21
; %bb.18:                               ;   in Loop: Header=BB76_15 Depth=2
	s_mov_b64 s[12:13], exec
	v_mbcnt_lo_u32_b32 v9, s12, 0
	v_mbcnt_hi_u32_b32 v9, s13, v9
	s_bcnt1_i32_b64 s16, s[2:3]
	v_cmp_eq_u32_e64 s[6:7], 0, v9
                                        ; implicit-def: $vgpr12
	s_and_saveexec_b64 s[10:11], s[6:7]
	s_cbranch_execz .LBB76_20
; %bb.19:                               ;   in Loop: Header=BB76_15 Depth=2
	s_bcnt1_i32_b64 s6, s[12:13]
	s_mul_i32 s6, s16, s6
	v_mov_b32_e32 v12, s6
	ds_add_rtn_u32 v12, v13, v12 offset:5144
.LBB76_20:                              ;   in Loop: Header=BB76_15 Depth=2
	s_or_b64 exec, exec, s[10:11]
	s_waitcnt lgkmcnt(0)
	v_readfirstlane_b32 s6, v12
	v_mov_b32_e32 v12, s6
	v_mad_u32_u24 v9, s16, v9, v12
.LBB76_21:                              ;   in Loop: Header=BB76_15 Depth=2
	s_or_b64 exec, exec, s[8:9]
	ds_bpermute_b32 v9, v32, v9
	s_and_b64 s[6:7], exec, vcc
	s_or_b64 s[0:1], s[6:7], s[0:1]
	s_and_saveexec_b64 s[6:7], s[2:3]
	s_cbranch_execz .LBB76_14
; %bb.22:                               ;   in Loop: Header=BB76_15 Depth=2
	v_and_b32_e32 v26, s2, v16
	v_and_b32_e32 v12, s3, v17
	v_bcnt_u32_b32 v26, v26, 0
	v_bcnt_u32_b32 v12, v12, v26
	s_waitcnt lgkmcnt(0)
	v_add_u32_e32 v9, v9, v12
	ds_write_b8 v9, v7
	s_branch .LBB76_14
.LBB76_23:                              ;   in Loop: Header=BB76_10 Depth=1
	s_mov_b64 s[62:63], -1
	s_mov_b64 s[0:1], 0
.LBB76_24:                              ;   in Loop: Header=BB76_10 Depth=1
	s_and_b64 vcc, exec, s[62:63]
	s_cbranch_vccz .LBB76_35
.LBB76_25:                              ;   in Loop: Header=BB76_10 Depth=1
	v_mov_b32_e32 v6, 0
	s_mov_b64 s[0:1], exec
	v_readlane_b32 s2, v44, 12
	v_readlane_b32 s3, v44, 13
	s_and_b64 s[2:3], s[0:1], s[2:3]
	s_mov_b64 exec, s[2:3]
	s_cbranch_execz .LBB76_27
; %bb.26:                               ;   in Loop: Header=BB76_10 Depth=1
	global_load_ubyte v6, v[10:11], off
.LBB76_27:                              ;   in Loop: Header=BB76_10 Depth=1
	s_or_b64 exec, exec, s[0:1]
	s_mov_b64 s[0:1], exec
	v_readlane_b32 s2, v44, 12
	v_readlane_b32 s3, v44, 13
	s_and_b64 s[2:3], s[0:1], s[2:3]
	s_mov_b64 exec, s[2:3]
	s_cbranch_execz .LBB76_32
; %bb.28:                               ;   in Loop: Header=BB76_10 Depth=1
	global_load_ushort v7, v13, s[48:49]
	v_pk_mov_b32 v[2:3], s[82:83], s[82:83] op_sel:[0,1]
	s_mov_b64 s[2:3], 0
	v_mov_b32_e32 v8, v0
	s_waitcnt vmcnt(0)
	v_readfirstlane_b32 s6, v7
	s_and_b32 s10, 0xffff, s6
	v_add_u32_e32 v5, s10, v0
	v_mad_u64_u32 v[2:3], s[6:7], s64, v5, v[2:3]
	v_mov_b32_e32 v4, v3
	s_mul_i32 s8, s65, s10
	s_mul_hi_u32 s9, s64, s10
	v_mad_u64_u32 v[4:5], s[6:7], s65, v5, v[4:5]
	s_mul_i32 s11, s64, s10
	s_add_i32 s12, s9, s8
	v_mov_b32_e32 v3, v4
	v_pk_mov_b32 v[4:5], v[0:1], v[0:1] op_sel:[0,1]
	s_branch .LBB76_30
.LBB76_29:                              ;   in Loop: Header=BB76_30 Depth=2
	s_or_b64 exec, exec, s[8:9]
	s_and_b64 s[6:7], exec, vcc
	ds_write_b8 v8, v6
	v_mov_b32_e32 v6, s12
	v_add_co_u32_e32 v2, vcc, s11, v2
	s_or_b64 s[2:3], s[6:7], s[2:3]
	v_add_u32_e32 v8, s10, v8
	v_addc_co_u32_e32 v3, vcc, v3, v6, vcc
	s_waitcnt vmcnt(0)
	v_mov_b32_e32 v6, v9
	s_andn2_b64 exec, exec, s[2:3]
	s_cbranch_execz .LBB76_32
.LBB76_30:                              ;   Parent Loop BB76_10 Depth=1
                                        ; =>  This Inner Loop Header: Depth=2
	v_add_co_u32_sdwa v4, vcc, v4, v7 dst_sel:DWORD dst_unused:UNUSED_PAD src0_sel:DWORD src1_sel:WORD_0
	v_addc_co_u32_e32 v5, vcc, 0, v5, vcc
	v_cmp_gt_u64_e64 s[6:7], s[52:53], v[4:5]
	v_cmp_le_u64_e32 vcc, s[52:53], v[4:5]
	v_mov_b32_e32 v9, 0
	s_and_saveexec_b64 s[8:9], s[6:7]
	s_cbranch_execz .LBB76_29
; %bb.31:                               ;   in Loop: Header=BB76_30 Depth=2
	global_load_ubyte v9, v[2:3], off
	s_branch .LBB76_29
.LBB76_32:                              ;   in Loop: Header=BB76_10 Depth=1
	s_or_b64 exec, exec, s[0:1]
	s_waitcnt lgkmcnt(0)
	s_barrier
	s_mov_b64 s[0:1], exec
	v_readlane_b32 s2, v44, 0
	v_readlane_b32 s3, v44, 1
	s_and_b64 s[2:3], s[0:1], s[2:3]
	s_mov_b64 exec, s[2:3]
	s_cbranch_execz .LBB76_34
; %bb.33:                               ;   in Loop: Header=BB76_10 Depth=1
	v_pk_mov_b32 v[2:3], s[52:53], s[52:53] op_sel:[0,1]
	ds_write_b64 v13, v[2:3] offset:5120
.LBB76_34:                              ;   in Loop: Header=BB76_10 Depth=1
	s_or_b64 exec, exec, s[0:1]
	s_mov_b64 s[0:1], -1
	s_waitcnt lgkmcnt(0)
	s_barrier
                                        ; implicit-def: $sgpr62_sgpr63
.LBB76_35:                              ;   in Loop: Header=BB76_10 Depth=1
	s_and_b64 vcc, exec, s[0:1]
	s_cbranch_vccz .LBB76_37
; %bb.36:                               ;   in Loop: Header=BB76_10 Depth=1
	ds_read_b64 v[2:3], v13 offset:5120
	s_waitcnt lgkmcnt(0)
	v_readfirstlane_b32 s62, v2
.LBB76_37:                              ;   in Loop: Header=BB76_10 Depth=1
	s_cmp_lt_i32 s62, 1
	s_cbranch_scc0 .LBB76_52
; %bb.38:                               ;   in Loop: Header=BB76_10 Depth=1
	global_load_ushort v2, v13, s[48:49]
	s_mov_b32 s0, s69
	s_waitcnt vmcnt(0)
	v_readfirstlane_b32 s1, v2
	s_and_b32 s63, s1, 0xffff
	s_lshl_b32 s68, s63, 2
	s_mov_b32 s1, s53
	s_cmp_lg_u64 s[0:1], 0
	s_cbranch_scc0 .LBB76_72
; %bb.39:                               ;   in Loop: Header=BB76_10 Depth=1
	v_cvt_f32_u32_e32 v2, s68
	s_sub_u32 s0, 0, s68
	s_subb_u32 s1, 0, 0
	v_mac_f32_e32 v2, 0, v34
	v_rcp_f32_e32 v2, v2
	v_mul_f32_e32 v2, 0x5f7ffffc, v2
	v_mul_f32_e32 v3, 0x2f800000, v2
	v_trunc_f32_e32 v3, v3
	v_mac_f32_e32 v2, 0xcf800000, v3
	v_cvt_u32_f32_e32 v3, v3
	v_cvt_u32_f32_e32 v2, v2
	v_readfirstlane_b32 s2, v3
	v_readfirstlane_b32 s3, v2
	s_mul_i32 s6, s0, s2
	s_mul_hi_u32 s8, s0, s3
	s_mul_i32 s7, s1, s3
	s_add_i32 s6, s8, s6
	s_mul_i32 s9, s0, s3
	s_add_i32 s6, s6, s7
	s_mul_hi_u32 s8, s3, s9
	s_mul_hi_u32 s7, s3, s6
	s_mul_i32 s3, s3, s6
	s_add_u32 s3, s8, s3
	s_addc_u32 s7, 0, s7
	s_mul_hi_u32 s10, s2, s9
	s_mul_i32 s9, s2, s9
	s_add_u32 s3, s3, s9
	s_mul_hi_u32 s8, s2, s6
	s_addc_u32 s3, s7, s10
	s_addc_u32 s7, s8, 0
	s_mul_i32 s6, s2, s6
	s_add_u32 s3, s3, s6
	s_addc_u32 s6, 0, s7
	v_add_co_u32_e32 v2, vcc, s3, v2
	s_cmp_lg_u64 vcc, 0
	s_addc_u32 s2, s2, s6
	v_readfirstlane_b32 s6, v2
	s_mul_i32 s3, s0, s2
	s_mul_hi_u32 s7, s0, s6
	s_add_i32 s3, s7, s3
	s_mul_i32 s1, s1, s6
	s_add_i32 s3, s3, s1
	s_mul_i32 s0, s0, s6
	s_mul_hi_u32 s7, s2, s0
	s_mul_i32 s8, s2, s0
	s_mul_i32 s10, s6, s3
	s_mul_hi_u32 s0, s6, s0
	s_mul_hi_u32 s9, s6, s3
	s_add_u32 s0, s0, s10
	s_addc_u32 s6, 0, s9
	s_add_u32 s0, s0, s8
	s_mul_hi_u32 s1, s2, s3
	s_addc_u32 s0, s6, s7
	s_addc_u32 s1, s1, 0
	s_mul_i32 s3, s2, s3
	s_add_u32 s0, s0, s3
	s_addc_u32 s1, 0, s1
	v_add_co_u32_e32 v2, vcc, s0, v2
	s_cmp_lg_u64 vcc, 0
	s_addc_u32 s0, s2, s1
	v_readfirstlane_b32 s3, v2
	s_mul_i32 s2, s52, s0
	s_mul_hi_u32 s6, s52, s3
	s_mul_hi_u32 s1, s52, s0
	s_add_u32 s2, s6, s2
	s_addc_u32 s1, 0, s1
	s_mul_hi_u32 s7, s53, s3
	s_mul_i32 s3, s53, s3
	s_add_u32 s2, s2, s3
	s_mul_hi_u32 s6, s53, s0
	s_addc_u32 s1, s1, s7
	s_addc_u32 s2, s6, 0
	s_mul_i32 s0, s53, s0
	s_add_u32 s0, s1, s0
	s_addc_u32 s1, 0, s2
	s_mul_hi_u32 s2, s68, s0
	s_mul_i32 s0, s68, s0
	s_mul_i32 s1, s68, s1
	v_mov_b32_e32 v2, s0
	s_add_i32 s2, s2, s1
	v_sub_co_u32_e32 v2, vcc, s52, v2
	s_cmp_lg_u64 vcc, 0
	s_subb_u32 s0, s53, s2
	v_subrev_co_u32_e32 v3, vcc, s68, v2
	s_cmp_lg_u64 vcc, 0
	s_subb_u32 s1, s0, 0
	v_subrev_co_u32_e32 v4, vcc, s68, v3
	s_cmp_lg_u64 vcc, 0
	s_subb_u32 s2, s1, 0
	v_cmp_le_u32_e32 vcc, s68, v3
	s_cmp_eq_u32 s1, 0
	v_cndmask_b32_e64 v5, 0, -1, vcc
	s_cselect_b64 vcc, -1, 0
	v_cndmask_b32_e32 v5, -1, v5, vcc
	v_mov_b32_e32 v6, s1
	v_mov_b32_e32 v7, s2
	v_cmp_ne_u32_e32 vcc, 0, v5
	v_cndmask_b32_e32 v5, v6, v7, vcc
	v_cndmask_b32_e32 v4, v3, v4, vcc
	v_cmp_le_u32_e32 vcc, s68, v2
	s_cmp_eq_u32 s0, 0
	v_cndmask_b32_e64 v3, 0, -1, vcc
	s_cselect_b64 vcc, -1, 0
	v_cndmask_b32_e32 v3, -1, v3, vcc
	v_mov_b32_e32 v6, s0
	v_cmp_ne_u32_e32 vcc, 0, v3
	v_cndmask_b32_e32 v3, v6, v5, vcc
	v_cndmask_b32_e32 v2, v2, v4, vcc
	s_cbranch_execnz .LBB76_41
.LBB76_40:                              ;   in Loop: Header=BB76_10 Depth=1
	v_cvt_f32_u32_e32 v2, s68
	s_sub_i32 s0, 0, s68
	v_rcp_iflag_f32_e32 v2, v2
	v_mul_f32_e32 v2, 0x4f7ffffe, v2
	v_cvt_u32_f32_e32 v2, v2
	v_mul_lo_u32 v3, s0, v2
	v_mul_hi_u32 v3, v2, v3
	v_add_u32_e32 v2, v2, v3
	v_mul_hi_u32 v2, s52, v2
	v_mul_lo_u32 v2, v2, s68
	v_sub_u32_e32 v2, s52, v2
	v_subrev_u32_e32 v3, s68, v2
	v_cmp_le_u32_e32 vcc, s68, v2
	v_cndmask_b32_e32 v2, v2, v3, vcc
	v_subrev_u32_e32 v3, s68, v2
	v_cmp_le_u32_e32 vcc, s68, v2
	v_cndmask_b32_e32 v12, v2, v3, vcc
	v_pk_mov_b32 v[2:3], v[12:13], v[12:13] op_sel:[0,1]
.LBB76_41:                              ;   in Loop: Header=BB76_10 Depth=1
	v_mov_b32_e32 v4, s53
	v_sub_co_u32_e32 v26, vcc, s52, v2
	v_subb_co_u32_e32 v27, vcc, v4, v3, vcc
	v_pk_mov_b32 v[2:3], 0, 0
	v_cmp_gt_u64_e32 vcc, v[26:27], v[14:15]
	s_mov_b64 s[80:81], 0
	v_pk_mov_b32 v[4:5], v[2:3], v[2:3] op_sel:[0,1]
	v_pk_mov_b32 v[6:7], v[2:3], v[2:3] op_sel:[0,1]
	;; [unrolled: 1-line block ×3, first 2 shown]
	s_and_saveexec_b64 s[88:89], vcc
	s_cbranch_execz .LBB76_45
; %bb.42:                               ;   in Loop: Header=BB76_10 Depth=1
	v_readlane_b32 s2, v44, 28
	v_readlane_b32 s3, v44, 29
	s_mul_i32 s0, s3, s63
	s_mul_hi_u32 s1, s2, s63
	s_mov_b32 s27, s79
	s_and_b32 s76, s85, 0xfe
	s_add_i32 s79, s1, s0
	s_mul_i32 s70, s2, s63
	s_mov_b64 s[66:67], s[82:83]
	s_mov_b64 s[54:55], 0
	;; [unrolled: 1-line block ×5, first 2 shown]
	v_pk_mov_b32 v[28:29], v[14:15], v[14:15] op_sel:[0,1]
.LBB76_43:                              ;   Parent Loop BB76_10 Depth=1
                                        ; =>  This Inner Loop Header: Depth=2
	v_add_co_u32_e64 v28, s[6:7], s68, v28
	v_addc_co_u32_e64 v29, s[6:7], 0, v29, s[6:7]
	v_mov_b32_e32 v7, s67
	v_add_co_u32_e32 v2, vcc, s66, v22
	v_add_co_u32_e64 v8, s[6:7], s66, v24
	v_add_co_u32_e64 v4, s[10:11], s66, v20
	;; [unrolled: 1-line block ×3, first 2 shown]
	v_addc_co_u32_e64 v9, s[6:7], v7, v25, s[6:7]
	v_addc_co_u32_e32 v3, vcc, v7, v23, vcc
	v_addc_co_u32_e64 v5, vcc, v7, v21, s[10:11]
	v_addc_co_u32_e64 v7, vcc, v7, v19, s[12:13]
	global_load_ubyte v8, v[8:9], off
	s_nop 0
	global_load_ubyte v2, v[2:3], off
	s_nop 0
	;; [unrolled: 2-line block ×3, first 2 shown]
	global_load_ubyte v4, v[6:7], off
	v_cmp_ge_u64_e32 vcc, v[28:29], v[26:27]
	s_waitcnt vmcnt(3)
	v_and_b32_e32 v5, s71, v8
	v_bfe_u32 v8, v8, s76, 2
	s_waitcnt vmcnt(2)
	v_and_b32_e32 v6, s71, v2
	v_bfe_u32 v2, v2, s76, 2
	v_cmp_eq_u32_e64 s[16:17], s78, v5
	v_cmp_eq_u32_e64 s[6:7], 0, v8
	s_waitcnt vmcnt(1)
	v_and_b32_e32 v7, s71, v3
	v_bfe_u32 v3, v3, s76, 2
	v_cmp_eq_u32_e64 s[14:15], s78, v6
	v_cmp_eq_u32_e64 s[28:29], 0, v2
	s_and_b64 s[6:7], s[16:17], s[6:7]
	s_waitcnt vmcnt(0)
	v_and_b32_e32 v9, s71, v4
	v_bfe_u32 v4, v4, s76, 2
	v_cmp_eq_u32_e64 s[12:13], s78, v7
	v_cmp_eq_u32_e64 s[30:31], 0, v3
	;; [unrolled: 1-line block ×5, first 2 shown]
	v_cndmask_b32_e64 v2, 0, 1, s[6:7]
	s_and_b64 s[6:7], s[14:15], s[28:29]
	v_cmp_eq_u32_e64 s[10:11], s78, v9
	v_cmp_eq_u32_e64 s[34:35], 0, v4
	;; [unrolled: 1-line block ×5, first 2 shown]
	v_cndmask_b32_e64 v3, 0, 1, s[6:7]
	s_and_b64 s[6:7], s[12:13], s[30:31]
	v_cmp_eq_u32_e64 s[42:43], 1, v4
	v_cmp_eq_u32_e64 s[50:51], 2, v4
	;; [unrolled: 1-line block ×3, first 2 shown]
	v_cndmask_b32_e64 v4, 0, 1, s[6:7]
	s_and_b64 s[6:7], s[10:11], s[34:35]
	v_cndmask_b32_e64 v5, 0, 1, s[6:7]
	v_cmp_ne_u32_e64 s[6:7], 0, v2
	v_cmp_ne_u32_e64 s[28:29], 0, v3
	;; [unrolled: 1-line block ×4, first 2 shown]
	s_bcnt1_i32_b64 s6, s[6:7]
	s_bcnt1_i32_b64 s7, s[28:29]
	;; [unrolled: 1-line block ×4, first 2 shown]
	s_add_u32 s0, s6, s0
	s_addc_u32 s1, 0, s1
	s_add_u32 s0, s0, s7
	s_addc_u32 s1, s1, 0
	;; [unrolled: 2-line block ×3, first 2 shown]
	v_cmp_eq_u32_e64 s[36:37], 1, v8
	s_add_u32 s0, s0, s29
	s_addc_u32 s1, s1, 0
	s_and_b64 s[6:7], s[16:17], s[36:37]
	v_cndmask_b32_e64 v4, 0, 1, s[6:7]
	s_and_b64 s[6:7], s[14:15], s[38:39]
	v_cndmask_b32_e64 v5, 0, 1, s[6:7]
	;; [unrolled: 2-line block ×4, first 2 shown]
	v_cmp_ne_u32_e64 s[6:7], 0, v4
	v_cmp_ne_u32_e64 s[28:29], 0, v5
	;; [unrolled: 1-line block ×4, first 2 shown]
	s_bcnt1_i32_b64 s6, s[6:7]
	s_bcnt1_i32_b64 s7, s[28:29]
	;; [unrolled: 1-line block ×4, first 2 shown]
	s_add_u32 s2, s6, s2
	s_addc_u32 s3, 0, s3
	s_add_u32 s2, s2, s7
	s_addc_u32 s3, s3, 0
	;; [unrolled: 2-line block ×3, first 2 shown]
	v_cmp_eq_u32_e64 s[44:45], 2, v8
	s_add_u32 s2, s2, s29
	s_addc_u32 s3, s3, 0
	s_and_b64 s[6:7], s[16:17], s[44:45]
	v_cndmask_b32_e64 v6, 0, 1, s[6:7]
	s_and_b64 s[6:7], s[14:15], s[46:47]
	v_cndmask_b32_e64 v7, 0, 1, s[6:7]
	s_and_b64 s[6:7], s[12:13], s[48:49]
	v_cmp_eq_u32_e64 s[24:25], 3, v8
	v_cndmask_b32_e64 v8, 0, 1, s[6:7]
	s_and_b64 s[6:7], s[10:11], s[50:51]
	v_cndmask_b32_e64 v9, 0, 1, s[6:7]
	v_cmp_ne_u32_e64 s[6:7], 0, v6
	v_cmp_ne_u32_e64 s[28:29], 0, v7
	;; [unrolled: 1-line block ×4, first 2 shown]
	s_bcnt1_i32_b64 s6, s[6:7]
	s_bcnt1_i32_b64 s7, s[28:29]
	;; [unrolled: 1-line block ×4, first 2 shown]
	s_add_u32 s6, s6, s8
	s_addc_u32 s8, 0, s9
	s_add_u32 s6, s6, s7
	s_addc_u32 s7, s8, 0
	;; [unrolled: 2-line block ×4, first 2 shown]
	s_and_b64 s[6:7], s[16:17], s[24:25]
	v_cndmask_b32_e64 v8, 0, 1, s[6:7]
	s_and_b64 s[6:7], s[14:15], s[22:23]
	v_cndmask_b32_e64 v9, 0, 1, s[6:7]
	;; [unrolled: 2-line block ×4, first 2 shown]
	v_cmp_ne_u32_e64 s[6:7], 0, v8
	v_cmp_ne_u32_e64 s[10:11], 0, v9
	;; [unrolled: 1-line block ×4, first 2 shown]
	s_bcnt1_i32_b64 s6, s[6:7]
	s_bcnt1_i32_b64 s7, s[10:11]
	;; [unrolled: 1-line block ×4, first 2 shown]
	s_add_u32 s6, s6, s54
	s_addc_u32 s12, 0, s55
	s_add_u32 s6, s6, s7
	s_addc_u32 s7, s12, 0
	s_add_u32 s6, s6, s10
	s_addc_u32 s7, s7, 0
	s_add_u32 s54, s6, s11
	s_addc_u32 s55, s7, 0
	s_add_u32 s66, s66, s70
	s_addc_u32 s67, s67, s79
	v_pk_mov_b32 v[2:3], s[0:1], s[0:1] op_sel:[0,1]
	v_pk_mov_b32 v[4:5], s[2:3], s[2:3] op_sel:[0,1]
	;; [unrolled: 1-line block ×3, first 2 shown]
	s_or_b64 s[80:81], vcc, s[80:81]
	v_pk_mov_b32 v[8:9], s[54:55], s[54:55] op_sel:[0,1]
	s_andn2_b64 exec, exec, s[80:81]
	s_cbranch_execnz .LBB76_43
; %bb.44:                               ;   in Loop: Header=BB76_10 Depth=1
	s_or_b64 exec, exec, s[80:81]
	v_readlane_b32 s46, v44, 30
	v_readlane_b32 s48, v44, 32
	;; [unrolled: 1-line block ×4, first 2 shown]
	s_mov_b32 s79, s27
.LBB76_45:                              ;   in Loop: Header=BB76_10 Depth=1
	s_or_b64 exec, exec, s[88:89]
	v_add_co_u32_e32 v26, vcc, v26, v0
	v_addc_co_u32_e32 v27, vcc, 0, v27, vcc
	v_cmp_gt_u64_e32 vcc, s[52:53], v[26:27]
	v_mov_b32_e32 v12, 0
	s_and_saveexec_b64 s[0:1], vcc
	s_cbranch_execz .LBB76_47
; %bb.46:                               ;   in Loop: Header=BB76_10 Depth=1
	v_pk_mov_b32 v[28:29], s[82:83], s[82:83] op_sel:[0,1]
	v_mad_u64_u32 v[28:29], s[2:3], v26, s64, v[28:29]
	v_mul_lo_u32 v12, v26, s65
	v_mul_lo_u32 v36, v27, s64
	v_add3_u32 v29, v36, v29, v12
	global_load_ubyte v12, v[28:29], off
.LBB76_47:                              ;   in Loop: Header=BB76_10 Depth=1
	s_or_b64 exec, exec, s[0:1]
	s_and_saveexec_b64 s[0:1], vcc
	s_cbranch_execz .LBB76_54
; %bb.48:                               ;   in Loop: Header=BB76_10 Depth=1
	s_and_b32 s10, s85, 0xfe
	s_mov_b64 s[2:3], 0
	s_branch .LBB76_50
.LBB76_49:                              ;   in Loop: Header=BB76_50 Depth=2
	s_or_b64 exec, exec, s[8:9]
	s_waitcnt vmcnt(0)
	v_and_b32_e32 v12, 0xff, v12
	s_and_b64 s[6:7], exec, vcc
	v_and_b32_e32 v29, s71, v12
	v_bfe_u32 v12, v12, s10, 2
	s_or_b64 s[2:3], s[6:7], s[2:3]
	v_cmp_eq_u32_e32 vcc, s78, v29
	v_cmp_eq_u32_e64 s[6:7], 0, v12
	s_and_b64 s[6:7], vcc, s[6:7]
	v_cndmask_b32_e64 v29, 0, 1, s[6:7]
	v_cmp_ne_u32_e64 s[6:7], 0, v29
	s_bcnt1_i32_b64 s6, s[6:7]
	v_add_co_u32_e64 v2, s[6:7], s6, v2
	v_addc_co_u32_e64 v3, s[6:7], 0, v3, s[6:7]
	v_cmp_eq_u32_e64 s[6:7], 1, v12
	s_and_b64 s[6:7], vcc, s[6:7]
	v_cndmask_b32_e64 v29, 0, 1, s[6:7]
	v_cmp_ne_u32_e64 s[6:7], 0, v29
	s_bcnt1_i32_b64 s6, s[6:7]
	v_add_co_u32_e64 v4, s[6:7], s6, v4
	v_addc_co_u32_e64 v5, s[6:7], 0, v5, s[6:7]
	;; [unrolled: 7-line block ×3, first 2 shown]
	v_cmp_eq_u32_e64 s[6:7], 3, v12
	s_and_b64 s[6:7], vcc, s[6:7]
	v_cndmask_b32_e64 v12, 0, 1, s[6:7]
	v_cmp_ne_u32_e32 vcc, 0, v12
	s_bcnt1_i32_b64 s6, vcc
	v_add_co_u32_e32 v8, vcc, s6, v8
	v_addc_co_u32_e32 v9, vcc, 0, v9, vcc
	v_mov_b32_e32 v12, v28
	s_andn2_b64 exec, exec, s[2:3]
	s_cbranch_execz .LBB76_53
.LBB76_50:                              ;   Parent Loop BB76_10 Depth=1
                                        ; =>  This Inner Loop Header: Depth=2
	v_mov_b32_e32 v28, s69
	v_add_co_u32_e32 v26, vcc, s63, v26
	v_addc_co_u32_e32 v27, vcc, v27, v28, vcc
	v_cmp_gt_u64_e64 s[6:7], s[52:53], v[26:27]
	v_cmp_le_u64_e32 vcc, s[52:53], v[26:27]
	v_mov_b32_e32 v28, 0
	s_and_saveexec_b64 s[8:9], s[6:7]
	s_cbranch_execz .LBB76_49
; %bb.51:                               ;   in Loop: Header=BB76_50 Depth=2
	v_pk_mov_b32 v[28:29], s[82:83], s[82:83] op_sel:[0,1]
	v_mad_u64_u32 v[28:29], s[6:7], v26, s64, v[28:29]
	v_mul_lo_u32 v36, v26, s65
	v_mul_lo_u32 v37, v27, s64
	v_add3_u32 v29, v37, v29, v36
	global_load_ubyte v28, v[28:29], off
	s_branch .LBB76_49
.LBB76_52:                              ;   in Loop: Header=BB76_10 Depth=1
                                        ; implicit-def: $vgpr8_vgpr9
                                        ; implicit-def: $vgpr4_vgpr5
	s_cbranch_execnz .LBB76_55
	s_branch .LBB76_64
.LBB76_53:                              ;   in Loop: Header=BB76_10 Depth=1
	s_or_b64 exec, exec, s[2:3]
.LBB76_54:                              ;   in Loop: Header=BB76_10 Depth=1
	s_or_b64 exec, exec, s[0:1]
	s_branch .LBB76_64
.LBB76_55:                              ;   in Loop: Header=BB76_10 Depth=1
	global_load_ushort v12, v13, s[48:49]
	s_mov_b64 s[80:81], 0
	s_waitcnt vmcnt(0)
	v_readfirstlane_b32 s0, v12
	s_and_b32 s0, 0xffff, s0
	s_lshl_b32 s63, s0, 2
	v_cvt_f32_u32_e32 v2, s63
	s_sub_i32 s0, 0, s63
	v_rcp_iflag_f32_e32 v4, v2
	v_pk_mov_b32 v[2:3], 0, 0
	v_pk_mov_b32 v[6:7], v[2:3], v[2:3] op_sel:[0,1]
	v_mul_f32_e32 v4, 0x4f7ffffe, v4
	v_cvt_u32_f32_e32 v8, v4
	v_pk_mov_b32 v[4:5], v[2:3], v[2:3] op_sel:[0,1]
	v_readfirstlane_b32 s1, v8
	s_mul_i32 s0, s0, s1
	s_mul_hi_u32 s0, s1, s0
	s_add_i32 s1, s1, s0
	s_mul_hi_u32 s0, s62, s1
	s_mul_i32 s0, s0, s63
	s_sub_i32 s0, s62, s0
	s_sub_i32 s1, s0, s63
	s_cmp_ge_u32 s0, s63
	s_cselect_b32 s0, s1, s0
	s_sub_i32 s1, s0, s63
	s_cmp_ge_u32 s0, s63
	s_cselect_b32 s0, s1, s0
	s_sub_i32 s68, s62, s0
	v_cmp_gt_u32_e32 vcc, s68, v14
	v_pk_mov_b32 v[8:9], v[2:3], v[2:3] op_sel:[0,1]
	s_and_saveexec_b64 s[0:1], vcc
	s_cbranch_execz .LBB76_59
; %bb.56:                               ;   in Loop: Header=BB76_10 Depth=1
	s_and_b32 s70, s85, 0xfe
	v_mov_b32_e32 v28, v14
	s_mov_b64 s[2:3], 0
	s_mov_b64 s[8:9], 0
	;; [unrolled: 1-line block ×4, first 2 shown]
	v_pk_mov_b32 v[26:27], v[14:15], v[14:15] op_sel:[0,1]
.LBB76_57:                              ;   Parent Loop BB76_10 Depth=1
                                        ; =>  This Inner Loop Header: Depth=2
	ds_read_b32 v2, v28
	v_add_co_u32_e32 v26, vcc, s63, v26
	v_addc_co_u32_e32 v27, vcc, 0, v27, vcc
	s_waitcnt lgkmcnt(0)
	v_and_b32_e32 v4, 0xff, v2
	v_bfe_u32 v5, v2, 8, 8
	v_and_b32_e32 v6, s71, v4
	v_bfe_u32 v4, v4, s70, 2
	v_lshrrev_b32_e32 v3, 24, v2
	v_bfe_u32 v2, v2, 16, 8
	v_and_b32_e32 v7, s71, v5
	v_bfe_u32 v5, v5, s70, 2
	v_cmp_eq_u32_e64 s[16:17], s78, v6
	v_cmp_eq_u32_e64 s[6:7], 0, v4
	v_and_b32_e32 v8, s71, v2
	v_bfe_u32 v2, v2, s70, 2
	v_cmp_eq_u32_e64 s[14:15], s78, v7
	v_cmp_eq_u32_e64 s[28:29], 0, v5
	s_and_b64 s[6:7], s[16:17], s[6:7]
	v_and_b32_e32 v9, s71, v3
	v_bfe_u32 v3, v3, s70, 2
	v_cmp_eq_u32_e64 s[12:13], s78, v8
	v_cmp_eq_u32_e64 s[30:31], 0, v2
	;; [unrolled: 1-line block ×5, first 2 shown]
	v_cndmask_b32_e64 v2, 0, 1, s[6:7]
	s_and_b64 s[6:7], s[14:15], s[28:29]
	v_cmp_eq_u32_e64 s[10:11], s78, v9
	v_cmp_eq_u32_e64 s[34:35], 0, v3
	;; [unrolled: 1-line block ×5, first 2 shown]
	v_cndmask_b32_e64 v3, 0, 1, s[6:7]
	s_and_b64 s[6:7], s[12:13], s[30:31]
	v_cmp_eq_u32_e64 s[36:37], 1, v4
	v_cmp_eq_u32_e64 s[44:45], 2, v4
	;; [unrolled: 1-line block ×3, first 2 shown]
	v_cndmask_b32_e64 v4, 0, 1, s[6:7]
	s_and_b64 s[6:7], s[10:11], s[34:35]
	v_cmp_eq_u32_e64 s[38:39], 1, v5
	v_cmp_eq_u32_e64 s[46:47], 2, v5
	;; [unrolled: 1-line block ×3, first 2 shown]
	v_cndmask_b32_e64 v5, 0, 1, s[6:7]
	v_cmp_ne_u32_e64 s[6:7], 0, v2
	v_cmp_ne_u32_e64 s[28:29], 0, v3
	v_cmp_ne_u32_e64 s[30:31], 0, v4
	v_cmp_ne_u32_e64 s[34:35], 0, v5
	s_bcnt1_i32_b64 s6, s[6:7]
	s_bcnt1_i32_b64 s7, s[28:29]
	s_bcnt1_i32_b64 s28, s[30:31]
	s_bcnt1_i32_b64 s29, s[34:35]
	s_add_u32 s6, s6, s66
	s_addc_u32 s30, 0, s67
	s_add_u32 s6, s6, s7
	s_addc_u32 s7, s30, 0
	s_add_u32 s6, s6, s28
	s_addc_u32 s7, s7, 0
	s_add_u32 s66, s6, s29
	s_addc_u32 s67, s7, 0
	s_and_b64 s[6:7], s[16:17], s[36:37]
	v_cndmask_b32_e64 v4, 0, 1, s[6:7]
	s_and_b64 s[6:7], s[14:15], s[38:39]
	v_cndmask_b32_e64 v5, 0, 1, s[6:7]
	s_and_b64 s[6:7], s[12:13], s[40:41]
	v_cndmask_b32_e64 v6, 0, 1, s[6:7]
	s_and_b64 s[6:7], s[10:11], s[42:43]
	v_cndmask_b32_e64 v7, 0, 1, s[6:7]
	v_cmp_ne_u32_e64 s[6:7], 0, v4
	v_cmp_ne_u32_e64 s[28:29], 0, v5
	v_cmp_ne_u32_e64 s[30:31], 0, v6
	v_cmp_ne_u32_e64 s[34:35], 0, v7
	s_bcnt1_i32_b64 s6, s[6:7]
	s_bcnt1_i32_b64 s7, s[28:29]
	s_bcnt1_i32_b64 s28, s[30:31]
	s_bcnt1_i32_b64 s29, s[34:35]
	s_add_u32 s6, s6, s54
	s_addc_u32 s30, 0, s55
	s_add_u32 s6, s6, s7
	s_addc_u32 s7, s30, 0
	s_add_u32 s6, s6, s28
	s_addc_u32 s7, s7, 0
	s_add_u32 s54, s6, s29
	s_addc_u32 s55, s7, 0
	s_and_b64 s[6:7], s[16:17], s[44:45]
	v_cndmask_b32_e64 v6, 0, 1, s[6:7]
	s_and_b64 s[6:7], s[14:15], s[46:47]
	v_cndmask_b32_e64 v7, 0, 1, s[6:7]
	s_and_b64 s[6:7], s[12:13], s[48:49]
	v_cndmask_b32_e64 v8, 0, 1, s[6:7]
	s_and_b64 s[6:7], s[10:11], s[50:51]
	;; [unrolled: 24-line block ×3, first 2 shown]
	v_cndmask_b32_e64 v36, 0, 1, s[6:7]
	v_cmp_ne_u32_e64 s[6:7], 0, v8
	v_cmp_ne_u32_e64 s[10:11], 0, v9
	v_cmp_ne_u32_e64 s[12:13], 0, v29
	v_cmp_ne_u32_e64 s[14:15], 0, v36
	s_bcnt1_i32_b64 s6, s[6:7]
	s_bcnt1_i32_b64 s7, s[10:11]
	;; [unrolled: 1-line block ×4, first 2 shown]
	s_add_u32 s2, s6, s2
	s_addc_u32 s3, 0, s3
	s_add_u32 s2, s2, s7
	s_addc_u32 s3, s3, 0
	;; [unrolled: 2-line block ×3, first 2 shown]
	s_add_u32 s2, s2, s11
	v_cmp_le_u64_e32 vcc, s[68:69], v[26:27]
	s_addc_u32 s3, s3, 0
	v_add_u32_e32 v28, s63, v28
	v_pk_mov_b32 v[2:3], s[66:67], s[66:67] op_sel:[0,1]
	v_pk_mov_b32 v[4:5], s[54:55], s[54:55] op_sel:[0,1]
	;; [unrolled: 1-line block ×3, first 2 shown]
	s_or_b64 s[80:81], vcc, s[80:81]
	v_pk_mov_b32 v[8:9], s[2:3], s[2:3] op_sel:[0,1]
	s_andn2_b64 exec, exec, s[80:81]
	s_cbranch_execnz .LBB76_57
; %bb.58:                               ;   in Loop: Header=BB76_10 Depth=1
	s_or_b64 exec, exec, s[80:81]
	v_readlane_b32 s46, v44, 30
	v_readlane_b32 s48, v44, 32
	;; [unrolled: 1-line block ×4, first 2 shown]
.LBB76_59:                              ;   in Loop: Header=BB76_10 Depth=1
	s_or_b64 exec, exec, s[0:1]
	v_and_b32_e32 v28, 0xffff, v12
	v_add_u32_e32 v12, s68, v0
	v_cmp_gt_u32_e32 vcc, s62, v12
	s_and_saveexec_b64 s[0:1], vcc
	s_cbranch_execz .LBB76_63
; %bb.60:                               ;   in Loop: Header=BB76_10 Depth=1
	s_and_b32 s2, s62, 0x7fffffff
	s_mov_b32 s3, s69
	s_and_b32 s18, s85, 0xfe
	v_add_u32_e32 v29, s68, v0
	s_mov_b64 s[8:9], 0
	v_pk_mov_b32 v[26:27], v[12:13], v[12:13] op_sel:[0,1]
.LBB76_61:                              ;   Parent Loop BB76_10 Depth=1
                                        ; =>  This Inner Loop Header: Depth=2
	ds_read_u8 v12, v29
	v_add_co_u32_e32 v26, vcc, v26, v28
	v_addc_co_u32_e32 v27, vcc, 0, v27, vcc
	s_waitcnt lgkmcnt(0)
	v_and_b32_e32 v36, s71, v12
	v_bfe_u32 v12, v12, s18, 2
	v_cmp_eq_u32_e64 s[6:7], s78, v36
	v_cmp_eq_u32_e64 s[10:11], 0, v12
	;; [unrolled: 1-line block ×3, first 2 shown]
	s_and_b64 s[10:11], s[6:7], s[10:11]
	v_cmp_eq_u32_e64 s[14:15], 2, v12
	v_cmp_eq_u32_e64 s[16:17], 3, v12
	v_cndmask_b32_e64 v12, 0, 1, s[10:11]
	s_and_b64 s[10:11], s[6:7], s[12:13]
	v_cndmask_b32_e64 v36, 0, 1, s[10:11]
	s_and_b64 s[10:11], s[6:7], s[14:15]
	s_and_b64 s[6:7], s[6:7], s[16:17]
	v_cndmask_b32_e64 v38, 0, 1, s[6:7]
	v_cmp_ne_u32_e64 s[6:7], 0, v12
	s_bcnt1_i32_b64 s6, s[6:7]
	v_cndmask_b32_e64 v37, 0, 1, s[10:11]
	v_cmp_ne_u32_e64 s[10:11], 0, v36
	v_add_co_u32_e64 v2, s[6:7], s6, v2
	s_bcnt1_i32_b64 s10, s[10:11]
	v_addc_co_u32_e64 v3, s[6:7], 0, v3, s[6:7]
	v_cmp_ne_u32_e64 s[12:13], 0, v37
	v_cmp_ne_u32_e64 s[14:15], 0, v38
	v_add_co_u32_e64 v4, s[6:7], s10, v4
	v_cmp_le_u64_e32 vcc, s[2:3], v[26:27]
	s_bcnt1_i32_b64 s11, s[12:13]
	s_bcnt1_i32_b64 s12, s[14:15]
	v_addc_co_u32_e64 v5, s[6:7], 0, v5, s[6:7]
	v_add_co_u32_e64 v6, s[6:7], s11, v6
	s_or_b64 s[8:9], vcc, s[8:9]
	v_add_co_u32_e32 v8, vcc, s12, v8
	v_add_u32_e32 v29, v29, v28
	v_addc_co_u32_e64 v7, s[6:7], 0, v7, s[6:7]
	v_addc_co_u32_e32 v9, vcc, 0, v9, vcc
	s_andn2_b64 exec, exec, s[8:9]
	s_cbranch_execnz .LBB76_61
; %bb.62:                               ;   in Loop: Header=BB76_10 Depth=1
	s_or_b64 exec, exec, s[8:9]
.LBB76_63:                              ;   in Loop: Header=BB76_10 Depth=1
	s_or_b64 exec, exec, s[0:1]
.LBB76_64:                              ;   in Loop: Header=BB76_10 Depth=1
	s_lshl_b32 s2, s79, 6
	s_and_saveexec_b64 s[0:1], s[4:5]
	s_cbranch_execz .LBB76_66
; %bb.65:                               ;   in Loop: Header=BB76_10 Depth=1
	s_waitcnt vmcnt(0)
	v_or_b32_e32 v12, s2, v31
	v_lshlrev_b32_e32 v12, 3, v12
	ds_write_b128 v12, v[2:5] offset:3072
	ds_write_b128 v12, v[6:9] offset:3088
.LBB76_66:                              ;   in Loop: Header=BB76_10 Depth=1
	s_or_b64 exec, exec, s[0:1]
	s_waitcnt lgkmcnt(0)
	s_barrier
	s_and_saveexec_b64 s[0:1], s[46:47]
	s_cbranch_execz .LBB76_78
; %bb.67:                               ;   in Loop: Header=BB76_10 Depth=1
	v_readlane_b32 s6, v44, 18
	v_readlane_b32 s7, v44, 19
	s_andn2_b64 vcc, exec, s[6:7]
	v_pk_mov_b32 v[2:3], 0, 0
	s_cbranch_vccnz .LBB76_77
; %bb.68:                               ;   in Loop: Header=BB76_10 Depth=1
	v_readlane_b32 s6, v44, 23
	v_readlane_b32 s7, v44, 24
	s_andn2_b64 vcc, exec, s[6:7]
	s_cbranch_vccnz .LBB76_73
; %bb.69:                               ;   in Loop: Header=BB76_10 Depth=1
	v_lshl_add_u32 v4, s79, 9, v33
	s_mov_b32 s3, 0
	v_pk_mov_b32 v[2:3], 0, 0
.LBB76_70:                              ;   Parent Loop BB76_10 Depth=1
                                        ; =>  This Inner Loop Header: Depth=2
	s_waitcnt vmcnt(0)
	ds_read2_b64 v[6:9], v4 offset1:4
	ds_read2_b64 v[26:29], v4 offset0:8 offset1:12
	ds_read2_b64 v[36:39], v4 offset0:16 offset1:20
	;; [unrolled: 1-line block ×3, first 2 shown]
	s_add_i32 s3, s3, 8
	s_waitcnt lgkmcnt(3)
	v_add_co_u32_e32 v2, vcc, v6, v2
	v_addc_co_u32_e32 v3, vcc, v7, v3, vcc
	v_add_co_u32_e32 v2, vcc, v8, v2
	v_addc_co_u32_e32 v3, vcc, v9, v3, vcc
	s_waitcnt lgkmcnt(2)
	v_add_co_u32_e32 v2, vcc, v26, v2
	v_addc_co_u32_e32 v3, vcc, v27, v3, vcc
	v_add_co_u32_e32 v2, vcc, v28, v2
	v_addc_co_u32_e32 v3, vcc, v29, v3, vcc
	;; [unrolled: 5-line block ×3, first 2 shown]
	s_waitcnt lgkmcnt(0)
	v_add_co_u32_e32 v2, vcc, v40, v2
	v_addc_co_u32_e32 v3, vcc, v41, v3, vcc
	v_add_co_u32_e32 v2, vcc, v42, v2
	v_add_u32_e32 v4, 0x100, v4
	s_cmp_eq_u32 s84, s3
	v_addc_co_u32_e32 v3, vcc, v43, v3, vcc
	s_cbranch_scc0 .LBB76_70
; %bb.71:                               ;   in Loop: Header=BB76_10 Depth=1
	s_mov_b32 s3, s84
	s_branch .LBB76_74
.LBB76_72:                              ;   in Loop: Header=BB76_10 Depth=1
                                        ; implicit-def: $vgpr2_vgpr3
	s_branch .LBB76_40
.LBB76_73:                              ;   in Loop: Header=BB76_10 Depth=1
	s_mov_b32 s3, 0
	v_pk_mov_b32 v[2:3], 0, 0
.LBB76_74:                              ;   in Loop: Header=BB76_10 Depth=1
	v_readlane_b32 s6, v44, 26
	v_readlane_b32 s7, v44, 27
	s_andn2_b64 vcc, exec, s[6:7]
	s_cbranch_vccnz .LBB76_77
; %bb.75:                               ;   in Loop: Header=BB76_10 Depth=1
	s_lshl_b32 s6, s79, 9
	s_lshl_b32 s3, s3, 5
	s_add_i32 s6, s6, s3
	v_add_u32_e32 v4, s6, v33
	v_readlane_b32 s3, v44, 25
.LBB76_76:                              ;   Parent Loop BB76_10 Depth=1
                                        ; =>  This Inner Loop Header: Depth=2
	s_waitcnt vmcnt(0)
	ds_read_b64 v[6:7], v4
	s_add_i32 s3, s3, -1
	v_add_u32_e32 v4, 32, v4
	s_cmp_lg_u32 s3, 0
	s_waitcnt lgkmcnt(0)
	v_add_co_u32_e32 v2, vcc, v6, v2
	v_addc_co_u32_e32 v3, vcc, v7, v3, vcc
	s_cbranch_scc1 .LBB76_76
.LBB76_77:                              ;   in Loop: Header=BB76_10 Depth=1
	v_add_lshl_u32 v4, s2, v30, 3
	ds_write_b64 v4, v[2:3] offset:3072
.LBB76_78:                              ;   in Loop: Header=BB76_10 Depth=1
	s_or_b64 exec, exec, s[0:1]
	s_lshl_b32 s0, s2, 3
	s_waitcnt vmcnt(0)
	v_mov_b32_e32 v6, s0
	s_waitcnt lgkmcnt(0)
	s_barrier
	ds_read_b128 v[2:5], v6 offset:3072
	ds_read_b128 v[6:9], v6 offset:3088
	s_and_b32 s38, s85, 0xfe
	s_lshl_b32 s44, 3, s38
	s_not_b32 s39, s44
	s_waitcnt lgkmcnt(1)
	v_readfirstlane_b32 s13, v3
	v_readfirstlane_b32 s12, v2
	s_cmp_eq_u64 s[12:13], 1
	s_cselect_b64 s[0:1], -1, 0
	s_cmp_eq_u64 s[72:73], 1
	s_cselect_b64 s[2:3], -1, 0
	s_and_b64 s[18:19], s[0:1], s[2:3]
	v_readfirstlane_b32 s24, v4
	v_readfirstlane_b32 s25, v5
	s_waitcnt lgkmcnt(0)
	v_readfirstlane_b32 s14, v6
	v_readfirstlane_b32 s15, v7
	;; [unrolled: 1-line block ×4, first 2 shown]
	s_mov_b64 s[16:17], -1
	s_and_b64 vcc, exec, s[18:19]
	s_cbranch_vccz .LBB76_92
; %bb.79:                               ;   in Loop: Header=BB76_10 Depth=1
	ds_read_b64 v[2:3], v13 offset:5120
	s_waitcnt lgkmcnt(0)
	s_barrier
	v_readfirstlane_b32 s0, v2
	v_readfirstlane_b32 s1, v3
	s_mov_b64 s[2:3], exec
	v_readlane_b32 s8, v44, 14
	v_readlane_b32 s9, v44, 15
	s_and_b64 s[8:9], s[2:3], s[8:9]
	s_mov_b64 exec, s[8:9]
	s_cbranch_execz .LBB76_81
; %bb.80:                               ;   in Loop: Header=BB76_10 Depth=1
	ds_write_b8 v0, v1 offset:3072
.LBB76_81:                              ;   in Loop: Header=BB76_10 Depth=1
	s_or_b64 exec, exec, s[2:3]
	s_and_b32 s78, s78, s39
	s_or_b32 s71, s71, s44
	s_cmp_eq_u64 s[0:1], 0
	s_waitcnt lgkmcnt(0)
	s_barrier
	s_cbranch_scc1 .LBB76_93
; %bb.82:                               ;   in Loop: Header=BB76_10 Depth=1
	v_readlane_b32 s2, v44, 20
	s_add_u32 s10, s2, s0
	v_readlane_b32 s2, v44, 22
	s_addc_u32 s3, s2, s1
	s_mov_b32 s2, s69
	s_cmp_lg_u64 s[2:3], 0
	s_cbranch_scc0 .LBB76_136
; %bb.83:                               ;   in Loop: Header=BB76_10 Depth=1
	v_cvt_f32_u32_e32 v2, s33
	s_sub_u32 s2, 0, s33
	s_subb_u32 s8, 0, 0
	v_mac_f32_e32 v2, 0, v34
	v_rcp_f32_e32 v2, v2
	v_mul_f32_e32 v2, 0x5f7ffffc, v2
	v_mul_f32_e32 v3, 0x2f800000, v2
	v_trunc_f32_e32 v3, v3
	v_mac_f32_e32 v2, 0xcf800000, v3
	v_cvt_u32_f32_e32 v3, v3
	v_cvt_u32_f32_e32 v2, v2
	v_readfirstlane_b32 s9, v3
	v_readfirstlane_b32 s11, v2
	s_mul_i32 s20, s2, s9
	s_mul_hi_u32 s22, s2, s11
	s_mul_i32 s21, s8, s11
	s_add_i32 s20, s22, s20
	s_mul_i32 s23, s2, s11
	s_add_i32 s20, s20, s21
	s_mul_hi_u32 s22, s11, s23
	s_mul_hi_u32 s21, s11, s20
	s_mul_i32 s11, s11, s20
	s_add_u32 s11, s22, s11
	s_addc_u32 s21, 0, s21
	s_mul_hi_u32 s28, s9, s23
	s_mul_i32 s23, s9, s23
	s_add_u32 s11, s11, s23
	s_mul_hi_u32 s22, s9, s20
	s_addc_u32 s11, s21, s28
	s_addc_u32 s21, s22, 0
	s_mul_i32 s20, s9, s20
	s_add_u32 s11, s11, s20
	s_addc_u32 s20, 0, s21
	v_add_co_u32_e32 v2, vcc, s11, v2
	s_cmp_lg_u64 vcc, 0
	s_addc_u32 s9, s9, s20
	v_readfirstlane_b32 s20, v2
	s_mul_i32 s11, s2, s9
	s_mul_hi_u32 s21, s2, s20
	s_add_i32 s11, s21, s11
	s_mul_i32 s8, s8, s20
	s_add_i32 s11, s11, s8
	s_mul_i32 s2, s2, s20
	s_mul_hi_u32 s21, s9, s2
	s_mul_i32 s22, s9, s2
	s_mul_i32 s28, s20, s11
	s_mul_hi_u32 s2, s20, s2
	s_mul_hi_u32 s23, s20, s11
	s_add_u32 s2, s2, s28
	s_addc_u32 s20, 0, s23
	s_add_u32 s2, s2, s22
	s_mul_hi_u32 s8, s9, s11
	s_addc_u32 s2, s20, s21
	s_addc_u32 s8, s8, 0
	s_mul_i32 s11, s9, s11
	s_add_u32 s2, s2, s11
	s_addc_u32 s8, 0, s8
	v_add_co_u32_e32 v2, vcc, s2, v2
	s_cmp_lg_u64 vcc, 0
	s_addc_u32 s2, s9, s8
	v_readfirstlane_b32 s11, v2
	s_mul_i32 s9, s10, s2
	s_mul_hi_u32 s20, s10, s11
	s_mul_hi_u32 s8, s10, s2
	s_add_u32 s9, s20, s9
	s_addc_u32 s8, 0, s8
	s_mul_hi_u32 s21, s3, s11
	s_mul_i32 s11, s3, s11
	s_add_u32 s9, s9, s11
	s_mul_hi_u32 s20, s3, s2
	s_addc_u32 s8, s8, s21
	s_addc_u32 s9, s20, 0
	s_mul_i32 s2, s3, s2
	s_add_u32 s2, s8, s2
	s_addc_u32 s8, 0, s9
	s_mul_hi_u32 s9, s33, s2
	s_mul_i32 s2, s33, s2
	s_mul_i32 s8, s33, s8
	v_mov_b32_e32 v2, s2
	s_add_i32 s9, s9, s8
	v_sub_co_u32_e32 v2, vcc, s10, v2
	s_cmp_lg_u64 vcc, 0
	s_subb_u32 s2, s3, s9
	v_subrev_co_u32_e32 v3, vcc, s33, v2
	s_cmp_lg_u64 vcc, 0
	s_subb_u32 s8, s2, 0
	v_subrev_co_u32_e32 v4, vcc, s33, v3
	s_cmp_lg_u64 vcc, 0
	s_subb_u32 s9, s8, 0
	v_cmp_le_u32_e32 vcc, s33, v3
	s_cmp_eq_u32 s8, 0
	v_cndmask_b32_e64 v5, 0, -1, vcc
	s_cselect_b64 vcc, -1, 0
	v_cndmask_b32_e32 v5, -1, v5, vcc
	v_mov_b32_e32 v6, s8
	v_mov_b32_e32 v7, s9
	v_cmp_ne_u32_e32 vcc, 0, v5
	v_cndmask_b32_e32 v5, v6, v7, vcc
	v_cndmask_b32_e32 v4, v3, v4, vcc
	v_cmp_le_u32_e32 vcc, s33, v2
	s_cmp_eq_u32 s2, 0
	v_cndmask_b32_e64 v3, 0, -1, vcc
	s_cselect_b64 vcc, -1, 0
	v_cndmask_b32_e32 v3, -1, v3, vcc
	v_mov_b32_e32 v6, s2
	v_cmp_ne_u32_e32 vcc, 0, v3
	v_cndmask_b32_e32 v3, v6, v5, vcc
	v_cndmask_b32_e32 v2, v2, v4, vcc
	s_cbranch_execnz .LBB76_85
.LBB76_84:                              ;   in Loop: Header=BB76_10 Depth=1
	v_cvt_f32_u32_e32 v2, s33
	s_sub_i32 s2, 0, s33
	v_rcp_iflag_f32_e32 v2, v2
	v_mul_f32_e32 v2, 0x4f7ffffe, v2
	v_cvt_u32_f32_e32 v2, v2
	v_mul_lo_u32 v3, s2, v2
	v_mul_hi_u32 v3, v2, v3
	v_add_u32_e32 v2, v2, v3
	v_mul_hi_u32 v2, s10, v2
	v_mul_lo_u32 v2, v2, s33
	v_sub_u32_e32 v2, s10, v2
	v_subrev_u32_e32 v3, s33, v2
	v_cmp_le_u32_e32 vcc, s33, v2
	v_cndmask_b32_e32 v2, v2, v3, vcc
	v_subrev_u32_e32 v3, s33, v2
	v_cmp_le_u32_e32 vcc, s33, v2
	v_cndmask_b32_e32 v12, v2, v3, vcc
	v_pk_mov_b32 v[2:3], v[12:13], v[12:13] op_sel:[0,1]
.LBB76_85:                              ;   in Loop: Header=BB76_10 Depth=1
	v_mov_b32_e32 v4, s3
	v_sub_co_u32_e32 v2, vcc, s10, v2
	v_subb_co_u32_e32 v3, vcc, v4, v3, vcc
	v_cmp_gt_u64_e32 vcc, v[2:3], v[0:1]
	s_mov_b64 s[2:3], 0
                                        ; implicit-def: $vgpr35
	s_and_saveexec_b64 s[8:9], vcc
	s_cbranch_execz .LBB76_95
; %bb.86:                               ;   in Loop: Header=BB76_10 Depth=1
	v_mov_b32_e32 v6, v0
	v_pk_mov_b32 v[4:5], v[0:1], v[0:1] op_sel:[0,1]
                                        ; implicit-def: $sgpr10_sgpr11
	s_branch .LBB76_88
.LBB76_87:                              ;   in Loop: Header=BB76_88 Depth=2
	s_or_b64 exec, exec, s[20:21]
	s_waitcnt lgkmcnt(0)
	s_barrier
	ds_read_u16 v7, v13 offset:3072
	v_mov_b32_e32 v8, s74
	v_add_co_u32_e32 v4, vcc, s33, v4
	v_addc_co_u32_e32 v5, vcc, v5, v8, vcc
	s_waitcnt lgkmcnt(0)
	v_cmp_ne_u16_sdwa s[20:21], v7, v1 src0_sel:BYTE_0 src1_sel:DWORD
	v_cmp_ge_u64_e32 vcc, v[4:5], v[2:3]
	s_or_b64 s[22:23], vcc, s[20:21]
	s_and_b64 s[22:23], exec, s[22:23]
	s_or_b64 s[2:3], s[22:23], s[2:3]
	s_andn2_b64 s[10:11], s[10:11], exec
	s_and_b64 s[20:21], s[20:21], exec
	v_add_u32_e32 v6, s33, v6
	s_or_b64 s[10:11], s[10:11], s[20:21]
	s_barrier
	s_andn2_b64 exec, exec, s[2:3]
	s_cbranch_execz .LBB76_94
.LBB76_88:                              ;   Parent Loop BB76_10 Depth=1
                                        ; =>  This Inner Loop Header: Depth=2
	v_cmp_gt_u64_e32 vcc, s[0:1], v[4:5]
	v_mov_b32_e32 v7, 0
	s_and_saveexec_b64 s[20:21], vcc
	s_cbranch_execz .LBB76_90
; %bb.89:                               ;   in Loop: Header=BB76_88 Depth=2
	ds_read_u8 v7, v6
.LBB76_90:                              ;   in Loop: Header=BB76_88 Depth=2
	s_or_b64 exec, exec, s[20:21]
	s_waitcnt lgkmcnt(0)
	v_and_b32_e32 v8, s71, v7
	v_cmp_eq_u32_sdwa s[20:21], v8, s78 src0_sel:BYTE_0 src1_sel:DWORD
	s_and_b64 s[22:23], vcc, s[20:21]
	s_and_saveexec_b64 s[20:21], s[22:23]
	s_cbranch_execz .LBB76_87
; %bb.91:                               ;   in Loop: Header=BB76_88 Depth=2
	v_lshlrev_b16_e32 v7, 8, v7
	v_or_b32_e32 v7, 1, v7
	ds_write_b16 v13, v7 offset:3072
	s_branch .LBB76_87
.LBB76_92:                              ;   in Loop: Header=BB76_10 Depth=1
	s_mov_b64 s[2:3], -1
                                        ; implicit-def: $sgpr0_sgpr1
                                        ; implicit-def: $sgpr10_sgpr11
                                        ; implicit-def: $sgpr8_sgpr9
	s_branch .LBB76_108
.LBB76_93:                              ;   in Loop: Header=BB76_10 Depth=1
	s_mov_b64 s[0:1], -1
	s_mov_b64 s[2:3], 0
                                        ; implicit-def: $sgpr8_sgpr9
                                        ; implicit-def: $vgpr35
	s_mov_b64 s[10:11], s[0:1]
	s_cbranch_execnz .LBB76_96
	s_branch .LBB76_108
.LBB76_94:                              ;   in Loop: Header=BB76_10 Depth=1
	s_or_b64 exec, exec, s[2:3]
	v_lshrrev_b16_e32 v35, 8, v7
	s_and_b64 s[2:3], s[10:11], exec
.LBB76_95:                              ;   in Loop: Header=BB76_10 Depth=1
	s_or_b64 exec, exec, s[8:9]
	s_mov_b64 s[8:9], -1
	s_mov_b64 s[0:1], 0
	s_mov_b64 s[10:11], s[0:1]
	s_branch .LBB76_108
.LBB76_96:                              ;   in Loop: Header=BB76_10 Depth=1
	s_mov_b32 s76, s69
	s_cmp_lg_u64 s[76:77], 0
	s_cbranch_scc0 .LBB76_140
; %bb.97:                               ;   in Loop: Header=BB76_10 Depth=1
	v_cvt_f32_u32_e32 v2, s33
	s_sub_u32 s0, 0, s33
	s_subb_u32 s1, 0, 0
	v_mac_f32_e32 v2, 0, v34
	v_rcp_f32_e32 v2, v2
	v_mul_f32_e32 v2, 0x5f7ffffc, v2
	v_mul_f32_e32 v3, 0x2f800000, v2
	v_trunc_f32_e32 v3, v3
	v_mac_f32_e32 v2, 0xcf800000, v3
	v_cvt_u32_f32_e32 v3, v3
	v_cvt_u32_f32_e32 v2, v2
	v_readfirstlane_b32 s2, v3
	v_readfirstlane_b32 s3, v2
	s_mul_i32 s8, s0, s2
	s_mul_hi_u32 s10, s0, s3
	s_mul_i32 s9, s1, s3
	s_add_i32 s8, s10, s8
	s_mul_i32 s11, s0, s3
	s_add_i32 s8, s8, s9
	s_mul_hi_u32 s10, s3, s11
	s_mul_hi_u32 s9, s3, s8
	s_mul_i32 s3, s3, s8
	s_add_u32 s3, s10, s3
	s_addc_u32 s9, 0, s9
	s_mul_hi_u32 s20, s2, s11
	s_mul_i32 s11, s2, s11
	s_add_u32 s3, s3, s11
	s_mul_hi_u32 s10, s2, s8
	s_addc_u32 s3, s9, s20
	s_addc_u32 s9, s10, 0
	s_mul_i32 s8, s2, s8
	s_add_u32 s3, s3, s8
	s_addc_u32 s8, 0, s9
	v_add_co_u32_e32 v2, vcc, s3, v2
	s_cmp_lg_u64 vcc, 0
	s_addc_u32 s2, s2, s8
	v_readfirstlane_b32 s8, v2
	s_mul_i32 s3, s0, s2
	s_mul_hi_u32 s9, s0, s8
	s_add_i32 s3, s9, s3
	s_mul_i32 s1, s1, s8
	s_add_i32 s3, s3, s1
	s_mul_i32 s0, s0, s8
	s_mul_hi_u32 s9, s2, s0
	s_mul_i32 s10, s2, s0
	s_mul_i32 s20, s8, s3
	s_mul_hi_u32 s0, s8, s0
	s_mul_hi_u32 s11, s8, s3
	s_add_u32 s0, s0, s20
	s_addc_u32 s8, 0, s11
	s_add_u32 s0, s0, s10
	s_mul_hi_u32 s1, s2, s3
	s_addc_u32 s0, s8, s9
	s_addc_u32 s1, s1, 0
	s_mul_i32 s3, s2, s3
	s_add_u32 s0, s0, s3
	s_addc_u32 s1, 0, s1
	v_add_co_u32_e32 v2, vcc, s0, v2
	s_cmp_lg_u64 vcc, 0
	s_addc_u32 s0, s2, s1
	v_readlane_b32 s10, v44, 21
	v_readfirstlane_b32 s3, v2
	s_mul_i32 s2, s10, s0
	s_mul_hi_u32 s8, s10, s3
	s_mul_hi_u32 s1, s10, s0
	s_add_u32 s2, s8, s2
	s_addc_u32 s1, 0, s1
	s_mul_hi_u32 s9, s77, s3
	s_mul_i32 s3, s77, s3
	s_add_u32 s2, s2, s3
	s_mul_hi_u32 s8, s77, s0
	s_addc_u32 s1, s1, s9
	s_addc_u32 s2, s8, 0
	s_mul_i32 s0, s77, s0
	s_add_u32 s0, s1, s0
	s_addc_u32 s1, 0, s2
	s_mul_hi_u32 s2, s33, s0
	s_mul_i32 s0, s33, s0
	s_mul_i32 s1, s33, s1
	v_mov_b32_e32 v2, s0
	s_add_i32 s2, s2, s1
	v_sub_co_u32_e32 v2, vcc, s10, v2
	s_cmp_lg_u64 vcc, 0
	s_subb_u32 s0, s77, s2
	v_subrev_co_u32_e32 v3, vcc, s33, v2
	s_cmp_lg_u64 vcc, 0
	s_subb_u32 s1, s0, 0
	v_subrev_co_u32_e32 v4, vcc, s33, v3
	s_cmp_lg_u64 vcc, 0
	s_subb_u32 s2, s1, 0
	v_cmp_le_u32_e32 vcc, s33, v3
	s_cmp_eq_u32 s1, 0
	v_cndmask_b32_e64 v5, 0, -1, vcc
	s_cselect_b64 vcc, -1, 0
	v_cndmask_b32_e32 v5, -1, v5, vcc
	v_mov_b32_e32 v6, s1
	v_mov_b32_e32 v7, s2
	v_cmp_ne_u32_e32 vcc, 0, v5
	v_cndmask_b32_e32 v5, v6, v7, vcc
	v_cndmask_b32_e32 v4, v3, v4, vcc
	v_cmp_le_u32_e32 vcc, s33, v2
	s_cmp_eq_u32 s0, 0
	v_cndmask_b32_e64 v3, 0, -1, vcc
	s_cselect_b64 vcc, -1, 0
	v_cndmask_b32_e32 v3, -1, v3, vcc
	v_mov_b32_e32 v6, s0
	v_cmp_ne_u32_e32 vcc, 0, v3
	v_cndmask_b32_e32 v3, v6, v5, vcc
	v_cndmask_b32_e32 v2, v2, v4, vcc
	s_cbranch_execnz .LBB76_99
.LBB76_98:                              ;   in Loop: Header=BB76_10 Depth=1
	v_cvt_f32_u32_e32 v2, s33
	s_sub_i32 s0, 0, s33
	v_rcp_iflag_f32_e32 v2, v2
	v_mul_f32_e32 v2, 0x4f7ffffe, v2
	v_cvt_u32_f32_e32 v2, v2
	v_mul_lo_u32 v3, s0, v2
	v_mul_hi_u32 v3, v2, v3
	v_add_u32_e32 v2, v2, v3
	v_readlane_b32 s0, v44, 21
	v_mul_hi_u32 v2, s0, v2
	v_mul_lo_u32 v2, v2, s33
	v_sub_u32_e32 v2, s0, v2
	v_subrev_u32_e32 v3, s33, v2
	v_cmp_le_u32_e32 vcc, s33, v2
	v_cndmask_b32_e32 v2, v2, v3, vcc
	v_subrev_u32_e32 v3, s33, v2
	v_cmp_le_u32_e32 vcc, s33, v2
	v_cndmask_b32_e32 v12, v2, v3, vcc
	v_pk_mov_b32 v[2:3], v[12:13], v[12:13] op_sel:[0,1]
.LBB76_99:                              ;   in Loop: Header=BB76_10 Depth=1
	v_readlane_b32 s0, v44, 21
	v_mov_b32_e32 v4, s77
	v_sub_co_u32_e32 v2, vcc, s0, v2
	v_subb_co_u32_e32 v3, vcc, v4, v3, vcc
	v_cmp_gt_u64_e32 vcc, v[2:3], v[0:1]
	s_mov_b64 s[2:3], 0
                                        ; implicit-def: $vgpr35
	s_and_saveexec_b64 s[0:1], vcc
	s_cbranch_execz .LBB76_107
; %bb.100:                              ;   in Loop: Header=BB76_10 Depth=1
	v_pk_mov_b32 v[4:5], v[10:11], v[10:11] op_sel:[0,1]
	v_pk_mov_b32 v[6:7], v[0:1], v[0:1] op_sel:[0,1]
                                        ; implicit-def: $sgpr8_sgpr9
	s_branch .LBB76_102
.LBB76_101:                             ;   in Loop: Header=BB76_102 Depth=2
	s_or_b64 exec, exec, s[10:11]
	s_waitcnt lgkmcnt(0)
	s_barrier
	ds_read_u16 v8, v13 offset:3072
	v_mov_b32_e32 v9, s74
	v_add_co_u32_e32 v6, vcc, s33, v6
	v_addc_co_u32_e32 v7, vcc, v7, v9, vcc
	s_waitcnt lgkmcnt(0)
	v_cmp_ne_u16_sdwa s[10:11], v8, v1 src0_sel:BYTE_0 src1_sel:DWORD
	v_cmp_ge_u64_e32 vcc, v[6:7], v[2:3]
	s_or_b64 s[20:21], vcc, s[10:11]
	s_and_b64 s[20:21], exec, s[20:21]
	s_or_b64 s[2:3], s[20:21], s[2:3]
	v_mov_b32_e32 v9, s75
	v_add_co_u32_e32 v4, vcc, s26, v4
	s_andn2_b64 s[8:9], s[8:9], exec
	s_and_b64 s[10:11], s[10:11], exec
	v_addc_co_u32_e32 v5, vcc, v5, v9, vcc
	s_or_b64 s[8:9], s[8:9], s[10:11]
	s_barrier
	s_andn2_b64 exec, exec, s[2:3]
	s_cbranch_execz .LBB76_106
.LBB76_102:                             ;   Parent Loop BB76_10 Depth=1
                                        ; =>  This Inner Loop Header: Depth=2
	v_cmp_gt_u64_e32 vcc, s[52:53], v[6:7]
	v_mov_b32_e32 v8, 0
	s_and_saveexec_b64 s[10:11], vcc
	s_cbranch_execz .LBB76_104
; %bb.103:                              ;   in Loop: Header=BB76_102 Depth=2
	global_load_ubyte v8, v[4:5], off
.LBB76_104:                             ;   in Loop: Header=BB76_102 Depth=2
	s_or_b64 exec, exec, s[10:11]
	s_waitcnt vmcnt(0)
	v_and_b32_e32 v9, s71, v8
	v_cmp_eq_u32_sdwa s[10:11], v9, s78 src0_sel:BYTE_0 src1_sel:DWORD
	s_and_b64 s[20:21], vcc, s[10:11]
	s_and_saveexec_b64 s[10:11], s[20:21]
	s_cbranch_execz .LBB76_101
; %bb.105:                              ;   in Loop: Header=BB76_102 Depth=2
	v_lshlrev_b16_e32 v8, 8, v8
	v_or_b32_e32 v8, 1, v8
	ds_write_b16 v13, v8 offset:3072
	s_branch .LBB76_101
.LBB76_106:                             ;   in Loop: Header=BB76_10 Depth=1
	s_or_b64 exec, exec, s[2:3]
	v_lshrrev_b16_e32 v35, 8, v8
	s_and_b64 s[2:3], s[8:9], exec
.LBB76_107:                             ;   in Loop: Header=BB76_10 Depth=1
	s_or_b64 exec, exec, s[0:1]
	s_mov_b64 s[10:11], -1
	s_mov_b64 s[0:1], 0
	s_mov_b64 s[8:9], 0
.LBB76_108:                             ;   in Loop: Header=BB76_10 Depth=1
	s_andn2_b64 s[20:21], s[60:61], exec
	s_and_b64 s[0:1], s[0:1], exec
	s_or_b64 s[60:61], s[20:21], s[0:1]
	s_andn2_b64 s[0:1], s[58:59], exec
	s_and_b64 s[10:11], s[10:11], exec
	s_or_b64 s[58:59], s[0:1], s[10:11]
	;; [unrolled: 3-line block ×3, first 2 shown]
	s_and_saveexec_b64 s[10:11], s[2:3]
	s_cbranch_execz .LBB76_9
; %bb.109:                              ;   in Loop: Header=BB76_10 Depth=1
	s_xor_b64 s[0:1], s[18:19], -1
	s_andn2_b64 vcc, exec, s[0:1]
	s_mov_b32 s45, 1
	s_cbranch_vccnz .LBB76_120
; %bb.110:                              ;   in Loop: Header=BB76_10 Depth=1
	v_pk_mov_b32 v[2:3], s[12:13], s[12:13] op_sel:[0,1]
	v_cmp_gt_u64_e32 vcc, s[72:73], v[2:3]
	s_mov_b64 s[0:1], -1
                                        ; implicit-def: $sgpr45
                                        ; implicit-def: $sgpr2
                                        ; implicit-def: $sgpr3
	s_cbranch_vccnz .LBB76_116
; %bb.111:                              ;   in Loop: Header=BB76_10 Depth=1
	ds_read_b64 v[2:3], v13 offset:5120
	s_waitcnt lgkmcnt(0)
	v_cmp_ne_u64_e32 vcc, 0, v[2:3]
	s_cbranch_vccnz .LBB76_115
; %bb.112:                              ;   in Loop: Header=BB76_10 Depth=1
	s_mov_b64 s[0:1], exec
	v_readlane_b32 s2, v44, 0
	v_readlane_b32 s3, v44, 1
	s_and_b64 s[2:3], s[0:1], s[2:3]
	s_mov_b64 exec, s[2:3]
	s_cbranch_execz .LBB76_114
; %bb.113:                              ;   in Loop: Header=BB76_10 Depth=1
	v_pk_mov_b32 v[2:3], s[12:13], s[12:13] op_sel:[0,1]
	ds_write_b64 v13, v[2:3] offset:5128
.LBB76_114:                             ;   in Loop: Header=BB76_10 Depth=1
	s_or_b64 exec, exec, s[0:1]
	s_waitcnt lgkmcnt(0)
	s_barrier
.LBB76_115:                             ;   in Loop: Header=BB76_10 Depth=1
	s_and_b32 s2, s78, s39
	s_or_b32 s3, s71, s44
	s_mov_b64 s[0:1], 0
	s_mov_b32 s45, 8
.LBB76_116:                             ;   in Loop: Header=BB76_10 Depth=1
	s_andn2_b64 vcc, exec, s[0:1]
	s_cbranch_vccnz .LBB76_118
; %bb.117:                              ;   in Loop: Header=BB76_10 Depth=1
	s_sub_u32 s72, s72, s12
	s_subb_u32 s73, s73, s13
	s_mov_b64 s[0:1], -1
	s_mov_b32 s45, 0
	s_mov_b32 s2, s78
	;; [unrolled: 1-line block ×3, first 2 shown]
.LBB76_118:                             ;   in Loop: Header=BB76_10 Depth=1
	s_mov_b32 s71, s3
	s_mov_b32 s78, s2
	s_mov_b64 s[12:13], -1
	s_and_b64 vcc, exec, s[0:1]
	s_cbranch_vccnz .LBB76_121
.LBB76_119:                             ;   in Loop: Header=BB76_10 Depth=1
	s_mov_b64 s[0:1], -1
                                        ; implicit-def: $sgpr16_sgpr17
                                        ; implicit-def: $sgpr20_sgpr21
                                        ; implicit-def: $sgpr18_sgpr19
	s_and_saveexec_b64 s[2:3], s[0:1]
	s_xor_b64 s[0:1], exec, s[2:3]
	s_cbranch_execz .LBB76_8
	s_branch .LBB76_264
.LBB76_120:                             ;   in Loop: Header=BB76_10 Depth=1
	s_mov_b64 s[72:73], 1
	s_mov_b64 s[12:13], -1
	s_branch .LBB76_119
.LBB76_121:                             ;   in Loop: Header=BB76_10 Depth=1
	s_cmp_eq_u64 s[24:25], 1
	s_cselect_b64 s[0:1], -1, 0
	s_cmp_eq_u64 s[72:73], 1
	s_cselect_b64 s[2:3], -1, 0
	s_and_b64 s[28:29], s[0:1], s[2:3]
	s_mov_b64 s[2:3], -1
	s_and_b64 vcc, exec, s[28:29]
	s_cbranch_vccz .LBB76_135
; %bb.122:                              ;   in Loop: Header=BB76_10 Depth=1
	ds_read_b64 v[2:3], v13 offset:5120
	s_waitcnt lgkmcnt(0)
	s_barrier
	v_readfirstlane_b32 s0, v2
	v_readfirstlane_b32 s1, v3
	s_mov_b64 s[2:3], exec
	v_readlane_b32 s8, v44, 14
	v_readlane_b32 s9, v44, 15
	s_and_b64 s[8:9], s[2:3], s[8:9]
	s_mov_b64 exec, s[8:9]
	s_cbranch_execz .LBB76_124
; %bb.123:                              ;   in Loop: Header=BB76_10 Depth=1
	ds_write_b8 v0, v1 offset:3072
.LBB76_124:                             ;   in Loop: Header=BB76_10 Depth=1
	s_or_b64 exec, exec, s[2:3]
	s_lshl_b32 s2, 1, s38
	s_and_b32 s3, s78, s39
	s_or_b32 s78, s3, s2
	s_or_b32 s71, s71, s44
	s_cmp_eq_u64 s[0:1], 0
	s_waitcnt lgkmcnt(0)
	s_barrier
	s_cbranch_scc1 .LBB76_141
; %bb.125:                              ;   in Loop: Header=BB76_10 Depth=1
	v_readlane_b32 s2, v44, 20
	s_add_u32 s16, s2, s0
	v_readlane_b32 s2, v44, 22
	s_addc_u32 s3, s2, s1
	s_mov_b32 s2, s69
	s_cmp_lg_u64 s[2:3], 0
	s_cbranch_scc0 .LBB76_184
; %bb.126:                              ;   in Loop: Header=BB76_10 Depth=1
	v_cvt_f32_u32_e32 v2, s33
	s_sub_u32 s2, 0, s33
	s_subb_u32 s8, 0, 0
	v_mac_f32_e32 v2, 0, v34
	v_rcp_f32_e32 v2, v2
	v_mul_f32_e32 v2, 0x5f7ffffc, v2
	v_mul_f32_e32 v3, 0x2f800000, v2
	v_trunc_f32_e32 v3, v3
	v_mac_f32_e32 v2, 0xcf800000, v3
	v_cvt_u32_f32_e32 v3, v3
	v_cvt_u32_f32_e32 v2, v2
	v_readfirstlane_b32 s9, v3
	v_readfirstlane_b32 s17, v2
	s_mul_i32 s18, s2, s9
	s_mul_hi_u32 s20, s2, s17
	s_mul_i32 s19, s8, s17
	s_add_i32 s18, s20, s18
	s_mul_i32 s21, s2, s17
	s_add_i32 s18, s18, s19
	s_mul_hi_u32 s20, s17, s21
	s_mul_hi_u32 s19, s17, s18
	s_mul_i32 s17, s17, s18
	s_add_u32 s17, s20, s17
	s_addc_u32 s19, 0, s19
	s_mul_hi_u32 s22, s9, s21
	s_mul_i32 s21, s9, s21
	s_add_u32 s17, s17, s21
	s_mul_hi_u32 s20, s9, s18
	s_addc_u32 s17, s19, s22
	s_addc_u32 s19, s20, 0
	s_mul_i32 s18, s9, s18
	s_add_u32 s17, s17, s18
	s_addc_u32 s18, 0, s19
	v_add_co_u32_e32 v2, vcc, s17, v2
	s_cmp_lg_u64 vcc, 0
	s_addc_u32 s9, s9, s18
	v_readfirstlane_b32 s18, v2
	s_mul_i32 s17, s2, s9
	s_mul_hi_u32 s19, s2, s18
	s_add_i32 s17, s19, s17
	s_mul_i32 s8, s8, s18
	s_add_i32 s17, s17, s8
	s_mul_i32 s2, s2, s18
	s_mul_hi_u32 s19, s9, s2
	s_mul_i32 s20, s9, s2
	s_mul_i32 s22, s18, s17
	s_mul_hi_u32 s2, s18, s2
	s_mul_hi_u32 s21, s18, s17
	s_add_u32 s2, s2, s22
	s_addc_u32 s18, 0, s21
	s_add_u32 s2, s2, s20
	s_mul_hi_u32 s8, s9, s17
	s_addc_u32 s2, s18, s19
	s_addc_u32 s8, s8, 0
	s_mul_i32 s17, s9, s17
	s_add_u32 s2, s2, s17
	s_addc_u32 s8, 0, s8
	v_add_co_u32_e32 v2, vcc, s2, v2
	s_cmp_lg_u64 vcc, 0
	s_addc_u32 s2, s9, s8
	v_readfirstlane_b32 s17, v2
	s_mul_i32 s9, s16, s2
	s_mul_hi_u32 s18, s16, s17
	s_mul_hi_u32 s8, s16, s2
	s_add_u32 s9, s18, s9
	s_addc_u32 s8, 0, s8
	s_mul_hi_u32 s19, s3, s17
	s_mul_i32 s17, s3, s17
	s_add_u32 s9, s9, s17
	s_mul_hi_u32 s18, s3, s2
	s_addc_u32 s8, s8, s19
	s_addc_u32 s9, s18, 0
	s_mul_i32 s2, s3, s2
	s_add_u32 s2, s8, s2
	s_addc_u32 s8, 0, s9
	s_mul_hi_u32 s9, s33, s2
	s_mul_i32 s2, s33, s2
	s_mul_i32 s8, s33, s8
	v_mov_b32_e32 v2, s2
	s_add_i32 s9, s9, s8
	v_sub_co_u32_e32 v2, vcc, s16, v2
	s_cmp_lg_u64 vcc, 0
	s_subb_u32 s2, s3, s9
	v_subrev_co_u32_e32 v3, vcc, s33, v2
	s_cmp_lg_u64 vcc, 0
	s_subb_u32 s8, s2, 0
	v_subrev_co_u32_e32 v4, vcc, s33, v3
	s_cmp_lg_u64 vcc, 0
	s_subb_u32 s9, s8, 0
	v_cmp_le_u32_e32 vcc, s33, v3
	s_cmp_eq_u32 s8, 0
	v_cndmask_b32_e64 v5, 0, -1, vcc
	s_cselect_b64 vcc, -1, 0
	v_cndmask_b32_e32 v5, -1, v5, vcc
	v_mov_b32_e32 v6, s8
	v_mov_b32_e32 v7, s9
	v_cmp_ne_u32_e32 vcc, 0, v5
	v_cndmask_b32_e32 v5, v6, v7, vcc
	v_cndmask_b32_e32 v4, v3, v4, vcc
	v_cmp_le_u32_e32 vcc, s33, v2
	s_cmp_eq_u32 s2, 0
	v_cndmask_b32_e64 v3, 0, -1, vcc
	s_cselect_b64 vcc, -1, 0
	v_cndmask_b32_e32 v3, -1, v3, vcc
	v_mov_b32_e32 v6, s2
	v_cmp_ne_u32_e32 vcc, 0, v3
	v_cndmask_b32_e32 v3, v6, v5, vcc
	v_cndmask_b32_e32 v2, v2, v4, vcc
	s_cbranch_execnz .LBB76_128
.LBB76_127:                             ;   in Loop: Header=BB76_10 Depth=1
	v_cvt_f32_u32_e32 v2, s33
	s_sub_i32 s2, 0, s33
	v_rcp_iflag_f32_e32 v2, v2
	v_mul_f32_e32 v2, 0x4f7ffffe, v2
	v_cvt_u32_f32_e32 v2, v2
	v_mul_lo_u32 v3, s2, v2
	v_mul_hi_u32 v3, v2, v3
	v_add_u32_e32 v2, v2, v3
	v_mul_hi_u32 v2, s16, v2
	v_mul_lo_u32 v2, v2, s33
	v_sub_u32_e32 v2, s16, v2
	v_subrev_u32_e32 v3, s33, v2
	v_cmp_le_u32_e32 vcc, s33, v2
	v_cndmask_b32_e32 v2, v2, v3, vcc
	v_subrev_u32_e32 v3, s33, v2
	v_cmp_le_u32_e32 vcc, s33, v2
	v_cndmask_b32_e32 v12, v2, v3, vcc
	v_pk_mov_b32 v[2:3], v[12:13], v[12:13] op_sel:[0,1]
.LBB76_128:                             ;   in Loop: Header=BB76_10 Depth=1
	v_mov_b32_e32 v4, s3
	v_sub_co_u32_e32 v2, vcc, s16, v2
	v_subb_co_u32_e32 v3, vcc, v4, v3, vcc
	v_cmp_gt_u64_e32 vcc, v[2:3], v[0:1]
	s_mov_b64 s[2:3], 0
                                        ; implicit-def: $vgpr35
	s_and_saveexec_b64 s[8:9], vcc
	s_cbranch_execz .LBB76_143
; %bb.129:                              ;   in Loop: Header=BB76_10 Depth=1
	v_mov_b32_e32 v6, v0
	v_pk_mov_b32 v[4:5], v[0:1], v[0:1] op_sel:[0,1]
                                        ; implicit-def: $sgpr16_sgpr17
	s_branch .LBB76_131
.LBB76_130:                             ;   in Loop: Header=BB76_131 Depth=2
	s_or_b64 exec, exec, s[18:19]
	s_waitcnt lgkmcnt(0)
	s_barrier
	ds_read_u16 v7, v13 offset:3072
	v_mov_b32_e32 v8, s74
	v_add_co_u32_e32 v4, vcc, s33, v4
	v_addc_co_u32_e32 v5, vcc, v5, v8, vcc
	s_waitcnt lgkmcnt(0)
	v_cmp_ne_u16_sdwa s[18:19], v7, v1 src0_sel:BYTE_0 src1_sel:DWORD
	v_cmp_ge_u64_e32 vcc, v[4:5], v[2:3]
	s_or_b64 s[20:21], vcc, s[18:19]
	s_and_b64 s[20:21], exec, s[20:21]
	s_or_b64 s[2:3], s[20:21], s[2:3]
	s_andn2_b64 s[16:17], s[16:17], exec
	s_and_b64 s[18:19], s[18:19], exec
	v_add_u32_e32 v6, s33, v6
	s_or_b64 s[16:17], s[16:17], s[18:19]
	s_barrier
	s_andn2_b64 exec, exec, s[2:3]
	s_cbranch_execz .LBB76_142
.LBB76_131:                             ;   Parent Loop BB76_10 Depth=1
                                        ; =>  This Inner Loop Header: Depth=2
	v_cmp_gt_u64_e32 vcc, s[0:1], v[4:5]
	v_mov_b32_e32 v7, 0
	s_and_saveexec_b64 s[18:19], vcc
	s_cbranch_execz .LBB76_133
; %bb.132:                              ;   in Loop: Header=BB76_131 Depth=2
	ds_read_u8 v7, v6
.LBB76_133:                             ;   in Loop: Header=BB76_131 Depth=2
	s_or_b64 exec, exec, s[18:19]
	s_waitcnt lgkmcnt(0)
	v_and_b32_e32 v8, s71, v7
	v_cmp_eq_u32_sdwa s[18:19], v8, s78 src0_sel:BYTE_0 src1_sel:DWORD
	s_and_b64 s[20:21], vcc, s[18:19]
	s_and_saveexec_b64 s[18:19], s[20:21]
	s_cbranch_execz .LBB76_130
; %bb.134:                              ;   in Loop: Header=BB76_131 Depth=2
	v_lshlrev_b16_e32 v7, 8, v7
	v_or_b32_e32 v7, 1, v7
	ds_write_b16 v13, v7 offset:3072
	s_branch .LBB76_130
.LBB76_135:                             ;   in Loop: Header=BB76_10 Depth=1
                                        ; implicit-def: $sgpr18_sgpr19
                                        ; implicit-def: $sgpr20_sgpr21
                                        ; implicit-def: $sgpr16_sgpr17
	s_branch .LBB76_156
.LBB76_136:                             ;   in Loop: Header=BB76_10 Depth=1
                                        ; implicit-def: $vgpr2_vgpr3
	s_branch .LBB76_84
.LBB76_137:                             ;   in Loop: Header=BB76_10 Depth=1
	s_or_b64 exec, exec, s[0:1]
	s_waitcnt lgkmcnt(0)
	s_barrier
	s_mov_b64 s[0:1], exec
	v_readlane_b32 s2, v44, 0
	v_readlane_b32 s3, v44, 1
	s_and_b64 s[2:3], s[0:1], s[2:3]
	s_mov_b64 exec, s[2:3]
	s_cbranch_execz .LBB76_139
; %bb.138:                              ;   in Loop: Header=BB76_10 Depth=1
	ds_read_b32 v2, v13 offset:5144
	s_waitcnt lgkmcnt(0)
	v_ashrrev_i32_e32 v3, 31, v2
	ds_write_b64 v13, v[2:3] offset:5120
.LBB76_139:                             ;   in Loop: Header=BB76_10 Depth=1
	s_or_b64 exec, exec, s[0:1]
	s_waitcnt lgkmcnt(0)
	s_barrier
	s_mov_b64 s[0:1], -1
	s_and_b64 vcc, exec, s[62:63]
	s_cbranch_vccnz .LBB76_25
	s_branch .LBB76_35
.LBB76_140:                             ;   in Loop: Header=BB76_10 Depth=1
                                        ; implicit-def: $vgpr2_vgpr3
	s_branch .LBB76_98
.LBB76_141:                             ;   in Loop: Header=BB76_10 Depth=1
	s_mov_b64 s[18:19], -1
	s_mov_b64 s[2:3], 0
                                        ; implicit-def: $sgpr16_sgpr17
                                        ; implicit-def: $vgpr35
	s_mov_b64 s[20:21], s[18:19]
	s_cbranch_execnz .LBB76_144
	s_branch .LBB76_156
.LBB76_142:                             ;   in Loop: Header=BB76_10 Depth=1
	s_or_b64 exec, exec, s[2:3]
	v_lshrrev_b16_e32 v35, 8, v7
	s_and_b64 s[2:3], s[16:17], exec
.LBB76_143:                             ;   in Loop: Header=BB76_10 Depth=1
	s_or_b64 exec, exec, s[8:9]
	s_mov_b64 s[16:17], -1
	s_mov_b64 s[18:19], 0
	s_mov_b64 s[20:21], s[18:19]
	s_branch .LBB76_156
.LBB76_144:                             ;   in Loop: Header=BB76_10 Depth=1
	s_mov_b32 s76, s69
	s_cmp_lg_u64 s[76:77], 0
	s_cbranch_scc0 .LBB76_185
; %bb.145:                              ;   in Loop: Header=BB76_10 Depth=1
	v_cvt_f32_u32_e32 v2, s33
	s_sub_u32 s0, 0, s33
	s_subb_u32 s1, 0, 0
	v_mac_f32_e32 v2, 0, v34
	v_rcp_f32_e32 v2, v2
	v_mul_f32_e32 v2, 0x5f7ffffc, v2
	v_mul_f32_e32 v3, 0x2f800000, v2
	v_trunc_f32_e32 v3, v3
	v_mac_f32_e32 v2, 0xcf800000, v3
	v_cvt_u32_f32_e32 v3, v3
	v_cvt_u32_f32_e32 v2, v2
	v_readfirstlane_b32 s2, v3
	v_readfirstlane_b32 s3, v2
	s_mul_i32 s8, s0, s2
	s_mul_hi_u32 s16, s0, s3
	s_mul_i32 s9, s1, s3
	s_add_i32 s8, s16, s8
	s_mul_i32 s17, s0, s3
	s_add_i32 s8, s8, s9
	s_mul_hi_u32 s16, s3, s17
	s_mul_hi_u32 s9, s3, s8
	s_mul_i32 s3, s3, s8
	s_add_u32 s3, s16, s3
	s_addc_u32 s9, 0, s9
	s_mul_hi_u32 s18, s2, s17
	s_mul_i32 s17, s2, s17
	s_add_u32 s3, s3, s17
	s_mul_hi_u32 s16, s2, s8
	s_addc_u32 s3, s9, s18
	s_addc_u32 s9, s16, 0
	s_mul_i32 s8, s2, s8
	s_add_u32 s3, s3, s8
	s_addc_u32 s8, 0, s9
	v_add_co_u32_e32 v2, vcc, s3, v2
	s_cmp_lg_u64 vcc, 0
	s_addc_u32 s2, s2, s8
	v_readfirstlane_b32 s8, v2
	s_mul_i32 s3, s0, s2
	s_mul_hi_u32 s9, s0, s8
	s_add_i32 s3, s9, s3
	s_mul_i32 s1, s1, s8
	s_add_i32 s3, s3, s1
	s_mul_i32 s0, s0, s8
	s_mul_hi_u32 s9, s2, s0
	s_mul_i32 s16, s2, s0
	s_mul_i32 s18, s8, s3
	s_mul_hi_u32 s0, s8, s0
	s_mul_hi_u32 s17, s8, s3
	s_add_u32 s0, s0, s18
	s_addc_u32 s8, 0, s17
	s_add_u32 s0, s0, s16
	s_mul_hi_u32 s1, s2, s3
	s_addc_u32 s0, s8, s9
	s_addc_u32 s1, s1, 0
	s_mul_i32 s3, s2, s3
	s_add_u32 s0, s0, s3
	s_addc_u32 s1, 0, s1
	v_add_co_u32_e32 v2, vcc, s0, v2
	s_cmp_lg_u64 vcc, 0
	s_addc_u32 s0, s2, s1
	v_readlane_b32 s16, v44, 21
	v_readfirstlane_b32 s3, v2
	s_mul_i32 s2, s16, s0
	s_mul_hi_u32 s8, s16, s3
	s_mul_hi_u32 s1, s16, s0
	s_add_u32 s2, s8, s2
	s_addc_u32 s1, 0, s1
	s_mul_hi_u32 s9, s77, s3
	s_mul_i32 s3, s77, s3
	s_add_u32 s2, s2, s3
	s_mul_hi_u32 s8, s77, s0
	s_addc_u32 s1, s1, s9
	s_addc_u32 s2, s8, 0
	s_mul_i32 s0, s77, s0
	s_add_u32 s0, s1, s0
	s_addc_u32 s1, 0, s2
	s_mul_hi_u32 s2, s33, s0
	s_mul_i32 s0, s33, s0
	s_mul_i32 s1, s33, s1
	v_mov_b32_e32 v2, s0
	s_add_i32 s2, s2, s1
	v_sub_co_u32_e32 v2, vcc, s16, v2
	s_cmp_lg_u64 vcc, 0
	s_subb_u32 s0, s77, s2
	v_subrev_co_u32_e32 v3, vcc, s33, v2
	s_cmp_lg_u64 vcc, 0
	s_subb_u32 s1, s0, 0
	v_subrev_co_u32_e32 v4, vcc, s33, v3
	s_cmp_lg_u64 vcc, 0
	s_subb_u32 s2, s1, 0
	v_cmp_le_u32_e32 vcc, s33, v3
	s_cmp_eq_u32 s1, 0
	v_cndmask_b32_e64 v5, 0, -1, vcc
	s_cselect_b64 vcc, -1, 0
	v_cndmask_b32_e32 v5, -1, v5, vcc
	v_mov_b32_e32 v6, s1
	v_mov_b32_e32 v7, s2
	v_cmp_ne_u32_e32 vcc, 0, v5
	v_cndmask_b32_e32 v5, v6, v7, vcc
	v_cndmask_b32_e32 v4, v3, v4, vcc
	v_cmp_le_u32_e32 vcc, s33, v2
	s_cmp_eq_u32 s0, 0
	v_cndmask_b32_e64 v3, 0, -1, vcc
	s_cselect_b64 vcc, -1, 0
	v_cndmask_b32_e32 v3, -1, v3, vcc
	v_mov_b32_e32 v6, s0
	v_cmp_ne_u32_e32 vcc, 0, v3
	v_cndmask_b32_e32 v3, v6, v5, vcc
	v_cndmask_b32_e32 v2, v2, v4, vcc
	s_cbranch_execnz .LBB76_147
.LBB76_146:                             ;   in Loop: Header=BB76_10 Depth=1
	v_cvt_f32_u32_e32 v2, s33
	s_sub_i32 s0, 0, s33
	v_rcp_iflag_f32_e32 v2, v2
	v_mul_f32_e32 v2, 0x4f7ffffe, v2
	v_cvt_u32_f32_e32 v2, v2
	v_mul_lo_u32 v3, s0, v2
	v_mul_hi_u32 v3, v2, v3
	v_add_u32_e32 v2, v2, v3
	v_readlane_b32 s0, v44, 21
	v_mul_hi_u32 v2, s0, v2
	v_mul_lo_u32 v2, v2, s33
	v_sub_u32_e32 v2, s0, v2
	v_subrev_u32_e32 v3, s33, v2
	v_cmp_le_u32_e32 vcc, s33, v2
	v_cndmask_b32_e32 v2, v2, v3, vcc
	v_subrev_u32_e32 v3, s33, v2
	v_cmp_le_u32_e32 vcc, s33, v2
	v_cndmask_b32_e32 v12, v2, v3, vcc
	v_pk_mov_b32 v[2:3], v[12:13], v[12:13] op_sel:[0,1]
.LBB76_147:                             ;   in Loop: Header=BB76_10 Depth=1
	v_readlane_b32 s0, v44, 21
	v_mov_b32_e32 v4, s77
	v_sub_co_u32_e32 v2, vcc, s0, v2
	v_subb_co_u32_e32 v3, vcc, v4, v3, vcc
	v_cmp_gt_u64_e32 vcc, v[2:3], v[0:1]
	s_mov_b64 s[2:3], 0
                                        ; implicit-def: $vgpr35
	s_and_saveexec_b64 s[0:1], vcc
	s_cbranch_execz .LBB76_155
; %bb.148:                              ;   in Loop: Header=BB76_10 Depth=1
	v_pk_mov_b32 v[4:5], v[10:11], v[10:11] op_sel:[0,1]
	v_pk_mov_b32 v[6:7], v[0:1], v[0:1] op_sel:[0,1]
                                        ; implicit-def: $sgpr8_sgpr9
	s_branch .LBB76_150
.LBB76_149:                             ;   in Loop: Header=BB76_150 Depth=2
	s_or_b64 exec, exec, s[16:17]
	s_waitcnt lgkmcnt(0)
	s_barrier
	ds_read_u16 v8, v13 offset:3072
	v_mov_b32_e32 v9, s74
	v_add_co_u32_e32 v6, vcc, s33, v6
	v_addc_co_u32_e32 v7, vcc, v7, v9, vcc
	s_waitcnt lgkmcnt(0)
	v_cmp_ne_u16_sdwa s[16:17], v8, v1 src0_sel:BYTE_0 src1_sel:DWORD
	v_cmp_ge_u64_e32 vcc, v[6:7], v[2:3]
	s_or_b64 s[18:19], vcc, s[16:17]
	s_and_b64 s[18:19], exec, s[18:19]
	s_or_b64 s[2:3], s[18:19], s[2:3]
	v_mov_b32_e32 v9, s75
	v_add_co_u32_e32 v4, vcc, s26, v4
	s_andn2_b64 s[8:9], s[8:9], exec
	s_and_b64 s[16:17], s[16:17], exec
	v_addc_co_u32_e32 v5, vcc, v5, v9, vcc
	s_or_b64 s[8:9], s[8:9], s[16:17]
	s_barrier
	s_andn2_b64 exec, exec, s[2:3]
	s_cbranch_execz .LBB76_154
.LBB76_150:                             ;   Parent Loop BB76_10 Depth=1
                                        ; =>  This Inner Loop Header: Depth=2
	v_cmp_gt_u64_e32 vcc, s[52:53], v[6:7]
	v_mov_b32_e32 v8, 0
	s_and_saveexec_b64 s[16:17], vcc
	s_cbranch_execz .LBB76_152
; %bb.151:                              ;   in Loop: Header=BB76_150 Depth=2
	global_load_ubyte v8, v[4:5], off
.LBB76_152:                             ;   in Loop: Header=BB76_150 Depth=2
	s_or_b64 exec, exec, s[16:17]
	s_waitcnt vmcnt(0)
	v_and_b32_e32 v9, s71, v8
	v_cmp_eq_u32_sdwa s[16:17], v9, s78 src0_sel:BYTE_0 src1_sel:DWORD
	s_and_b64 s[18:19], vcc, s[16:17]
	s_and_saveexec_b64 s[16:17], s[18:19]
	s_cbranch_execz .LBB76_149
; %bb.153:                              ;   in Loop: Header=BB76_150 Depth=2
	v_lshlrev_b16_e32 v8, 8, v8
	v_or_b32_e32 v8, 1, v8
	ds_write_b16 v13, v8 offset:3072
	s_branch .LBB76_149
.LBB76_154:                             ;   in Loop: Header=BB76_10 Depth=1
	s_or_b64 exec, exec, s[2:3]
	v_lshrrev_b16_e32 v35, 8, v8
	s_and_b64 s[2:3], s[8:9], exec
.LBB76_155:                             ;   in Loop: Header=BB76_10 Depth=1
	s_or_b64 exec, exec, s[0:1]
	s_mov_b64 s[20:21], -1
	s_mov_b64 s[18:19], 0
	s_mov_b64 s[16:17], 0
.LBB76_156:                             ;   in Loop: Header=BB76_10 Depth=1
	s_mov_b64 s[0:1], 0
                                        ; implicit-def: $sgpr45
	s_and_saveexec_b64 s[22:23], s[2:3]
	s_cbranch_execz .LBB76_263
; %bb.157:                              ;   in Loop: Header=BB76_10 Depth=1
	s_xor_b64 s[0:1], s[28:29], -1
	s_andn2_b64 vcc, exec, s[0:1]
	s_mov_b32 s45, 1
	s_cbranch_vccnz .LBB76_168
; %bb.158:                              ;   in Loop: Header=BB76_10 Depth=1
	v_pk_mov_b32 v[2:3], s[24:25], s[24:25] op_sel:[0,1]
	v_cmp_gt_u64_e32 vcc, s[72:73], v[2:3]
	s_mov_b64 s[0:1], -1
                                        ; implicit-def: $sgpr45
                                        ; implicit-def: $sgpr2
                                        ; implicit-def: $sgpr3
	s_cbranch_vccnz .LBB76_164
; %bb.159:                              ;   in Loop: Header=BB76_10 Depth=1
	ds_read_b64 v[2:3], v13 offset:5120
	s_waitcnt lgkmcnt(0)
	v_cmp_ne_u64_e32 vcc, 0, v[2:3]
	s_cbranch_vccnz .LBB76_163
; %bb.160:                              ;   in Loop: Header=BB76_10 Depth=1
	s_mov_b64 s[0:1], exec
	v_readlane_b32 s2, v44, 0
	v_readlane_b32 s3, v44, 1
	s_and_b64 s[2:3], s[0:1], s[2:3]
	s_mov_b64 exec, s[2:3]
	s_cbranch_execz .LBB76_162
; %bb.161:                              ;   in Loop: Header=BB76_10 Depth=1
	v_pk_mov_b32 v[2:3], s[24:25], s[24:25] op_sel:[0,1]
	ds_write_b64 v13, v[2:3] offset:5128
.LBB76_162:                             ;   in Loop: Header=BB76_10 Depth=1
	s_or_b64 exec, exec, s[0:1]
	s_waitcnt lgkmcnt(0)
	s_barrier
.LBB76_163:                             ;   in Loop: Header=BB76_10 Depth=1
	s_lshl_b32 s0, 1, s38
	s_and_b32 s1, s78, s39
	s_or_b32 s2, s1, s0
	s_or_b32 s3, s71, s44
	s_mov_b64 s[0:1], 0
	s_mov_b32 s45, 8
.LBB76_164:                             ;   in Loop: Header=BB76_10 Depth=1
	s_andn2_b64 vcc, exec, s[0:1]
	s_cbranch_vccnz .LBB76_166
; %bb.165:                              ;   in Loop: Header=BB76_10 Depth=1
	s_sub_u32 s72, s72, s24
	s_subb_u32 s73, s73, s25
	s_mov_b64 s[0:1], -1
	s_mov_b32 s45, 0
	s_mov_b32 s2, s78
	;; [unrolled: 1-line block ×3, first 2 shown]
.LBB76_166:                             ;   in Loop: Header=BB76_10 Depth=1
	s_mov_b32 s71, s3
	s_mov_b32 s78, s2
	s_andn2_b64 vcc, exec, s[0:1]
	s_mov_b64 s[0:1], -1
	s_cbranch_vccz .LBB76_169
.LBB76_167:                             ;   in Loop: Header=BB76_10 Depth=1
                                        ; implicit-def: $sgpr28_sgpr29
                                        ; implicit-def: $sgpr30_sgpr31
                                        ; implicit-def: $sgpr24_sgpr25
	s_branch .LBB76_262
.LBB76_168:                             ;   in Loop: Header=BB76_10 Depth=1
	s_mov_b64 s[72:73], 1
	s_mov_b64 s[0:1], -1
	s_cbranch_execnz .LBB76_167
.LBB76_169:                             ;   in Loop: Header=BB76_10 Depth=1
	s_cmp_eq_u64 s[14:15], 1
	s_cselect_b64 s[0:1], -1, 0
	s_cmp_eq_u64 s[72:73], 1
	s_cselect_b64 s[2:3], -1, 0
	s_and_b64 s[36:37], s[0:1], s[2:3]
	s_mov_b64 s[2:3], -1
	s_and_b64 vcc, exec, s[36:37]
	s_cbranch_vccz .LBB76_183
; %bb.170:                              ;   in Loop: Header=BB76_10 Depth=1
	ds_read_b64 v[2:3], v13 offset:5120
	s_waitcnt lgkmcnt(0)
	s_barrier
	v_readfirstlane_b32 s0, v2
	v_readfirstlane_b32 s1, v3
	s_mov_b64 s[2:3], exec
	v_readlane_b32 s8, v44, 14
	v_readlane_b32 s9, v44, 15
	s_and_b64 s[8:9], s[2:3], s[8:9]
	s_mov_b64 exec, s[8:9]
	s_cbranch_execz .LBB76_172
; %bb.171:                              ;   in Loop: Header=BB76_10 Depth=1
	ds_write_b8 v0, v1 offset:3072
.LBB76_172:                             ;   in Loop: Header=BB76_10 Depth=1
	s_or_b64 exec, exec, s[2:3]
	s_lshl_b32 s2, 2, s38
	s_and_b32 s3, s78, s39
	s_or_b32 s78, s3, s2
	s_or_b32 s71, s71, s44
	s_cmp_eq_u64 s[0:1], 0
	s_waitcnt lgkmcnt(0)
	s_barrier
	s_cbranch_scc1 .LBB76_186
; %bb.173:                              ;   in Loop: Header=BB76_10 Depth=1
	v_readlane_b32 s2, v44, 20
	s_add_u32 s24, s2, s0
	v_readlane_b32 s2, v44, 22
	s_addc_u32 s3, s2, s1
	s_mov_b32 s2, s69
	s_cmp_lg_u64 s[2:3], 0
	s_cbranch_scc0 .LBB76_229
; %bb.174:                              ;   in Loop: Header=BB76_10 Depth=1
	v_cvt_f32_u32_e32 v2, s33
	s_sub_u32 s2, 0, s33
	s_subb_u32 s8, 0, 0
	v_mac_f32_e32 v2, 0, v34
	v_rcp_f32_e32 v2, v2
	v_mul_f32_e32 v2, 0x5f7ffffc, v2
	v_mul_f32_e32 v3, 0x2f800000, v2
	v_trunc_f32_e32 v3, v3
	v_mac_f32_e32 v2, 0xcf800000, v3
	v_cvt_u32_f32_e32 v3, v3
	v_cvt_u32_f32_e32 v2, v2
	v_readfirstlane_b32 s9, v3
	v_readfirstlane_b32 s25, v2
	s_mul_i32 s28, s2, s9
	s_mul_hi_u32 s30, s2, s25
	s_mul_i32 s29, s8, s25
	s_add_i32 s28, s30, s28
	s_mul_i32 s31, s2, s25
	s_add_i32 s28, s28, s29
	s_mul_hi_u32 s30, s25, s31
	s_mul_hi_u32 s29, s25, s28
	s_mul_i32 s25, s25, s28
	s_add_u32 s25, s30, s25
	s_addc_u32 s29, 0, s29
	s_mul_hi_u32 s34, s9, s31
	s_mul_i32 s31, s9, s31
	s_add_u32 s25, s25, s31
	s_mul_hi_u32 s30, s9, s28
	s_addc_u32 s25, s29, s34
	s_addc_u32 s29, s30, 0
	s_mul_i32 s28, s9, s28
	s_add_u32 s25, s25, s28
	s_addc_u32 s28, 0, s29
	v_add_co_u32_e32 v2, vcc, s25, v2
	s_cmp_lg_u64 vcc, 0
	s_addc_u32 s9, s9, s28
	v_readfirstlane_b32 s28, v2
	s_mul_i32 s25, s2, s9
	s_mul_hi_u32 s29, s2, s28
	s_add_i32 s25, s29, s25
	s_mul_i32 s8, s8, s28
	s_add_i32 s25, s25, s8
	s_mul_i32 s2, s2, s28
	s_mul_hi_u32 s29, s9, s2
	s_mul_i32 s30, s9, s2
	s_mul_i32 s34, s28, s25
	s_mul_hi_u32 s2, s28, s2
	s_mul_hi_u32 s31, s28, s25
	s_add_u32 s2, s2, s34
	s_addc_u32 s28, 0, s31
	s_add_u32 s2, s2, s30
	s_mul_hi_u32 s8, s9, s25
	s_addc_u32 s2, s28, s29
	s_addc_u32 s8, s8, 0
	s_mul_i32 s25, s9, s25
	s_add_u32 s2, s2, s25
	s_addc_u32 s8, 0, s8
	v_add_co_u32_e32 v2, vcc, s2, v2
	s_cmp_lg_u64 vcc, 0
	s_addc_u32 s2, s9, s8
	v_readfirstlane_b32 s25, v2
	s_mul_i32 s9, s24, s2
	s_mul_hi_u32 s28, s24, s25
	s_mul_hi_u32 s8, s24, s2
	s_add_u32 s9, s28, s9
	s_addc_u32 s8, 0, s8
	s_mul_hi_u32 s29, s3, s25
	s_mul_i32 s25, s3, s25
	s_add_u32 s9, s9, s25
	s_mul_hi_u32 s28, s3, s2
	s_addc_u32 s8, s8, s29
	s_addc_u32 s9, s28, 0
	s_mul_i32 s2, s3, s2
	s_add_u32 s2, s8, s2
	s_addc_u32 s8, 0, s9
	s_mul_hi_u32 s9, s33, s2
	s_mul_i32 s2, s33, s2
	s_mul_i32 s8, s33, s8
	v_mov_b32_e32 v2, s2
	s_add_i32 s9, s9, s8
	v_sub_co_u32_e32 v2, vcc, s24, v2
	s_cmp_lg_u64 vcc, 0
	s_subb_u32 s2, s3, s9
	v_subrev_co_u32_e32 v3, vcc, s33, v2
	s_cmp_lg_u64 vcc, 0
	s_subb_u32 s8, s2, 0
	v_subrev_co_u32_e32 v4, vcc, s33, v3
	s_cmp_lg_u64 vcc, 0
	s_subb_u32 s9, s8, 0
	v_cmp_le_u32_e32 vcc, s33, v3
	s_cmp_eq_u32 s8, 0
	v_cndmask_b32_e64 v5, 0, -1, vcc
	s_cselect_b64 vcc, -1, 0
	v_cndmask_b32_e32 v5, -1, v5, vcc
	v_mov_b32_e32 v6, s8
	v_mov_b32_e32 v7, s9
	v_cmp_ne_u32_e32 vcc, 0, v5
	v_cndmask_b32_e32 v5, v6, v7, vcc
	v_cndmask_b32_e32 v4, v3, v4, vcc
	v_cmp_le_u32_e32 vcc, s33, v2
	s_cmp_eq_u32 s2, 0
	v_cndmask_b32_e64 v3, 0, -1, vcc
	s_cselect_b64 vcc, -1, 0
	v_cndmask_b32_e32 v3, -1, v3, vcc
	v_mov_b32_e32 v6, s2
	v_cmp_ne_u32_e32 vcc, 0, v3
	v_cndmask_b32_e32 v3, v6, v5, vcc
	v_cndmask_b32_e32 v2, v2, v4, vcc
	s_cbranch_execnz .LBB76_176
.LBB76_175:                             ;   in Loop: Header=BB76_10 Depth=1
	v_cvt_f32_u32_e32 v2, s33
	s_sub_i32 s2, 0, s33
	v_rcp_iflag_f32_e32 v2, v2
	v_mul_f32_e32 v2, 0x4f7ffffe, v2
	v_cvt_u32_f32_e32 v2, v2
	v_mul_lo_u32 v3, s2, v2
	v_mul_hi_u32 v3, v2, v3
	v_add_u32_e32 v2, v2, v3
	v_mul_hi_u32 v2, s24, v2
	v_mul_lo_u32 v2, v2, s33
	v_sub_u32_e32 v2, s24, v2
	v_subrev_u32_e32 v3, s33, v2
	v_cmp_le_u32_e32 vcc, s33, v2
	v_cndmask_b32_e32 v2, v2, v3, vcc
	v_subrev_u32_e32 v3, s33, v2
	v_cmp_le_u32_e32 vcc, s33, v2
	v_cndmask_b32_e32 v12, v2, v3, vcc
	v_pk_mov_b32 v[2:3], v[12:13], v[12:13] op_sel:[0,1]
.LBB76_176:                             ;   in Loop: Header=BB76_10 Depth=1
	v_mov_b32_e32 v4, s3
	v_sub_co_u32_e32 v2, vcc, s24, v2
	v_subb_co_u32_e32 v3, vcc, v4, v3, vcc
	v_cmp_gt_u64_e32 vcc, v[2:3], v[0:1]
	s_mov_b64 s[2:3], 0
                                        ; implicit-def: $vgpr35
	s_and_saveexec_b64 s[8:9], vcc
	s_cbranch_execz .LBB76_188
; %bb.177:                              ;   in Loop: Header=BB76_10 Depth=1
	v_mov_b32_e32 v6, v0
	v_pk_mov_b32 v[4:5], v[0:1], v[0:1] op_sel:[0,1]
                                        ; implicit-def: $sgpr24_sgpr25
	s_branch .LBB76_179
.LBB76_178:                             ;   in Loop: Header=BB76_179 Depth=2
	s_or_b64 exec, exec, s[28:29]
	s_waitcnt lgkmcnt(0)
	s_barrier
	ds_read_u16 v7, v13 offset:3072
	v_mov_b32_e32 v8, s74
	v_add_co_u32_e32 v4, vcc, s33, v4
	v_addc_co_u32_e32 v5, vcc, v5, v8, vcc
	s_waitcnt lgkmcnt(0)
	v_cmp_ne_u16_sdwa s[28:29], v7, v1 src0_sel:BYTE_0 src1_sel:DWORD
	v_cmp_ge_u64_e32 vcc, v[4:5], v[2:3]
	s_or_b64 s[30:31], vcc, s[28:29]
	s_and_b64 s[30:31], exec, s[30:31]
	s_or_b64 s[2:3], s[30:31], s[2:3]
	s_andn2_b64 s[24:25], s[24:25], exec
	s_and_b64 s[28:29], s[28:29], exec
	v_add_u32_e32 v6, s33, v6
	s_or_b64 s[24:25], s[24:25], s[28:29]
	s_barrier
	s_andn2_b64 exec, exec, s[2:3]
	s_cbranch_execz .LBB76_187
.LBB76_179:                             ;   Parent Loop BB76_10 Depth=1
                                        ; =>  This Inner Loop Header: Depth=2
	v_cmp_gt_u64_e32 vcc, s[0:1], v[4:5]
	v_mov_b32_e32 v7, 0
	s_and_saveexec_b64 s[28:29], vcc
	s_cbranch_execz .LBB76_181
; %bb.180:                              ;   in Loop: Header=BB76_179 Depth=2
	ds_read_u8 v7, v6
.LBB76_181:                             ;   in Loop: Header=BB76_179 Depth=2
	s_or_b64 exec, exec, s[28:29]
	s_waitcnt lgkmcnt(0)
	v_and_b32_e32 v8, s71, v7
	v_cmp_eq_u32_sdwa s[28:29], v8, s78 src0_sel:BYTE_0 src1_sel:DWORD
	s_and_b64 s[30:31], vcc, s[28:29]
	s_and_saveexec_b64 s[28:29], s[30:31]
	s_cbranch_execz .LBB76_178
; %bb.182:                              ;   in Loop: Header=BB76_179 Depth=2
	v_lshlrev_b16_e32 v7, 8, v7
	v_or_b32_e32 v7, 1, v7
	ds_write_b16 v13, v7 offset:3072
	s_branch .LBB76_178
.LBB76_183:                             ;   in Loop: Header=BB76_10 Depth=1
                                        ; implicit-def: $sgpr24_sgpr25
                                        ; implicit-def: $sgpr30_sgpr31
                                        ; implicit-def: $sgpr28_sgpr29
	s_branch .LBB76_201
.LBB76_184:                             ;   in Loop: Header=BB76_10 Depth=1
                                        ; implicit-def: $vgpr2_vgpr3
	s_branch .LBB76_127
.LBB76_185:                             ;   in Loop: Header=BB76_10 Depth=1
                                        ; implicit-def: $vgpr2_vgpr3
	s_branch .LBB76_146
.LBB76_186:                             ;   in Loop: Header=BB76_10 Depth=1
	s_mov_b64 s[24:25], -1
	s_mov_b64 s[2:3], 0
                                        ; implicit-def: $sgpr28_sgpr29
                                        ; implicit-def: $vgpr35
	s_mov_b64 s[30:31], s[24:25]
	s_cbranch_execnz .LBB76_189
	s_branch .LBB76_201
.LBB76_187:                             ;   in Loop: Header=BB76_10 Depth=1
	s_or_b64 exec, exec, s[2:3]
	v_lshrrev_b16_e32 v35, 8, v7
	s_and_b64 s[2:3], s[24:25], exec
.LBB76_188:                             ;   in Loop: Header=BB76_10 Depth=1
	s_or_b64 exec, exec, s[8:9]
	s_mov_b64 s[28:29], -1
	s_mov_b64 s[24:25], 0
	s_mov_b64 s[30:31], s[24:25]
	s_branch .LBB76_201
.LBB76_189:                             ;   in Loop: Header=BB76_10 Depth=1
	s_mov_b32 s76, s69
	s_cmp_lg_u64 s[76:77], 0
	s_cbranch_scc0 .LBB76_230
; %bb.190:                              ;   in Loop: Header=BB76_10 Depth=1
	v_cvt_f32_u32_e32 v2, s33
	s_sub_u32 s0, 0, s33
	s_subb_u32 s1, 0, 0
	v_mac_f32_e32 v2, 0, v34
	v_rcp_f32_e32 v2, v2
	v_mul_f32_e32 v2, 0x5f7ffffc, v2
	v_mul_f32_e32 v3, 0x2f800000, v2
	v_trunc_f32_e32 v3, v3
	v_mac_f32_e32 v2, 0xcf800000, v3
	v_cvt_u32_f32_e32 v3, v3
	v_cvt_u32_f32_e32 v2, v2
	v_readfirstlane_b32 s2, v3
	v_readfirstlane_b32 s3, v2
	s_mul_i32 s8, s0, s2
	s_mul_hi_u32 s24, s0, s3
	s_mul_i32 s9, s1, s3
	s_add_i32 s8, s24, s8
	s_mul_i32 s25, s0, s3
	s_add_i32 s8, s8, s9
	s_mul_hi_u32 s24, s3, s25
	s_mul_hi_u32 s9, s3, s8
	s_mul_i32 s3, s3, s8
	s_add_u32 s3, s24, s3
	s_addc_u32 s9, 0, s9
	s_mul_hi_u32 s28, s2, s25
	s_mul_i32 s25, s2, s25
	s_add_u32 s3, s3, s25
	s_mul_hi_u32 s24, s2, s8
	s_addc_u32 s3, s9, s28
	s_addc_u32 s9, s24, 0
	s_mul_i32 s8, s2, s8
	s_add_u32 s3, s3, s8
	s_addc_u32 s8, 0, s9
	v_add_co_u32_e32 v2, vcc, s3, v2
	s_cmp_lg_u64 vcc, 0
	s_addc_u32 s2, s2, s8
	v_readfirstlane_b32 s8, v2
	s_mul_i32 s3, s0, s2
	s_mul_hi_u32 s9, s0, s8
	s_add_i32 s3, s9, s3
	s_mul_i32 s1, s1, s8
	s_add_i32 s3, s3, s1
	s_mul_i32 s0, s0, s8
	s_mul_hi_u32 s9, s2, s0
	s_mul_i32 s24, s2, s0
	s_mul_i32 s28, s8, s3
	s_mul_hi_u32 s0, s8, s0
	s_mul_hi_u32 s25, s8, s3
	s_add_u32 s0, s0, s28
	s_addc_u32 s8, 0, s25
	s_add_u32 s0, s0, s24
	s_mul_hi_u32 s1, s2, s3
	s_addc_u32 s0, s8, s9
	s_addc_u32 s1, s1, 0
	s_mul_i32 s3, s2, s3
	s_add_u32 s0, s0, s3
	s_addc_u32 s1, 0, s1
	v_add_co_u32_e32 v2, vcc, s0, v2
	s_cmp_lg_u64 vcc, 0
	s_addc_u32 s0, s2, s1
	v_readlane_b32 s24, v44, 21
	v_readfirstlane_b32 s3, v2
	s_mul_i32 s2, s24, s0
	s_mul_hi_u32 s8, s24, s3
	s_mul_hi_u32 s1, s24, s0
	s_add_u32 s2, s8, s2
	s_addc_u32 s1, 0, s1
	s_mul_hi_u32 s9, s77, s3
	s_mul_i32 s3, s77, s3
	s_add_u32 s2, s2, s3
	s_mul_hi_u32 s8, s77, s0
	s_addc_u32 s1, s1, s9
	s_addc_u32 s2, s8, 0
	s_mul_i32 s0, s77, s0
	s_add_u32 s0, s1, s0
	s_addc_u32 s1, 0, s2
	s_mul_hi_u32 s2, s33, s0
	s_mul_i32 s0, s33, s0
	s_mul_i32 s1, s33, s1
	v_mov_b32_e32 v2, s0
	s_add_i32 s2, s2, s1
	v_sub_co_u32_e32 v2, vcc, s24, v2
	s_cmp_lg_u64 vcc, 0
	s_subb_u32 s0, s77, s2
	v_subrev_co_u32_e32 v3, vcc, s33, v2
	s_cmp_lg_u64 vcc, 0
	s_subb_u32 s1, s0, 0
	v_subrev_co_u32_e32 v4, vcc, s33, v3
	s_cmp_lg_u64 vcc, 0
	s_subb_u32 s2, s1, 0
	v_cmp_le_u32_e32 vcc, s33, v3
	s_cmp_eq_u32 s1, 0
	v_cndmask_b32_e64 v5, 0, -1, vcc
	s_cselect_b64 vcc, -1, 0
	v_cndmask_b32_e32 v5, -1, v5, vcc
	v_mov_b32_e32 v6, s1
	v_mov_b32_e32 v7, s2
	v_cmp_ne_u32_e32 vcc, 0, v5
	v_cndmask_b32_e32 v5, v6, v7, vcc
	v_cndmask_b32_e32 v4, v3, v4, vcc
	v_cmp_le_u32_e32 vcc, s33, v2
	s_cmp_eq_u32 s0, 0
	v_cndmask_b32_e64 v3, 0, -1, vcc
	s_cselect_b64 vcc, -1, 0
	v_cndmask_b32_e32 v3, -1, v3, vcc
	v_mov_b32_e32 v6, s0
	v_cmp_ne_u32_e32 vcc, 0, v3
	v_cndmask_b32_e32 v3, v6, v5, vcc
	v_cndmask_b32_e32 v2, v2, v4, vcc
	s_cbranch_execnz .LBB76_192
.LBB76_191:                             ;   in Loop: Header=BB76_10 Depth=1
	v_cvt_f32_u32_e32 v2, s33
	s_sub_i32 s0, 0, s33
	v_rcp_iflag_f32_e32 v2, v2
	v_mul_f32_e32 v2, 0x4f7ffffe, v2
	v_cvt_u32_f32_e32 v2, v2
	v_mul_lo_u32 v3, s0, v2
	v_mul_hi_u32 v3, v2, v3
	v_add_u32_e32 v2, v2, v3
	v_readlane_b32 s0, v44, 21
	v_mul_hi_u32 v2, s0, v2
	v_mul_lo_u32 v2, v2, s33
	v_sub_u32_e32 v2, s0, v2
	v_subrev_u32_e32 v3, s33, v2
	v_cmp_le_u32_e32 vcc, s33, v2
	v_cndmask_b32_e32 v2, v2, v3, vcc
	v_subrev_u32_e32 v3, s33, v2
	v_cmp_le_u32_e32 vcc, s33, v2
	v_cndmask_b32_e32 v12, v2, v3, vcc
	v_pk_mov_b32 v[2:3], v[12:13], v[12:13] op_sel:[0,1]
.LBB76_192:                             ;   in Loop: Header=BB76_10 Depth=1
	v_readlane_b32 s0, v44, 21
	v_mov_b32_e32 v4, s77
	v_sub_co_u32_e32 v2, vcc, s0, v2
	v_subb_co_u32_e32 v3, vcc, v4, v3, vcc
	v_cmp_gt_u64_e32 vcc, v[2:3], v[0:1]
	s_mov_b64 s[2:3], 0
                                        ; implicit-def: $vgpr35
	s_and_saveexec_b64 s[0:1], vcc
	s_cbranch_execz .LBB76_200
; %bb.193:                              ;   in Loop: Header=BB76_10 Depth=1
	v_pk_mov_b32 v[4:5], v[10:11], v[10:11] op_sel:[0,1]
	v_pk_mov_b32 v[6:7], v[0:1], v[0:1] op_sel:[0,1]
                                        ; implicit-def: $sgpr8_sgpr9
	s_branch .LBB76_195
.LBB76_194:                             ;   in Loop: Header=BB76_195 Depth=2
	s_or_b64 exec, exec, s[24:25]
	s_waitcnt lgkmcnt(0)
	s_barrier
	ds_read_u16 v8, v13 offset:3072
	v_mov_b32_e32 v9, s74
	v_add_co_u32_e32 v6, vcc, s33, v6
	v_addc_co_u32_e32 v7, vcc, v7, v9, vcc
	s_waitcnt lgkmcnt(0)
	v_cmp_ne_u16_sdwa s[24:25], v8, v1 src0_sel:BYTE_0 src1_sel:DWORD
	v_cmp_ge_u64_e32 vcc, v[6:7], v[2:3]
	s_or_b64 s[28:29], vcc, s[24:25]
	s_and_b64 s[28:29], exec, s[28:29]
	s_or_b64 s[2:3], s[28:29], s[2:3]
	v_mov_b32_e32 v9, s75
	v_add_co_u32_e32 v4, vcc, s26, v4
	s_andn2_b64 s[8:9], s[8:9], exec
	s_and_b64 s[24:25], s[24:25], exec
	v_addc_co_u32_e32 v5, vcc, v5, v9, vcc
	s_or_b64 s[8:9], s[8:9], s[24:25]
	s_barrier
	s_andn2_b64 exec, exec, s[2:3]
	s_cbranch_execz .LBB76_199
.LBB76_195:                             ;   Parent Loop BB76_10 Depth=1
                                        ; =>  This Inner Loop Header: Depth=2
	v_cmp_gt_u64_e32 vcc, s[52:53], v[6:7]
	v_mov_b32_e32 v8, 0
	s_and_saveexec_b64 s[24:25], vcc
	s_cbranch_execz .LBB76_197
; %bb.196:                              ;   in Loop: Header=BB76_195 Depth=2
	global_load_ubyte v8, v[4:5], off
.LBB76_197:                             ;   in Loop: Header=BB76_195 Depth=2
	s_or_b64 exec, exec, s[24:25]
	s_waitcnt vmcnt(0)
	v_and_b32_e32 v9, s71, v8
	v_cmp_eq_u32_sdwa s[24:25], v9, s78 src0_sel:BYTE_0 src1_sel:DWORD
	s_and_b64 s[28:29], vcc, s[24:25]
	s_and_saveexec_b64 s[24:25], s[28:29]
	s_cbranch_execz .LBB76_194
; %bb.198:                              ;   in Loop: Header=BB76_195 Depth=2
	v_lshlrev_b16_e32 v8, 8, v8
	v_or_b32_e32 v8, 1, v8
	ds_write_b16 v13, v8 offset:3072
	s_branch .LBB76_194
.LBB76_199:                             ;   in Loop: Header=BB76_10 Depth=1
	s_or_b64 exec, exec, s[2:3]
	v_lshrrev_b16_e32 v35, 8, v8
	s_and_b64 s[2:3], s[8:9], exec
.LBB76_200:                             ;   in Loop: Header=BB76_10 Depth=1
	s_or_b64 exec, exec, s[0:1]
	s_mov_b64 s[30:31], -1
	s_mov_b64 s[24:25], 0
	s_mov_b64 s[28:29], 0
.LBB76_201:                             ;   in Loop: Header=BB76_10 Depth=1
	s_mov_b64 s[0:1], 0
                                        ; implicit-def: $sgpr45
	s_and_saveexec_b64 s[34:35], s[2:3]
	s_cbranch_execz .LBB76_261
; %bb.202:                              ;   in Loop: Header=BB76_10 Depth=1
	s_xor_b64 s[0:1], s[36:37], -1
	s_andn2_b64 vcc, exec, s[0:1]
	s_mov_b32 s45, 1
	s_cbranch_vccnz .LBB76_213
; %bb.203:                              ;   in Loop: Header=BB76_10 Depth=1
	v_pk_mov_b32 v[2:3], s[14:15], s[14:15] op_sel:[0,1]
	v_cmp_gt_u64_e32 vcc, s[72:73], v[2:3]
	s_mov_b64 s[0:1], -1
                                        ; implicit-def: $sgpr45
                                        ; implicit-def: $sgpr2
                                        ; implicit-def: $sgpr3
	s_cbranch_vccnz .LBB76_209
; %bb.204:                              ;   in Loop: Header=BB76_10 Depth=1
	ds_read_b64 v[2:3], v13 offset:5120
	s_waitcnt lgkmcnt(0)
	v_cmp_ne_u64_e32 vcc, 0, v[2:3]
	s_cbranch_vccnz .LBB76_208
; %bb.205:                              ;   in Loop: Header=BB76_10 Depth=1
	s_mov_b64 s[0:1], exec
	v_readlane_b32 s2, v44, 0
	v_readlane_b32 s3, v44, 1
	s_and_b64 s[2:3], s[0:1], s[2:3]
	s_mov_b64 exec, s[2:3]
	s_cbranch_execz .LBB76_207
; %bb.206:                              ;   in Loop: Header=BB76_10 Depth=1
	v_pk_mov_b32 v[2:3], s[14:15], s[14:15] op_sel:[0,1]
	ds_write_b64 v13, v[2:3] offset:5128
.LBB76_207:                             ;   in Loop: Header=BB76_10 Depth=1
	s_or_b64 exec, exec, s[0:1]
	s_waitcnt lgkmcnt(0)
	s_barrier
.LBB76_208:                             ;   in Loop: Header=BB76_10 Depth=1
	s_lshl_b32 s0, 2, s38
	s_and_b32 s1, s78, s39
	s_or_b32 s2, s1, s0
	s_or_b32 s3, s71, s44
	s_mov_b64 s[0:1], 0
	s_mov_b32 s45, 8
.LBB76_209:                             ;   in Loop: Header=BB76_10 Depth=1
	s_andn2_b64 vcc, exec, s[0:1]
	s_cbranch_vccnz .LBB76_211
; %bb.210:                              ;   in Loop: Header=BB76_10 Depth=1
	s_sub_u32 s72, s72, s14
	s_subb_u32 s73, s73, s15
	s_mov_b64 s[0:1], -1
	s_mov_b32 s45, 0
	s_mov_b32 s2, s78
	;; [unrolled: 1-line block ×3, first 2 shown]
.LBB76_211:                             ;   in Loop: Header=BB76_10 Depth=1
	s_mov_b32 s71, s3
	s_mov_b32 s78, s2
	s_andn2_b64 vcc, exec, s[0:1]
	s_mov_b64 s[40:41], -1
	s_cbranch_vccz .LBB76_214
.LBB76_212:                             ;   in Loop: Header=BB76_10 Depth=1
                                        ; implicit-def: $sgpr0_sgpr1
                                        ; implicit-def: $sgpr8_sgpr9
                                        ; implicit-def: $sgpr2_sgpr3
	s_branch .LBB76_260
.LBB76_213:                             ;   in Loop: Header=BB76_10 Depth=1
	s_mov_b64 s[72:73], 1
	s_mov_b64 s[40:41], -1
	s_cbranch_execnz .LBB76_212
.LBB76_214:                             ;   in Loop: Header=BB76_10 Depth=1
	s_cmp_eq_u64 s[6:7], 1
	s_cselect_b64 s[0:1], -1, 0
	s_cmp_eq_u64 s[72:73], 1
	s_cselect_b64 s[2:3], -1, 0
	s_and_b64 s[14:15], s[0:1], s[2:3]
	s_mov_b64 s[36:37], -1
	s_and_b64 vcc, exec, s[14:15]
	s_cbranch_vccz .LBB76_228
; %bb.215:                              ;   in Loop: Header=BB76_10 Depth=1
	ds_read_b64 v[2:3], v13 offset:5120
	s_waitcnt lgkmcnt(0)
	s_barrier
	v_readfirstlane_b32 s0, v2
	v_readfirstlane_b32 s1, v3
	s_mov_b64 s[2:3], exec
	v_readlane_b32 s8, v44, 14
	v_readlane_b32 s9, v44, 15
	s_and_b64 s[8:9], s[2:3], s[8:9]
	s_mov_b64 exec, s[8:9]
	s_cbranch_execz .LBB76_217
; %bb.216:                              ;   in Loop: Header=BB76_10 Depth=1
	ds_write_b8 v0, v1 offset:3072
.LBB76_217:                             ;   in Loop: Header=BB76_10 Depth=1
	s_or_b64 exec, exec, s[2:3]
	s_or_b32 s78, s78, s44
	s_or_b32 s71, s71, s44
	s_cmp_eq_u64 s[0:1], 0
	s_waitcnt lgkmcnt(0)
	s_barrier
	s_cbranch_scc1 .LBB76_231
; %bb.218:                              ;   in Loop: Header=BB76_10 Depth=1
	v_readlane_b32 s2, v44, 20
	s_add_u32 s36, s2, s0
	v_readlane_b32 s2, v44, 22
	s_addc_u32 s3, s2, s1
	s_mov_b32 s2, s69
	s_cmp_lg_u64 s[2:3], 0
	s_cbranch_scc0 .LBB76_266
; %bb.219:                              ;   in Loop: Header=BB76_10 Depth=1
	v_cvt_f32_u32_e32 v2, s33
	s_sub_u32 s2, 0, s33
	s_subb_u32 s8, 0, 0
	v_mac_f32_e32 v2, 0, v34
	v_rcp_f32_e32 v2, v2
	v_mul_f32_e32 v2, 0x5f7ffffc, v2
	v_mul_f32_e32 v3, 0x2f800000, v2
	v_trunc_f32_e32 v3, v3
	v_mac_f32_e32 v2, 0xcf800000, v3
	v_cvt_u32_f32_e32 v3, v3
	v_cvt_u32_f32_e32 v2, v2
	v_readfirstlane_b32 s9, v3
	v_readfirstlane_b32 s37, v2
	s_mul_i32 s38, s2, s9
	s_mul_hi_u32 s40, s2, s37
	s_mul_i32 s39, s8, s37
	s_add_i32 s38, s40, s38
	s_mul_i32 s41, s2, s37
	s_add_i32 s38, s38, s39
	s_mul_hi_u32 s40, s37, s41
	s_mul_hi_u32 s39, s37, s38
	s_mul_i32 s37, s37, s38
	s_add_u32 s37, s40, s37
	s_addc_u32 s39, 0, s39
	s_mul_hi_u32 s42, s9, s41
	s_mul_i32 s41, s9, s41
	s_add_u32 s37, s37, s41
	s_mul_hi_u32 s40, s9, s38
	s_addc_u32 s37, s39, s42
	s_addc_u32 s39, s40, 0
	s_mul_i32 s38, s9, s38
	s_add_u32 s37, s37, s38
	s_addc_u32 s38, 0, s39
	v_add_co_u32_e32 v2, vcc, s37, v2
	s_cmp_lg_u64 vcc, 0
	s_addc_u32 s9, s9, s38
	v_readfirstlane_b32 s38, v2
	s_mul_i32 s37, s2, s9
	s_mul_hi_u32 s39, s2, s38
	s_add_i32 s37, s39, s37
	s_mul_i32 s8, s8, s38
	s_add_i32 s37, s37, s8
	s_mul_i32 s2, s2, s38
	s_mul_hi_u32 s39, s9, s2
	s_mul_i32 s40, s9, s2
	s_mul_i32 s42, s38, s37
	s_mul_hi_u32 s2, s38, s2
	s_mul_hi_u32 s41, s38, s37
	s_add_u32 s2, s2, s42
	s_addc_u32 s38, 0, s41
	s_add_u32 s2, s2, s40
	s_mul_hi_u32 s8, s9, s37
	s_addc_u32 s2, s38, s39
	s_addc_u32 s8, s8, 0
	s_mul_i32 s37, s9, s37
	s_add_u32 s2, s2, s37
	s_addc_u32 s8, 0, s8
	v_add_co_u32_e32 v2, vcc, s2, v2
	s_cmp_lg_u64 vcc, 0
	s_addc_u32 s2, s9, s8
	v_readfirstlane_b32 s37, v2
	s_mul_i32 s9, s36, s2
	s_mul_hi_u32 s38, s36, s37
	s_mul_hi_u32 s8, s36, s2
	s_add_u32 s9, s38, s9
	s_addc_u32 s8, 0, s8
	s_mul_hi_u32 s39, s3, s37
	s_mul_i32 s37, s3, s37
	s_add_u32 s9, s9, s37
	s_mul_hi_u32 s38, s3, s2
	s_addc_u32 s8, s8, s39
	s_addc_u32 s9, s38, 0
	s_mul_i32 s2, s3, s2
	s_add_u32 s2, s8, s2
	s_addc_u32 s8, 0, s9
	s_mul_hi_u32 s9, s33, s2
	s_mul_i32 s2, s33, s2
	s_mul_i32 s8, s33, s8
	v_mov_b32_e32 v2, s2
	s_add_i32 s9, s9, s8
	v_sub_co_u32_e32 v2, vcc, s36, v2
	s_cmp_lg_u64 vcc, 0
	s_subb_u32 s2, s3, s9
	v_subrev_co_u32_e32 v3, vcc, s33, v2
	s_cmp_lg_u64 vcc, 0
	s_subb_u32 s8, s2, 0
	v_subrev_co_u32_e32 v4, vcc, s33, v3
	s_cmp_lg_u64 vcc, 0
	s_subb_u32 s9, s8, 0
	v_cmp_le_u32_e32 vcc, s33, v3
	s_cmp_eq_u32 s8, 0
	v_cndmask_b32_e64 v5, 0, -1, vcc
	s_cselect_b64 vcc, -1, 0
	v_cndmask_b32_e32 v5, -1, v5, vcc
	v_mov_b32_e32 v6, s8
	v_mov_b32_e32 v7, s9
	v_cmp_ne_u32_e32 vcc, 0, v5
	v_cndmask_b32_e32 v5, v6, v7, vcc
	v_cndmask_b32_e32 v4, v3, v4, vcc
	v_cmp_le_u32_e32 vcc, s33, v2
	s_cmp_eq_u32 s2, 0
	v_cndmask_b32_e64 v3, 0, -1, vcc
	s_cselect_b64 vcc, -1, 0
	v_cndmask_b32_e32 v3, -1, v3, vcc
	v_mov_b32_e32 v6, s2
	v_cmp_ne_u32_e32 vcc, 0, v3
	v_cndmask_b32_e32 v3, v6, v5, vcc
	v_cndmask_b32_e32 v2, v2, v4, vcc
	s_cbranch_execnz .LBB76_221
.LBB76_220:                             ;   in Loop: Header=BB76_10 Depth=1
	v_cvt_f32_u32_e32 v2, s33
	s_sub_i32 s2, 0, s33
	v_rcp_iflag_f32_e32 v2, v2
	v_mul_f32_e32 v2, 0x4f7ffffe, v2
	v_cvt_u32_f32_e32 v2, v2
	v_mul_lo_u32 v3, s2, v2
	v_mul_hi_u32 v3, v2, v3
	v_add_u32_e32 v2, v2, v3
	v_mul_hi_u32 v2, s36, v2
	v_mul_lo_u32 v2, v2, s33
	v_sub_u32_e32 v2, s36, v2
	v_subrev_u32_e32 v3, s33, v2
	v_cmp_le_u32_e32 vcc, s33, v2
	v_cndmask_b32_e32 v2, v2, v3, vcc
	v_subrev_u32_e32 v3, s33, v2
	v_cmp_le_u32_e32 vcc, s33, v2
	v_cndmask_b32_e32 v12, v2, v3, vcc
	v_pk_mov_b32 v[2:3], v[12:13], v[12:13] op_sel:[0,1]
.LBB76_221:                             ;   in Loop: Header=BB76_10 Depth=1
	v_mov_b32_e32 v4, s3
	v_sub_co_u32_e32 v2, vcc, s36, v2
	v_subb_co_u32_e32 v3, vcc, v4, v3, vcc
	v_cmp_gt_u64_e32 vcc, v[2:3], v[0:1]
	s_mov_b64 s[36:37], 0
                                        ; implicit-def: $vgpr35
	s_and_saveexec_b64 s[2:3], vcc
	s_cbranch_execz .LBB76_233
; %bb.222:                              ;   in Loop: Header=BB76_10 Depth=1
	s_mov_b64 s[8:9], 0
	v_mov_b32_e32 v6, v0
	v_pk_mov_b32 v[4:5], v[0:1], v[0:1] op_sel:[0,1]
                                        ; implicit-def: $sgpr36_sgpr37
	s_branch .LBB76_224
.LBB76_223:                             ;   in Loop: Header=BB76_224 Depth=2
	s_or_b64 exec, exec, s[38:39]
	s_waitcnt lgkmcnt(0)
	s_barrier
	ds_read_u16 v7, v13 offset:3072
	v_mov_b32_e32 v8, s74
	v_add_co_u32_e32 v4, vcc, s33, v4
	v_addc_co_u32_e32 v5, vcc, v5, v8, vcc
	s_waitcnt lgkmcnt(0)
	v_cmp_ne_u16_sdwa s[38:39], v7, v1 src0_sel:BYTE_0 src1_sel:DWORD
	v_cmp_ge_u64_e32 vcc, v[4:5], v[2:3]
	s_or_b64 s[40:41], vcc, s[38:39]
	s_and_b64 s[40:41], exec, s[40:41]
	s_or_b64 s[8:9], s[40:41], s[8:9]
	s_andn2_b64 s[36:37], s[36:37], exec
	s_and_b64 s[38:39], s[38:39], exec
	v_add_u32_e32 v6, s33, v6
	s_or_b64 s[36:37], s[36:37], s[38:39]
	s_barrier
	s_andn2_b64 exec, exec, s[8:9]
	s_cbranch_execz .LBB76_232
.LBB76_224:                             ;   Parent Loop BB76_10 Depth=1
                                        ; =>  This Inner Loop Header: Depth=2
	v_cmp_gt_u64_e32 vcc, s[0:1], v[4:5]
	v_mov_b32_e32 v7, 0
	s_and_saveexec_b64 s[38:39], vcc
	s_cbranch_execz .LBB76_226
; %bb.225:                              ;   in Loop: Header=BB76_224 Depth=2
	ds_read_u8 v7, v6
.LBB76_226:                             ;   in Loop: Header=BB76_224 Depth=2
	s_or_b64 exec, exec, s[38:39]
	s_waitcnt lgkmcnt(0)
	v_and_b32_e32 v8, s71, v7
	v_cmp_eq_u32_sdwa s[38:39], v8, s78 src0_sel:BYTE_0 src1_sel:DWORD
	s_and_b64 s[40:41], vcc, s[38:39]
	s_and_saveexec_b64 s[38:39], s[40:41]
	s_cbranch_execz .LBB76_223
; %bb.227:                              ;   in Loop: Header=BB76_224 Depth=2
	v_lshlrev_b16_e32 v7, 8, v7
	v_or_b32_e32 v7, 1, v7
	ds_write_b16 v13, v7 offset:3072
	s_branch .LBB76_223
.LBB76_228:                             ;   in Loop: Header=BB76_10 Depth=1
                                        ; implicit-def: $sgpr0_sgpr1
                                        ; implicit-def: $sgpr8_sgpr9
                                        ; implicit-def: $sgpr2_sgpr3
	s_branch .LBB76_246
.LBB76_229:                             ;   in Loop: Header=BB76_10 Depth=1
                                        ; implicit-def: $vgpr2_vgpr3
	s_branch .LBB76_175
.LBB76_230:                             ;   in Loop: Header=BB76_10 Depth=1
                                        ; implicit-def: $vgpr2_vgpr3
	s_branch .LBB76_191
.LBB76_231:                             ;   in Loop: Header=BB76_10 Depth=1
	s_mov_b64 s[0:1], -1
	s_mov_b64 s[36:37], 0
                                        ; implicit-def: $sgpr2_sgpr3
                                        ; implicit-def: $vgpr35
	s_mov_b64 s[8:9], s[0:1]
	s_cbranch_execnz .LBB76_234
	s_branch .LBB76_246
.LBB76_232:                             ;   in Loop: Header=BB76_10 Depth=1
	s_or_b64 exec, exec, s[8:9]
	v_lshrrev_b16_e32 v35, 8, v7
	s_and_b64 s[36:37], s[36:37], exec
.LBB76_233:                             ;   in Loop: Header=BB76_10 Depth=1
	s_or_b64 exec, exec, s[2:3]
	s_mov_b64 s[2:3], -1
	s_mov_b64 s[0:1], 0
	s_mov_b64 s[8:9], s[0:1]
	s_branch .LBB76_246
.LBB76_234:                             ;   in Loop: Header=BB76_10 Depth=1
	s_mov_b32 s76, s69
	s_cmp_lg_u64 s[76:77], 0
	s_cbranch_scc0 .LBB76_267
; %bb.235:                              ;   in Loop: Header=BB76_10 Depth=1
	v_cvt_f32_u32_e32 v2, s33
	s_sub_u32 s0, 0, s33
	s_subb_u32 s1, 0, 0
	v_readlane_b32 s27, v44, 21
	v_mac_f32_e32 v2, 0, v34
	v_rcp_f32_e32 v2, v2
	v_mul_f32_e32 v2, 0x5f7ffffc, v2
	v_mul_f32_e32 v3, 0x2f800000, v2
	v_trunc_f32_e32 v3, v3
	v_mac_f32_e32 v2, 0xcf800000, v3
	v_cvt_u32_f32_e32 v3, v3
	v_cvt_u32_f32_e32 v2, v2
	v_readfirstlane_b32 s2, v3
	v_readfirstlane_b32 s3, v2
	s_mul_i32 s8, s0, s2
	s_mul_hi_u32 s36, s0, s3
	s_mul_i32 s9, s1, s3
	s_add_i32 s8, s36, s8
	s_mul_i32 s37, s0, s3
	s_add_i32 s8, s8, s9
	s_mul_hi_u32 s36, s3, s37
	s_mul_hi_u32 s9, s3, s8
	s_mul_i32 s3, s3, s8
	s_add_u32 s3, s36, s3
	s_addc_u32 s9, 0, s9
	s_mul_hi_u32 s38, s2, s37
	s_mul_i32 s37, s2, s37
	s_add_u32 s3, s3, s37
	s_mul_hi_u32 s36, s2, s8
	s_addc_u32 s3, s9, s38
	s_addc_u32 s9, s36, 0
	s_mul_i32 s8, s2, s8
	s_add_u32 s3, s3, s8
	s_addc_u32 s8, 0, s9
	v_add_co_u32_e32 v2, vcc, s3, v2
	s_cmp_lg_u64 vcc, 0
	s_addc_u32 s2, s2, s8
	v_readfirstlane_b32 s8, v2
	s_mul_i32 s3, s0, s2
	s_mul_hi_u32 s9, s0, s8
	s_add_i32 s3, s9, s3
	s_mul_i32 s1, s1, s8
	s_add_i32 s3, s3, s1
	s_mul_i32 s0, s0, s8
	s_mul_hi_u32 s9, s2, s0
	s_mul_i32 s36, s2, s0
	s_mul_i32 s38, s8, s3
	s_mul_hi_u32 s0, s8, s0
	s_mul_hi_u32 s37, s8, s3
	s_add_u32 s0, s0, s38
	s_addc_u32 s8, 0, s37
	s_add_u32 s0, s0, s36
	s_mul_hi_u32 s1, s2, s3
	s_addc_u32 s0, s8, s9
	s_addc_u32 s1, s1, 0
	s_mul_i32 s3, s2, s3
	s_add_u32 s0, s0, s3
	s_addc_u32 s1, 0, s1
	v_add_co_u32_e32 v2, vcc, s0, v2
	s_cmp_lg_u64 vcc, 0
	s_addc_u32 s0, s2, s1
	v_readfirstlane_b32 s3, v2
	s_mul_i32 s2, s27, s0
	s_mul_hi_u32 s8, s27, s3
	s_mul_hi_u32 s1, s27, s0
	s_add_u32 s2, s8, s2
	s_addc_u32 s1, 0, s1
	s_mul_hi_u32 s9, s77, s3
	s_mul_i32 s3, s77, s3
	s_add_u32 s2, s2, s3
	s_mul_hi_u32 s8, s77, s0
	s_addc_u32 s1, s1, s9
	s_addc_u32 s2, s8, 0
	s_mul_i32 s0, s77, s0
	s_add_u32 s0, s1, s0
	s_addc_u32 s1, 0, s2
	s_mul_hi_u32 s2, s33, s0
	s_mul_i32 s0, s33, s0
	s_mul_i32 s1, s33, s1
	v_mov_b32_e32 v2, s0
	s_add_i32 s2, s2, s1
	v_sub_co_u32_e32 v2, vcc, s27, v2
	s_cmp_lg_u64 vcc, 0
	s_subb_u32 s0, s77, s2
	v_subrev_co_u32_e32 v3, vcc, s33, v2
	s_cmp_lg_u64 vcc, 0
	s_subb_u32 s1, s0, 0
	v_subrev_co_u32_e32 v4, vcc, s33, v3
	s_cmp_lg_u64 vcc, 0
	s_subb_u32 s2, s1, 0
	v_cmp_le_u32_e32 vcc, s33, v3
	s_cmp_eq_u32 s1, 0
	v_cndmask_b32_e64 v5, 0, -1, vcc
	s_cselect_b64 vcc, -1, 0
	v_cndmask_b32_e32 v5, -1, v5, vcc
	v_mov_b32_e32 v6, s1
	v_mov_b32_e32 v7, s2
	v_cmp_ne_u32_e32 vcc, 0, v5
	v_cndmask_b32_e32 v5, v6, v7, vcc
	v_cndmask_b32_e32 v4, v3, v4, vcc
	v_cmp_le_u32_e32 vcc, s33, v2
	s_cmp_eq_u32 s0, 0
	v_cndmask_b32_e64 v3, 0, -1, vcc
	s_cselect_b64 vcc, -1, 0
	v_cndmask_b32_e32 v3, -1, v3, vcc
	v_mov_b32_e32 v6, s0
	v_cmp_ne_u32_e32 vcc, 0, v3
	v_cndmask_b32_e32 v3, v6, v5, vcc
	v_cndmask_b32_e32 v2, v2, v4, vcc
	s_cbranch_execnz .LBB76_237
.LBB76_236:                             ;   in Loop: Header=BB76_10 Depth=1
	v_cvt_f32_u32_e32 v2, s33
	s_sub_i32 s0, 0, s33
	v_rcp_iflag_f32_e32 v2, v2
	v_mul_f32_e32 v2, 0x4f7ffffe, v2
	v_cvt_u32_f32_e32 v2, v2
	v_mul_lo_u32 v3, s0, v2
	v_mul_hi_u32 v3, v2, v3
	v_add_u32_e32 v2, v2, v3
	v_readlane_b32 s0, v44, 21
	v_mul_hi_u32 v2, s0, v2
	v_mul_lo_u32 v2, v2, s33
	v_sub_u32_e32 v2, s0, v2
	v_subrev_u32_e32 v3, s33, v2
	v_cmp_le_u32_e32 vcc, s33, v2
	v_cndmask_b32_e32 v2, v2, v3, vcc
	v_subrev_u32_e32 v3, s33, v2
	v_cmp_le_u32_e32 vcc, s33, v2
	v_cndmask_b32_e32 v12, v2, v3, vcc
	v_pk_mov_b32 v[2:3], v[12:13], v[12:13] op_sel:[0,1]
.LBB76_237:                             ;   in Loop: Header=BB76_10 Depth=1
	v_readlane_b32 s0, v44, 21
	v_mov_b32_e32 v4, s77
	v_sub_co_u32_e32 v2, vcc, s0, v2
	v_subb_co_u32_e32 v3, vcc, v4, v3, vcc
	v_cmp_gt_u64_e32 vcc, v[2:3], v[0:1]
	s_mov_b64 s[36:37], 0
                                        ; implicit-def: $vgpr35
	s_and_saveexec_b64 s[0:1], vcc
	s_cbranch_execz .LBB76_245
; %bb.238:                              ;   in Loop: Header=BB76_10 Depth=1
	s_mov_b64 s[2:3], 0
	v_pk_mov_b32 v[4:5], v[10:11], v[10:11] op_sel:[0,1]
	v_pk_mov_b32 v[6:7], v[0:1], v[0:1] op_sel:[0,1]
                                        ; implicit-def: $sgpr8_sgpr9
	s_branch .LBB76_240
.LBB76_239:                             ;   in Loop: Header=BB76_240 Depth=2
	s_or_b64 exec, exec, s[36:37]
	s_waitcnt lgkmcnt(0)
	s_barrier
	ds_read_u16 v8, v13 offset:3072
	v_mov_b32_e32 v9, s74
	v_add_co_u32_e32 v6, vcc, s33, v6
	v_addc_co_u32_e32 v7, vcc, v7, v9, vcc
	s_waitcnt lgkmcnt(0)
	v_cmp_ne_u16_sdwa s[36:37], v8, v1 src0_sel:BYTE_0 src1_sel:DWORD
	v_cmp_ge_u64_e32 vcc, v[6:7], v[2:3]
	s_or_b64 s[38:39], vcc, s[36:37]
	s_and_b64 s[38:39], exec, s[38:39]
	s_or_b64 s[2:3], s[38:39], s[2:3]
	v_mov_b32_e32 v9, s75
	v_add_co_u32_e32 v4, vcc, s26, v4
	s_andn2_b64 s[8:9], s[8:9], exec
	s_and_b64 s[36:37], s[36:37], exec
	v_addc_co_u32_e32 v5, vcc, v5, v9, vcc
	s_or_b64 s[8:9], s[8:9], s[36:37]
	s_barrier
	s_andn2_b64 exec, exec, s[2:3]
	s_cbranch_execz .LBB76_244
.LBB76_240:                             ;   Parent Loop BB76_10 Depth=1
                                        ; =>  This Inner Loop Header: Depth=2
	v_cmp_gt_u64_e32 vcc, s[52:53], v[6:7]
	v_mov_b32_e32 v8, 0
	s_and_saveexec_b64 s[36:37], vcc
	s_cbranch_execz .LBB76_242
; %bb.241:                              ;   in Loop: Header=BB76_240 Depth=2
	global_load_ubyte v8, v[4:5], off
.LBB76_242:                             ;   in Loop: Header=BB76_240 Depth=2
	s_or_b64 exec, exec, s[36:37]
	s_waitcnt vmcnt(0)
	v_and_b32_e32 v9, s71, v8
	v_cmp_eq_u32_sdwa s[36:37], v9, s78 src0_sel:BYTE_0 src1_sel:DWORD
	s_and_b64 s[38:39], vcc, s[36:37]
	s_and_saveexec_b64 s[36:37], s[38:39]
	s_cbranch_execz .LBB76_239
; %bb.243:                              ;   in Loop: Header=BB76_240 Depth=2
	v_lshlrev_b16_e32 v8, 8, v8
	v_or_b32_e32 v8, 1, v8
	ds_write_b16 v13, v8 offset:3072
	s_branch .LBB76_239
.LBB76_244:                             ;   in Loop: Header=BB76_10 Depth=1
	s_or_b64 exec, exec, s[2:3]
	v_lshrrev_b16_e32 v35, 8, v8
	s_and_b64 s[36:37], s[8:9], exec
.LBB76_245:                             ;   in Loop: Header=BB76_10 Depth=1
	s_or_b64 exec, exec, s[0:1]
	s_mov_b64 s[8:9], -1
	s_mov_b64 s[0:1], 0
	s_mov_b64 s[2:3], 0
.LBB76_246:                             ;   in Loop: Header=BB76_10 Depth=1
	s_mov_b64 s[40:41], 0
                                        ; implicit-def: $sgpr45
                                        ; implicit-def: $sgpr42_sgpr43
	s_and_saveexec_b64 s[38:39], s[36:37]
	s_cbranch_execz .LBB76_259
; %bb.247:                              ;   in Loop: Header=BB76_10 Depth=1
	s_xor_b64 s[14:15], s[14:15], -1
	s_mov_b64 s[42:43], 1
	s_andn2_b64 vcc, exec, s[14:15]
	s_mov_b32 s45, 1
	s_cbranch_vccnz .LBB76_258
; %bb.248:                              ;   in Loop: Header=BB76_10 Depth=1
	v_pk_mov_b32 v[2:3], s[6:7], s[6:7] op_sel:[0,1]
	v_cmp_gt_u64_e32 vcc, s[72:73], v[2:3]
	s_cbranch_vccnz .LBB76_254
; %bb.249:                              ;   in Loop: Header=BB76_10 Depth=1
	ds_read_b64 v[2:3], v13 offset:5120
	s_waitcnt lgkmcnt(0)
	v_cmp_ne_u64_e32 vcc, 0, v[2:3]
	s_cbranch_vccnz .LBB76_253
; %bb.250:                              ;   in Loop: Header=BB76_10 Depth=1
	s_mov_b64 s[14:15], exec
	v_readlane_b32 s36, v44, 0
	v_readlane_b32 s37, v44, 1
	s_and_b64 s[36:37], s[14:15], s[36:37]
	s_mov_b64 exec, s[36:37]
	s_cbranch_execz .LBB76_252
; %bb.251:                              ;   in Loop: Header=BB76_10 Depth=1
	v_pk_mov_b32 v[2:3], s[6:7], s[6:7] op_sel:[0,1]
	ds_write_b64 v13, v[2:3] offset:5128
.LBB76_252:                             ;   in Loop: Header=BB76_10 Depth=1
	s_or_b64 exec, exec, s[14:15]
	s_waitcnt lgkmcnt(0)
	s_barrier
.LBB76_253:                             ;   in Loop: Header=BB76_10 Depth=1
	s_or_b32 s36, s78, s44
	s_or_b32 s37, s71, s44
	s_mov_b64 s[14:15], 0
	s_mov_b32 s45, 8
	s_branch .LBB76_255
.LBB76_254:                             ;   in Loop: Header=BB76_10 Depth=1
	s_mov_b64 s[14:15], -1
                                        ; implicit-def: $sgpr45
                                        ; implicit-def: $sgpr36
                                        ; implicit-def: $sgpr37
.LBB76_255:                             ;   in Loop: Header=BB76_10 Depth=1
	s_andn2_b64 vcc, exec, s[14:15]
	s_cbranch_vccnz .LBB76_257
; %bb.256:                              ;   in Loop: Header=BB76_10 Depth=1
	s_sub_u32 s72, s72, s6
	s_subb_u32 s73, s73, s7
	s_mov_b32 s45, 8
	s_mov_b32 s36, s78
	;; [unrolled: 1-line block ×3, first 2 shown]
.LBB76_257:                             ;   in Loop: Header=BB76_10 Depth=1
	s_mov_b64 s[42:43], s[72:73]
	s_mov_b32 s78, s36
	s_mov_b32 s71, s37
.LBB76_258:                             ;   in Loop: Header=BB76_10 Depth=1
	s_mov_b64 s[40:41], exec
.LBB76_259:                             ;   in Loop: Header=BB76_10 Depth=1
	s_or_b64 exec, exec, s[38:39]
	s_mov_b64 s[72:73], s[42:43]
.LBB76_260:                             ;   in Loop: Header=BB76_10 Depth=1
	s_andn2_b64 s[6:7], s[24:25], exec
	s_and_b64 s[0:1], s[0:1], exec
	s_or_b64 s[24:25], s[6:7], s[0:1]
	s_andn2_b64 s[0:1], s[30:31], exec
	s_and_b64 s[6:7], s[8:9], exec
	s_or_b64 s[30:31], s[0:1], s[6:7]
	;; [unrolled: 3-line block ×3, first 2 shown]
	s_and_b64 s[0:1], s[40:41], exec
.LBB76_261:                             ;   in Loop: Header=BB76_10 Depth=1
	s_or_b64 exec, exec, s[34:35]
.LBB76_262:                             ;   in Loop: Header=BB76_10 Depth=1
	s_andn2_b64 s[2:3], s[18:19], exec
	s_and_b64 s[6:7], s[24:25], exec
	s_or_b64 s[18:19], s[2:3], s[6:7]
	s_andn2_b64 s[2:3], s[20:21], exec
	s_and_b64 s[6:7], s[30:31], exec
	s_or_b64 s[20:21], s[2:3], s[6:7]
	;; [unrolled: 3-line block ×3, first 2 shown]
	s_and_b64 s[0:1], s[0:1], exec
.LBB76_263:                             ;   in Loop: Header=BB76_10 Depth=1
	s_or_b64 exec, exec, s[22:23]
	s_and_saveexec_b64 s[2:3], s[0:1]
	s_xor_b64 s[0:1], exec, s[2:3]
	s_cbranch_execz .LBB76_8
.LBB76_264:                             ;   in Loop: Header=BB76_10 Depth=1
	s_and_b32 s2, s45, -9
	s_cmp_eq_u32 s2, 0
	s_cbranch_scc1 .LBB76_6
; %bb.265:                              ;   in Loop: Header=BB76_10 Depth=1
	s_mov_b64 s[2:3], -1
                                        ; implicit-def: $sgpr71
                                        ; implicit-def: $sgpr72_sgpr73
                                        ; implicit-def: $sgpr85
                                        ; implicit-def: $sgpr79
	s_mov_b64 s[6:7], -1
	s_branch .LBB76_7
.LBB76_266:                             ;   in Loop: Header=BB76_10 Depth=1
                                        ; implicit-def: $vgpr2_vgpr3
	s_branch .LBB76_220
.LBB76_267:                             ;   in Loop: Header=BB76_10 Depth=1
                                        ; implicit-def: $vgpr2_vgpr3
	s_branch .LBB76_236
.LBB76_268:
	s_or_b64 exec, exec, s[86:87]
	s_xor_b64 s[6:7], s[94:95], -1
	s_xor_b64 s[0:1], s[90:91], -1
	;; [unrolled: 1-line block ×3, first 2 shown]
	s_mov_b64 s[2:3], 0
	s_and_saveexec_b64 s[8:9], s[0:1]
	s_xor_b64 s[0:1], exec, s[8:9]
	s_cbranch_execnz .LBB76_273
; %bb.269:
	s_andn2_saveexec_b64 s[0:1], s[0:1]
	s_cbranch_execnz .LBB76_286
.LBB76_270:
	s_or_b64 exec, exec, s[0:1]
	s_and_saveexec_b64 s[0:1], s[2:3]
.LBB76_271:
	; divergent unreachable
.LBB76_272:
	s_endpgm
.LBB76_273:
	s_and_saveexec_b64 s[2:3], s[6:7]
	s_xor_b64 s[2:3], exec, s[2:3]
	s_cbranch_execz .LBB76_284
; %bb.274:
	s_and_saveexec_b64 s[6:7], s[4:5]
	s_xor_b64 s[4:5], exec, s[6:7]
; %bb.275:
	v_mov_b32_e32 v35, v2
; %bb.276:
	s_or_b64 exec, exec, s[4:5]
	v_readlane_b32 s6, v44, 6
	v_readlane_b32 s18, v44, 10
	;; [unrolled: 1-line block ×3, first 2 shown]
	s_mul_i32 s4, s7, s18
	s_mul_hi_u32 s5, s6, s18
	s_add_i32 s5, s5, s4
	s_mul_i32 s4, s6, s18
	v_readlane_b32 s6, v44, 8
	v_readlane_b32 s7, v44, 9
	s_add_u32 s4, s6, s4
	s_addc_u32 s5, s7, s5
	v_mov_b32_e32 v2, 0
	v_readlane_b32 s19, v44, 11
	global_store_byte v2, v35, s[4:5]
	s_mov_b64 s[4:5], exec
	v_readlane_b32 s6, v44, 12
	v_readlane_b32 s7, v44, 13
	s_and_b64 s[6:7], s[4:5], s[6:7]
	s_mov_b64 exec, s[6:7]
	s_cbranch_execz .LBB76_283
; %bb.277:
	s_mov_b64 s[6:7], 0
                                        ; implicit-def: $sgpr8_sgpr9
                                        ; implicit-def: $sgpr12_sgpr13
                                        ; implicit-def: $sgpr10_sgpr11
	s_branch .LBB76_279
.LBB76_278:                             ;   in Loop: Header=BB76_279 Depth=1
	s_or_b64 exec, exec, s[14:15]
	s_and_b64 s[14:15], exec, s[12:13]
	s_or_b64 s[6:7], s[14:15], s[6:7]
	s_andn2_b64 s[8:9], s[8:9], exec
	s_and_b64 s[14:15], s[10:11], exec
	s_or_b64 s[8:9], s[8:9], s[14:15]
	s_andn2_b64 exec, exec, s[6:7]
	s_cbranch_execz .LBB76_281
.LBB76_279:                             ; =>This Inner Loop Header: Depth=1
	global_load_ubyte v4, v[10:11], off
	v_pk_mov_b32 v[2:3], v[0:1], v[0:1] op_sel:[0,1]
	s_or_b64 s[10:11], s[10:11], exec
	s_or_b64 s[12:13], s[12:13], exec
                                        ; implicit-def: $vgpr0_vgpr1
	s_waitcnt vmcnt(0)
	v_cmp_ne_u16_sdwa s[16:17], v4, v35 src0_sel:DWORD src1_sel:BYTE_0
	s_and_saveexec_b64 s[14:15], s[16:17]
	s_cbranch_execz .LBB76_278
; %bb.280:                              ;   in Loop: Header=BB76_279 Depth=1
	v_mov_b32_e32 v1, s74
	v_add_co_u32_e32 v0, vcc, s33, v2
	v_addc_co_u32_e32 v1, vcc, v3, v1, vcc
	v_mov_b32_e32 v4, s75
	v_add_co_u32_e32 v10, vcc, s26, v10
	v_addc_co_u32_e32 v11, vcc, v11, v4, vcc
	v_cmp_le_u64_e32 vcc, s[52:53], v[0:1]
	s_andn2_b64 s[12:13], s[12:13], exec
	s_and_b64 s[16:17], vcc, exec
	s_andn2_b64 s[10:11], s[10:11], exec
	s_or_b64 s[12:13], s[12:13], s[16:17]
	s_branch .LBB76_278
.LBB76_281:
	s_or_b64 exec, exec, s[6:7]
	s_and_saveexec_b64 s[6:7], s[8:9]
	s_xor_b64 s[6:7], exec, s[6:7]
	s_cbranch_execz .LBB76_283
; %bb.282:
	v_readlane_b32 s8, v44, 2
	v_readlane_b32 s9, v44, 3
	s_mul_i32 s6, s9, s18
	s_mul_hi_u32 s7, s8, s18
	s_add_i32 s7, s7, s6
	s_mul_i32 s6, s8, s18
	s_lshl_b64 s[6:7], s[6:7], 3
	v_readlane_b32 s8, v44, 4
	v_readlane_b32 s9, v44, 5
	s_add_u32 s6, s8, s6
	s_addc_u32 s7, s9, s7
	v_mov_b32_e32 v0, 0
	global_store_dwordx2 v0, v[2:3], s[6:7]
.LBB76_283:
	s_or_b64 exec, exec, s[4:5]
.LBB76_284:
	s_or_saveexec_b64 s[2:3], s[2:3]
	s_mov_b64 s[4:5], 0
	s_xor_b64 exec, exec, s[2:3]
	s_cbranch_execnz .LBB76_287
.LBB76_285:
	s_or_b64 exec, exec, s[2:3]
	s_and_b64 s[2:3], s[4:5], exec
	s_andn2_saveexec_b64 s[0:1], s[0:1]
	s_cbranch_execz .LBB76_270
.LBB76_286:
	s_or_b64 s[2:3], s[2:3], exec
	s_trap 2
	s_or_b64 exec, exec, s[0:1]
	s_and_saveexec_b64 s[0:1], s[2:3]
	s_cbranch_execnz .LBB76_271
	s_branch .LBB76_272
.LBB76_287:
	s_mov_b64 s[4:5], exec
	s_trap 2
	s_branch .LBB76_285
	.section	.rodata,"a",@progbits
	.p2align	6, 0x0
	.amdhsa_kernel _ZN2at6native12_GLOBAL__N_112gatherMedianIhmLi1EEEvNS_4cuda6detail10TensorInfoIT_T0_EENS5_IlS7_EENS5_IKS6_S7_EES7_S7_S7_b
		.amdhsa_group_segment_fixed_size 5152
		.amdhsa_private_segment_fixed_size 0
		.amdhsa_kernarg_size 1536
		.amdhsa_user_sgpr_count 6
		.amdhsa_user_sgpr_private_segment_buffer 1
		.amdhsa_user_sgpr_dispatch_ptr 0
		.amdhsa_user_sgpr_queue_ptr 0
		.amdhsa_user_sgpr_kernarg_segment_ptr 1
		.amdhsa_user_sgpr_dispatch_id 0
		.amdhsa_user_sgpr_flat_scratch_init 0
		.amdhsa_user_sgpr_kernarg_preload_length 0
		.amdhsa_user_sgpr_kernarg_preload_offset 0
		.amdhsa_user_sgpr_private_segment_size 0
		.amdhsa_uses_dynamic_stack 0
		.amdhsa_system_sgpr_private_segment_wavefront_offset 0
		.amdhsa_system_sgpr_workgroup_id_x 1
		.amdhsa_system_sgpr_workgroup_id_y 1
		.amdhsa_system_sgpr_workgroup_id_z 1
		.amdhsa_system_sgpr_workgroup_info 0
		.amdhsa_system_vgpr_workitem_id 0
		.amdhsa_next_free_vgpr 45
		.amdhsa_next_free_sgpr 96
		.amdhsa_accum_offset 48
		.amdhsa_reserve_vcc 1
		.amdhsa_reserve_flat_scratch 0
		.amdhsa_float_round_mode_32 0
		.amdhsa_float_round_mode_16_64 0
		.amdhsa_float_denorm_mode_32 3
		.amdhsa_float_denorm_mode_16_64 3
		.amdhsa_dx10_clamp 1
		.amdhsa_ieee_mode 1
		.amdhsa_fp16_overflow 0
		.amdhsa_tg_split 0
		.amdhsa_exception_fp_ieee_invalid_op 0
		.amdhsa_exception_fp_denorm_src 0
		.amdhsa_exception_fp_ieee_div_zero 0
		.amdhsa_exception_fp_ieee_overflow 0
		.amdhsa_exception_fp_ieee_underflow 0
		.amdhsa_exception_fp_ieee_inexact 0
		.amdhsa_exception_int_div_zero 0
	.end_amdhsa_kernel
	.section	.text._ZN2at6native12_GLOBAL__N_112gatherMedianIhmLi1EEEvNS_4cuda6detail10TensorInfoIT_T0_EENS5_IlS7_EENS5_IKS6_S7_EES7_S7_S7_b,"axG",@progbits,_ZN2at6native12_GLOBAL__N_112gatherMedianIhmLi1EEEvNS_4cuda6detail10TensorInfoIT_T0_EENS5_IlS7_EENS5_IKS6_S7_EES7_S7_S7_b,comdat
.Lfunc_end76:
	.size	_ZN2at6native12_GLOBAL__N_112gatherMedianIhmLi1EEEvNS_4cuda6detail10TensorInfoIT_T0_EENS5_IlS7_EENS5_IKS6_S7_EES7_S7_S7_b, .Lfunc_end76-_ZN2at6native12_GLOBAL__N_112gatherMedianIhmLi1EEEvNS_4cuda6detail10TensorInfoIT_T0_EENS5_IlS7_EENS5_IKS6_S7_EES7_S7_S7_b
                                        ; -- End function
	.section	.AMDGPU.csdata,"",@progbits
; Kernel info:
; codeLenInByte = 15000
; NumSgprs: 100
; NumVgprs: 45
; NumAgprs: 0
; TotalNumVgprs: 45
; ScratchSize: 0
; MemoryBound: 0
; FloatMode: 240
; IeeeMode: 1
; LDSByteSize: 5152 bytes/workgroup (compile time only)
; SGPRBlocks: 12
; VGPRBlocks: 5
; NumSGPRsForWavesPerEU: 100
; NumVGPRsForWavesPerEU: 45
; AccumOffset: 48
; Occupancy: 8
; WaveLimiterHint : 1
; COMPUTE_PGM_RSRC2:SCRATCH_EN: 0
; COMPUTE_PGM_RSRC2:USER_SGPR: 6
; COMPUTE_PGM_RSRC2:TRAP_HANDLER: 0
; COMPUTE_PGM_RSRC2:TGID_X_EN: 1
; COMPUTE_PGM_RSRC2:TGID_Y_EN: 1
; COMPUTE_PGM_RSRC2:TGID_Z_EN: 1
; COMPUTE_PGM_RSRC2:TIDIG_COMP_CNT: 0
; COMPUTE_PGM_RSRC3_GFX90A:ACCUM_OFFSET: 11
; COMPUTE_PGM_RSRC3_GFX90A:TG_SPLIT: 0
	.section	.text._ZN2at6native12_GLOBAL__N_112gatherMedianIhmLi2EEEvNS_4cuda6detail10TensorInfoIT_T0_EENS5_IlS7_EENS5_IKS6_S7_EES7_S7_S7_b,"axG",@progbits,_ZN2at6native12_GLOBAL__N_112gatherMedianIhmLi2EEEvNS_4cuda6detail10TensorInfoIT_T0_EENS5_IlS7_EENS5_IKS6_S7_EES7_S7_S7_b,comdat
	.globl	_ZN2at6native12_GLOBAL__N_112gatherMedianIhmLi2EEEvNS_4cuda6detail10TensorInfoIT_T0_EENS5_IlS7_EENS5_IKS6_S7_EES7_S7_S7_b ; -- Begin function _ZN2at6native12_GLOBAL__N_112gatherMedianIhmLi2EEEvNS_4cuda6detail10TensorInfoIT_T0_EENS5_IlS7_EENS5_IKS6_S7_EES7_S7_S7_b
	.p2align	8
	.type	_ZN2at6native12_GLOBAL__N_112gatherMedianIhmLi2EEEvNS_4cuda6detail10TensorInfoIT_T0_EENS5_IlS7_EENS5_IKS6_S7_EES7_S7_S7_b,@function
_ZN2at6native12_GLOBAL__N_112gatherMedianIhmLi2EEEvNS_4cuda6detail10TensorInfoIT_T0_EENS5_IlS7_EENS5_IKS6_S7_EES7_S7_S7_b: ; @_ZN2at6native12_GLOBAL__N_112gatherMedianIhmLi2EEEvNS_4cuda6detail10TensorInfoIT_T0_EENS5_IlS7_EENS5_IKS6_S7_EES7_S7_S7_b
; %bb.0:
	s_load_dwordx4 s[52:55], s[4:5], 0x4e0
	s_load_dwordx2 s[2:3], s[4:5], 0x500
	s_add_u32 s12, s4, 0x500
	s_addc_u32 s13, s5, 0
	s_mov_b32 s25, 0
	s_waitcnt lgkmcnt(0)
	v_mov_b32_e32 v2, s54
	s_mul_i32 s0, s3, s8
	s_add_i32 s0, s0, s7
	s_mul_i32 s0, s0, s2
	v_mov_b32_e32 v3, s55
	s_add_i32 s24, s0, s6
	v_cmp_ge_u64_e32 vcc, s[24:25], v[2:3]
	s_cbranch_vccnz .LBB77_278
; %bb.1:
	s_load_dwordx2 s[16:17], s[4:5], 0x10
	s_load_dwordx2 s[14:15], s[4:5], 0x350
	;; [unrolled: 1-line block ×3, first 2 shown]
	s_mov_b64 s[10:11], 0
	s_mov_b64 s[0:1], 0
	s_waitcnt lgkmcnt(0)
	v_pk_mov_b32 v[2:3], s[16:17], s[16:17] op_sel:[0,1]
	v_cmp_lt_u64_e32 vcc, s[24:25], v[2:3]
	s_cbranch_vccnz .LBB77_3
; %bb.2:
	v_cvt_f32_u32_e32 v1, s16
	s_sub_i32 s0, 0, s16
	v_rcp_iflag_f32_e32 v1, v1
	v_mul_f32_e32 v1, 0x4f7ffffe, v1
	v_cvt_u32_f32_e32 v1, v1
	v_readfirstlane_b32 s1, v1
	s_mul_i32 s0, s0, s1
	s_mul_hi_u32 s0, s1, s0
	s_add_i32 s1, s1, s0
	s_mul_hi_u32 s0, s24, s1
	s_mul_i32 s3, s0, s16
	s_sub_i32 s3, s24, s3
	s_add_i32 s1, s0, 1
	s_sub_i32 s7, s3, s16
	s_cmp_ge_u32 s3, s16
	s_cselect_b32 s0, s1, s0
	s_cselect_b32 s3, s7, s3
	s_add_i32 s1, s0, 1
	s_cmp_ge_u32 s3, s16
	s_cselect_b32 s0, s1, s0
.LBB77_3:
	s_load_dwordx2 s[68:69], s[4:5], 0x4f0
                                        ; implicit-def: $vgpr38 : SGPR spill to VGPR lane
	v_pk_mov_b32 v[2:3], s[8:9], s[8:9] op_sel:[0,1]
	v_writelane_b32 v38, s0, 0
	v_writelane_b32 v38, s1, 1
	v_cmp_lt_u64_e32 vcc, s[24:25], v[2:3]
	v_writelane_b32 v38, s16, 2
	v_writelane_b32 v38, s17, 3
	s_cbranch_vccnz .LBB77_5
; %bb.4:
	v_cvt_f32_u32_e32 v1, s8
	s_sub_i32 s0, 0, s8
	v_rcp_iflag_f32_e32 v1, v1
	v_mul_f32_e32 v1, 0x4f7ffffe, v1
	v_cvt_u32_f32_e32 v1, v1
	v_readfirstlane_b32 s1, v1
	s_mul_i32 s0, s0, s1
	s_mul_hi_u32 s0, s1, s0
	s_add_i32 s1, s1, s0
	s_mul_hi_u32 s0, s24, s1
	s_mul_i32 s3, s0, s8
	s_sub_i32 s3, s24, s3
	s_add_i32 s1, s0, 1
	s_sub_i32 s7, s3, s8
	s_cmp_ge_u32 s3, s8
	s_cselect_b32 s0, s1, s0
	s_cselect_b32 s3, s7, s3
	s_add_i32 s1, s0, 1
	s_cmp_ge_u32 s3, s8
	s_cselect_b32 s10, s1, s0
.LBB77_5:
	v_writelane_b32 v38, s10, 4
	v_pk_mov_b32 v[2:3], s[14:15], s[14:15] op_sel:[0,1]
	v_writelane_b32 v38, s11, 5
	v_cmp_lt_u64_e32 vcc, s[24:25], v[2:3]
	v_writelane_b32 v38, s8, 6
	s_mov_b64 s[16:17], 0
	v_writelane_b32 v38, s9, 7
	s_cbranch_vccnz .LBB77_7
; %bb.6:
	v_cvt_f32_u32_e32 v1, s14
	s_sub_i32 s0, 0, s14
	v_rcp_iflag_f32_e32 v1, v1
	v_mul_f32_e32 v1, 0x4f7ffffe, v1
	v_cvt_u32_f32_e32 v1, v1
	v_readfirstlane_b32 s1, v1
	s_mul_i32 s0, s0, s1
	s_mul_hi_u32 s0, s1, s0
	s_add_i32 s1, s1, s0
	s_mul_hi_u32 s0, s24, s1
	s_mul_i32 s3, s0, s14
	s_sub_i32 s3, s24, s3
	s_add_i32 s1, s0, 1
	s_sub_i32 s7, s3, s14
	s_cmp_ge_u32 s3, s14
	s_cselect_b32 s0, s1, s0
	s_cselect_b32 s3, s7, s3
	s_add_i32 s1, s0, 1
	s_cmp_ge_u32 s3, s14
	s_cselect_b32 s16, s1, s0
.LBB77_7:
	s_load_dwordx2 s[18:19], s[4:5], 0x340
	v_cmp_eq_u32_e64 s[0:1], 0, v0
	s_mov_b64 s[8:9], exec
	v_writelane_b32 v38, s0, 8
	v_writelane_b32 v38, s1, 9
	s_and_b64 s[0:1], s[8:9], s[0:1]
	s_mov_b64 exec, s[0:1]
	s_cbranch_execz .LBB77_9
; %bb.8:
	v_mov_b32_e32 v2, 0
	v_mov_b32_e32 v3, v2
	ds_write_b64 v2, v[2:3] offset:5136
.LBB77_9:
	s_or_b64 exec, exec, s[8:9]
	s_load_dwordx2 s[0:1], s[4:5], 0x1a0
	v_mov_b32_e32 v11, 0
	s_waitcnt lgkmcnt(0)
	s_barrier
	v_writelane_b32 v38, s0, 10
	s_barrier
	ds_read_b64 v[2:3], v11 offset:5136
	v_writelane_b32 v38, s1, 11
	s_load_dwordx2 s[0:1], s[4:5], 0x0
	s_load_dwordx4 s[8:11], s[4:5], 0x410
	s_waitcnt lgkmcnt(0)
	v_readfirstlane_b32 s20, v2
	v_readfirstlane_b32 s21, v3
	v_writelane_b32 v38, s0, 12
	v_writelane_b32 v38, s1, 13
	s_mov_b64 s[22:23], exec
	v_readlane_b32 s0, v38, 8
	v_readlane_b32 s1, v38, 9
	s_and_b64 s[0:1], s[22:23], s[0:1]
	s_mov_b64 exec, s[0:1]
	s_cbranch_execz .LBB77_11
; %bb.10:
	v_mov_b32_e32 v2, 0
	v_mov_b32_e32 v4, s52
	;; [unrolled: 1-line block ×4, first 2 shown]
	ds_write_b32 v2, v2 offset:5144
	ds_write_b128 v2, v[2:5] offset:5120
.LBB77_11:
	s_or_b64 exec, exec, s[22:23]
	s_load_dword s3, s[4:5], 0x4f8
	s_load_dwordx4 s[28:31], s[4:5], 0x270
                                        ; kill: killed $sgpr4 killed $sgpr5
	v_cmp_lt_i64_e64 s[0:1], s[20:21], 1
	v_mov_b32_e32 v1, 0
	v_mbcnt_lo_u32_b32 v2, -1, 0
	s_waitcnt lgkmcnt(0)
	s_bitcmp1_b32 s3, 0
	v_writelane_b32 v38, s28, 14
	v_writelane_b32 v38, s29, 15
	v_writelane_b32 v38, s30, 16
	v_writelane_b32 v38, s31, 17
	s_load_dwordx4 s[28:31], s[4:5], 0xd0
	s_cselect_b64 s[4:5], -1, 0
	s_not_b64 s[20:21], s[20:21]
	s_or_b64 s[0:1], s[4:5], s[0:1]
	s_add_u32 s4, s20, s52
	s_addc_u32 s5, s21, s53
	s_lshr_b64 s[4:5], s[4:5], 1
	s_add_u32 s3, s4, 1
	s_waitcnt lgkmcnt(0)
	v_writelane_b32 v38, s28, 18
	s_addc_u32 s4, s5, 0
	v_writelane_b32 v38, s29, 19
	s_and_b64 s[0:1], s[0:1], exec
	v_writelane_b32 v38, s30, 20
	s_mul_i32 s0, s16, s15
	s_mul_hi_u32 s1, s16, s14
	v_writelane_b32 v38, s31, 21
	s_cselect_b32 s85, s4, s53
	s_cselect_b32 s84, s3, s52
	s_add_i32 s1, s1, s0
	s_mul_i32 s0, s16, s14
	s_mov_b32 s4, s24
	v_writelane_b32 v38, s4, 22
	s_sub_u32 s0, s24, s0
	v_writelane_b32 v38, s5, 23
	s_subb_u32 s1, 0, s1
	s_mul_i32 s3, s0, s11
	s_mul_hi_u32 s4, s0, s10
	s_add_i32 s3, s4, s3
	s_mul_i32 s1, s1, s10
	s_add_i32 s3, s3, s1
	s_mul_i32 s1, s16, s9
	s_mul_hi_u32 s4, s16, s8
	s_add_i32 s4, s4, s1
	s_mul_i32 s1, s16, s8
	s_add_u32 s1, s18, s1
	s_mul_i32 s0, s0, s10
	s_addc_u32 s4, s19, s4
	s_add_u32 s78, s1, s0
	v_cmp_gt_u64_e64 s[0:1], s[52:53], v[0:1]
	v_writelane_b32 v38, s0, 24
	v_writelane_b32 v38, s1, 25
	v_mbcnt_hi_u32_b32 v24, -1, v2
	v_cmp_gt_u32_e64 s[0:1], 2, v0
	v_mov_b32_e32 v2, 0xc00
	v_writelane_b32 v38, s0, 26
	v_mov_b32_e32 v3, 0
	s_addc_u32 s79, s4, s3
	v_writelane_b32 v38, s1, 27
	v_cmp_gt_u64_e64 s[0:1], s[52:53], v[2:3]
	v_writelane_b32 v38, s0, 28
	v_pk_mov_b32 v[12:13], s[78:79], s[78:79] op_sel:[0,1]
	v_writelane_b32 v38, s1, 29
	v_mad_u64_u32 v[14:15], s[0:1], v0, s68, v[12:13]
	v_mov_b32_e32 v2, v15
	v_mad_u64_u32 v[2:3], s[0:1], v0, s69, v[2:3]
	s_barrier
	s_load_dword s0, s[12:13], 0xc
	v_cmp_gt_u32_e32 vcc, 64, v0
	v_cmp_gt_i32_e64 s[8:9], 4, v24
	s_and_b64 s[82:83], vcc, s[8:9]
	v_mov_b32_e32 v15, v2
	s_waitcnt lgkmcnt(0)
	s_and_b32 s33, s0, 0xffff
	s_bfe_u32 s3, s0, 0xa0006
	v_cmp_gt_u16_e64 s[0:1], s0, 63
	v_writelane_b32 v38, s0, 30
	v_writelane_b32 v38, s1, 31
	s_add_u32 s0, s33, -1
	s_addc_u32 s1, 0, -1
	s_add_u32 s54, s0, s52
	s_addc_u32 s89, s1, s53
	s_cmp_lt_u32 s6, s2
	v_writelane_b32 v38, s0, 32
	s_cselect_b32 s0, 12, 18
	s_add_u32 s90, s12, s0
	s_addc_u32 s91, s13, 0
	s_add_i32 s0, s3, -1
	s_bfe_u32 s2, s33, 0x30006
	s_cmp_gt_u32 s0, 6
	v_lshrrev_b32_e32 v2, 4, v0
	v_writelane_b32 v38, s1, 33
	s_cselect_b64 s[6:7], -1, 0
	v_and_b32_e32 v25, 60, v2
	v_lshlrev_b32_e32 v2, 2, v24
	v_writelane_b32 v38, s6, 34
	s_and_b32 s0, s3, 0x3f8
	v_and_b32_e32 v26, 0x100, v2
	v_lshlrev_b64 v[2:3], v24, -1
	v_writelane_b32 v38, s7, 35
	s_cmp_lg_u32 s2, 0
	s_mov_b32 s81, 0
	v_not_b32_e32 v18, v2
	v_writelane_b32 v38, s2, 36
	s_cselect_b64 s[2:3], -1, 0
	v_mov_b32_e32 v2, 0xc00
	v_cmp_eq_u32_e64 s[4:5], 0, v24
	v_lshlrev_b32_e32 v16, 2, v0
	v_mov_b32_e32 v17, v1
	v_not_b32_e32 v19, v3
	s_mov_b32 s55, s81
	s_mov_b32 s1, 6
	v_writelane_b32 v38, s2, 37
	v_lshl_or_b32 v27, v24, 3, v2
	s_mov_b64 s[72:73], 0
	v_mov_b32_e32 v28, 0x4f800000
	v_mov_b32_e32 v29, 0
	s_mov_b32 s86, 0
	s_mov_b32 s26, 0
	;; [unrolled: 1-line block ×3, first 2 shown]
	v_writelane_b32 v38, s3, 38
                                        ; implicit-def: $sgpr58_sgpr59
                                        ; implicit-def: $sgpr60_sgpr61
                                        ; implicit-def: $sgpr76_sgpr77
                                        ; implicit-def: $sgpr62_sgpr63
                                        ; implicit-def: $sgpr66_sgpr67
                                        ; implicit-def: $sgpr64_sgpr65
	s_branch .LBB77_16
.LBB77_12:                              ;   in Loop: Header=BB77_16 Depth=1
	s_xor_b32 s86, s86, 1
	s_add_i32 s12, s1, -2
	s_cmp_eq_u32 s1, 0
	s_mov_b64 s[6:7], 0
	s_cselect_b64 s[8:9], -1, 0
	s_mov_b32 s1, s12
.LBB77_13:                              ;   in Loop: Header=BB77_16 Depth=1
	s_andn2_b64 s[12:13], s[18:19], exec
	s_and_b64 s[6:7], s[6:7], exec
	s_or_b64 s[18:19], s[12:13], s[6:7]
	s_andn2_b64 s[20:21], s[20:21], exec
	s_andn2_b64 s[16:17], s[16:17], exec
	s_orn2_b64 s[12:13], s[8:9], exec
.LBB77_14:                              ;   in Loop: Header=BB77_16 Depth=1
	s_or_b64 exec, exec, s[2:3]
	s_andn2_b64 s[2:3], s[64:65], exec
	s_and_b64 s[6:7], s[18:19], exec
	s_or_b64 s[64:65], s[2:3], s[6:7]
	s_andn2_b64 s[2:3], s[66:67], exec
	s_and_b64 s[6:7], s[20:21], exec
	s_or_b64 s[66:67], s[2:3], s[6:7]
	;; [unrolled: 3-line block ×3, first 2 shown]
	s_orn2_b64 s[16:17], s[12:13], exec
.LBB77_15:                              ;   in Loop: Header=BB77_16 Depth=1
	s_or_b64 exec, exec, s[10:11]
	s_and_b64 s[2:3], exec, s[16:17]
	s_or_b64 s[72:73], s[2:3], s[72:73]
	s_andn2_b64 s[2:3], s[76:77], exec
	s_and_b64 s[6:7], s[64:65], exec
	s_or_b64 s[76:77], s[2:3], s[6:7]
	s_andn2_b64 s[2:3], s[60:61], exec
	s_and_b64 s[6:7], s[66:67], exec
	s_or_b64 s[60:61], s[2:3], s[6:7]
	s_andn2_b64 s[2:3], s[58:59], exec
	s_and_b64 s[6:7], s[62:63], exec
	v_mov_b32_e32 v2, s26
	s_or_b64 s[58:59], s[2:3], s[6:7]
	s_andn2_b64 exec, exec, s[72:73]
	s_cbranch_execz .LBB77_274
.LBB77_16:                              ; =>This Loop Header: Depth=1
                                        ;     Child Loop BB77_21 Depth 2
                                        ;     Child Loop BB77_36 Depth 2
	;; [unrolled: 1-line block ×16, first 2 shown]
	ds_read_b128 v[2:5], v11 offset:5120
	s_waitcnt lgkmcnt(0)
	v_readfirstlane_b32 s71, v3
	v_readfirstlane_b32 s70, v2
	s_cmp_lg_u64 s[70:71], 0
	s_cbranch_scc1 .LBB77_43
; %bb.17:                               ;   in Loop: Header=BB77_16 Depth=1
	v_readlane_b32 s2, v38, 28
	v_readlane_b32 s3, v38, 29
	s_and_b64 vcc, exec, s[2:3]
	s_cbranch_vccz .LBB77_29
; %bb.18:                               ;   in Loop: Header=BB77_16 Depth=1
	s_mov_b64 s[2:3], 0xc01
	v_cmp_gt_u64_e32 vcc, s[2:3], v[4:5]
	s_mov_b64 s[70:71], 0
	s_mov_b64 s[2:3], 0
	s_cbranch_vccz .LBB77_30
; %bb.19:                               ;   in Loop: Header=BB77_16 Depth=1
	global_load_ubyte v5, v[14:15], off
	global_load_ushort v4, v11, s[90:91]
	v_pk_mov_b32 v[2:3], v[0:1], v[0:1] op_sel:[0,1]
	s_branch .LBB77_21
.LBB77_20:                              ;   in Loop: Header=BB77_21 Depth=2
	s_or_b64 exec, exec, s[6:7]
	s_waitcnt vmcnt(0)
	v_mov_b32_e32 v5, v6
	s_andn2_b64 exec, exec, s[2:3]
	s_cbranch_execz .LBB77_143
.LBB77_21:                              ;   Parent Loop BB77_16 Depth=1
                                        ; =>  This Inner Loop Header: Depth=2
	s_waitcnt vmcnt(0)
	v_add_co_u32_sdwa v2, vcc, v2, v4 dst_sel:DWORD dst_unused:UNUSED_PAD src0_sel:DWORD src1_sel:WORD_0
	v_addc_co_u32_e32 v3, vcc, 0, v3, vcc
	v_cmp_gt_u64_e64 s[6:7], s[52:53], v[2:3]
	v_cmp_le_u64_e32 vcc, s[52:53], v[2:3]
	s_waitcnt lgkmcnt(0)
	v_mov_b32_e32 v7, 0
	v_mov_b32_e32 v6, 0
	s_and_saveexec_b64 s[8:9], s[6:7]
	s_cbranch_execz .LBB77_23
; %bb.22:                               ;   in Loop: Header=BB77_21 Depth=2
	v_mad_u64_u32 v[8:9], s[6:7], v2, s68, v[12:13]
	v_mul_lo_u32 v6, v2, s69
	v_mul_lo_u32 v10, v3, s68
	v_add3_u32 v9, v10, v9, v6
	global_load_ubyte v6, v[8:9], off
.LBB77_23:                              ;   in Loop: Header=BB77_21 Depth=2
	s_or_b64 exec, exec, s[8:9]
	v_and_b32_e32 v8, s87, v5
	v_cmp_eq_u32_sdwa s[8:9], v8, s26 src0_sel:BYTE_0 src1_sel:DWORD
	s_cmp_lg_u64 s[8:9], 0
	s_cselect_b64 s[6:7], -1, 0
	s_and_b64 s[6:7], s[4:5], s[6:7]
	s_and_saveexec_b64 s[10:11], s[6:7]
	s_cbranch_execz .LBB77_27
; %bb.24:                               ;   in Loop: Header=BB77_21 Depth=2
	s_mov_b64 s[14:15], exec
	v_mbcnt_lo_u32_b32 v7, s14, 0
	v_mbcnt_hi_u32_b32 v7, s15, v7
	s_bcnt1_i32_b64 s16, s[8:9]
	v_cmp_eq_u32_e64 s[6:7], 0, v7
                                        ; implicit-def: $vgpr8
	s_and_saveexec_b64 s[12:13], s[6:7]
	s_cbranch_execz .LBB77_26
; %bb.25:                               ;   in Loop: Header=BB77_21 Depth=2
	s_bcnt1_i32_b64 s6, s[14:15]
	s_mul_i32 s6, s16, s6
	v_mov_b32_e32 v8, s6
	ds_add_rtn_u32 v8, v11, v8 offset:5144
.LBB77_26:                              ;   in Loop: Header=BB77_21 Depth=2
	s_or_b64 exec, exec, s[12:13]
	s_waitcnt lgkmcnt(0)
	v_readfirstlane_b32 s6, v8
	v_mov_b32_e32 v8, s6
	v_mad_u32_u24 v7, s16, v7, v8
.LBB77_27:                              ;   in Loop: Header=BB77_21 Depth=2
	s_or_b64 exec, exec, s[10:11]
	ds_bpermute_b32 v7, v26, v7
	s_and_b64 s[6:7], exec, vcc
	s_or_b64 s[2:3], s[6:7], s[2:3]
	s_and_saveexec_b64 s[6:7], s[8:9]
	s_cbranch_execz .LBB77_20
; %bb.28:                               ;   in Loop: Header=BB77_21 Depth=2
	v_and_b32_e32 v9, s8, v18
	v_and_b32_e32 v8, s9, v19
	v_bcnt_u32_b32 v9, v9, 0
	v_bcnt_u32_b32 v8, v8, v9
	s_waitcnt lgkmcnt(0)
	v_add_u32_e32 v7, v7, v8
	ds_write_b8 v7, v5
	s_branch .LBB77_20
.LBB77_29:                              ;   in Loop: Header=BB77_16 Depth=1
	s_mov_b64 s[70:71], -1
	s_mov_b64 s[2:3], 0
.LBB77_30:                              ;   in Loop: Header=BB77_16 Depth=1
	s_and_b64 vcc, exec, s[70:71]
	s_cbranch_vccz .LBB77_41
.LBB77_31:                              ;   in Loop: Header=BB77_16 Depth=1
	v_mov_b32_e32 v4, 0
	s_mov_b64 s[2:3], exec
	v_readlane_b32 s6, v38, 24
	v_readlane_b32 s7, v38, 25
	s_and_b64 s[6:7], s[2:3], s[6:7]
	s_mov_b64 exec, s[6:7]
	s_cbranch_execz .LBB77_33
; %bb.32:                               ;   in Loop: Header=BB77_16 Depth=1
	global_load_ubyte v4, v[14:15], off
.LBB77_33:                              ;   in Loop: Header=BB77_16 Depth=1
	s_or_b64 exec, exec, s[2:3]
	s_mov_b64 s[2:3], exec
	v_readlane_b32 s6, v38, 24
	v_readlane_b32 s7, v38, 25
	s_and_b64 s[6:7], s[2:3], s[6:7]
	s_mov_b64 exec, s[6:7]
	s_cbranch_execz .LBB77_38
; %bb.34:                               ;   in Loop: Header=BB77_16 Depth=1
	global_load_ushort v2, v11, s[90:91]
	s_mov_b64 s[8:9], 0
	v_mov_b32_e32 v5, v0
	s_waitcnt vmcnt(0)
	v_and_b32_e32 v6, 0xffff, v2
	v_pk_mov_b32 v[2:3], v[0:1], v[0:1] op_sel:[0,1]
	s_branch .LBB77_36
.LBB77_35:                              ;   in Loop: Header=BB77_36 Depth=2
	s_or_b64 exec, exec, s[10:11]
	s_and_b64 s[6:7], exec, vcc
	s_or_b64 s[8:9], s[6:7], s[8:9]
	ds_write_b8 v5, v4
	v_add_u32_e32 v5, v5, v6
	s_waitcnt vmcnt(0)
	v_mov_b32_e32 v4, v7
	s_andn2_b64 exec, exec, s[8:9]
	s_cbranch_execz .LBB77_38
.LBB77_36:                              ;   Parent Loop BB77_16 Depth=1
                                        ; =>  This Inner Loop Header: Depth=2
	v_add_co_u32_e32 v2, vcc, v2, v6
	v_addc_co_u32_e32 v3, vcc, 0, v3, vcc
	v_cmp_gt_u64_e64 s[6:7], s[52:53], v[2:3]
	v_cmp_le_u64_e32 vcc, s[52:53], v[2:3]
	v_mov_b32_e32 v7, 0
	s_and_saveexec_b64 s[10:11], s[6:7]
	s_cbranch_execz .LBB77_35
; %bb.37:                               ;   in Loop: Header=BB77_36 Depth=2
	v_pk_mov_b32 v[8:9], s[78:79], s[78:79] op_sel:[0,1]
	v_mad_u64_u32 v[8:9], s[6:7], v2, s68, v[8:9]
	v_mul_lo_u32 v7, v2, s69
	v_mul_lo_u32 v10, v3, s68
	v_add3_u32 v9, v10, v9, v7
	global_load_ubyte v7, v[8:9], off
	s_branch .LBB77_35
.LBB77_38:                              ;   in Loop: Header=BB77_16 Depth=1
	s_or_b64 exec, exec, s[2:3]
	s_waitcnt lgkmcnt(0)
	s_barrier
	s_mov_b64 s[2:3], exec
	v_readlane_b32 s6, v38, 8
	v_readlane_b32 s7, v38, 9
	s_and_b64 s[6:7], s[2:3], s[6:7]
	s_mov_b64 exec, s[6:7]
	s_cbranch_execz .LBB77_40
; %bb.39:                               ;   in Loop: Header=BB77_16 Depth=1
	v_pk_mov_b32 v[2:3], s[52:53], s[52:53] op_sel:[0,1]
	ds_write_b64 v11, v[2:3] offset:5120
.LBB77_40:                              ;   in Loop: Header=BB77_16 Depth=1
	s_or_b64 exec, exec, s[2:3]
	s_mov_b64 s[2:3], -1
	s_waitcnt lgkmcnt(0)
	s_barrier
                                        ; implicit-def: $sgpr70_sgpr71
.LBB77_41:                              ;   in Loop: Header=BB77_16 Depth=1
	s_and_b64 vcc, exec, s[2:3]
	s_cbranch_vccz .LBB77_43
; %bb.42:                               ;   in Loop: Header=BB77_16 Depth=1
	ds_read_b64 v[2:3], v11 offset:5120
	s_waitcnt lgkmcnt(0)
	v_readfirstlane_b32 s70, v2
.LBB77_43:                              ;   in Loop: Header=BB77_16 Depth=1
	s_cmp_lt_i32 s70, 1
	s_cbranch_scc0 .LBB77_58
; %bb.44:                               ;   in Loop: Header=BB77_16 Depth=1
	global_load_ushort v30, v11, s[90:91]
	s_mov_b32 s2, s81
	s_waitcnt vmcnt(0)
	v_readfirstlane_b32 s3, v30
	s_and_b32 s3, 0xffff, s3
	s_lshl_b32 s27, s3, 2
	s_mov_b32 s3, s53
	s_cmp_lg_u64 s[2:3], 0
	s_cbranch_scc0 .LBB77_78
; %bb.45:                               ;   in Loop: Header=BB77_16 Depth=1
	v_cvt_f32_u32_e32 v2, s27
	s_sub_u32 s2, 0, s27
	s_subb_u32 s3, 0, 0
	v_mac_f32_e32 v2, 0, v28
	v_rcp_f32_e32 v2, v2
	v_mul_f32_e32 v2, 0x5f7ffffc, v2
	v_mul_f32_e32 v3, 0x2f800000, v2
	v_trunc_f32_e32 v3, v3
	v_mac_f32_e32 v2, 0xcf800000, v3
	v_cvt_u32_f32_e32 v3, v3
	v_cvt_u32_f32_e32 v2, v2
	v_readfirstlane_b32 s6, v3
	v_readfirstlane_b32 s7, v2
	s_mul_i32 s8, s2, s6
	s_mul_hi_u32 s10, s2, s7
	s_mul_i32 s9, s3, s7
	s_add_i32 s8, s10, s8
	s_mul_i32 s11, s2, s7
	s_add_i32 s8, s8, s9
	s_mul_hi_u32 s10, s7, s11
	s_mul_hi_u32 s9, s7, s8
	s_mul_i32 s7, s7, s8
	s_add_u32 s7, s10, s7
	s_addc_u32 s9, 0, s9
	s_mul_hi_u32 s12, s6, s11
	s_mul_i32 s11, s6, s11
	s_add_u32 s7, s7, s11
	s_mul_hi_u32 s10, s6, s8
	s_addc_u32 s7, s9, s12
	s_addc_u32 s9, s10, 0
	s_mul_i32 s8, s6, s8
	s_add_u32 s7, s7, s8
	s_addc_u32 s8, 0, s9
	v_add_co_u32_e32 v2, vcc, s7, v2
	s_cmp_lg_u64 vcc, 0
	s_addc_u32 s6, s6, s8
	v_readfirstlane_b32 s8, v2
	s_mul_i32 s7, s2, s6
	s_mul_hi_u32 s9, s2, s8
	s_add_i32 s7, s9, s7
	s_mul_i32 s3, s3, s8
	s_add_i32 s7, s7, s3
	s_mul_i32 s2, s2, s8
	s_mul_hi_u32 s9, s6, s2
	s_mul_i32 s10, s6, s2
	s_mul_i32 s12, s8, s7
	s_mul_hi_u32 s2, s8, s2
	s_mul_hi_u32 s11, s8, s7
	s_add_u32 s2, s2, s12
	s_addc_u32 s8, 0, s11
	s_add_u32 s2, s2, s10
	s_mul_hi_u32 s3, s6, s7
	s_addc_u32 s2, s8, s9
	s_addc_u32 s3, s3, 0
	s_mul_i32 s7, s6, s7
	s_add_u32 s2, s2, s7
	s_addc_u32 s3, 0, s3
	v_add_co_u32_e32 v2, vcc, s2, v2
	s_cmp_lg_u64 vcc, 0
	s_addc_u32 s2, s6, s3
	v_readfirstlane_b32 s7, v2
	s_mul_i32 s6, s52, s2
	s_mul_hi_u32 s8, s52, s7
	s_mul_hi_u32 s3, s52, s2
	s_add_u32 s6, s8, s6
	s_addc_u32 s3, 0, s3
	s_mul_hi_u32 s9, s53, s7
	s_mul_i32 s7, s53, s7
	s_add_u32 s6, s6, s7
	s_mul_hi_u32 s8, s53, s2
	s_addc_u32 s3, s3, s9
	s_addc_u32 s6, s8, 0
	s_mul_i32 s2, s53, s2
	s_add_u32 s2, s3, s2
	s_addc_u32 s3, 0, s6
	s_mul_hi_u32 s6, s27, s2
	s_mul_i32 s2, s27, s2
	s_mul_i32 s3, s27, s3
	v_mov_b32_e32 v2, s2
	s_add_i32 s6, s6, s3
	v_sub_co_u32_e32 v2, vcc, s52, v2
	s_cmp_lg_u64 vcc, 0
	s_subb_u32 s2, s53, s6
	v_subrev_co_u32_e32 v3, vcc, s27, v2
	s_cmp_lg_u64 vcc, 0
	s_subb_u32 s3, s2, 0
	v_subrev_co_u32_e32 v4, vcc, s27, v3
	s_cmp_lg_u64 vcc, 0
	s_subb_u32 s6, s3, 0
	v_cmp_le_u32_e32 vcc, s27, v3
	s_cmp_eq_u32 s3, 0
	v_cndmask_b32_e64 v5, 0, -1, vcc
	s_cselect_b64 vcc, -1, 0
	v_cndmask_b32_e32 v5, -1, v5, vcc
	v_mov_b32_e32 v6, s3
	v_mov_b32_e32 v7, s6
	v_cmp_ne_u32_e32 vcc, 0, v5
	v_cndmask_b32_e32 v5, v6, v7, vcc
	v_cndmask_b32_e32 v4, v3, v4, vcc
	v_cmp_le_u32_e32 vcc, s27, v2
	s_cmp_eq_u32 s2, 0
	v_cndmask_b32_e64 v3, 0, -1, vcc
	s_cselect_b64 vcc, -1, 0
	v_cndmask_b32_e32 v3, -1, v3, vcc
	v_mov_b32_e32 v6, s2
	v_cmp_ne_u32_e32 vcc, 0, v3
	v_cndmask_b32_e32 v3, v6, v5, vcc
	v_cndmask_b32_e32 v2, v2, v4, vcc
	s_cbranch_execnz .LBB77_47
.LBB77_46:                              ;   in Loop: Header=BB77_16 Depth=1
	v_cvt_f32_u32_e32 v2, s27
	s_sub_i32 s2, 0, s27
	v_rcp_iflag_f32_e32 v2, v2
	v_mul_f32_e32 v2, 0x4f7ffffe, v2
	v_cvt_u32_f32_e32 v2, v2
	v_mul_lo_u32 v3, s2, v2
	v_mul_hi_u32 v3, v2, v3
	v_add_u32_e32 v2, v2, v3
	v_mul_hi_u32 v2, s52, v2
	v_mul_lo_u32 v2, v2, s27
	v_sub_u32_e32 v2, s52, v2
	v_subrev_u32_e32 v3, s27, v2
	v_cmp_le_u32_e32 vcc, s27, v2
	v_cndmask_b32_e32 v2, v2, v3, vcc
	v_subrev_u32_e32 v3, s27, v2
	v_cmp_le_u32_e32 vcc, s27, v2
	v_cndmask_b32_e32 v10, v2, v3, vcc
	v_pk_mov_b32 v[2:3], v[10:11], v[10:11] op_sel:[0,1]
.LBB77_47:                              ;   in Loop: Header=BB77_16 Depth=1
	v_mov_b32_e32 v4, s53
	v_sub_co_u32_e32 v20, vcc, s52, v2
	v_subb_co_u32_e32 v21, vcc, v4, v3, vcc
	v_pk_mov_b32 v[2:3], 0, 0
	v_cmp_gt_u64_e32 vcc, v[20:21], v[16:17]
	s_mov_b64 s[74:75], 0
	v_pk_mov_b32 v[4:5], v[2:3], v[2:3] op_sel:[0,1]
	v_pk_mov_b32 v[6:7], v[2:3], v[2:3] op_sel:[0,1]
	v_pk_mov_b32 v[8:9], v[2:3], v[2:3] op_sel:[0,1]
	s_and_saveexec_b64 s[50:51], vcc
	s_cbranch_execz .LBB77_51
; %bb.48:                               ;   in Loop: Header=BB77_16 Depth=1
	s_and_b32 s2, s1, 0xfe
	s_mov_b64 s[56:57], 0
	s_mov_b64 s[92:93], 0
	;; [unrolled: 1-line block ×4, first 2 shown]
	v_pk_mov_b32 v[22:23], v[16:17], v[16:17] op_sel:[0,1]
.LBB77_49:                              ;   Parent Loop BB77_16 Depth=1
                                        ; =>  This Inner Loop Header: Depth=2
	v_pk_mov_b32 v[2:3], s[78:79], s[78:79] op_sel:[0,1]
	v_mul_lo_u32 v4, v22, s69
	v_mul_lo_u32 v5, v23, s68
	v_mad_u64_u32 v[2:3], s[6:7], v22, s68, v[2:3]
	v_mov_b32_e32 v6, s69
	v_add3_u32 v3, v5, v3, v4
	v_add_co_u32_e64 v4, s[6:7], s68, v2
	v_addc_co_u32_e64 v5, s[6:7], v3, v6, s[6:7]
	v_mov_b32_e32 v7, s69
	global_load_ubyte v9, v[2:3], off
	global_load_ubyte v6, v[4:5], off
	v_add_co_u32_e64 v2, s[6:7], s68, v4
	v_addc_co_u32_e64 v3, s[6:7], v5, v7, s[6:7]
	v_mov_b32_e32 v8, s69
	v_add_co_u32_e64 v4, s[6:7], s68, v2
	global_load_ubyte v2, v[2:3], off
	v_addc_co_u32_e64 v5, s[6:7], v3, v8, s[6:7]
	global_load_ubyte v3, v[4:5], off
	v_add_co_u32_e32 v22, vcc, s27, v22
	v_addc_co_u32_e32 v23, vcc, 0, v23, vcc
	v_cmp_ge_u64_e32 vcc, v[22:23], v[20:21]
	s_waitcnt vmcnt(3)
	v_and_b32_e32 v4, s87, v9
	v_bfe_u32 v5, v9, s2, 2
	v_cmp_eq_u32_e64 s[12:13], s26, v4
	s_waitcnt vmcnt(2)
	v_and_b32_e32 v4, s87, v6
	v_bfe_u32 v6, v6, s2, 2
	v_cmp_eq_u32_e64 s[6:7], 0, v5
	v_cmp_eq_u32_e64 s[10:11], s26, v4
	;; [unrolled: 1-line block ×3, first 2 shown]
	s_and_b64 s[6:7], s[12:13], s[6:7]
	v_cmp_eq_u32_e64 s[28:29], 1, v5
	v_cmp_eq_u32_e64 s[30:31], 2, v5
	v_cmp_eq_u32_e64 s[14:15], 3, v5
	s_waitcnt vmcnt(1)
	v_and_b32_e32 v4, s87, v2
	v_bfe_u32 v2, v2, s2, 2
	v_cndmask_b32_e64 v5, 0, 1, s[6:7]
	s_and_b64 s[22:23], s[10:11], s[22:23]
	v_cmp_eq_u32_e64 s[18:19], s26, v4
	s_waitcnt vmcnt(0)
	v_and_b32_e32 v4, s87, v3
	v_bfe_u32 v3, v3, s2, 2
	v_cmp_eq_u32_e64 s[6:7], 0, v2
	v_cmp_eq_u32_e64 s[38:39], 1, v2
	;; [unrolled: 1-line block ×4, first 2 shown]
	v_cmp_ne_u32_e64 s[42:43], 0, v5
	v_cndmask_b32_e64 v2, 0, 1, s[22:23]
	v_cmp_eq_u32_e64 s[22:23], s26, v4
	v_cmp_eq_u32_e64 s[44:45], 0, v3
	s_bcnt1_i32_b64 s3, s[42:43]
	v_cmp_ne_u32_e64 s[42:43], 0, v2
	s_and_b64 s[6:7], s[18:19], s[6:7]
	v_cndmask_b32_e64 v2, 0, 1, s[6:7]
	s_bcnt1_i32_b64 s71, s[42:43]
	s_and_b64 s[42:43], s[22:23], s[44:45]
	v_cmp_ne_u32_e64 s[6:7], 0, v2
	v_cndmask_b32_e64 v2, 0, 1, s[42:43]
	s_bcnt1_i32_b64 s42, s[6:7]
	v_cmp_ne_u32_e64 s[6:7], 0, v2
	s_bcnt1_i32_b64 s6, s[6:7]
	s_add_u32 s3, s3, s8
	s_addc_u32 s7, 0, s9
	s_add_u32 s3, s3, s71
	s_addc_u32 s7, s7, 0
	;; [unrolled: 2-line block ×3, first 2 shown]
	s_add_u32 s8, s3, s6
	v_cmp_eq_u32_e64 s[34:35], 1, v6
	s_addc_u32 s9, s7, 0
	s_and_b64 s[6:7], s[12:13], s[28:29]
	v_cndmask_b32_e64 v4, 0, 1, s[6:7]
	s_and_b64 s[6:7], s[10:11], s[34:35]
	v_cmp_eq_u32_e64 s[46:47], 1, v3
	v_cndmask_b32_e64 v5, 0, 1, s[6:7]
	s_and_b64 s[6:7], s[18:19], s[38:39]
	v_cmp_eq_u32_e64 s[36:37], 2, v6
	v_cmp_eq_u32_e64 s[16:17], 3, v6
	v_cndmask_b32_e64 v6, 0, 1, s[6:7]
	s_and_b64 s[6:7], s[22:23], s[46:47]
	v_cndmask_b32_e64 v7, 0, 1, s[6:7]
	v_cmp_ne_u32_e64 s[6:7], 0, v4
	v_cmp_ne_u32_e64 s[28:29], 0, v5
	;; [unrolled: 1-line block ×4, first 2 shown]
	s_bcnt1_i32_b64 s3, s[6:7]
	s_bcnt1_i32_b64 s6, s[28:29]
	;; [unrolled: 1-line block ×4, first 2 shown]
	s_add_u32 s3, s3, s94
	s_addc_u32 s29, 0, s95
	s_add_u32 s3, s3, s6
	s_addc_u32 s6, s29, 0
	;; [unrolled: 2-line block ×4, first 2 shown]
	s_and_b64 s[6:7], s[12:13], s[30:31]
	v_cndmask_b32_e64 v6, 0, 1, s[6:7]
	s_and_b64 s[6:7], s[10:11], s[36:37]
	v_cmp_eq_u32_e64 s[48:49], 2, v3
	v_cndmask_b32_e64 v7, 0, 1, s[6:7]
	s_and_b64 s[6:7], s[18:19], s[40:41]
	v_cndmask_b32_e64 v8, 0, 1, s[6:7]
	s_and_b64 s[6:7], s[22:23], s[48:49]
	v_cndmask_b32_e64 v9, 0, 1, s[6:7]
	v_cmp_ne_u32_e64 s[6:7], 0, v6
	v_cmp_ne_u32_e64 s[28:29], 0, v7
	;; [unrolled: 1-line block ×4, first 2 shown]
	s_bcnt1_i32_b64 s3, s[6:7]
	s_bcnt1_i32_b64 s6, s[28:29]
	;; [unrolled: 1-line block ×4, first 2 shown]
	s_add_u32 s3, s3, s92
	s_addc_u32 s29, 0, s93
	s_add_u32 s3, s3, s6
	s_addc_u32 s6, s29, 0
	;; [unrolled: 2-line block ×4, first 2 shown]
	s_and_b64 s[6:7], s[12:13], s[14:15]
	v_cndmask_b32_e64 v8, 0, 1, s[6:7]
	s_and_b64 s[6:7], s[10:11], s[16:17]
	v_cmp_eq_u32_e64 s[24:25], 3, v3
	v_cndmask_b32_e64 v9, 0, 1, s[6:7]
	s_and_b64 s[6:7], s[18:19], s[20:21]
	v_cndmask_b32_e64 v10, 0, 1, s[6:7]
	s_and_b64 s[6:7], s[22:23], s[24:25]
	v_cndmask_b32_e64 v31, 0, 1, s[6:7]
	v_cmp_ne_u32_e64 s[6:7], 0, v8
	v_cmp_ne_u32_e64 s[10:11], 0, v9
	;; [unrolled: 1-line block ×4, first 2 shown]
	s_bcnt1_i32_b64 s3, s[6:7]
	s_bcnt1_i32_b64 s6, s[10:11]
	s_bcnt1_i32_b64 s7, s[12:13]
	s_bcnt1_i32_b64 s10, s[14:15]
	s_add_u32 s3, s3, s56
	s_addc_u32 s11, 0, s57
	s_add_u32 s3, s3, s6
	s_addc_u32 s6, s11, 0
	;; [unrolled: 2-line block ×4, first 2 shown]
	v_pk_mov_b32 v[2:3], s[8:9], s[8:9] op_sel:[0,1]
	v_pk_mov_b32 v[4:5], s[94:95], s[94:95] op_sel:[0,1]
	;; [unrolled: 1-line block ×3, first 2 shown]
	s_or_b64 s[74:75], vcc, s[74:75]
	v_pk_mov_b32 v[8:9], s[56:57], s[56:57] op_sel:[0,1]
	s_andn2_b64 exec, exec, s[74:75]
	s_cbranch_execnz .LBB77_49
; %bb.50:                               ;   in Loop: Header=BB77_16 Depth=1
	s_or_b64 exec, exec, s[74:75]
.LBB77_51:                              ;   in Loop: Header=BB77_16 Depth=1
	s_or_b64 exec, exec, s[50:51]
	v_add_co_u32_e32 v20, vcc, v20, v0
	v_addc_co_u32_e32 v21, vcc, 0, v21, vcc
	v_cmp_gt_u64_e32 vcc, s[52:53], v[20:21]
	v_mov_b32_e32 v10, 0
	s_and_saveexec_b64 s[2:3], vcc
	s_cbranch_execz .LBB77_53
; %bb.52:                               ;   in Loop: Header=BB77_16 Depth=1
	v_pk_mov_b32 v[22:23], s[78:79], s[78:79] op_sel:[0,1]
	v_mad_u64_u32 v[22:23], s[6:7], v20, s68, v[22:23]
	v_mul_lo_u32 v10, v20, s69
	v_mul_lo_u32 v31, v21, s68
	v_add3_u32 v23, v31, v23, v10
	global_load_ubyte v10, v[22:23], off
.LBB77_53:                              ;   in Loop: Header=BB77_16 Depth=1
	s_or_b64 exec, exec, s[2:3]
	s_and_saveexec_b64 s[2:3], vcc
	s_cbranch_execz .LBB77_60
; %bb.54:                               ;   in Loop: Header=BB77_16 Depth=1
	s_and_b32 s12, s1, 0xfe
	s_mov_b64 s[8:9], 0
	s_branch .LBB77_56
.LBB77_55:                              ;   in Loop: Header=BB77_56 Depth=2
	s_or_b64 exec, exec, s[10:11]
	s_waitcnt vmcnt(0)
	v_and_b32_e32 v10, 0xff, v10
	s_and_b64 s[6:7], exec, vcc
	v_and_b32_e32 v23, s87, v10
	v_bfe_u32 v10, v10, s12, 2
	s_or_b64 s[8:9], s[6:7], s[8:9]
	v_cmp_eq_u32_e32 vcc, s26, v23
	v_cmp_eq_u32_e64 s[6:7], 0, v10
	s_and_b64 s[6:7], vcc, s[6:7]
	v_cndmask_b32_e64 v23, 0, 1, s[6:7]
	v_cmp_ne_u32_e64 s[6:7], 0, v23
	s_bcnt1_i32_b64 s6, s[6:7]
	v_add_co_u32_e64 v2, s[6:7], s6, v2
	v_addc_co_u32_e64 v3, s[6:7], 0, v3, s[6:7]
	v_cmp_eq_u32_e64 s[6:7], 1, v10
	s_and_b64 s[6:7], vcc, s[6:7]
	v_cndmask_b32_e64 v23, 0, 1, s[6:7]
	v_cmp_ne_u32_e64 s[6:7], 0, v23
	s_bcnt1_i32_b64 s6, s[6:7]
	v_add_co_u32_e64 v4, s[6:7], s6, v4
	v_addc_co_u32_e64 v5, s[6:7], 0, v5, s[6:7]
	;; [unrolled: 7-line block ×3, first 2 shown]
	v_cmp_eq_u32_e64 s[6:7], 3, v10
	s_and_b64 s[6:7], vcc, s[6:7]
	v_cndmask_b32_e64 v10, 0, 1, s[6:7]
	v_cmp_ne_u32_e32 vcc, 0, v10
	s_bcnt1_i32_b64 s6, vcc
	v_add_co_u32_e32 v8, vcc, s6, v8
	v_addc_co_u32_e32 v9, vcc, 0, v9, vcc
	v_mov_b32_e32 v10, v22
	s_andn2_b64 exec, exec, s[8:9]
	s_cbranch_execz .LBB77_59
.LBB77_56:                              ;   Parent Loop BB77_16 Depth=1
                                        ; =>  This Inner Loop Header: Depth=2
	v_add_co_u32_sdwa v20, vcc, v20, v30 dst_sel:DWORD dst_unused:UNUSED_PAD src0_sel:DWORD src1_sel:WORD_0
	v_addc_co_u32_e32 v21, vcc, 0, v21, vcc
	v_cmp_gt_u64_e64 s[6:7], s[52:53], v[20:21]
	v_cmp_le_u64_e32 vcc, s[52:53], v[20:21]
	v_mov_b32_e32 v22, 0
	s_and_saveexec_b64 s[10:11], s[6:7]
	s_cbranch_execz .LBB77_55
; %bb.57:                               ;   in Loop: Header=BB77_56 Depth=2
	v_pk_mov_b32 v[22:23], s[78:79], s[78:79] op_sel:[0,1]
	v_mad_u64_u32 v[22:23], s[6:7], v20, s68, v[22:23]
	v_mul_lo_u32 v31, v20, s69
	v_mul_lo_u32 v32, v21, s68
	v_add3_u32 v23, v32, v23, v31
	global_load_ubyte v22, v[22:23], off
	s_branch .LBB77_55
.LBB77_58:                              ;   in Loop: Header=BB77_16 Depth=1
                                        ; implicit-def: $vgpr8_vgpr9
                                        ; implicit-def: $vgpr4_vgpr5
	s_cbranch_execnz .LBB77_61
	s_branch .LBB77_70
.LBB77_59:                              ;   in Loop: Header=BB77_16 Depth=1
	s_or_b64 exec, exec, s[8:9]
.LBB77_60:                              ;   in Loop: Header=BB77_16 Depth=1
	s_or_b64 exec, exec, s[2:3]
	s_branch .LBB77_70
.LBB77_61:                              ;   in Loop: Header=BB77_16 Depth=1
	global_load_ushort v10, v11, s[90:91]
	s_mov_b64 s[74:75], 0
	s_waitcnt vmcnt(0)
	v_readfirstlane_b32 s2, v10
	s_and_b32 s2, 0xffff, s2
	s_lshl_b32 s27, s2, 2
	v_cvt_f32_u32_e32 v2, s27
	s_sub_i32 s2, 0, s27
	v_rcp_iflag_f32_e32 v4, v2
	v_pk_mov_b32 v[2:3], 0, 0
	v_pk_mov_b32 v[6:7], v[2:3], v[2:3] op_sel:[0,1]
	v_mul_f32_e32 v4, 0x4f7ffffe, v4
	v_cvt_u32_f32_e32 v8, v4
	v_pk_mov_b32 v[4:5], v[2:3], v[2:3] op_sel:[0,1]
	v_readfirstlane_b32 s3, v8
	s_mul_i32 s2, s2, s3
	s_mul_hi_u32 s2, s3, s2
	s_add_i32 s3, s3, s2
	s_mul_hi_u32 s2, s70, s3
	s_mul_i32 s2, s2, s27
	s_sub_i32 s2, s70, s2
	s_sub_i32 s3, s2, s27
	s_cmp_ge_u32 s2, s27
	s_cselect_b32 s2, s3, s2
	s_sub_i32 s3, s2, s27
	s_cmp_ge_u32 s2, s27
	s_cselect_b32 s2, s3, s2
	s_sub_i32 s80, s70, s2
	v_cmp_gt_u32_e32 vcc, s80, v16
	v_pk_mov_b32 v[8:9], v[2:3], v[2:3] op_sel:[0,1]
	s_and_saveexec_b64 s[8:9], vcc
	s_cbranch_execz .LBB77_65
; %bb.62:                               ;   in Loop: Header=BB77_16 Depth=1
	s_and_b32 s71, s1, 0xfe
	v_mov_b32_e32 v22, v16
	s_mov_b64 s[56:57], 0
	s_mov_b64 s[92:93], 0
	;; [unrolled: 1-line block ×4, first 2 shown]
	v_pk_mov_b32 v[20:21], v[16:17], v[16:17] op_sel:[0,1]
.LBB77_63:                              ;   Parent Loop BB77_16 Depth=1
                                        ; =>  This Inner Loop Header: Depth=2
	ds_read_b32 v2, v22
	v_add_co_u32_e32 v20, vcc, s27, v20
	v_addc_co_u32_e32 v21, vcc, 0, v21, vcc
	s_waitcnt lgkmcnt(0)
	v_and_b32_e32 v4, 0xff, v2
	v_bfe_u32 v5, v2, 8, 8
	v_and_b32_e32 v6, s87, v4
	v_bfe_u32 v4, v4, s71, 2
	v_lshrrev_b32_e32 v3, 24, v2
	v_bfe_u32 v2, v2, 16, 8
	v_and_b32_e32 v7, s87, v5
	v_bfe_u32 v5, v5, s71, 2
	v_cmp_eq_u32_e64 s[16:17], s26, v6
	v_cmp_eq_u32_e64 s[6:7], 0, v4
	v_and_b32_e32 v8, s87, v2
	v_bfe_u32 v2, v2, s71, 2
	v_cmp_eq_u32_e64 s[14:15], s26, v7
	v_cmp_eq_u32_e64 s[28:29], 0, v5
	s_and_b64 s[6:7], s[16:17], s[6:7]
	v_and_b32_e32 v9, s87, v3
	v_bfe_u32 v3, v3, s71, 2
	v_cmp_eq_u32_e64 s[12:13], s26, v8
	v_cmp_eq_u32_e64 s[30:31], 0, v2
	;; [unrolled: 1-line block ×5, first 2 shown]
	v_cndmask_b32_e64 v2, 0, 1, s[6:7]
	s_and_b64 s[6:7], s[14:15], s[28:29]
	v_cmp_eq_u32_e64 s[10:11], s26, v9
	v_cmp_eq_u32_e64 s[34:35], 0, v3
	v_cmp_eq_u32_e64 s[42:43], 1, v3
	v_cmp_eq_u32_e64 s[50:51], 2, v3
	v_cmp_eq_u32_e64 s[18:19], 3, v3
	v_cndmask_b32_e64 v3, 0, 1, s[6:7]
	s_and_b64 s[6:7], s[12:13], s[30:31]
	v_cmp_eq_u32_e64 s[36:37], 1, v4
	v_cmp_eq_u32_e64 s[44:45], 2, v4
	v_cmp_eq_u32_e64 s[24:25], 3, v4
	v_cndmask_b32_e64 v4, 0, 1, s[6:7]
	s_and_b64 s[6:7], s[10:11], s[34:35]
	v_cmp_eq_u32_e64 s[38:39], 1, v5
	v_cmp_eq_u32_e64 s[46:47], 2, v5
	;; [unrolled: 1-line block ×3, first 2 shown]
	v_cndmask_b32_e64 v5, 0, 1, s[6:7]
	v_cmp_ne_u32_e64 s[6:7], 0, v2
	v_cmp_ne_u32_e64 s[28:29], 0, v3
	v_cmp_ne_u32_e64 s[30:31], 0, v4
	v_cmp_ne_u32_e64 s[34:35], 0, v5
	s_bcnt1_i32_b64 s6, s[6:7]
	s_bcnt1_i32_b64 s7, s[28:29]
	s_bcnt1_i32_b64 s28, s[30:31]
	s_bcnt1_i32_b64 s29, s[34:35]
	s_add_u32 s2, s6, s2
	s_addc_u32 s3, 0, s3
	s_add_u32 s2, s2, s7
	s_addc_u32 s3, s3, 0
	s_add_u32 s2, s2, s28
	s_addc_u32 s3, s3, 0
	s_add_u32 s2, s2, s29
	s_addc_u32 s3, s3, 0
	s_and_b64 s[6:7], s[16:17], s[36:37]
	v_cndmask_b32_e64 v4, 0, 1, s[6:7]
	s_and_b64 s[6:7], s[14:15], s[38:39]
	v_cndmask_b32_e64 v5, 0, 1, s[6:7]
	s_and_b64 s[6:7], s[12:13], s[40:41]
	v_cndmask_b32_e64 v6, 0, 1, s[6:7]
	s_and_b64 s[6:7], s[10:11], s[42:43]
	v_cndmask_b32_e64 v7, 0, 1, s[6:7]
	v_cmp_ne_u32_e64 s[6:7], 0, v4
	v_cmp_ne_u32_e64 s[28:29], 0, v5
	v_cmp_ne_u32_e64 s[30:31], 0, v6
	v_cmp_ne_u32_e64 s[34:35], 0, v7
	s_bcnt1_i32_b64 s6, s[6:7]
	s_bcnt1_i32_b64 s7, s[28:29]
	s_bcnt1_i32_b64 s28, s[30:31]
	s_bcnt1_i32_b64 s29, s[34:35]
	s_add_u32 s6, s6, s94
	s_addc_u32 s30, 0, s95
	s_add_u32 s6, s6, s7
	s_addc_u32 s7, s30, 0
	s_add_u32 s6, s6, s28
	s_addc_u32 s7, s7, 0
	s_add_u32 s94, s6, s29
	s_addc_u32 s95, s7, 0
	s_and_b64 s[6:7], s[16:17], s[44:45]
	v_cndmask_b32_e64 v6, 0, 1, s[6:7]
	s_and_b64 s[6:7], s[14:15], s[46:47]
	v_cndmask_b32_e64 v7, 0, 1, s[6:7]
	s_and_b64 s[6:7], s[12:13], s[48:49]
	v_cndmask_b32_e64 v8, 0, 1, s[6:7]
	s_and_b64 s[6:7], s[10:11], s[50:51]
	;; [unrolled: 24-line block ×3, first 2 shown]
	v_cndmask_b32_e64 v30, 0, 1, s[6:7]
	v_cmp_ne_u32_e64 s[6:7], 0, v8
	v_cmp_ne_u32_e64 s[10:11], 0, v9
	;; [unrolled: 1-line block ×4, first 2 shown]
	s_bcnt1_i32_b64 s6, s[6:7]
	s_bcnt1_i32_b64 s7, s[10:11]
	;; [unrolled: 1-line block ×4, first 2 shown]
	s_add_u32 s6, s6, s56
	s_addc_u32 s12, 0, s57
	s_add_u32 s6, s6, s7
	s_addc_u32 s7, s12, 0
	;; [unrolled: 2-line block ×3, first 2 shown]
	s_add_u32 s56, s6, s11
	v_cmp_le_u64_e32 vcc, s[80:81], v[20:21]
	s_addc_u32 s57, s7, 0
	v_add_u32_e32 v22, s27, v22
	v_pk_mov_b32 v[2:3], s[2:3], s[2:3] op_sel:[0,1]
	v_pk_mov_b32 v[4:5], s[94:95], s[94:95] op_sel:[0,1]
	v_pk_mov_b32 v[6:7], s[92:93], s[92:93] op_sel:[0,1]
	s_or_b64 s[74:75], vcc, s[74:75]
	v_pk_mov_b32 v[8:9], s[56:57], s[56:57] op_sel:[0,1]
	s_andn2_b64 exec, exec, s[74:75]
	s_cbranch_execnz .LBB77_63
; %bb.64:                               ;   in Loop: Header=BB77_16 Depth=1
	s_or_b64 exec, exec, s[74:75]
.LBB77_65:                              ;   in Loop: Header=BB77_16 Depth=1
	s_or_b64 exec, exec, s[8:9]
	v_and_b32_e32 v22, 0xffff, v10
	v_add_u32_e32 v10, s80, v0
	v_cmp_gt_u32_e32 vcc, s70, v10
	s_and_saveexec_b64 s[2:3], vcc
	s_cbranch_execz .LBB77_69
; %bb.66:                               ;   in Loop: Header=BB77_16 Depth=1
	s_and_b32 s8, s70, 0x7fffffff
	s_mov_b32 s9, s81
	s_and_b32 s20, s1, 0xfe
	v_add_u32_e32 v23, s80, v0
	s_mov_b64 s[18:19], 0
	v_pk_mov_b32 v[20:21], v[10:11], v[10:11] op_sel:[0,1]
.LBB77_67:                              ;   Parent Loop BB77_16 Depth=1
                                        ; =>  This Inner Loop Header: Depth=2
	ds_read_u8 v10, v23
	v_add_co_u32_e32 v20, vcc, v20, v22
	v_addc_co_u32_e32 v21, vcc, 0, v21, vcc
	s_waitcnt lgkmcnt(0)
	v_and_b32_e32 v30, s87, v10
	v_bfe_u32 v10, v10, s20, 2
	v_cmp_eq_u32_e64 s[6:7], s26, v30
	v_cmp_eq_u32_e64 s[10:11], 0, v10
	;; [unrolled: 1-line block ×3, first 2 shown]
	s_and_b64 s[10:11], s[6:7], s[10:11]
	v_cmp_eq_u32_e64 s[14:15], 2, v10
	v_cmp_eq_u32_e64 s[16:17], 3, v10
	v_cndmask_b32_e64 v10, 0, 1, s[10:11]
	s_and_b64 s[10:11], s[6:7], s[12:13]
	v_cndmask_b32_e64 v30, 0, 1, s[10:11]
	s_and_b64 s[10:11], s[6:7], s[14:15]
	s_and_b64 s[6:7], s[6:7], s[16:17]
	v_cndmask_b32_e64 v32, 0, 1, s[6:7]
	v_cmp_ne_u32_e64 s[6:7], 0, v10
	s_bcnt1_i32_b64 s6, s[6:7]
	v_cndmask_b32_e64 v31, 0, 1, s[10:11]
	v_cmp_ne_u32_e64 s[10:11], 0, v30
	v_add_co_u32_e64 v2, s[6:7], s6, v2
	s_bcnt1_i32_b64 s10, s[10:11]
	v_addc_co_u32_e64 v3, s[6:7], 0, v3, s[6:7]
	v_cmp_ne_u32_e64 s[12:13], 0, v31
	v_cmp_ne_u32_e64 s[14:15], 0, v32
	v_add_co_u32_e64 v4, s[6:7], s10, v4
	v_cmp_le_u64_e32 vcc, s[8:9], v[20:21]
	s_bcnt1_i32_b64 s11, s[12:13]
	s_bcnt1_i32_b64 s12, s[14:15]
	v_addc_co_u32_e64 v5, s[6:7], 0, v5, s[6:7]
	v_add_co_u32_e64 v6, s[6:7], s11, v6
	s_or_b64 s[18:19], vcc, s[18:19]
	v_add_co_u32_e32 v8, vcc, s12, v8
	v_add_u32_e32 v23, v23, v22
	v_addc_co_u32_e64 v7, s[6:7], 0, v7, s[6:7]
	v_addc_co_u32_e32 v9, vcc, 0, v9, vcc
	s_andn2_b64 exec, exec, s[18:19]
	s_cbranch_execnz .LBB77_67
; %bb.68:                               ;   in Loop: Header=BB77_16 Depth=1
	s_or_b64 exec, exec, s[18:19]
.LBB77_69:                              ;   in Loop: Header=BB77_16 Depth=1
	s_or_b64 exec, exec, s[2:3]
.LBB77_70:                              ;   in Loop: Header=BB77_16 Depth=1
	s_lshl_b32 s6, s86, 6
	s_and_saveexec_b64 s[2:3], s[4:5]
	s_cbranch_execz .LBB77_72
; %bb.71:                               ;   in Loop: Header=BB77_16 Depth=1
	s_waitcnt vmcnt(0)
	v_or_b32_e32 v10, s6, v25
	v_lshlrev_b32_e32 v10, 3, v10
	ds_write_b128 v10, v[2:5] offset:3072
	ds_write_b128 v10, v[6:9] offset:3088
.LBB77_72:                              ;   in Loop: Header=BB77_16 Depth=1
	s_or_b64 exec, exec, s[2:3]
	s_waitcnt lgkmcnt(0)
	s_barrier
	s_and_saveexec_b64 s[2:3], s[82:83]
	s_cbranch_execz .LBB77_84
; %bb.73:                               ;   in Loop: Header=BB77_16 Depth=1
	v_readlane_b32 s8, v38, 30
	v_readlane_b32 s9, v38, 31
	s_andn2_b64 vcc, exec, s[8:9]
	v_pk_mov_b32 v[2:3], 0, 0
	s_cbranch_vccnz .LBB77_83
; %bb.74:                               ;   in Loop: Header=BB77_16 Depth=1
	v_readlane_b32 s8, v38, 34
	v_readlane_b32 s9, v38, 35
	s_andn2_b64 vcc, exec, s[8:9]
	s_cbranch_vccnz .LBB77_79
; %bb.75:                               ;   in Loop: Header=BB77_16 Depth=1
	s_waitcnt vmcnt(0)
	v_lshl_add_u32 v4, s86, 9, v27
	s_mov_b32 s7, 0
	v_pk_mov_b32 v[2:3], 0, 0
.LBB77_76:                              ;   Parent Loop BB77_16 Depth=1
                                        ; =>  This Inner Loop Header: Depth=2
	ds_read2_b64 v[6:9], v4 offset1:4
	ds_read2_b64 v[20:23], v4 offset0:8 offset1:12
	ds_read2_b64 v[30:33], v4 offset0:16 offset1:20
	;; [unrolled: 1-line block ×3, first 2 shown]
	s_add_i32 s7, s7, 8
	s_waitcnt lgkmcnt(3)
	v_add_co_u32_e32 v2, vcc, v6, v2
	v_addc_co_u32_e32 v3, vcc, v7, v3, vcc
	v_add_co_u32_e32 v2, vcc, v8, v2
	v_addc_co_u32_e32 v3, vcc, v9, v3, vcc
	s_waitcnt lgkmcnt(2)
	v_add_co_u32_e32 v2, vcc, v20, v2
	v_addc_co_u32_e32 v3, vcc, v21, v3, vcc
	v_add_co_u32_e32 v2, vcc, v22, v2
	v_addc_co_u32_e32 v3, vcc, v23, v3, vcc
	;; [unrolled: 5-line block ×3, first 2 shown]
	s_waitcnt lgkmcnt(0)
	v_add_co_u32_e32 v2, vcc, v34, v2
	v_addc_co_u32_e32 v3, vcc, v35, v3, vcc
	v_add_co_u32_e32 v2, vcc, v36, v2
	v_add_u32_e32 v4, 0x100, v4
	s_cmp_eq_u32 s0, s7
	v_addc_co_u32_e32 v3, vcc, v37, v3, vcc
	s_cbranch_scc0 .LBB77_76
; %bb.77:                               ;   in Loop: Header=BB77_16 Depth=1
	s_mov_b32 s7, s0
	s_branch .LBB77_80
.LBB77_78:                              ;   in Loop: Header=BB77_16 Depth=1
                                        ; implicit-def: $vgpr2_vgpr3
	s_branch .LBB77_46
.LBB77_79:                              ;   in Loop: Header=BB77_16 Depth=1
	s_mov_b32 s7, 0
	v_pk_mov_b32 v[2:3], 0, 0
.LBB77_80:                              ;   in Loop: Header=BB77_16 Depth=1
	v_readlane_b32 s8, v38, 37
	v_readlane_b32 s9, v38, 38
	s_andn2_b64 vcc, exec, s[8:9]
	s_cbranch_vccnz .LBB77_83
; %bb.81:                               ;   in Loop: Header=BB77_16 Depth=1
	s_lshl_b32 s8, s86, 9
	s_lshl_b32 s7, s7, 5
	s_add_i32 s8, s8, s7
	s_waitcnt vmcnt(0)
	v_add_u32_e32 v4, s8, v27
	v_readlane_b32 s7, v38, 36
.LBB77_82:                              ;   Parent Loop BB77_16 Depth=1
                                        ; =>  This Inner Loop Header: Depth=2
	ds_read_b64 v[6:7], v4
	s_add_i32 s7, s7, -1
	v_add_u32_e32 v4, 32, v4
	s_cmp_lg_u32 s7, 0
	s_waitcnt lgkmcnt(0)
	v_add_co_u32_e32 v2, vcc, v6, v2
	v_addc_co_u32_e32 v3, vcc, v7, v3, vcc
	s_cbranch_scc1 .LBB77_82
.LBB77_83:                              ;   in Loop: Header=BB77_16 Depth=1
	s_waitcnt vmcnt(0)
	v_add_lshl_u32 v4, s6, v24, 3
	ds_write_b64 v4, v[2:3] offset:3072
.LBB77_84:                              ;   in Loop: Header=BB77_16 Depth=1
	s_or_b64 exec, exec, s[2:3]
	s_lshl_b32 s2, s6, 3
	v_mov_b32_e32 v6, s2
	s_waitcnt lgkmcnt(0)
	s_barrier
	s_waitcnt vmcnt(0)
	ds_read_b128 v[2:5], v6 offset:3072
	ds_read_b128 v[6:9], v6 offset:3088
	s_and_b32 s38, s1, 0xfe
	s_lshl_b32 s27, 3, s38
	s_not_b32 s39, s27
	s_waitcnt lgkmcnt(1)
	v_readfirstlane_b32 s13, v3
	v_readfirstlane_b32 s12, v2
	s_cmp_eq_u64 s[12:13], 1
	s_cselect_b64 s[2:3], -1, 0
	s_cmp_eq_u64 s[84:85], 1
	s_cselect_b64 s[8:9], -1, 0
	s_and_b64 s[18:19], s[2:3], s[8:9]
	v_readfirstlane_b32 s24, v4
	v_readfirstlane_b32 s25, v5
	s_waitcnt lgkmcnt(0)
	v_readfirstlane_b32 s14, v6
	v_readfirstlane_b32 s15, v7
	;; [unrolled: 1-line block ×4, first 2 shown]
	s_mov_b64 s[16:17], -1
	s_and_b64 vcc, exec, s[18:19]
	s_cbranch_vccz .LBB77_98
; %bb.85:                               ;   in Loop: Header=BB77_16 Depth=1
	ds_read_b64 v[2:3], v11 offset:5120
	s_waitcnt lgkmcnt(0)
	s_barrier
	v_readfirstlane_b32 s2, v2
	v_readfirstlane_b32 s3, v3
	s_mov_b64 s[8:9], exec
	v_readlane_b32 s10, v38, 26
	v_readlane_b32 s11, v38, 27
	s_and_b64 s[10:11], s[8:9], s[10:11]
	s_mov_b64 exec, s[10:11]
	s_cbranch_execz .LBB77_87
; %bb.86:                               ;   in Loop: Header=BB77_16 Depth=1
	ds_write_b8 v0, v1 offset:3072
.LBB77_87:                              ;   in Loop: Header=BB77_16 Depth=1
	s_or_b64 exec, exec, s[8:9]
	s_and_b32 s26, s26, s39
	s_or_b32 s87, s87, s27
	s_cmp_eq_u64 s[2:3], 0
	s_waitcnt lgkmcnt(0)
	s_barrier
	s_cbranch_scc1 .LBB77_99
; %bb.88:                               ;   in Loop: Header=BB77_16 Depth=1
	v_readlane_b32 s8, v38, 32
	s_add_u32 s20, s8, s2
	v_readlane_b32 s8, v38, 33
	s_addc_u32 s9, s8, s3
	s_mov_b32 s8, s81
	s_cmp_lg_u64 s[8:9], 0
	s_cbranch_scc0 .LBB77_142
; %bb.89:                               ;   in Loop: Header=BB77_16 Depth=1
	v_cvt_f32_u32_e32 v2, s33
	s_sub_u32 s8, 0, s33
	s_subb_u32 s10, 0, 0
	v_mac_f32_e32 v2, 0, v28
	v_rcp_f32_e32 v2, v2
	v_mul_f32_e32 v2, 0x5f7ffffc, v2
	v_mul_f32_e32 v3, 0x2f800000, v2
	v_trunc_f32_e32 v3, v3
	v_mac_f32_e32 v2, 0xcf800000, v3
	v_cvt_u32_f32_e32 v3, v3
	v_cvt_u32_f32_e32 v2, v2
	v_readfirstlane_b32 s11, v3
	v_readfirstlane_b32 s21, v2
	s_mul_i32 s22, s8, s11
	s_mul_hi_u32 s28, s8, s21
	s_mul_i32 s23, s10, s21
	s_add_i32 s22, s28, s22
	s_mul_i32 s29, s8, s21
	s_add_i32 s22, s22, s23
	s_mul_hi_u32 s28, s21, s29
	s_mul_hi_u32 s23, s21, s22
	s_mul_i32 s21, s21, s22
	s_add_u32 s21, s28, s21
	s_addc_u32 s23, 0, s23
	s_mul_hi_u32 s30, s11, s29
	s_mul_i32 s29, s11, s29
	s_add_u32 s21, s21, s29
	s_mul_hi_u32 s28, s11, s22
	s_addc_u32 s21, s23, s30
	s_addc_u32 s23, s28, 0
	s_mul_i32 s22, s11, s22
	s_add_u32 s21, s21, s22
	s_addc_u32 s22, 0, s23
	v_add_co_u32_e32 v2, vcc, s21, v2
	s_cmp_lg_u64 vcc, 0
	s_addc_u32 s11, s11, s22
	v_readfirstlane_b32 s22, v2
	s_mul_i32 s21, s8, s11
	s_mul_hi_u32 s23, s8, s22
	s_add_i32 s21, s23, s21
	s_mul_i32 s10, s10, s22
	s_add_i32 s21, s21, s10
	s_mul_i32 s8, s8, s22
	s_mul_hi_u32 s23, s11, s8
	s_mul_i32 s28, s11, s8
	s_mul_i32 s30, s22, s21
	s_mul_hi_u32 s8, s22, s8
	s_mul_hi_u32 s29, s22, s21
	s_add_u32 s8, s8, s30
	s_addc_u32 s22, 0, s29
	s_add_u32 s8, s8, s28
	s_mul_hi_u32 s10, s11, s21
	s_addc_u32 s8, s22, s23
	s_addc_u32 s10, s10, 0
	s_mul_i32 s21, s11, s21
	s_add_u32 s8, s8, s21
	s_addc_u32 s10, 0, s10
	v_add_co_u32_e32 v2, vcc, s8, v2
	s_cmp_lg_u64 vcc, 0
	s_addc_u32 s8, s11, s10
	v_readfirstlane_b32 s21, v2
	s_mul_i32 s11, s20, s8
	s_mul_hi_u32 s22, s20, s21
	s_mul_hi_u32 s10, s20, s8
	s_add_u32 s11, s22, s11
	s_addc_u32 s10, 0, s10
	s_mul_hi_u32 s23, s9, s21
	s_mul_i32 s21, s9, s21
	s_add_u32 s11, s11, s21
	s_mul_hi_u32 s22, s9, s8
	s_addc_u32 s10, s10, s23
	s_addc_u32 s11, s22, 0
	s_mul_i32 s8, s9, s8
	s_add_u32 s8, s10, s8
	s_addc_u32 s10, 0, s11
	s_mul_hi_u32 s11, s33, s8
	s_mul_i32 s8, s33, s8
	s_mul_i32 s10, s33, s10
	v_mov_b32_e32 v2, s8
	s_add_i32 s11, s11, s10
	v_sub_co_u32_e32 v2, vcc, s20, v2
	s_cmp_lg_u64 vcc, 0
	s_subb_u32 s8, s9, s11
	v_subrev_co_u32_e32 v3, vcc, s33, v2
	s_cmp_lg_u64 vcc, 0
	s_subb_u32 s10, s8, 0
	v_subrev_co_u32_e32 v4, vcc, s33, v3
	s_cmp_lg_u64 vcc, 0
	s_subb_u32 s11, s10, 0
	v_cmp_le_u32_e32 vcc, s33, v3
	s_cmp_eq_u32 s10, 0
	v_cndmask_b32_e64 v5, 0, -1, vcc
	s_cselect_b64 vcc, -1, 0
	v_cndmask_b32_e32 v5, -1, v5, vcc
	v_mov_b32_e32 v6, s10
	v_mov_b32_e32 v7, s11
	v_cmp_ne_u32_e32 vcc, 0, v5
	v_cndmask_b32_e32 v5, v6, v7, vcc
	v_cndmask_b32_e32 v4, v3, v4, vcc
	v_cmp_le_u32_e32 vcc, s33, v2
	s_cmp_eq_u32 s8, 0
	v_cndmask_b32_e64 v3, 0, -1, vcc
	s_cselect_b64 vcc, -1, 0
	v_cndmask_b32_e32 v3, -1, v3, vcc
	v_mov_b32_e32 v6, s8
	v_cmp_ne_u32_e32 vcc, 0, v3
	v_cndmask_b32_e32 v3, v6, v5, vcc
	v_cndmask_b32_e32 v2, v2, v4, vcc
	s_cbranch_execnz .LBB77_91
.LBB77_90:                              ;   in Loop: Header=BB77_16 Depth=1
	v_cvt_f32_u32_e32 v2, s33
	s_sub_i32 s8, 0, s33
	v_rcp_iflag_f32_e32 v2, v2
	v_mul_f32_e32 v2, 0x4f7ffffe, v2
	v_cvt_u32_f32_e32 v2, v2
	v_mul_lo_u32 v3, s8, v2
	v_mul_hi_u32 v3, v2, v3
	v_add_u32_e32 v2, v2, v3
	v_mul_hi_u32 v2, s20, v2
	v_mul_lo_u32 v2, v2, s33
	v_sub_u32_e32 v2, s20, v2
	v_subrev_u32_e32 v3, s33, v2
	v_cmp_le_u32_e32 vcc, s33, v2
	v_cndmask_b32_e32 v2, v2, v3, vcc
	v_subrev_u32_e32 v3, s33, v2
	v_cmp_le_u32_e32 vcc, s33, v2
	v_cndmask_b32_e32 v10, v2, v3, vcc
	v_pk_mov_b32 v[2:3], v[10:11], v[10:11] op_sel:[0,1]
.LBB77_91:                              ;   in Loop: Header=BB77_16 Depth=1
	v_mov_b32_e32 v4, s9
	v_sub_co_u32_e32 v2, vcc, s20, v2
	v_subb_co_u32_e32 v3, vcc, v4, v3, vcc
	v_cmp_gt_u64_e32 vcc, v[2:3], v[0:1]
	s_mov_b64 s[8:9], 0
                                        ; implicit-def: $vgpr29
	s_and_saveexec_b64 s[10:11], vcc
	s_cbranch_execz .LBB77_101
; %bb.92:                               ;   in Loop: Header=BB77_16 Depth=1
	v_mov_b32_e32 v6, v0
	v_pk_mov_b32 v[4:5], v[0:1], v[0:1] op_sel:[0,1]
                                        ; implicit-def: $sgpr20_sgpr21
	s_branch .LBB77_94
.LBB77_93:                              ;   in Loop: Header=BB77_94 Depth=2
	s_or_b64 exec, exec, s[22:23]
	s_waitcnt lgkmcnt(0)
	s_barrier
	ds_read_u16 v7, v11 offset:3072
	v_mov_b32_e32 v8, s55
	v_add_co_u32_e32 v4, vcc, s33, v4
	v_addc_co_u32_e32 v5, vcc, v5, v8, vcc
	s_waitcnt lgkmcnt(0)
	v_cmp_ne_u16_sdwa s[22:23], v7, v1 src0_sel:BYTE_0 src1_sel:DWORD
	v_cmp_ge_u64_e32 vcc, v[4:5], v[2:3]
	s_or_b64 s[28:29], vcc, s[22:23]
	s_and_b64 s[28:29], exec, s[28:29]
	s_or_b64 s[8:9], s[28:29], s[8:9]
	s_andn2_b64 s[20:21], s[20:21], exec
	s_and_b64 s[22:23], s[22:23], exec
	v_add_u32_e32 v6, s33, v6
	s_or_b64 s[20:21], s[20:21], s[22:23]
	s_barrier
	s_andn2_b64 exec, exec, s[8:9]
	s_cbranch_execz .LBB77_100
.LBB77_94:                              ;   Parent Loop BB77_16 Depth=1
                                        ; =>  This Inner Loop Header: Depth=2
	v_cmp_gt_u64_e32 vcc, s[2:3], v[4:5]
	v_mov_b32_e32 v7, 0
	s_and_saveexec_b64 s[22:23], vcc
	s_cbranch_execz .LBB77_96
; %bb.95:                               ;   in Loop: Header=BB77_94 Depth=2
	ds_read_u8 v7, v6
.LBB77_96:                              ;   in Loop: Header=BB77_94 Depth=2
	s_or_b64 exec, exec, s[22:23]
	s_waitcnt lgkmcnt(0)
	v_and_b32_e32 v8, s87, v7
	v_cmp_eq_u32_sdwa s[22:23], v8, s26 src0_sel:BYTE_0 src1_sel:DWORD
	s_and_b64 s[28:29], vcc, s[22:23]
	s_and_saveexec_b64 s[22:23], s[28:29]
	s_cbranch_execz .LBB77_93
; %bb.97:                               ;   in Loop: Header=BB77_94 Depth=2
	v_lshlrev_b16_e32 v7, 8, v7
	v_or_b32_e32 v7, 1, v7
	ds_write_b16 v11, v7 offset:3072
	s_branch .LBB77_93
.LBB77_98:                              ;   in Loop: Header=BB77_16 Depth=1
	s_mov_b64 s[8:9], -1
                                        ; implicit-def: $sgpr2_sgpr3
                                        ; implicit-def: $sgpr20_sgpr21
                                        ; implicit-def: $sgpr10_sgpr11
	s_branch .LBB77_114
.LBB77_99:                              ;   in Loop: Header=BB77_16 Depth=1
	s_mov_b64 s[2:3], -1
	s_mov_b64 s[8:9], 0
                                        ; implicit-def: $sgpr10_sgpr11
                                        ; implicit-def: $vgpr29
	s_mov_b64 s[20:21], s[2:3]
	s_cbranch_execnz .LBB77_102
	s_branch .LBB77_114
.LBB77_100:                             ;   in Loop: Header=BB77_16 Depth=1
	s_or_b64 exec, exec, s[8:9]
	v_lshrrev_b16_e32 v29, 8, v7
	s_and_b64 s[8:9], s[20:21], exec
.LBB77_101:                             ;   in Loop: Header=BB77_16 Depth=1
	s_or_b64 exec, exec, s[10:11]
	s_mov_b64 s[10:11], -1
	s_mov_b64 s[2:3], 0
	s_mov_b64 s[20:21], s[2:3]
	s_branch .LBB77_114
.LBB77_102:                             ;   in Loop: Header=BB77_16 Depth=1
	s_mov_b32 s88, s81
	s_cmp_lg_u64 s[88:89], 0
	s_cbranch_scc0 .LBB77_146
; %bb.103:                              ;   in Loop: Header=BB77_16 Depth=1
	v_cvt_f32_u32_e32 v2, s33
	s_sub_u32 s2, 0, s33
	s_subb_u32 s3, 0, 0
	v_mac_f32_e32 v2, 0, v28
	v_rcp_f32_e32 v2, v2
	v_mul_f32_e32 v2, 0x5f7ffffc, v2
	v_mul_f32_e32 v3, 0x2f800000, v2
	v_trunc_f32_e32 v3, v3
	v_mac_f32_e32 v2, 0xcf800000, v3
	v_cvt_u32_f32_e32 v3, v3
	v_cvt_u32_f32_e32 v2, v2
	v_readfirstlane_b32 s8, v3
	v_readfirstlane_b32 s9, v2
	s_mul_i32 s10, s2, s8
	s_mul_hi_u32 s20, s2, s9
	s_mul_i32 s11, s3, s9
	s_add_i32 s10, s20, s10
	s_mul_i32 s21, s2, s9
	s_add_i32 s10, s10, s11
	s_mul_hi_u32 s20, s9, s21
	s_mul_hi_u32 s11, s9, s10
	s_mul_i32 s9, s9, s10
	s_add_u32 s9, s20, s9
	s_addc_u32 s11, 0, s11
	s_mul_hi_u32 s22, s8, s21
	s_mul_i32 s21, s8, s21
	s_add_u32 s9, s9, s21
	s_mul_hi_u32 s20, s8, s10
	s_addc_u32 s9, s11, s22
	s_addc_u32 s11, s20, 0
	s_mul_i32 s10, s8, s10
	s_add_u32 s9, s9, s10
	s_addc_u32 s10, 0, s11
	v_add_co_u32_e32 v2, vcc, s9, v2
	s_cmp_lg_u64 vcc, 0
	s_addc_u32 s8, s8, s10
	v_readfirstlane_b32 s10, v2
	s_mul_i32 s9, s2, s8
	s_mul_hi_u32 s11, s2, s10
	s_add_i32 s9, s11, s9
	s_mul_i32 s3, s3, s10
	s_add_i32 s9, s9, s3
	s_mul_i32 s2, s2, s10
	s_mul_hi_u32 s11, s8, s2
	s_mul_i32 s20, s8, s2
	s_mul_i32 s22, s10, s9
	s_mul_hi_u32 s2, s10, s2
	s_mul_hi_u32 s21, s10, s9
	s_add_u32 s2, s2, s22
	s_addc_u32 s10, 0, s21
	s_add_u32 s2, s2, s20
	s_mul_hi_u32 s3, s8, s9
	s_addc_u32 s2, s10, s11
	s_addc_u32 s3, s3, 0
	s_mul_i32 s9, s8, s9
	s_add_u32 s2, s2, s9
	s_addc_u32 s3, 0, s3
	v_add_co_u32_e32 v2, vcc, s2, v2
	s_cmp_lg_u64 vcc, 0
	s_addc_u32 s2, s8, s3
	v_readfirstlane_b32 s9, v2
	s_mul_i32 s8, s54, s2
	s_mul_hi_u32 s10, s54, s9
	s_mul_hi_u32 s3, s54, s2
	s_add_u32 s8, s10, s8
	s_addc_u32 s3, 0, s3
	s_mul_hi_u32 s11, s89, s9
	s_mul_i32 s9, s89, s9
	s_add_u32 s8, s8, s9
	s_mul_hi_u32 s10, s89, s2
	s_addc_u32 s3, s3, s11
	s_addc_u32 s8, s10, 0
	s_mul_i32 s2, s89, s2
	s_add_u32 s2, s3, s2
	s_addc_u32 s3, 0, s8
	s_mul_hi_u32 s8, s33, s2
	s_mul_i32 s2, s33, s2
	s_mul_i32 s3, s33, s3
	v_mov_b32_e32 v2, s2
	s_add_i32 s8, s8, s3
	v_sub_co_u32_e32 v2, vcc, s54, v2
	s_cmp_lg_u64 vcc, 0
	s_subb_u32 s2, s89, s8
	v_subrev_co_u32_e32 v3, vcc, s33, v2
	s_cmp_lg_u64 vcc, 0
	s_subb_u32 s3, s2, 0
	v_subrev_co_u32_e32 v4, vcc, s33, v3
	s_cmp_lg_u64 vcc, 0
	s_subb_u32 s8, s3, 0
	v_cmp_le_u32_e32 vcc, s33, v3
	s_cmp_eq_u32 s3, 0
	v_cndmask_b32_e64 v5, 0, -1, vcc
	s_cselect_b64 vcc, -1, 0
	v_cndmask_b32_e32 v5, -1, v5, vcc
	v_mov_b32_e32 v6, s3
	v_mov_b32_e32 v7, s8
	v_cmp_ne_u32_e32 vcc, 0, v5
	v_cndmask_b32_e32 v5, v6, v7, vcc
	v_cndmask_b32_e32 v4, v3, v4, vcc
	v_cmp_le_u32_e32 vcc, s33, v2
	s_cmp_eq_u32 s2, 0
	v_cndmask_b32_e64 v3, 0, -1, vcc
	s_cselect_b64 vcc, -1, 0
	v_cndmask_b32_e32 v3, -1, v3, vcc
	v_mov_b32_e32 v6, s2
	v_cmp_ne_u32_e32 vcc, 0, v3
	v_cndmask_b32_e32 v3, v6, v5, vcc
	v_cndmask_b32_e32 v2, v2, v4, vcc
	s_cbranch_execnz .LBB77_105
.LBB77_104:                             ;   in Loop: Header=BB77_16 Depth=1
	v_cvt_f32_u32_e32 v2, s33
	s_sub_i32 s2, 0, s33
	v_rcp_iflag_f32_e32 v2, v2
	v_mul_f32_e32 v2, 0x4f7ffffe, v2
	v_cvt_u32_f32_e32 v2, v2
	v_mul_lo_u32 v3, s2, v2
	v_mul_hi_u32 v3, v2, v3
	v_add_u32_e32 v2, v2, v3
	v_mul_hi_u32 v2, s54, v2
	v_mul_lo_u32 v2, v2, s33
	v_sub_u32_e32 v2, s54, v2
	v_subrev_u32_e32 v3, s33, v2
	v_cmp_le_u32_e32 vcc, s33, v2
	v_cndmask_b32_e32 v2, v2, v3, vcc
	v_subrev_u32_e32 v3, s33, v2
	v_cmp_le_u32_e32 vcc, s33, v2
	v_cndmask_b32_e32 v10, v2, v3, vcc
	v_pk_mov_b32 v[2:3], v[10:11], v[10:11] op_sel:[0,1]
.LBB77_105:                             ;   in Loop: Header=BB77_16 Depth=1
	v_mov_b32_e32 v4, s89
	v_sub_co_u32_e32 v2, vcc, s54, v2
	v_subb_co_u32_e32 v3, vcc, v4, v3, vcc
	v_cmp_gt_u64_e32 vcc, v[2:3], v[0:1]
	s_mov_b64 s[8:9], 0
                                        ; implicit-def: $vgpr29
	s_and_saveexec_b64 s[2:3], vcc
	s_cbranch_execz .LBB77_113
; %bb.106:                              ;   in Loop: Header=BB77_16 Depth=1
	v_pk_mov_b32 v[4:5], v[0:1], v[0:1] op_sel:[0,1]
                                        ; implicit-def: $sgpr10_sgpr11
	s_branch .LBB77_108
.LBB77_107:                             ;   in Loop: Header=BB77_108 Depth=2
	s_or_b64 exec, exec, s[20:21]
	s_waitcnt lgkmcnt(0)
	s_barrier
	ds_read_u16 v6, v11 offset:3072
	v_mov_b32_e32 v7, s55
	v_add_co_u32_e32 v4, vcc, s33, v4
	v_addc_co_u32_e32 v5, vcc, v5, v7, vcc
	s_waitcnt lgkmcnt(0)
	v_cmp_ne_u16_sdwa s[20:21], v6, v1 src0_sel:BYTE_0 src1_sel:DWORD
	v_cmp_ge_u64_e32 vcc, v[4:5], v[2:3]
	s_or_b64 s[22:23], vcc, s[20:21]
	s_and_b64 s[22:23], exec, s[22:23]
	s_or_b64 s[8:9], s[22:23], s[8:9]
	s_andn2_b64 s[10:11], s[10:11], exec
	s_and_b64 s[20:21], s[20:21], exec
	s_or_b64 s[10:11], s[10:11], s[20:21]
	s_barrier
	s_andn2_b64 exec, exec, s[8:9]
	s_cbranch_execz .LBB77_112
.LBB77_108:                             ;   Parent Loop BB77_16 Depth=1
                                        ; =>  This Inner Loop Header: Depth=2
	v_cmp_gt_u64_e32 vcc, s[52:53], v[4:5]
	v_mov_b32_e32 v6, 0
	s_and_saveexec_b64 s[20:21], vcc
	s_cbranch_execz .LBB77_110
; %bb.109:                              ;   in Loop: Header=BB77_108 Depth=2
	v_pk_mov_b32 v[6:7], s[78:79], s[78:79] op_sel:[0,1]
	v_mad_u64_u32 v[6:7], s[22:23], v4, s68, v[6:7]
	v_mul_lo_u32 v8, v4, s69
	v_mul_lo_u32 v9, v5, s68
	v_add3_u32 v7, v9, v7, v8
	global_load_ubyte v6, v[6:7], off
.LBB77_110:                             ;   in Loop: Header=BB77_108 Depth=2
	s_or_b64 exec, exec, s[20:21]
	s_waitcnt vmcnt(0)
	v_and_b32_e32 v7, s87, v6
	v_cmp_eq_u32_sdwa s[20:21], v7, s26 src0_sel:BYTE_0 src1_sel:DWORD
	s_and_b64 s[22:23], vcc, s[20:21]
	s_and_saveexec_b64 s[20:21], s[22:23]
	s_cbranch_execz .LBB77_107
; %bb.111:                              ;   in Loop: Header=BB77_108 Depth=2
	v_lshlrev_b16_e32 v6, 8, v6
	v_or_b32_e32 v6, 1, v6
	ds_write_b16 v11, v6 offset:3072
	s_branch .LBB77_107
.LBB77_112:                             ;   in Loop: Header=BB77_16 Depth=1
	s_or_b64 exec, exec, s[8:9]
	v_lshrrev_b16_e32 v29, 8, v6
	s_and_b64 s[8:9], s[10:11], exec
.LBB77_113:                             ;   in Loop: Header=BB77_16 Depth=1
	s_or_b64 exec, exec, s[2:3]
	s_mov_b64 s[20:21], -1
	s_mov_b64 s[2:3], 0
	s_mov_b64 s[10:11], 0
.LBB77_114:                             ;   in Loop: Header=BB77_16 Depth=1
	s_andn2_b64 s[22:23], s[64:65], exec
	s_and_b64 s[2:3], s[2:3], exec
	s_or_b64 s[64:65], s[22:23], s[2:3]
	s_andn2_b64 s[2:3], s[66:67], exec
	s_and_b64 s[20:21], s[20:21], exec
	s_or_b64 s[66:67], s[2:3], s[20:21]
	;; [unrolled: 3-line block ×3, first 2 shown]
	s_and_saveexec_b64 s[10:11], s[8:9]
	s_cbranch_execz .LBB77_15
; %bb.115:                              ;   in Loop: Header=BB77_16 Depth=1
	s_xor_b64 s[2:3], s[18:19], -1
	s_andn2_b64 vcc, exec, s[2:3]
	s_mov_b32 s46, 1
	s_cbranch_vccnz .LBB77_126
; %bb.116:                              ;   in Loop: Header=BB77_16 Depth=1
	v_pk_mov_b32 v[2:3], s[12:13], s[12:13] op_sel:[0,1]
	v_cmp_gt_u64_e32 vcc, s[84:85], v[2:3]
	s_mov_b64 s[2:3], -1
                                        ; implicit-def: $sgpr46
                                        ; implicit-def: $sgpr8
                                        ; implicit-def: $sgpr9
	s_cbranch_vccnz .LBB77_122
; %bb.117:                              ;   in Loop: Header=BB77_16 Depth=1
	ds_read_b64 v[2:3], v11 offset:5120
	s_waitcnt lgkmcnt(0)
	v_cmp_ne_u64_e32 vcc, 0, v[2:3]
	s_cbranch_vccnz .LBB77_121
; %bb.118:                              ;   in Loop: Header=BB77_16 Depth=1
	s_mov_b64 s[2:3], exec
	v_readlane_b32 s8, v38, 8
	v_readlane_b32 s9, v38, 9
	s_and_b64 s[8:9], s[2:3], s[8:9]
	s_mov_b64 exec, s[8:9]
	s_cbranch_execz .LBB77_120
; %bb.119:                              ;   in Loop: Header=BB77_16 Depth=1
	v_pk_mov_b32 v[2:3], s[12:13], s[12:13] op_sel:[0,1]
	ds_write_b64 v11, v[2:3] offset:5128
.LBB77_120:                             ;   in Loop: Header=BB77_16 Depth=1
	s_or_b64 exec, exec, s[2:3]
	s_waitcnt lgkmcnt(0)
	s_barrier
.LBB77_121:                             ;   in Loop: Header=BB77_16 Depth=1
	s_and_b32 s8, s26, s39
	s_or_b32 s9, s87, s27
	s_mov_b64 s[2:3], 0
	s_mov_b32 s46, 8
.LBB77_122:                             ;   in Loop: Header=BB77_16 Depth=1
	s_andn2_b64 vcc, exec, s[2:3]
	s_cbranch_vccnz .LBB77_124
; %bb.123:                              ;   in Loop: Header=BB77_16 Depth=1
	s_sub_u32 s84, s84, s12
	s_subb_u32 s85, s85, s13
	s_mov_b64 s[2:3], -1
	s_mov_b32 s46, 0
	s_mov_b32 s8, s26
	;; [unrolled: 1-line block ×3, first 2 shown]
.LBB77_124:                             ;   in Loop: Header=BB77_16 Depth=1
	s_mov_b32 s87, s9
	s_mov_b32 s26, s8
	s_mov_b64 s[12:13], -1
	s_and_b64 vcc, exec, s[2:3]
	s_cbranch_vccnz .LBB77_127
.LBB77_125:                             ;   in Loop: Header=BB77_16 Depth=1
	s_mov_b64 s[2:3], -1
                                        ; implicit-def: $sgpr16_sgpr17
                                        ; implicit-def: $sgpr20_sgpr21
                                        ; implicit-def: $sgpr18_sgpr19
	s_and_saveexec_b64 s[6:7], s[2:3]
	s_xor_b64 s[2:3], exec, s[6:7]
	s_cbranch_execz .LBB77_14
	s_branch .LBB77_270
.LBB77_126:                             ;   in Loop: Header=BB77_16 Depth=1
	s_mov_b64 s[84:85], 1
	s_mov_b64 s[12:13], -1
	s_branch .LBB77_125
.LBB77_127:                             ;   in Loop: Header=BB77_16 Depth=1
	s_cmp_eq_u64 s[24:25], 1
	s_cselect_b64 s[2:3], -1, 0
	s_cmp_eq_u64 s[84:85], 1
	s_cselect_b64 s[8:9], -1, 0
	s_and_b64 s[28:29], s[2:3], s[8:9]
	s_mov_b64 s[8:9], -1
	s_and_b64 vcc, exec, s[28:29]
	s_cbranch_vccz .LBB77_141
; %bb.128:                              ;   in Loop: Header=BB77_16 Depth=1
	ds_read_b64 v[2:3], v11 offset:5120
	s_waitcnt lgkmcnt(0)
	s_barrier
	v_readfirstlane_b32 s2, v2
	v_readfirstlane_b32 s3, v3
	s_mov_b64 s[8:9], exec
	v_readlane_b32 s16, v38, 26
	v_readlane_b32 s17, v38, 27
	s_and_b64 s[16:17], s[8:9], s[16:17]
	s_mov_b64 exec, s[16:17]
	s_cbranch_execz .LBB77_130
; %bb.129:                              ;   in Loop: Header=BB77_16 Depth=1
	ds_write_b8 v0, v1 offset:3072
.LBB77_130:                             ;   in Loop: Header=BB77_16 Depth=1
	s_or_b64 exec, exec, s[8:9]
	s_lshl_b32 s8, 1, s38
	s_and_b32 s9, s26, s39
	s_or_b32 s26, s9, s8
	s_or_b32 s87, s87, s27
	s_cmp_eq_u64 s[2:3], 0
	s_waitcnt lgkmcnt(0)
	s_barrier
	s_cbranch_scc1 .LBB77_147
; %bb.131:                              ;   in Loop: Header=BB77_16 Depth=1
	v_readlane_b32 s8, v38, 32
	s_add_u32 s18, s8, s2
	v_readlane_b32 s8, v38, 33
	s_addc_u32 s9, s8, s3
	s_mov_b32 s8, s81
	s_cmp_lg_u64 s[8:9], 0
	s_cbranch_scc0 .LBB77_190
; %bb.132:                              ;   in Loop: Header=BB77_16 Depth=1
	v_cvt_f32_u32_e32 v2, s33
	s_sub_u32 s8, 0, s33
	s_subb_u32 s16, 0, 0
	v_mac_f32_e32 v2, 0, v28
	v_rcp_f32_e32 v2, v2
	v_mul_f32_e32 v2, 0x5f7ffffc, v2
	v_mul_f32_e32 v3, 0x2f800000, v2
	v_trunc_f32_e32 v3, v3
	v_mac_f32_e32 v2, 0xcf800000, v3
	v_cvt_u32_f32_e32 v3, v3
	v_cvt_u32_f32_e32 v2, v2
	v_readfirstlane_b32 s17, v3
	v_readfirstlane_b32 s19, v2
	s_mul_i32 s20, s8, s17
	s_mul_hi_u32 s22, s8, s19
	s_mul_i32 s21, s16, s19
	s_add_i32 s20, s22, s20
	s_mul_i32 s23, s8, s19
	s_add_i32 s20, s20, s21
	s_mul_hi_u32 s22, s19, s23
	s_mul_hi_u32 s21, s19, s20
	s_mul_i32 s19, s19, s20
	s_add_u32 s19, s22, s19
	s_addc_u32 s21, 0, s21
	s_mul_hi_u32 s30, s17, s23
	s_mul_i32 s23, s17, s23
	s_add_u32 s19, s19, s23
	s_mul_hi_u32 s22, s17, s20
	s_addc_u32 s19, s21, s30
	s_addc_u32 s21, s22, 0
	s_mul_i32 s20, s17, s20
	s_add_u32 s19, s19, s20
	s_addc_u32 s20, 0, s21
	v_add_co_u32_e32 v2, vcc, s19, v2
	s_cmp_lg_u64 vcc, 0
	s_addc_u32 s17, s17, s20
	v_readfirstlane_b32 s20, v2
	s_mul_i32 s19, s8, s17
	s_mul_hi_u32 s21, s8, s20
	s_add_i32 s19, s21, s19
	s_mul_i32 s16, s16, s20
	s_add_i32 s19, s19, s16
	s_mul_i32 s8, s8, s20
	s_mul_hi_u32 s21, s17, s8
	s_mul_i32 s22, s17, s8
	s_mul_i32 s30, s20, s19
	s_mul_hi_u32 s8, s20, s8
	s_mul_hi_u32 s23, s20, s19
	s_add_u32 s8, s8, s30
	s_addc_u32 s20, 0, s23
	s_add_u32 s8, s8, s22
	s_mul_hi_u32 s16, s17, s19
	s_addc_u32 s8, s20, s21
	s_addc_u32 s16, s16, 0
	s_mul_i32 s19, s17, s19
	s_add_u32 s8, s8, s19
	s_addc_u32 s16, 0, s16
	v_add_co_u32_e32 v2, vcc, s8, v2
	s_cmp_lg_u64 vcc, 0
	s_addc_u32 s8, s17, s16
	v_readfirstlane_b32 s19, v2
	s_mul_i32 s17, s18, s8
	s_mul_hi_u32 s20, s18, s19
	s_mul_hi_u32 s16, s18, s8
	s_add_u32 s17, s20, s17
	s_addc_u32 s16, 0, s16
	s_mul_hi_u32 s21, s9, s19
	s_mul_i32 s19, s9, s19
	s_add_u32 s17, s17, s19
	s_mul_hi_u32 s20, s9, s8
	s_addc_u32 s16, s16, s21
	s_addc_u32 s17, s20, 0
	s_mul_i32 s8, s9, s8
	s_add_u32 s8, s16, s8
	s_addc_u32 s16, 0, s17
	s_mul_hi_u32 s17, s33, s8
	s_mul_i32 s8, s33, s8
	s_mul_i32 s16, s33, s16
	v_mov_b32_e32 v2, s8
	s_add_i32 s17, s17, s16
	v_sub_co_u32_e32 v2, vcc, s18, v2
	s_cmp_lg_u64 vcc, 0
	s_subb_u32 s8, s9, s17
	v_subrev_co_u32_e32 v3, vcc, s33, v2
	s_cmp_lg_u64 vcc, 0
	s_subb_u32 s16, s8, 0
	v_subrev_co_u32_e32 v4, vcc, s33, v3
	s_cmp_lg_u64 vcc, 0
	s_subb_u32 s17, s16, 0
	v_cmp_le_u32_e32 vcc, s33, v3
	s_cmp_eq_u32 s16, 0
	v_cndmask_b32_e64 v5, 0, -1, vcc
	s_cselect_b64 vcc, -1, 0
	v_cndmask_b32_e32 v5, -1, v5, vcc
	v_mov_b32_e32 v6, s16
	v_mov_b32_e32 v7, s17
	v_cmp_ne_u32_e32 vcc, 0, v5
	v_cndmask_b32_e32 v5, v6, v7, vcc
	v_cndmask_b32_e32 v4, v3, v4, vcc
	v_cmp_le_u32_e32 vcc, s33, v2
	s_cmp_eq_u32 s8, 0
	v_cndmask_b32_e64 v3, 0, -1, vcc
	s_cselect_b64 vcc, -1, 0
	v_cndmask_b32_e32 v3, -1, v3, vcc
	v_mov_b32_e32 v6, s8
	v_cmp_ne_u32_e32 vcc, 0, v3
	v_cndmask_b32_e32 v3, v6, v5, vcc
	v_cndmask_b32_e32 v2, v2, v4, vcc
	s_cbranch_execnz .LBB77_134
.LBB77_133:                             ;   in Loop: Header=BB77_16 Depth=1
	v_cvt_f32_u32_e32 v2, s33
	s_sub_i32 s8, 0, s33
	v_rcp_iflag_f32_e32 v2, v2
	v_mul_f32_e32 v2, 0x4f7ffffe, v2
	v_cvt_u32_f32_e32 v2, v2
	v_mul_lo_u32 v3, s8, v2
	v_mul_hi_u32 v3, v2, v3
	v_add_u32_e32 v2, v2, v3
	v_mul_hi_u32 v2, s18, v2
	v_mul_lo_u32 v2, v2, s33
	v_sub_u32_e32 v2, s18, v2
	v_subrev_u32_e32 v3, s33, v2
	v_cmp_le_u32_e32 vcc, s33, v2
	v_cndmask_b32_e32 v2, v2, v3, vcc
	v_subrev_u32_e32 v3, s33, v2
	v_cmp_le_u32_e32 vcc, s33, v2
	v_cndmask_b32_e32 v10, v2, v3, vcc
	v_pk_mov_b32 v[2:3], v[10:11], v[10:11] op_sel:[0,1]
.LBB77_134:                             ;   in Loop: Header=BB77_16 Depth=1
	v_mov_b32_e32 v4, s9
	v_sub_co_u32_e32 v2, vcc, s18, v2
	v_subb_co_u32_e32 v3, vcc, v4, v3, vcc
	v_cmp_gt_u64_e32 vcc, v[2:3], v[0:1]
	s_mov_b64 s[8:9], 0
                                        ; implicit-def: $vgpr29
	s_and_saveexec_b64 s[16:17], vcc
	s_cbranch_execz .LBB77_149
; %bb.135:                              ;   in Loop: Header=BB77_16 Depth=1
	v_mov_b32_e32 v6, v0
	v_pk_mov_b32 v[4:5], v[0:1], v[0:1] op_sel:[0,1]
                                        ; implicit-def: $sgpr18_sgpr19
	s_branch .LBB77_137
.LBB77_136:                             ;   in Loop: Header=BB77_137 Depth=2
	s_or_b64 exec, exec, s[20:21]
	s_waitcnt lgkmcnt(0)
	s_barrier
	ds_read_u16 v7, v11 offset:3072
	v_mov_b32_e32 v8, s55
	v_add_co_u32_e32 v4, vcc, s33, v4
	v_addc_co_u32_e32 v5, vcc, v5, v8, vcc
	s_waitcnt lgkmcnt(0)
	v_cmp_ne_u16_sdwa s[20:21], v7, v1 src0_sel:BYTE_0 src1_sel:DWORD
	v_cmp_ge_u64_e32 vcc, v[4:5], v[2:3]
	s_or_b64 s[22:23], vcc, s[20:21]
	s_and_b64 s[22:23], exec, s[22:23]
	s_or_b64 s[8:9], s[22:23], s[8:9]
	s_andn2_b64 s[18:19], s[18:19], exec
	s_and_b64 s[20:21], s[20:21], exec
	v_add_u32_e32 v6, s33, v6
	s_or_b64 s[18:19], s[18:19], s[20:21]
	s_barrier
	s_andn2_b64 exec, exec, s[8:9]
	s_cbranch_execz .LBB77_148
.LBB77_137:                             ;   Parent Loop BB77_16 Depth=1
                                        ; =>  This Inner Loop Header: Depth=2
	v_cmp_gt_u64_e32 vcc, s[2:3], v[4:5]
	v_mov_b32_e32 v7, 0
	s_and_saveexec_b64 s[20:21], vcc
	s_cbranch_execz .LBB77_139
; %bb.138:                              ;   in Loop: Header=BB77_137 Depth=2
	ds_read_u8 v7, v6
.LBB77_139:                             ;   in Loop: Header=BB77_137 Depth=2
	s_or_b64 exec, exec, s[20:21]
	s_waitcnt lgkmcnt(0)
	v_and_b32_e32 v8, s87, v7
	v_cmp_eq_u32_sdwa s[20:21], v8, s26 src0_sel:BYTE_0 src1_sel:DWORD
	s_and_b64 s[22:23], vcc, s[20:21]
	s_and_saveexec_b64 s[20:21], s[22:23]
	s_cbranch_execz .LBB77_136
; %bb.140:                              ;   in Loop: Header=BB77_137 Depth=2
	v_lshlrev_b16_e32 v7, 8, v7
	v_or_b32_e32 v7, 1, v7
	ds_write_b16 v11, v7 offset:3072
	s_branch .LBB77_136
.LBB77_141:                             ;   in Loop: Header=BB77_16 Depth=1
                                        ; implicit-def: $sgpr18_sgpr19
                                        ; implicit-def: $sgpr20_sgpr21
                                        ; implicit-def: $sgpr16_sgpr17
	s_branch .LBB77_162
.LBB77_142:                             ;   in Loop: Header=BB77_16 Depth=1
                                        ; implicit-def: $vgpr2_vgpr3
	s_branch .LBB77_90
.LBB77_143:                             ;   in Loop: Header=BB77_16 Depth=1
	s_or_b64 exec, exec, s[2:3]
	s_waitcnt lgkmcnt(0)
	s_barrier
	s_mov_b64 s[2:3], exec
	v_readlane_b32 s6, v38, 8
	v_readlane_b32 s7, v38, 9
	s_and_b64 s[6:7], s[2:3], s[6:7]
	s_mov_b64 exec, s[6:7]
	s_cbranch_execz .LBB77_145
; %bb.144:                              ;   in Loop: Header=BB77_16 Depth=1
	ds_read_b32 v2, v11 offset:5144
	s_waitcnt lgkmcnt(0)
	v_ashrrev_i32_e32 v3, 31, v2
	ds_write_b64 v11, v[2:3] offset:5120
.LBB77_145:                             ;   in Loop: Header=BB77_16 Depth=1
	s_or_b64 exec, exec, s[2:3]
	s_waitcnt lgkmcnt(0)
	s_barrier
	s_mov_b64 s[2:3], -1
	s_and_b64 vcc, exec, s[70:71]
	s_cbranch_vccnz .LBB77_31
	s_branch .LBB77_41
.LBB77_146:                             ;   in Loop: Header=BB77_16 Depth=1
                                        ; implicit-def: $vgpr2_vgpr3
	s_branch .LBB77_104
.LBB77_147:                             ;   in Loop: Header=BB77_16 Depth=1
	s_mov_b64 s[18:19], -1
	s_mov_b64 s[8:9], 0
                                        ; implicit-def: $sgpr16_sgpr17
                                        ; implicit-def: $vgpr29
	s_mov_b64 s[20:21], s[18:19]
	s_cbranch_execnz .LBB77_150
	s_branch .LBB77_162
.LBB77_148:                             ;   in Loop: Header=BB77_16 Depth=1
	s_or_b64 exec, exec, s[8:9]
	v_lshrrev_b16_e32 v29, 8, v7
	s_and_b64 s[8:9], s[18:19], exec
.LBB77_149:                             ;   in Loop: Header=BB77_16 Depth=1
	s_or_b64 exec, exec, s[16:17]
	s_mov_b64 s[16:17], -1
	s_mov_b64 s[18:19], 0
	s_mov_b64 s[20:21], s[18:19]
	s_branch .LBB77_162
.LBB77_150:                             ;   in Loop: Header=BB77_16 Depth=1
	s_mov_b32 s88, s81
	s_cmp_lg_u64 s[88:89], 0
	s_cbranch_scc0 .LBB77_191
; %bb.151:                              ;   in Loop: Header=BB77_16 Depth=1
	v_cvt_f32_u32_e32 v2, s33
	s_sub_u32 s2, 0, s33
	s_subb_u32 s3, 0, 0
	v_mac_f32_e32 v2, 0, v28
	v_rcp_f32_e32 v2, v2
	v_mul_f32_e32 v2, 0x5f7ffffc, v2
	v_mul_f32_e32 v3, 0x2f800000, v2
	v_trunc_f32_e32 v3, v3
	v_mac_f32_e32 v2, 0xcf800000, v3
	v_cvt_u32_f32_e32 v3, v3
	v_cvt_u32_f32_e32 v2, v2
	v_readfirstlane_b32 s8, v3
	v_readfirstlane_b32 s9, v2
	s_mul_i32 s16, s2, s8
	s_mul_hi_u32 s18, s2, s9
	s_mul_i32 s17, s3, s9
	s_add_i32 s16, s18, s16
	s_mul_i32 s19, s2, s9
	s_add_i32 s16, s16, s17
	s_mul_hi_u32 s18, s9, s19
	s_mul_hi_u32 s17, s9, s16
	s_mul_i32 s9, s9, s16
	s_add_u32 s9, s18, s9
	s_addc_u32 s17, 0, s17
	s_mul_hi_u32 s20, s8, s19
	s_mul_i32 s19, s8, s19
	s_add_u32 s9, s9, s19
	s_mul_hi_u32 s18, s8, s16
	s_addc_u32 s9, s17, s20
	s_addc_u32 s17, s18, 0
	s_mul_i32 s16, s8, s16
	s_add_u32 s9, s9, s16
	s_addc_u32 s16, 0, s17
	v_add_co_u32_e32 v2, vcc, s9, v2
	s_cmp_lg_u64 vcc, 0
	s_addc_u32 s8, s8, s16
	v_readfirstlane_b32 s16, v2
	s_mul_i32 s9, s2, s8
	s_mul_hi_u32 s17, s2, s16
	s_add_i32 s9, s17, s9
	s_mul_i32 s3, s3, s16
	s_add_i32 s9, s9, s3
	s_mul_i32 s2, s2, s16
	s_mul_hi_u32 s17, s8, s2
	s_mul_i32 s18, s8, s2
	s_mul_i32 s20, s16, s9
	s_mul_hi_u32 s2, s16, s2
	s_mul_hi_u32 s19, s16, s9
	s_add_u32 s2, s2, s20
	s_addc_u32 s16, 0, s19
	s_add_u32 s2, s2, s18
	s_mul_hi_u32 s3, s8, s9
	s_addc_u32 s2, s16, s17
	s_addc_u32 s3, s3, 0
	s_mul_i32 s9, s8, s9
	s_add_u32 s2, s2, s9
	s_addc_u32 s3, 0, s3
	v_add_co_u32_e32 v2, vcc, s2, v2
	s_cmp_lg_u64 vcc, 0
	s_addc_u32 s2, s8, s3
	v_readfirstlane_b32 s9, v2
	s_mul_i32 s8, s54, s2
	s_mul_hi_u32 s16, s54, s9
	s_mul_hi_u32 s3, s54, s2
	s_add_u32 s8, s16, s8
	s_addc_u32 s3, 0, s3
	s_mul_hi_u32 s17, s89, s9
	s_mul_i32 s9, s89, s9
	s_add_u32 s8, s8, s9
	s_mul_hi_u32 s16, s89, s2
	s_addc_u32 s3, s3, s17
	s_addc_u32 s8, s16, 0
	s_mul_i32 s2, s89, s2
	s_add_u32 s2, s3, s2
	s_addc_u32 s3, 0, s8
	s_mul_hi_u32 s8, s33, s2
	s_mul_i32 s2, s33, s2
	s_mul_i32 s3, s33, s3
	v_mov_b32_e32 v2, s2
	s_add_i32 s8, s8, s3
	v_sub_co_u32_e32 v2, vcc, s54, v2
	s_cmp_lg_u64 vcc, 0
	s_subb_u32 s2, s89, s8
	v_subrev_co_u32_e32 v3, vcc, s33, v2
	s_cmp_lg_u64 vcc, 0
	s_subb_u32 s3, s2, 0
	v_subrev_co_u32_e32 v4, vcc, s33, v3
	s_cmp_lg_u64 vcc, 0
	s_subb_u32 s8, s3, 0
	v_cmp_le_u32_e32 vcc, s33, v3
	s_cmp_eq_u32 s3, 0
	v_cndmask_b32_e64 v5, 0, -1, vcc
	s_cselect_b64 vcc, -1, 0
	v_cndmask_b32_e32 v5, -1, v5, vcc
	v_mov_b32_e32 v6, s3
	v_mov_b32_e32 v7, s8
	v_cmp_ne_u32_e32 vcc, 0, v5
	v_cndmask_b32_e32 v5, v6, v7, vcc
	v_cndmask_b32_e32 v4, v3, v4, vcc
	v_cmp_le_u32_e32 vcc, s33, v2
	s_cmp_eq_u32 s2, 0
	v_cndmask_b32_e64 v3, 0, -1, vcc
	s_cselect_b64 vcc, -1, 0
	v_cndmask_b32_e32 v3, -1, v3, vcc
	v_mov_b32_e32 v6, s2
	v_cmp_ne_u32_e32 vcc, 0, v3
	v_cndmask_b32_e32 v3, v6, v5, vcc
	v_cndmask_b32_e32 v2, v2, v4, vcc
	s_cbranch_execnz .LBB77_153
.LBB77_152:                             ;   in Loop: Header=BB77_16 Depth=1
	v_cvt_f32_u32_e32 v2, s33
	s_sub_i32 s2, 0, s33
	v_rcp_iflag_f32_e32 v2, v2
	v_mul_f32_e32 v2, 0x4f7ffffe, v2
	v_cvt_u32_f32_e32 v2, v2
	v_mul_lo_u32 v3, s2, v2
	v_mul_hi_u32 v3, v2, v3
	v_add_u32_e32 v2, v2, v3
	v_mul_hi_u32 v2, s54, v2
	v_mul_lo_u32 v2, v2, s33
	v_sub_u32_e32 v2, s54, v2
	v_subrev_u32_e32 v3, s33, v2
	v_cmp_le_u32_e32 vcc, s33, v2
	v_cndmask_b32_e32 v2, v2, v3, vcc
	v_subrev_u32_e32 v3, s33, v2
	v_cmp_le_u32_e32 vcc, s33, v2
	v_cndmask_b32_e32 v10, v2, v3, vcc
	v_pk_mov_b32 v[2:3], v[10:11], v[10:11] op_sel:[0,1]
.LBB77_153:                             ;   in Loop: Header=BB77_16 Depth=1
	v_mov_b32_e32 v4, s89
	v_sub_co_u32_e32 v2, vcc, s54, v2
	v_subb_co_u32_e32 v3, vcc, v4, v3, vcc
	v_cmp_gt_u64_e32 vcc, v[2:3], v[0:1]
	s_mov_b64 s[8:9], 0
                                        ; implicit-def: $vgpr29
	s_and_saveexec_b64 s[2:3], vcc
	s_cbranch_execz .LBB77_161
; %bb.154:                              ;   in Loop: Header=BB77_16 Depth=1
	v_pk_mov_b32 v[4:5], v[0:1], v[0:1] op_sel:[0,1]
                                        ; implicit-def: $sgpr16_sgpr17
	s_branch .LBB77_156
.LBB77_155:                             ;   in Loop: Header=BB77_156 Depth=2
	s_or_b64 exec, exec, s[18:19]
	s_waitcnt lgkmcnt(0)
	s_barrier
	ds_read_u16 v6, v11 offset:3072
	v_mov_b32_e32 v7, s55
	v_add_co_u32_e32 v4, vcc, s33, v4
	v_addc_co_u32_e32 v5, vcc, v5, v7, vcc
	s_waitcnt lgkmcnt(0)
	v_cmp_ne_u16_sdwa s[18:19], v6, v1 src0_sel:BYTE_0 src1_sel:DWORD
	v_cmp_ge_u64_e32 vcc, v[4:5], v[2:3]
	s_or_b64 s[20:21], vcc, s[18:19]
	s_and_b64 s[20:21], exec, s[20:21]
	s_or_b64 s[8:9], s[20:21], s[8:9]
	s_andn2_b64 s[16:17], s[16:17], exec
	s_and_b64 s[18:19], s[18:19], exec
	s_or_b64 s[16:17], s[16:17], s[18:19]
	s_barrier
	s_andn2_b64 exec, exec, s[8:9]
	s_cbranch_execz .LBB77_160
.LBB77_156:                             ;   Parent Loop BB77_16 Depth=1
                                        ; =>  This Inner Loop Header: Depth=2
	v_cmp_gt_u64_e32 vcc, s[52:53], v[4:5]
	v_mov_b32_e32 v6, 0
	s_and_saveexec_b64 s[18:19], vcc
	s_cbranch_execz .LBB77_158
; %bb.157:                              ;   in Loop: Header=BB77_156 Depth=2
	v_pk_mov_b32 v[6:7], s[78:79], s[78:79] op_sel:[0,1]
	v_mad_u64_u32 v[6:7], s[20:21], v4, s68, v[6:7]
	v_mul_lo_u32 v8, v4, s69
	v_mul_lo_u32 v9, v5, s68
	v_add3_u32 v7, v9, v7, v8
	global_load_ubyte v6, v[6:7], off
.LBB77_158:                             ;   in Loop: Header=BB77_156 Depth=2
	s_or_b64 exec, exec, s[18:19]
	s_waitcnt vmcnt(0)
	v_and_b32_e32 v7, s87, v6
	v_cmp_eq_u32_sdwa s[18:19], v7, s26 src0_sel:BYTE_0 src1_sel:DWORD
	s_and_b64 s[20:21], vcc, s[18:19]
	s_and_saveexec_b64 s[18:19], s[20:21]
	s_cbranch_execz .LBB77_155
; %bb.159:                              ;   in Loop: Header=BB77_156 Depth=2
	v_lshlrev_b16_e32 v6, 8, v6
	v_or_b32_e32 v6, 1, v6
	ds_write_b16 v11, v6 offset:3072
	s_branch .LBB77_155
.LBB77_160:                             ;   in Loop: Header=BB77_16 Depth=1
	s_or_b64 exec, exec, s[8:9]
	v_lshrrev_b16_e32 v29, 8, v6
	s_and_b64 s[8:9], s[16:17], exec
.LBB77_161:                             ;   in Loop: Header=BB77_16 Depth=1
	s_or_b64 exec, exec, s[2:3]
	s_mov_b64 s[20:21], -1
	s_mov_b64 s[18:19], 0
	s_mov_b64 s[16:17], 0
.LBB77_162:                             ;   in Loop: Header=BB77_16 Depth=1
	s_mov_b64 s[2:3], 0
                                        ; implicit-def: $sgpr46
	s_and_saveexec_b64 s[22:23], s[8:9]
	s_cbranch_execz .LBB77_269
; %bb.163:                              ;   in Loop: Header=BB77_16 Depth=1
	s_xor_b64 s[2:3], s[28:29], -1
	s_andn2_b64 vcc, exec, s[2:3]
	s_mov_b32 s46, 1
	s_cbranch_vccnz .LBB77_174
; %bb.164:                              ;   in Loop: Header=BB77_16 Depth=1
	v_pk_mov_b32 v[2:3], s[24:25], s[24:25] op_sel:[0,1]
	v_cmp_gt_u64_e32 vcc, s[84:85], v[2:3]
	s_mov_b64 s[2:3], -1
                                        ; implicit-def: $sgpr46
                                        ; implicit-def: $sgpr8
                                        ; implicit-def: $sgpr9
	s_cbranch_vccnz .LBB77_170
; %bb.165:                              ;   in Loop: Header=BB77_16 Depth=1
	ds_read_b64 v[2:3], v11 offset:5120
	s_waitcnt lgkmcnt(0)
	v_cmp_ne_u64_e32 vcc, 0, v[2:3]
	s_cbranch_vccnz .LBB77_169
; %bb.166:                              ;   in Loop: Header=BB77_16 Depth=1
	s_mov_b64 s[2:3], exec
	v_readlane_b32 s8, v38, 8
	v_readlane_b32 s9, v38, 9
	s_and_b64 s[8:9], s[2:3], s[8:9]
	s_mov_b64 exec, s[8:9]
	s_cbranch_execz .LBB77_168
; %bb.167:                              ;   in Loop: Header=BB77_16 Depth=1
	v_pk_mov_b32 v[2:3], s[24:25], s[24:25] op_sel:[0,1]
	ds_write_b64 v11, v[2:3] offset:5128
.LBB77_168:                             ;   in Loop: Header=BB77_16 Depth=1
	s_or_b64 exec, exec, s[2:3]
	s_waitcnt lgkmcnt(0)
	s_barrier
.LBB77_169:                             ;   in Loop: Header=BB77_16 Depth=1
	s_lshl_b32 s2, 1, s38
	s_and_b32 s3, s26, s39
	s_or_b32 s8, s3, s2
	s_or_b32 s9, s87, s27
	s_mov_b64 s[2:3], 0
	s_mov_b32 s46, 8
.LBB77_170:                             ;   in Loop: Header=BB77_16 Depth=1
	s_andn2_b64 vcc, exec, s[2:3]
	s_cbranch_vccnz .LBB77_172
; %bb.171:                              ;   in Loop: Header=BB77_16 Depth=1
	s_sub_u32 s84, s84, s24
	s_subb_u32 s85, s85, s25
	s_mov_b64 s[2:3], -1
	s_mov_b32 s46, 0
	s_mov_b32 s8, s26
	;; [unrolled: 1-line block ×3, first 2 shown]
.LBB77_172:                             ;   in Loop: Header=BB77_16 Depth=1
	s_mov_b32 s87, s9
	s_mov_b32 s26, s8
	s_andn2_b64 vcc, exec, s[2:3]
	s_mov_b64 s[2:3], -1
	s_cbranch_vccz .LBB77_175
.LBB77_173:                             ;   in Loop: Header=BB77_16 Depth=1
                                        ; implicit-def: $sgpr28_sgpr29
                                        ; implicit-def: $sgpr30_sgpr31
                                        ; implicit-def: $sgpr24_sgpr25
	s_branch .LBB77_268
.LBB77_174:                             ;   in Loop: Header=BB77_16 Depth=1
	s_mov_b64 s[84:85], 1
	s_mov_b64 s[2:3], -1
	s_cbranch_execnz .LBB77_173
.LBB77_175:                             ;   in Loop: Header=BB77_16 Depth=1
	s_cmp_eq_u64 s[14:15], 1
	s_cselect_b64 s[2:3], -1, 0
	s_cmp_eq_u64 s[84:85], 1
	s_cselect_b64 s[8:9], -1, 0
	s_and_b64 s[36:37], s[2:3], s[8:9]
	s_mov_b64 s[8:9], -1
	s_and_b64 vcc, exec, s[36:37]
	s_cbranch_vccz .LBB77_189
; %bb.176:                              ;   in Loop: Header=BB77_16 Depth=1
	ds_read_b64 v[2:3], v11 offset:5120
	s_waitcnt lgkmcnt(0)
	s_barrier
	v_readfirstlane_b32 s2, v2
	v_readfirstlane_b32 s3, v3
	s_mov_b64 s[8:9], exec
	v_readlane_b32 s24, v38, 26
	v_readlane_b32 s25, v38, 27
	s_and_b64 s[24:25], s[8:9], s[24:25]
	s_mov_b64 exec, s[24:25]
	s_cbranch_execz .LBB77_178
; %bb.177:                              ;   in Loop: Header=BB77_16 Depth=1
	ds_write_b8 v0, v1 offset:3072
.LBB77_178:                             ;   in Loop: Header=BB77_16 Depth=1
	s_or_b64 exec, exec, s[8:9]
	s_lshl_b32 s8, 2, s38
	s_and_b32 s9, s26, s39
	s_or_b32 s26, s9, s8
	s_or_b32 s87, s87, s27
	s_cmp_eq_u64 s[2:3], 0
	s_waitcnt lgkmcnt(0)
	s_barrier
	s_cbranch_scc1 .LBB77_192
; %bb.179:                              ;   in Loop: Header=BB77_16 Depth=1
	v_readlane_b32 s8, v38, 32
	s_add_u32 s28, s8, s2
	v_readlane_b32 s8, v38, 33
	s_addc_u32 s9, s8, s3
	s_mov_b32 s8, s81
	s_cmp_lg_u64 s[8:9], 0
	s_cbranch_scc0 .LBB77_235
; %bb.180:                              ;   in Loop: Header=BB77_16 Depth=1
	v_cvt_f32_u32_e32 v2, s33
	s_sub_u32 s8, 0, s33
	s_subb_u32 s24, 0, 0
	v_mac_f32_e32 v2, 0, v28
	v_rcp_f32_e32 v2, v2
	v_mul_f32_e32 v2, 0x5f7ffffc, v2
	v_mul_f32_e32 v3, 0x2f800000, v2
	v_trunc_f32_e32 v3, v3
	v_mac_f32_e32 v2, 0xcf800000, v3
	v_cvt_u32_f32_e32 v3, v3
	v_cvt_u32_f32_e32 v2, v2
	v_readfirstlane_b32 s25, v3
	v_readfirstlane_b32 s29, v2
	s_mul_i32 s30, s8, s25
	s_mul_hi_u32 s34, s8, s29
	s_mul_i32 s31, s24, s29
	s_add_i32 s30, s34, s30
	s_mul_i32 s35, s8, s29
	s_add_i32 s30, s30, s31
	s_mul_hi_u32 s34, s29, s35
	s_mul_hi_u32 s31, s29, s30
	s_mul_i32 s29, s29, s30
	s_add_u32 s29, s34, s29
	s_addc_u32 s31, 0, s31
	s_mul_hi_u32 s40, s25, s35
	s_mul_i32 s35, s25, s35
	s_add_u32 s29, s29, s35
	s_mul_hi_u32 s34, s25, s30
	s_addc_u32 s29, s31, s40
	s_addc_u32 s31, s34, 0
	s_mul_i32 s30, s25, s30
	s_add_u32 s29, s29, s30
	s_addc_u32 s30, 0, s31
	v_add_co_u32_e32 v2, vcc, s29, v2
	s_cmp_lg_u64 vcc, 0
	s_addc_u32 s25, s25, s30
	v_readfirstlane_b32 s30, v2
	s_mul_i32 s29, s8, s25
	s_mul_hi_u32 s31, s8, s30
	s_add_i32 s29, s31, s29
	s_mul_i32 s24, s24, s30
	s_add_i32 s29, s29, s24
	s_mul_i32 s8, s8, s30
	s_mul_hi_u32 s31, s25, s8
	s_mul_i32 s34, s25, s8
	s_mul_i32 s40, s30, s29
	s_mul_hi_u32 s8, s30, s8
	s_mul_hi_u32 s35, s30, s29
	s_add_u32 s8, s8, s40
	s_addc_u32 s30, 0, s35
	s_add_u32 s8, s8, s34
	s_mul_hi_u32 s24, s25, s29
	s_addc_u32 s8, s30, s31
	s_addc_u32 s24, s24, 0
	s_mul_i32 s29, s25, s29
	s_add_u32 s8, s8, s29
	s_addc_u32 s24, 0, s24
	v_add_co_u32_e32 v2, vcc, s8, v2
	s_cmp_lg_u64 vcc, 0
	s_addc_u32 s8, s25, s24
	v_readfirstlane_b32 s29, v2
	s_mul_i32 s25, s28, s8
	s_mul_hi_u32 s30, s28, s29
	s_mul_hi_u32 s24, s28, s8
	s_add_u32 s25, s30, s25
	s_addc_u32 s24, 0, s24
	s_mul_hi_u32 s31, s9, s29
	s_mul_i32 s29, s9, s29
	s_add_u32 s25, s25, s29
	s_mul_hi_u32 s30, s9, s8
	s_addc_u32 s24, s24, s31
	s_addc_u32 s25, s30, 0
	s_mul_i32 s8, s9, s8
	s_add_u32 s8, s24, s8
	s_addc_u32 s24, 0, s25
	s_mul_hi_u32 s25, s33, s8
	s_mul_i32 s8, s33, s8
	s_mul_i32 s24, s33, s24
	v_mov_b32_e32 v2, s8
	s_add_i32 s25, s25, s24
	v_sub_co_u32_e32 v2, vcc, s28, v2
	s_cmp_lg_u64 vcc, 0
	s_subb_u32 s8, s9, s25
	v_subrev_co_u32_e32 v3, vcc, s33, v2
	s_cmp_lg_u64 vcc, 0
	s_subb_u32 s24, s8, 0
	v_subrev_co_u32_e32 v4, vcc, s33, v3
	s_cmp_lg_u64 vcc, 0
	s_subb_u32 s25, s24, 0
	v_cmp_le_u32_e32 vcc, s33, v3
	s_cmp_eq_u32 s24, 0
	v_cndmask_b32_e64 v5, 0, -1, vcc
	s_cselect_b64 vcc, -1, 0
	v_cndmask_b32_e32 v5, -1, v5, vcc
	v_mov_b32_e32 v6, s24
	v_mov_b32_e32 v7, s25
	v_cmp_ne_u32_e32 vcc, 0, v5
	v_cndmask_b32_e32 v5, v6, v7, vcc
	v_cndmask_b32_e32 v4, v3, v4, vcc
	v_cmp_le_u32_e32 vcc, s33, v2
	s_cmp_eq_u32 s8, 0
	v_cndmask_b32_e64 v3, 0, -1, vcc
	s_cselect_b64 vcc, -1, 0
	v_cndmask_b32_e32 v3, -1, v3, vcc
	v_mov_b32_e32 v6, s8
	v_cmp_ne_u32_e32 vcc, 0, v3
	v_cndmask_b32_e32 v3, v6, v5, vcc
	v_cndmask_b32_e32 v2, v2, v4, vcc
	s_cbranch_execnz .LBB77_182
.LBB77_181:                             ;   in Loop: Header=BB77_16 Depth=1
	v_cvt_f32_u32_e32 v2, s33
	s_sub_i32 s8, 0, s33
	v_rcp_iflag_f32_e32 v2, v2
	v_mul_f32_e32 v2, 0x4f7ffffe, v2
	v_cvt_u32_f32_e32 v2, v2
	v_mul_lo_u32 v3, s8, v2
	v_mul_hi_u32 v3, v2, v3
	v_add_u32_e32 v2, v2, v3
	v_mul_hi_u32 v2, s28, v2
	v_mul_lo_u32 v2, v2, s33
	v_sub_u32_e32 v2, s28, v2
	v_subrev_u32_e32 v3, s33, v2
	v_cmp_le_u32_e32 vcc, s33, v2
	v_cndmask_b32_e32 v2, v2, v3, vcc
	v_subrev_u32_e32 v3, s33, v2
	v_cmp_le_u32_e32 vcc, s33, v2
	v_cndmask_b32_e32 v10, v2, v3, vcc
	v_pk_mov_b32 v[2:3], v[10:11], v[10:11] op_sel:[0,1]
.LBB77_182:                             ;   in Loop: Header=BB77_16 Depth=1
	v_mov_b32_e32 v4, s9
	v_sub_co_u32_e32 v2, vcc, s28, v2
	v_subb_co_u32_e32 v3, vcc, v4, v3, vcc
	v_cmp_gt_u64_e32 vcc, v[2:3], v[0:1]
	s_mov_b64 s[8:9], 0
                                        ; implicit-def: $vgpr29
	s_and_saveexec_b64 s[24:25], vcc
	s_cbranch_execz .LBB77_194
; %bb.183:                              ;   in Loop: Header=BB77_16 Depth=1
	v_mov_b32_e32 v6, v0
	v_pk_mov_b32 v[4:5], v[0:1], v[0:1] op_sel:[0,1]
                                        ; implicit-def: $sgpr28_sgpr29
	s_branch .LBB77_185
.LBB77_184:                             ;   in Loop: Header=BB77_185 Depth=2
	s_or_b64 exec, exec, s[30:31]
	s_waitcnt lgkmcnt(0)
	s_barrier
	ds_read_u16 v7, v11 offset:3072
	v_mov_b32_e32 v8, s55
	v_add_co_u32_e32 v4, vcc, s33, v4
	v_addc_co_u32_e32 v5, vcc, v5, v8, vcc
	s_waitcnt lgkmcnt(0)
	v_cmp_ne_u16_sdwa s[30:31], v7, v1 src0_sel:BYTE_0 src1_sel:DWORD
	v_cmp_ge_u64_e32 vcc, v[4:5], v[2:3]
	s_or_b64 s[34:35], vcc, s[30:31]
	s_and_b64 s[34:35], exec, s[34:35]
	s_or_b64 s[8:9], s[34:35], s[8:9]
	s_andn2_b64 s[28:29], s[28:29], exec
	s_and_b64 s[30:31], s[30:31], exec
	v_add_u32_e32 v6, s33, v6
	s_or_b64 s[28:29], s[28:29], s[30:31]
	s_barrier
	s_andn2_b64 exec, exec, s[8:9]
	s_cbranch_execz .LBB77_193
.LBB77_185:                             ;   Parent Loop BB77_16 Depth=1
                                        ; =>  This Inner Loop Header: Depth=2
	v_cmp_gt_u64_e32 vcc, s[2:3], v[4:5]
	v_mov_b32_e32 v7, 0
	s_and_saveexec_b64 s[30:31], vcc
	s_cbranch_execz .LBB77_187
; %bb.186:                              ;   in Loop: Header=BB77_185 Depth=2
	ds_read_u8 v7, v6
.LBB77_187:                             ;   in Loop: Header=BB77_185 Depth=2
	s_or_b64 exec, exec, s[30:31]
	s_waitcnt lgkmcnt(0)
	v_and_b32_e32 v8, s87, v7
	v_cmp_eq_u32_sdwa s[30:31], v8, s26 src0_sel:BYTE_0 src1_sel:DWORD
	s_and_b64 s[34:35], vcc, s[30:31]
	s_and_saveexec_b64 s[30:31], s[34:35]
	s_cbranch_execz .LBB77_184
; %bb.188:                              ;   in Loop: Header=BB77_185 Depth=2
	v_lshlrev_b16_e32 v7, 8, v7
	v_or_b32_e32 v7, 1, v7
	ds_write_b16 v11, v7 offset:3072
	s_branch .LBB77_184
.LBB77_189:                             ;   in Loop: Header=BB77_16 Depth=1
                                        ; implicit-def: $sgpr24_sgpr25
                                        ; implicit-def: $sgpr30_sgpr31
                                        ; implicit-def: $sgpr28_sgpr29
	s_branch .LBB77_207
.LBB77_190:                             ;   in Loop: Header=BB77_16 Depth=1
                                        ; implicit-def: $vgpr2_vgpr3
	s_branch .LBB77_133
.LBB77_191:                             ;   in Loop: Header=BB77_16 Depth=1
                                        ; implicit-def: $vgpr2_vgpr3
	s_branch .LBB77_152
.LBB77_192:                             ;   in Loop: Header=BB77_16 Depth=1
	s_mov_b64 s[24:25], -1
	s_mov_b64 s[8:9], 0
                                        ; implicit-def: $sgpr28_sgpr29
                                        ; implicit-def: $vgpr29
	s_mov_b64 s[30:31], s[24:25]
	s_cbranch_execnz .LBB77_195
	s_branch .LBB77_207
.LBB77_193:                             ;   in Loop: Header=BB77_16 Depth=1
	s_or_b64 exec, exec, s[8:9]
	v_lshrrev_b16_e32 v29, 8, v7
	s_and_b64 s[8:9], s[28:29], exec
.LBB77_194:                             ;   in Loop: Header=BB77_16 Depth=1
	s_or_b64 exec, exec, s[24:25]
	s_mov_b64 s[28:29], -1
	s_mov_b64 s[24:25], 0
	s_mov_b64 s[30:31], s[24:25]
	s_branch .LBB77_207
.LBB77_195:                             ;   in Loop: Header=BB77_16 Depth=1
	s_mov_b32 s88, s81
	s_cmp_lg_u64 s[88:89], 0
	s_cbranch_scc0 .LBB77_236
; %bb.196:                              ;   in Loop: Header=BB77_16 Depth=1
	v_cvt_f32_u32_e32 v2, s33
	s_sub_u32 s2, 0, s33
	s_subb_u32 s3, 0, 0
	v_mac_f32_e32 v2, 0, v28
	v_rcp_f32_e32 v2, v2
	v_mul_f32_e32 v2, 0x5f7ffffc, v2
	v_mul_f32_e32 v3, 0x2f800000, v2
	v_trunc_f32_e32 v3, v3
	v_mac_f32_e32 v2, 0xcf800000, v3
	v_cvt_u32_f32_e32 v3, v3
	v_cvt_u32_f32_e32 v2, v2
	v_readfirstlane_b32 s8, v3
	v_readfirstlane_b32 s9, v2
	s_mul_i32 s24, s2, s8
	s_mul_hi_u32 s28, s2, s9
	s_mul_i32 s25, s3, s9
	s_add_i32 s24, s28, s24
	s_mul_i32 s29, s2, s9
	s_add_i32 s24, s24, s25
	s_mul_hi_u32 s28, s9, s29
	s_mul_hi_u32 s25, s9, s24
	s_mul_i32 s9, s9, s24
	s_add_u32 s9, s28, s9
	s_addc_u32 s25, 0, s25
	s_mul_hi_u32 s30, s8, s29
	s_mul_i32 s29, s8, s29
	s_add_u32 s9, s9, s29
	s_mul_hi_u32 s28, s8, s24
	s_addc_u32 s9, s25, s30
	s_addc_u32 s25, s28, 0
	s_mul_i32 s24, s8, s24
	s_add_u32 s9, s9, s24
	s_addc_u32 s24, 0, s25
	v_add_co_u32_e32 v2, vcc, s9, v2
	s_cmp_lg_u64 vcc, 0
	s_addc_u32 s8, s8, s24
	v_readfirstlane_b32 s24, v2
	s_mul_i32 s9, s2, s8
	s_mul_hi_u32 s25, s2, s24
	s_add_i32 s9, s25, s9
	s_mul_i32 s3, s3, s24
	s_add_i32 s9, s9, s3
	s_mul_i32 s2, s2, s24
	s_mul_hi_u32 s25, s8, s2
	s_mul_i32 s28, s8, s2
	s_mul_i32 s30, s24, s9
	s_mul_hi_u32 s2, s24, s2
	s_mul_hi_u32 s29, s24, s9
	s_add_u32 s2, s2, s30
	s_addc_u32 s24, 0, s29
	s_add_u32 s2, s2, s28
	s_mul_hi_u32 s3, s8, s9
	s_addc_u32 s2, s24, s25
	s_addc_u32 s3, s3, 0
	s_mul_i32 s9, s8, s9
	s_add_u32 s2, s2, s9
	s_addc_u32 s3, 0, s3
	v_add_co_u32_e32 v2, vcc, s2, v2
	s_cmp_lg_u64 vcc, 0
	s_addc_u32 s2, s8, s3
	v_readfirstlane_b32 s9, v2
	s_mul_i32 s8, s54, s2
	s_mul_hi_u32 s24, s54, s9
	s_mul_hi_u32 s3, s54, s2
	s_add_u32 s8, s24, s8
	s_addc_u32 s3, 0, s3
	s_mul_hi_u32 s25, s89, s9
	s_mul_i32 s9, s89, s9
	s_add_u32 s8, s8, s9
	s_mul_hi_u32 s24, s89, s2
	s_addc_u32 s3, s3, s25
	s_addc_u32 s8, s24, 0
	s_mul_i32 s2, s89, s2
	s_add_u32 s2, s3, s2
	s_addc_u32 s3, 0, s8
	s_mul_hi_u32 s8, s33, s2
	s_mul_i32 s2, s33, s2
	s_mul_i32 s3, s33, s3
	v_mov_b32_e32 v2, s2
	s_add_i32 s8, s8, s3
	v_sub_co_u32_e32 v2, vcc, s54, v2
	s_cmp_lg_u64 vcc, 0
	s_subb_u32 s2, s89, s8
	v_subrev_co_u32_e32 v3, vcc, s33, v2
	s_cmp_lg_u64 vcc, 0
	s_subb_u32 s3, s2, 0
	v_subrev_co_u32_e32 v4, vcc, s33, v3
	s_cmp_lg_u64 vcc, 0
	s_subb_u32 s8, s3, 0
	v_cmp_le_u32_e32 vcc, s33, v3
	s_cmp_eq_u32 s3, 0
	v_cndmask_b32_e64 v5, 0, -1, vcc
	s_cselect_b64 vcc, -1, 0
	v_cndmask_b32_e32 v5, -1, v5, vcc
	v_mov_b32_e32 v6, s3
	v_mov_b32_e32 v7, s8
	v_cmp_ne_u32_e32 vcc, 0, v5
	v_cndmask_b32_e32 v5, v6, v7, vcc
	v_cndmask_b32_e32 v4, v3, v4, vcc
	v_cmp_le_u32_e32 vcc, s33, v2
	s_cmp_eq_u32 s2, 0
	v_cndmask_b32_e64 v3, 0, -1, vcc
	s_cselect_b64 vcc, -1, 0
	v_cndmask_b32_e32 v3, -1, v3, vcc
	v_mov_b32_e32 v6, s2
	v_cmp_ne_u32_e32 vcc, 0, v3
	v_cndmask_b32_e32 v3, v6, v5, vcc
	v_cndmask_b32_e32 v2, v2, v4, vcc
	s_cbranch_execnz .LBB77_198
.LBB77_197:                             ;   in Loop: Header=BB77_16 Depth=1
	v_cvt_f32_u32_e32 v2, s33
	s_sub_i32 s2, 0, s33
	v_rcp_iflag_f32_e32 v2, v2
	v_mul_f32_e32 v2, 0x4f7ffffe, v2
	v_cvt_u32_f32_e32 v2, v2
	v_mul_lo_u32 v3, s2, v2
	v_mul_hi_u32 v3, v2, v3
	v_add_u32_e32 v2, v2, v3
	v_mul_hi_u32 v2, s54, v2
	v_mul_lo_u32 v2, v2, s33
	v_sub_u32_e32 v2, s54, v2
	v_subrev_u32_e32 v3, s33, v2
	v_cmp_le_u32_e32 vcc, s33, v2
	v_cndmask_b32_e32 v2, v2, v3, vcc
	v_subrev_u32_e32 v3, s33, v2
	v_cmp_le_u32_e32 vcc, s33, v2
	v_cndmask_b32_e32 v10, v2, v3, vcc
	v_pk_mov_b32 v[2:3], v[10:11], v[10:11] op_sel:[0,1]
.LBB77_198:                             ;   in Loop: Header=BB77_16 Depth=1
	v_mov_b32_e32 v4, s89
	v_sub_co_u32_e32 v2, vcc, s54, v2
	v_subb_co_u32_e32 v3, vcc, v4, v3, vcc
	v_cmp_gt_u64_e32 vcc, v[2:3], v[0:1]
	s_mov_b64 s[8:9], 0
                                        ; implicit-def: $vgpr29
	s_and_saveexec_b64 s[2:3], vcc
	s_cbranch_execz .LBB77_206
; %bb.199:                              ;   in Loop: Header=BB77_16 Depth=1
	v_pk_mov_b32 v[4:5], v[0:1], v[0:1] op_sel:[0,1]
                                        ; implicit-def: $sgpr24_sgpr25
	s_branch .LBB77_201
.LBB77_200:                             ;   in Loop: Header=BB77_201 Depth=2
	s_or_b64 exec, exec, s[28:29]
	s_waitcnt lgkmcnt(0)
	s_barrier
	ds_read_u16 v6, v11 offset:3072
	v_mov_b32_e32 v7, s55
	v_add_co_u32_e32 v4, vcc, s33, v4
	v_addc_co_u32_e32 v5, vcc, v5, v7, vcc
	s_waitcnt lgkmcnt(0)
	v_cmp_ne_u16_sdwa s[28:29], v6, v1 src0_sel:BYTE_0 src1_sel:DWORD
	v_cmp_ge_u64_e32 vcc, v[4:5], v[2:3]
	s_or_b64 s[30:31], vcc, s[28:29]
	s_and_b64 s[30:31], exec, s[30:31]
	s_or_b64 s[8:9], s[30:31], s[8:9]
	s_andn2_b64 s[24:25], s[24:25], exec
	s_and_b64 s[28:29], s[28:29], exec
	s_or_b64 s[24:25], s[24:25], s[28:29]
	s_barrier
	s_andn2_b64 exec, exec, s[8:9]
	s_cbranch_execz .LBB77_205
.LBB77_201:                             ;   Parent Loop BB77_16 Depth=1
                                        ; =>  This Inner Loop Header: Depth=2
	v_cmp_gt_u64_e32 vcc, s[52:53], v[4:5]
	v_mov_b32_e32 v6, 0
	s_and_saveexec_b64 s[28:29], vcc
	s_cbranch_execz .LBB77_203
; %bb.202:                              ;   in Loop: Header=BB77_201 Depth=2
	v_pk_mov_b32 v[6:7], s[78:79], s[78:79] op_sel:[0,1]
	v_mad_u64_u32 v[6:7], s[30:31], v4, s68, v[6:7]
	v_mul_lo_u32 v8, v4, s69
	v_mul_lo_u32 v9, v5, s68
	v_add3_u32 v7, v9, v7, v8
	global_load_ubyte v6, v[6:7], off
.LBB77_203:                             ;   in Loop: Header=BB77_201 Depth=2
	s_or_b64 exec, exec, s[28:29]
	s_waitcnt vmcnt(0)
	v_and_b32_e32 v7, s87, v6
	v_cmp_eq_u32_sdwa s[28:29], v7, s26 src0_sel:BYTE_0 src1_sel:DWORD
	s_and_b64 s[30:31], vcc, s[28:29]
	s_and_saveexec_b64 s[28:29], s[30:31]
	s_cbranch_execz .LBB77_200
; %bb.204:                              ;   in Loop: Header=BB77_201 Depth=2
	v_lshlrev_b16_e32 v6, 8, v6
	v_or_b32_e32 v6, 1, v6
	ds_write_b16 v11, v6 offset:3072
	s_branch .LBB77_200
.LBB77_205:                             ;   in Loop: Header=BB77_16 Depth=1
	s_or_b64 exec, exec, s[8:9]
	v_lshrrev_b16_e32 v29, 8, v6
	s_and_b64 s[8:9], s[24:25], exec
.LBB77_206:                             ;   in Loop: Header=BB77_16 Depth=1
	s_or_b64 exec, exec, s[2:3]
	s_mov_b64 s[30:31], -1
	s_mov_b64 s[24:25], 0
	s_mov_b64 s[28:29], 0
.LBB77_207:                             ;   in Loop: Header=BB77_16 Depth=1
	s_mov_b64 s[2:3], 0
                                        ; implicit-def: $sgpr46
	s_and_saveexec_b64 s[34:35], s[8:9]
	s_cbranch_execz .LBB77_267
; %bb.208:                              ;   in Loop: Header=BB77_16 Depth=1
	s_xor_b64 s[2:3], s[36:37], -1
	s_andn2_b64 vcc, exec, s[2:3]
	s_mov_b32 s46, 1
	s_cbranch_vccnz .LBB77_219
; %bb.209:                              ;   in Loop: Header=BB77_16 Depth=1
	v_pk_mov_b32 v[2:3], s[14:15], s[14:15] op_sel:[0,1]
	v_cmp_gt_u64_e32 vcc, s[84:85], v[2:3]
	s_mov_b64 s[2:3], -1
                                        ; implicit-def: $sgpr46
                                        ; implicit-def: $sgpr8
                                        ; implicit-def: $sgpr9
	s_cbranch_vccnz .LBB77_215
; %bb.210:                              ;   in Loop: Header=BB77_16 Depth=1
	ds_read_b64 v[2:3], v11 offset:5120
	s_waitcnt lgkmcnt(0)
	v_cmp_ne_u64_e32 vcc, 0, v[2:3]
	s_cbranch_vccnz .LBB77_214
; %bb.211:                              ;   in Loop: Header=BB77_16 Depth=1
	s_mov_b64 s[2:3], exec
	v_readlane_b32 s8, v38, 8
	v_readlane_b32 s9, v38, 9
	s_and_b64 s[8:9], s[2:3], s[8:9]
	s_mov_b64 exec, s[8:9]
	s_cbranch_execz .LBB77_213
; %bb.212:                              ;   in Loop: Header=BB77_16 Depth=1
	v_pk_mov_b32 v[2:3], s[14:15], s[14:15] op_sel:[0,1]
	ds_write_b64 v11, v[2:3] offset:5128
.LBB77_213:                             ;   in Loop: Header=BB77_16 Depth=1
	s_or_b64 exec, exec, s[2:3]
	s_waitcnt lgkmcnt(0)
	s_barrier
.LBB77_214:                             ;   in Loop: Header=BB77_16 Depth=1
	s_lshl_b32 s2, 2, s38
	s_and_b32 s3, s26, s39
	s_or_b32 s8, s3, s2
	s_or_b32 s9, s87, s27
	s_mov_b64 s[2:3], 0
	s_mov_b32 s46, 8
.LBB77_215:                             ;   in Loop: Header=BB77_16 Depth=1
	s_andn2_b64 vcc, exec, s[2:3]
	s_cbranch_vccnz .LBB77_217
; %bb.216:                              ;   in Loop: Header=BB77_16 Depth=1
	s_sub_u32 s84, s84, s14
	s_subb_u32 s85, s85, s15
	s_mov_b64 s[2:3], -1
	s_mov_b32 s46, 0
	s_mov_b32 s8, s26
	;; [unrolled: 1-line block ×3, first 2 shown]
.LBB77_217:                             ;   in Loop: Header=BB77_16 Depth=1
	s_mov_b32 s87, s9
	s_mov_b32 s26, s8
	s_andn2_b64 vcc, exec, s[2:3]
	s_mov_b64 s[42:43], -1
	s_cbranch_vccz .LBB77_220
.LBB77_218:                             ;   in Loop: Header=BB77_16 Depth=1
                                        ; implicit-def: $sgpr2_sgpr3
                                        ; implicit-def: $sgpr36_sgpr37
                                        ; implicit-def: $sgpr8_sgpr9
	s_branch .LBB77_266
.LBB77_219:                             ;   in Loop: Header=BB77_16 Depth=1
	s_mov_b64 s[84:85], 1
	s_mov_b64 s[42:43], -1
	s_cbranch_execnz .LBB77_218
.LBB77_220:                             ;   in Loop: Header=BB77_16 Depth=1
	s_cmp_eq_u64 s[6:7], 1
	s_cselect_b64 s[2:3], -1, 0
	s_cmp_eq_u64 s[84:85], 1
	s_cselect_b64 s[8:9], -1, 0
	s_and_b64 s[14:15], s[2:3], s[8:9]
	s_mov_b64 s[38:39], -1
	s_and_b64 vcc, exec, s[14:15]
	s_cbranch_vccz .LBB77_234
; %bb.221:                              ;   in Loop: Header=BB77_16 Depth=1
	ds_read_b64 v[2:3], v11 offset:5120
	s_waitcnt lgkmcnt(0)
	s_barrier
	v_readfirstlane_b32 s2, v2
	v_readfirstlane_b32 s3, v3
	s_mov_b64 s[8:9], exec
	v_readlane_b32 s36, v38, 26
	v_readlane_b32 s37, v38, 27
	s_and_b64 s[36:37], s[8:9], s[36:37]
	s_mov_b64 exec, s[36:37]
	s_cbranch_execz .LBB77_223
; %bb.222:                              ;   in Loop: Header=BB77_16 Depth=1
	ds_write_b8 v0, v1 offset:3072
.LBB77_223:                             ;   in Loop: Header=BB77_16 Depth=1
	s_or_b64 exec, exec, s[8:9]
	s_or_b32 s26, s26, s27
	s_or_b32 s87, s87, s27
	s_cmp_eq_u64 s[2:3], 0
	s_waitcnt lgkmcnt(0)
	s_barrier
	s_cbranch_scc1 .LBB77_237
; %bb.224:                              ;   in Loop: Header=BB77_16 Depth=1
	v_readlane_b32 s8, v38, 32
	s_add_u32 s38, s8, s2
	v_readlane_b32 s8, v38, 33
	s_addc_u32 s9, s8, s3
	s_mov_b32 s8, s81
	s_cmp_lg_u64 s[8:9], 0
	s_cbranch_scc0 .LBB77_272
; %bb.225:                              ;   in Loop: Header=BB77_16 Depth=1
	v_cvt_f32_u32_e32 v2, s33
	s_sub_u32 s8, 0, s33
	s_subb_u32 s36, 0, 0
	v_mac_f32_e32 v2, 0, v28
	v_rcp_f32_e32 v2, v2
	v_mul_f32_e32 v2, 0x5f7ffffc, v2
	v_mul_f32_e32 v3, 0x2f800000, v2
	v_trunc_f32_e32 v3, v3
	v_mac_f32_e32 v2, 0xcf800000, v3
	v_cvt_u32_f32_e32 v3, v3
	v_cvt_u32_f32_e32 v2, v2
	v_readfirstlane_b32 s37, v3
	v_readfirstlane_b32 s39, v2
	s_mul_i32 s40, s8, s37
	s_mul_hi_u32 s42, s8, s39
	s_mul_i32 s41, s36, s39
	s_add_i32 s40, s42, s40
	s_mul_i32 s43, s8, s39
	s_add_i32 s40, s40, s41
	s_mul_hi_u32 s42, s39, s43
	s_mul_hi_u32 s41, s39, s40
	s_mul_i32 s39, s39, s40
	s_add_u32 s39, s42, s39
	s_addc_u32 s41, 0, s41
	s_mul_hi_u32 s44, s37, s43
	s_mul_i32 s43, s37, s43
	s_add_u32 s39, s39, s43
	s_mul_hi_u32 s42, s37, s40
	s_addc_u32 s39, s41, s44
	s_addc_u32 s41, s42, 0
	s_mul_i32 s40, s37, s40
	s_add_u32 s39, s39, s40
	s_addc_u32 s40, 0, s41
	v_add_co_u32_e32 v2, vcc, s39, v2
	s_cmp_lg_u64 vcc, 0
	s_addc_u32 s37, s37, s40
	v_readfirstlane_b32 s40, v2
	s_mul_i32 s39, s8, s37
	s_mul_hi_u32 s41, s8, s40
	s_add_i32 s39, s41, s39
	s_mul_i32 s36, s36, s40
	s_add_i32 s39, s39, s36
	s_mul_i32 s8, s8, s40
	s_mul_hi_u32 s41, s37, s8
	s_mul_i32 s42, s37, s8
	s_mul_i32 s44, s40, s39
	s_mul_hi_u32 s8, s40, s8
	s_mul_hi_u32 s43, s40, s39
	s_add_u32 s8, s8, s44
	s_addc_u32 s40, 0, s43
	s_add_u32 s8, s8, s42
	s_mul_hi_u32 s36, s37, s39
	s_addc_u32 s8, s40, s41
	s_addc_u32 s36, s36, 0
	s_mul_i32 s39, s37, s39
	s_add_u32 s8, s8, s39
	s_addc_u32 s36, 0, s36
	v_add_co_u32_e32 v2, vcc, s8, v2
	s_cmp_lg_u64 vcc, 0
	s_addc_u32 s8, s37, s36
	v_readfirstlane_b32 s39, v2
	s_mul_i32 s37, s38, s8
	s_mul_hi_u32 s40, s38, s39
	s_mul_hi_u32 s36, s38, s8
	s_add_u32 s37, s40, s37
	s_addc_u32 s36, 0, s36
	s_mul_hi_u32 s41, s9, s39
	s_mul_i32 s39, s9, s39
	s_add_u32 s37, s37, s39
	s_mul_hi_u32 s40, s9, s8
	s_addc_u32 s36, s36, s41
	s_addc_u32 s37, s40, 0
	s_mul_i32 s8, s9, s8
	s_add_u32 s8, s36, s8
	s_addc_u32 s36, 0, s37
	s_mul_hi_u32 s37, s33, s8
	s_mul_i32 s8, s33, s8
	s_mul_i32 s36, s33, s36
	v_mov_b32_e32 v2, s8
	s_add_i32 s37, s37, s36
	v_sub_co_u32_e32 v2, vcc, s38, v2
	s_cmp_lg_u64 vcc, 0
	s_subb_u32 s8, s9, s37
	v_subrev_co_u32_e32 v3, vcc, s33, v2
	s_cmp_lg_u64 vcc, 0
	s_subb_u32 s36, s8, 0
	v_subrev_co_u32_e32 v4, vcc, s33, v3
	s_cmp_lg_u64 vcc, 0
	s_subb_u32 s37, s36, 0
	v_cmp_le_u32_e32 vcc, s33, v3
	s_cmp_eq_u32 s36, 0
	v_cndmask_b32_e64 v5, 0, -1, vcc
	s_cselect_b64 vcc, -1, 0
	v_cndmask_b32_e32 v5, -1, v5, vcc
	v_mov_b32_e32 v6, s36
	v_mov_b32_e32 v7, s37
	v_cmp_ne_u32_e32 vcc, 0, v5
	v_cndmask_b32_e32 v5, v6, v7, vcc
	v_cndmask_b32_e32 v4, v3, v4, vcc
	v_cmp_le_u32_e32 vcc, s33, v2
	s_cmp_eq_u32 s8, 0
	v_cndmask_b32_e64 v3, 0, -1, vcc
	s_cselect_b64 vcc, -1, 0
	v_cndmask_b32_e32 v3, -1, v3, vcc
	v_mov_b32_e32 v6, s8
	v_cmp_ne_u32_e32 vcc, 0, v3
	v_cndmask_b32_e32 v3, v6, v5, vcc
	v_cndmask_b32_e32 v2, v2, v4, vcc
	s_cbranch_execnz .LBB77_227
.LBB77_226:                             ;   in Loop: Header=BB77_16 Depth=1
	v_cvt_f32_u32_e32 v2, s33
	s_sub_i32 s8, 0, s33
	v_rcp_iflag_f32_e32 v2, v2
	v_mul_f32_e32 v2, 0x4f7ffffe, v2
	v_cvt_u32_f32_e32 v2, v2
	v_mul_lo_u32 v3, s8, v2
	v_mul_hi_u32 v3, v2, v3
	v_add_u32_e32 v2, v2, v3
	v_mul_hi_u32 v2, s38, v2
	v_mul_lo_u32 v2, v2, s33
	v_sub_u32_e32 v2, s38, v2
	v_subrev_u32_e32 v3, s33, v2
	v_cmp_le_u32_e32 vcc, s33, v2
	v_cndmask_b32_e32 v2, v2, v3, vcc
	v_subrev_u32_e32 v3, s33, v2
	v_cmp_le_u32_e32 vcc, s33, v2
	v_cndmask_b32_e32 v10, v2, v3, vcc
	v_pk_mov_b32 v[2:3], v[10:11], v[10:11] op_sel:[0,1]
.LBB77_227:                             ;   in Loop: Header=BB77_16 Depth=1
	v_mov_b32_e32 v4, s9
	v_sub_co_u32_e32 v2, vcc, s38, v2
	v_subb_co_u32_e32 v3, vcc, v4, v3, vcc
	v_cmp_gt_u64_e32 vcc, v[2:3], v[0:1]
	s_mov_b64 s[38:39], 0
                                        ; implicit-def: $vgpr29
	s_and_saveexec_b64 s[8:9], vcc
	s_cbranch_execz .LBB77_239
; %bb.228:                              ;   in Loop: Header=BB77_16 Depth=1
	s_mov_b64 s[36:37], 0
	v_mov_b32_e32 v6, v0
	v_pk_mov_b32 v[4:5], v[0:1], v[0:1] op_sel:[0,1]
                                        ; implicit-def: $sgpr38_sgpr39
	s_branch .LBB77_230
.LBB77_229:                             ;   in Loop: Header=BB77_230 Depth=2
	s_or_b64 exec, exec, s[40:41]
	s_waitcnt lgkmcnt(0)
	s_barrier
	ds_read_u16 v7, v11 offset:3072
	v_mov_b32_e32 v8, s55
	v_add_co_u32_e32 v4, vcc, s33, v4
	v_addc_co_u32_e32 v5, vcc, v5, v8, vcc
	s_waitcnt lgkmcnt(0)
	v_cmp_ne_u16_sdwa s[40:41], v7, v1 src0_sel:BYTE_0 src1_sel:DWORD
	v_cmp_ge_u64_e32 vcc, v[4:5], v[2:3]
	s_or_b64 s[42:43], vcc, s[40:41]
	s_and_b64 s[42:43], exec, s[42:43]
	s_or_b64 s[36:37], s[42:43], s[36:37]
	s_andn2_b64 s[38:39], s[38:39], exec
	s_and_b64 s[40:41], s[40:41], exec
	v_add_u32_e32 v6, s33, v6
	s_or_b64 s[38:39], s[38:39], s[40:41]
	s_barrier
	s_andn2_b64 exec, exec, s[36:37]
	s_cbranch_execz .LBB77_238
.LBB77_230:                             ;   Parent Loop BB77_16 Depth=1
                                        ; =>  This Inner Loop Header: Depth=2
	v_cmp_gt_u64_e32 vcc, s[2:3], v[4:5]
	v_mov_b32_e32 v7, 0
	s_and_saveexec_b64 s[40:41], vcc
	s_cbranch_execz .LBB77_232
; %bb.231:                              ;   in Loop: Header=BB77_230 Depth=2
	ds_read_u8 v7, v6
.LBB77_232:                             ;   in Loop: Header=BB77_230 Depth=2
	s_or_b64 exec, exec, s[40:41]
	s_waitcnt lgkmcnt(0)
	v_and_b32_e32 v8, s87, v7
	v_cmp_eq_u32_sdwa s[40:41], v8, s26 src0_sel:BYTE_0 src1_sel:DWORD
	s_and_b64 s[42:43], vcc, s[40:41]
	s_and_saveexec_b64 s[40:41], s[42:43]
	s_cbranch_execz .LBB77_229
; %bb.233:                              ;   in Loop: Header=BB77_230 Depth=2
	v_lshlrev_b16_e32 v7, 8, v7
	v_or_b32_e32 v7, 1, v7
	ds_write_b16 v11, v7 offset:3072
	s_branch .LBB77_229
.LBB77_234:                             ;   in Loop: Header=BB77_16 Depth=1
                                        ; implicit-def: $sgpr2_sgpr3
                                        ; implicit-def: $sgpr36_sgpr37
                                        ; implicit-def: $sgpr8_sgpr9
	s_branch .LBB77_252
.LBB77_235:                             ;   in Loop: Header=BB77_16 Depth=1
                                        ; implicit-def: $vgpr2_vgpr3
	s_branch .LBB77_181
.LBB77_236:                             ;   in Loop: Header=BB77_16 Depth=1
                                        ; implicit-def: $vgpr2_vgpr3
	s_branch .LBB77_197
.LBB77_237:                             ;   in Loop: Header=BB77_16 Depth=1
	s_mov_b64 s[2:3], -1
	s_mov_b64 s[38:39], 0
                                        ; implicit-def: $sgpr8_sgpr9
                                        ; implicit-def: $vgpr29
	s_mov_b64 s[36:37], s[2:3]
	s_cbranch_execnz .LBB77_240
	s_branch .LBB77_252
.LBB77_238:                             ;   in Loop: Header=BB77_16 Depth=1
	s_or_b64 exec, exec, s[36:37]
	v_lshrrev_b16_e32 v29, 8, v7
	s_and_b64 s[38:39], s[38:39], exec
.LBB77_239:                             ;   in Loop: Header=BB77_16 Depth=1
	s_or_b64 exec, exec, s[8:9]
	s_mov_b64 s[8:9], -1
	s_mov_b64 s[2:3], 0
	s_mov_b64 s[36:37], s[2:3]
	s_branch .LBB77_252
.LBB77_240:                             ;   in Loop: Header=BB77_16 Depth=1
	s_mov_b32 s88, s81
	s_cmp_lg_u64 s[88:89], 0
	s_cbranch_scc0 .LBB77_273
; %bb.241:                              ;   in Loop: Header=BB77_16 Depth=1
	v_cvt_f32_u32_e32 v2, s33
	s_sub_u32 s2, 0, s33
	s_subb_u32 s3, 0, 0
	v_mac_f32_e32 v2, 0, v28
	v_rcp_f32_e32 v2, v2
	v_mul_f32_e32 v2, 0x5f7ffffc, v2
	v_mul_f32_e32 v3, 0x2f800000, v2
	v_trunc_f32_e32 v3, v3
	v_mac_f32_e32 v2, 0xcf800000, v3
	v_cvt_u32_f32_e32 v3, v3
	v_cvt_u32_f32_e32 v2, v2
	v_readfirstlane_b32 s8, v3
	v_readfirstlane_b32 s9, v2
	s_mul_i32 s36, s2, s8
	s_mul_hi_u32 s38, s2, s9
	s_mul_i32 s37, s3, s9
	s_add_i32 s36, s38, s36
	s_mul_i32 s39, s2, s9
	s_add_i32 s36, s36, s37
	s_mul_hi_u32 s38, s9, s39
	s_mul_hi_u32 s37, s9, s36
	s_mul_i32 s9, s9, s36
	s_add_u32 s9, s38, s9
	s_addc_u32 s37, 0, s37
	s_mul_hi_u32 s40, s8, s39
	s_mul_i32 s39, s8, s39
	s_add_u32 s9, s9, s39
	s_mul_hi_u32 s38, s8, s36
	s_addc_u32 s9, s37, s40
	s_addc_u32 s37, s38, 0
	s_mul_i32 s36, s8, s36
	s_add_u32 s9, s9, s36
	s_addc_u32 s36, 0, s37
	v_add_co_u32_e32 v2, vcc, s9, v2
	s_cmp_lg_u64 vcc, 0
	s_addc_u32 s8, s8, s36
	v_readfirstlane_b32 s36, v2
	s_mul_i32 s9, s2, s8
	s_mul_hi_u32 s37, s2, s36
	s_add_i32 s9, s37, s9
	s_mul_i32 s3, s3, s36
	s_add_i32 s9, s9, s3
	s_mul_i32 s2, s2, s36
	s_mul_hi_u32 s37, s8, s2
	s_mul_i32 s38, s8, s2
	s_mul_i32 s40, s36, s9
	s_mul_hi_u32 s2, s36, s2
	s_mul_hi_u32 s39, s36, s9
	s_add_u32 s2, s2, s40
	s_addc_u32 s36, 0, s39
	s_add_u32 s2, s2, s38
	s_mul_hi_u32 s3, s8, s9
	s_addc_u32 s2, s36, s37
	s_addc_u32 s3, s3, 0
	s_mul_i32 s9, s8, s9
	s_add_u32 s2, s2, s9
	s_addc_u32 s3, 0, s3
	v_add_co_u32_e32 v2, vcc, s2, v2
	s_cmp_lg_u64 vcc, 0
	s_addc_u32 s2, s8, s3
	v_readfirstlane_b32 s9, v2
	s_mul_i32 s8, s54, s2
	s_mul_hi_u32 s36, s54, s9
	s_mul_hi_u32 s3, s54, s2
	s_add_u32 s8, s36, s8
	s_addc_u32 s3, 0, s3
	s_mul_hi_u32 s37, s89, s9
	s_mul_i32 s9, s89, s9
	s_add_u32 s8, s8, s9
	s_mul_hi_u32 s36, s89, s2
	s_addc_u32 s3, s3, s37
	s_addc_u32 s8, s36, 0
	s_mul_i32 s2, s89, s2
	s_add_u32 s2, s3, s2
	s_addc_u32 s3, 0, s8
	s_mul_hi_u32 s8, s33, s2
	s_mul_i32 s2, s33, s2
	s_mul_i32 s3, s33, s3
	v_mov_b32_e32 v2, s2
	s_add_i32 s8, s8, s3
	v_sub_co_u32_e32 v2, vcc, s54, v2
	s_cmp_lg_u64 vcc, 0
	s_subb_u32 s2, s89, s8
	v_subrev_co_u32_e32 v3, vcc, s33, v2
	s_cmp_lg_u64 vcc, 0
	s_subb_u32 s3, s2, 0
	v_subrev_co_u32_e32 v4, vcc, s33, v3
	s_cmp_lg_u64 vcc, 0
	s_subb_u32 s8, s3, 0
	v_cmp_le_u32_e32 vcc, s33, v3
	s_cmp_eq_u32 s3, 0
	v_cndmask_b32_e64 v5, 0, -1, vcc
	s_cselect_b64 vcc, -1, 0
	v_cndmask_b32_e32 v5, -1, v5, vcc
	v_mov_b32_e32 v6, s3
	v_mov_b32_e32 v7, s8
	v_cmp_ne_u32_e32 vcc, 0, v5
	v_cndmask_b32_e32 v5, v6, v7, vcc
	v_cndmask_b32_e32 v4, v3, v4, vcc
	v_cmp_le_u32_e32 vcc, s33, v2
	s_cmp_eq_u32 s2, 0
	v_cndmask_b32_e64 v3, 0, -1, vcc
	s_cselect_b64 vcc, -1, 0
	v_cndmask_b32_e32 v3, -1, v3, vcc
	v_mov_b32_e32 v6, s2
	v_cmp_ne_u32_e32 vcc, 0, v3
	v_cndmask_b32_e32 v3, v6, v5, vcc
	v_cndmask_b32_e32 v2, v2, v4, vcc
	s_cbranch_execnz .LBB77_243
.LBB77_242:                             ;   in Loop: Header=BB77_16 Depth=1
	v_cvt_f32_u32_e32 v2, s33
	s_sub_i32 s2, 0, s33
	v_rcp_iflag_f32_e32 v2, v2
	v_mul_f32_e32 v2, 0x4f7ffffe, v2
	v_cvt_u32_f32_e32 v2, v2
	v_mul_lo_u32 v3, s2, v2
	v_mul_hi_u32 v3, v2, v3
	v_add_u32_e32 v2, v2, v3
	v_mul_hi_u32 v2, s54, v2
	v_mul_lo_u32 v2, v2, s33
	v_sub_u32_e32 v2, s54, v2
	v_subrev_u32_e32 v3, s33, v2
	v_cmp_le_u32_e32 vcc, s33, v2
	v_cndmask_b32_e32 v2, v2, v3, vcc
	v_subrev_u32_e32 v3, s33, v2
	v_cmp_le_u32_e32 vcc, s33, v2
	v_cndmask_b32_e32 v10, v2, v3, vcc
	v_pk_mov_b32 v[2:3], v[10:11], v[10:11] op_sel:[0,1]
.LBB77_243:                             ;   in Loop: Header=BB77_16 Depth=1
	v_mov_b32_e32 v4, s89
	v_sub_co_u32_e32 v2, vcc, s54, v2
	v_subb_co_u32_e32 v3, vcc, v4, v3, vcc
	v_cmp_gt_u64_e32 vcc, v[2:3], v[0:1]
	s_mov_b64 s[38:39], 0
                                        ; implicit-def: $vgpr29
	s_and_saveexec_b64 s[2:3], vcc
	s_cbranch_execz .LBB77_251
; %bb.244:                              ;   in Loop: Header=BB77_16 Depth=1
	s_mov_b64 s[8:9], 0
	v_pk_mov_b32 v[4:5], v[0:1], v[0:1] op_sel:[0,1]
                                        ; implicit-def: $sgpr36_sgpr37
	s_branch .LBB77_246
.LBB77_245:                             ;   in Loop: Header=BB77_246 Depth=2
	s_or_b64 exec, exec, s[38:39]
	s_waitcnt lgkmcnt(0)
	s_barrier
	ds_read_u16 v6, v11 offset:3072
	v_mov_b32_e32 v7, s55
	v_add_co_u32_e32 v4, vcc, s33, v4
	v_addc_co_u32_e32 v5, vcc, v5, v7, vcc
	s_waitcnt lgkmcnt(0)
	v_cmp_ne_u16_sdwa s[38:39], v6, v1 src0_sel:BYTE_0 src1_sel:DWORD
	v_cmp_ge_u64_e32 vcc, v[4:5], v[2:3]
	s_or_b64 s[40:41], vcc, s[38:39]
	s_and_b64 s[40:41], exec, s[40:41]
	s_or_b64 s[8:9], s[40:41], s[8:9]
	s_andn2_b64 s[36:37], s[36:37], exec
	s_and_b64 s[38:39], s[38:39], exec
	s_or_b64 s[36:37], s[36:37], s[38:39]
	s_barrier
	s_andn2_b64 exec, exec, s[8:9]
	s_cbranch_execz .LBB77_250
.LBB77_246:                             ;   Parent Loop BB77_16 Depth=1
                                        ; =>  This Inner Loop Header: Depth=2
	v_cmp_gt_u64_e32 vcc, s[52:53], v[4:5]
	v_mov_b32_e32 v6, 0
	s_and_saveexec_b64 s[38:39], vcc
	s_cbranch_execz .LBB77_248
; %bb.247:                              ;   in Loop: Header=BB77_246 Depth=2
	v_pk_mov_b32 v[6:7], s[78:79], s[78:79] op_sel:[0,1]
	v_mad_u64_u32 v[6:7], s[40:41], v4, s68, v[6:7]
	v_mul_lo_u32 v8, v4, s69
	v_mul_lo_u32 v9, v5, s68
	v_add3_u32 v7, v9, v7, v8
	global_load_ubyte v6, v[6:7], off
.LBB77_248:                             ;   in Loop: Header=BB77_246 Depth=2
	s_or_b64 exec, exec, s[38:39]
	s_waitcnt vmcnt(0)
	v_and_b32_e32 v7, s87, v6
	v_cmp_eq_u32_sdwa s[38:39], v7, s26 src0_sel:BYTE_0 src1_sel:DWORD
	s_and_b64 s[40:41], vcc, s[38:39]
	s_and_saveexec_b64 s[38:39], s[40:41]
	s_cbranch_execz .LBB77_245
; %bb.249:                              ;   in Loop: Header=BB77_246 Depth=2
	v_lshlrev_b16_e32 v6, 8, v6
	v_or_b32_e32 v6, 1, v6
	ds_write_b16 v11, v6 offset:3072
	s_branch .LBB77_245
.LBB77_250:                             ;   in Loop: Header=BB77_16 Depth=1
	s_or_b64 exec, exec, s[8:9]
	v_lshrrev_b16_e32 v29, 8, v6
	s_and_b64 s[38:39], s[36:37], exec
.LBB77_251:                             ;   in Loop: Header=BB77_16 Depth=1
	s_or_b64 exec, exec, s[2:3]
	s_mov_b64 s[36:37], -1
	s_mov_b64 s[2:3], 0
	s_mov_b64 s[8:9], 0
.LBB77_252:                             ;   in Loop: Header=BB77_16 Depth=1
	s_mov_b64 s[42:43], 0
                                        ; implicit-def: $sgpr46
                                        ; implicit-def: $sgpr44_sgpr45
	s_and_saveexec_b64 s[40:41], s[38:39]
	s_cbranch_execz .LBB77_265
; %bb.253:                              ;   in Loop: Header=BB77_16 Depth=1
	s_xor_b64 s[14:15], s[14:15], -1
	s_mov_b64 s[44:45], 1
	s_andn2_b64 vcc, exec, s[14:15]
	s_mov_b32 s46, 1
	s_cbranch_vccnz .LBB77_264
; %bb.254:                              ;   in Loop: Header=BB77_16 Depth=1
	v_pk_mov_b32 v[2:3], s[6:7], s[6:7] op_sel:[0,1]
	v_cmp_gt_u64_e32 vcc, s[84:85], v[2:3]
	s_cbranch_vccnz .LBB77_260
; %bb.255:                              ;   in Loop: Header=BB77_16 Depth=1
	ds_read_b64 v[2:3], v11 offset:5120
	s_waitcnt lgkmcnt(0)
	v_cmp_ne_u64_e32 vcc, 0, v[2:3]
	s_cbranch_vccnz .LBB77_259
; %bb.256:                              ;   in Loop: Header=BB77_16 Depth=1
	s_mov_b64 s[14:15], exec
	v_readlane_b32 s38, v38, 8
	v_readlane_b32 s39, v38, 9
	s_and_b64 s[38:39], s[14:15], s[38:39]
	s_mov_b64 exec, s[38:39]
	s_cbranch_execz .LBB77_258
; %bb.257:                              ;   in Loop: Header=BB77_16 Depth=1
	v_pk_mov_b32 v[2:3], s[6:7], s[6:7] op_sel:[0,1]
	ds_write_b64 v11, v[2:3] offset:5128
.LBB77_258:                             ;   in Loop: Header=BB77_16 Depth=1
	s_or_b64 exec, exec, s[14:15]
	s_waitcnt lgkmcnt(0)
	s_barrier
.LBB77_259:                             ;   in Loop: Header=BB77_16 Depth=1
	s_or_b32 s38, s26, s27
	s_or_b32 s27, s87, s27
	s_mov_b64 s[14:15], 0
	s_mov_b32 s46, 8
	s_branch .LBB77_261
.LBB77_260:                             ;   in Loop: Header=BB77_16 Depth=1
	s_mov_b64 s[14:15], -1
                                        ; implicit-def: $sgpr46
                                        ; implicit-def: $sgpr38
                                        ; implicit-def: $sgpr27
.LBB77_261:                             ;   in Loop: Header=BB77_16 Depth=1
	s_andn2_b64 vcc, exec, s[14:15]
	s_cbranch_vccnz .LBB77_263
; %bb.262:                              ;   in Loop: Header=BB77_16 Depth=1
	s_sub_u32 s84, s84, s6
	s_subb_u32 s85, s85, s7
	s_mov_b32 s46, 8
	s_mov_b32 s38, s26
	;; [unrolled: 1-line block ×3, first 2 shown]
.LBB77_263:                             ;   in Loop: Header=BB77_16 Depth=1
	s_mov_b64 s[44:45], s[84:85]
	s_mov_b32 s26, s38
	s_mov_b32 s87, s27
.LBB77_264:                             ;   in Loop: Header=BB77_16 Depth=1
	s_mov_b64 s[42:43], exec
.LBB77_265:                             ;   in Loop: Header=BB77_16 Depth=1
	s_or_b64 exec, exec, s[40:41]
	s_mov_b64 s[84:85], s[44:45]
.LBB77_266:                             ;   in Loop: Header=BB77_16 Depth=1
	s_andn2_b64 s[6:7], s[24:25], exec
	s_and_b64 s[2:3], s[2:3], exec
	s_or_b64 s[24:25], s[6:7], s[2:3]
	s_andn2_b64 s[2:3], s[30:31], exec
	s_and_b64 s[6:7], s[36:37], exec
	s_or_b64 s[30:31], s[2:3], s[6:7]
	;; [unrolled: 3-line block ×3, first 2 shown]
	s_and_b64 s[2:3], s[42:43], exec
.LBB77_267:                             ;   in Loop: Header=BB77_16 Depth=1
	s_or_b64 exec, exec, s[34:35]
.LBB77_268:                             ;   in Loop: Header=BB77_16 Depth=1
	s_andn2_b64 s[6:7], s[18:19], exec
	s_and_b64 s[8:9], s[24:25], exec
	s_or_b64 s[18:19], s[6:7], s[8:9]
	s_andn2_b64 s[6:7], s[20:21], exec
	s_and_b64 s[8:9], s[30:31], exec
	s_or_b64 s[20:21], s[6:7], s[8:9]
	s_andn2_b64 s[6:7], s[16:17], exec
	s_and_b64 s[8:9], s[28:29], exec
	s_or_b64 s[16:17], s[6:7], s[8:9]
	s_and_b64 s[2:3], s[2:3], exec
.LBB77_269:                             ;   in Loop: Header=BB77_16 Depth=1
	s_or_b64 exec, exec, s[22:23]
	s_and_saveexec_b64 s[6:7], s[2:3]
	s_xor_b64 s[2:3], exec, s[6:7]
	s_cbranch_execz .LBB77_14
.LBB77_270:                             ;   in Loop: Header=BB77_16 Depth=1
	s_and_b32 s6, s46, -9
	s_cmp_eq_u32 s6, 0
	s_cbranch_scc1 .LBB77_12
; %bb.271:                              ;   in Loop: Header=BB77_16 Depth=1
	s_mov_b64 s[6:7], -1
                                        ; implicit-def: $sgpr87
                                        ; implicit-def: $sgpr84_sgpr85
                                        ; implicit-def: $sgpr1
                                        ; implicit-def: $sgpr86
	s_mov_b64 s[8:9], -1
	s_branch .LBB77_13
.LBB77_272:                             ;   in Loop: Header=BB77_16 Depth=1
                                        ; implicit-def: $vgpr2_vgpr3
	s_branch .LBB77_226
.LBB77_273:                             ;   in Loop: Header=BB77_16 Depth=1
                                        ; implicit-def: $vgpr2_vgpr3
	s_branch .LBB77_242
.LBB77_274:
	s_or_b64 exec, exec, s[72:73]
	s_xor_b64 s[6:7], s[60:61], -1
	s_xor_b64 s[0:1], s[58:59], -1
	;; [unrolled: 1-line block ×3, first 2 shown]
	s_mov_b64 s[2:3], 0
	s_and_saveexec_b64 s[8:9], s[0:1]
	s_xor_b64 s[0:1], exec, s[8:9]
	s_cbranch_execnz .LBB77_279
; %bb.275:
	s_andn2_saveexec_b64 s[0:1], s[0:1]
	s_cbranch_execnz .LBB77_292
.LBB77_276:
	s_or_b64 exec, exec, s[0:1]
	s_and_saveexec_b64 s[0:1], s[2:3]
.LBB77_277:
	; divergent unreachable
.LBB77_278:
	s_endpgm
.LBB77_279:
	s_and_saveexec_b64 s[2:3], s[6:7]
	s_xor_b64 s[2:3], exec, s[2:3]
	s_cbranch_execz .LBB77_290
; %bb.280:
	s_and_saveexec_b64 s[6:7], s[4:5]
	s_xor_b64 s[4:5], exec, s[6:7]
; %bb.281:
	v_mov_b32_e32 v29, v2
; %bb.282:
	s_or_b64 exec, exec, s[4:5]
	v_readlane_b32 s6, v38, 2
	v_readlane_b32 s4, v38, 0
	;; [unrolled: 1-line block ×4, first 2 shown]
	s_mov_b32 s8, s4
	s_mul_i32 s4, s4, s7
	s_mul_hi_u32 s5, s8, s6
	s_add_i32 s5, s5, s4
	s_mul_i32 s4, s8, s6
	v_readlane_b32 s18, v38, 22
	v_readlane_b32 s12, v38, 18
	s_sub_u32 s4, s18, s4
	v_readlane_b32 s14, v38, 20
	v_readlane_b32 s15, v38, 21
	s_subb_u32 s5, 0, s5
	s_mul_i32 s6, s4, s15
	s_mul_hi_u32 s7, s4, s14
	v_readlane_b32 s13, v38, 19
	s_add_i32 s6, s7, s6
	s_mul_i32 s5, s5, s14
	s_add_i32 s6, s6, s5
	s_mul_i32 s5, s8, s13
	s_mul_hi_u32 s7, s8, s12
	s_add_i32 s7, s7, s5
	s_mul_i32 s5, s8, s12
	v_readlane_b32 s8, v38, 12
	v_readlane_b32 s9, v38, 13
	s_add_u32 s5, s8, s5
	s_mul_i32 s4, s4, s14
	s_addc_u32 s7, s9, s7
	s_add_u32 s4, s5, s4
	s_addc_u32 s5, s7, s6
	v_mov_b32_e32 v2, 0
	v_readlane_b32 s19, v38, 23
	global_store_byte v2, v29, s[4:5]
	s_mov_b64 s[4:5], exec
	v_readlane_b32 s6, v38, 24
	v_readlane_b32 s7, v38, 25
	s_and_b64 s[6:7], s[4:5], s[6:7]
	s_mov_b64 exec, s[6:7]
	s_cbranch_execz .LBB77_289
; %bb.283:
	s_mov_b64 s[6:7], 0
	v_pk_mov_b32 v[4:5], s[78:79], s[78:79] op_sel:[0,1]
                                        ; implicit-def: $sgpr8_sgpr9
                                        ; implicit-def: $sgpr12_sgpr13
                                        ; implicit-def: $sgpr10_sgpr11
	s_branch .LBB77_285
.LBB77_284:                             ;   in Loop: Header=BB77_285 Depth=1
	s_or_b64 exec, exec, s[14:15]
	s_and_b64 s[14:15], exec, s[12:13]
	s_or_b64 s[6:7], s[14:15], s[6:7]
	s_andn2_b64 s[8:9], s[8:9], exec
	s_and_b64 s[14:15], s[10:11], exec
	s_or_b64 s[8:9], s[8:9], s[14:15]
	s_andn2_b64 exec, exec, s[6:7]
	s_cbranch_execz .LBB77_287
.LBB77_285:                             ; =>This Inner Loop Header: Depth=1
	v_pk_mov_b32 v[2:3], v[0:1], v[0:1] op_sel:[0,1]
	v_mad_u64_u32 v[0:1], s[14:15], v2, s68, v[4:5]
	v_mul_lo_u32 v6, v2, s69
	v_mul_lo_u32 v7, v3, s68
	v_add3_u32 v1, v7, v1, v6
	global_load_ubyte v0, v[0:1], off
	s_or_b64 s[10:11], s[10:11], exec
	s_or_b64 s[12:13], s[12:13], exec
	s_waitcnt vmcnt(0)
	v_cmp_ne_u16_sdwa s[16:17], v0, v29 src0_sel:DWORD src1_sel:BYTE_0
                                        ; implicit-def: $vgpr0_vgpr1
	s_and_saveexec_b64 s[14:15], s[16:17]
	s_cbranch_execz .LBB77_284
; %bb.286:                              ;   in Loop: Header=BB77_285 Depth=1
	v_mov_b32_e32 v1, s55
	v_add_co_u32_e32 v0, vcc, s33, v2
	v_addc_co_u32_e32 v1, vcc, v3, v1, vcc
	v_cmp_le_u64_e32 vcc, s[52:53], v[0:1]
	s_andn2_b64 s[12:13], s[12:13], exec
	s_and_b64 s[16:17], vcc, exec
	s_andn2_b64 s[10:11], s[10:11], exec
	s_or_b64 s[12:13], s[12:13], s[16:17]
	s_branch .LBB77_284
.LBB77_287:
	s_or_b64 exec, exec, s[6:7]
	s_and_saveexec_b64 s[6:7], s[8:9]
	s_xor_b64 s[6:7], exec, s[6:7]
	s_cbranch_execz .LBB77_289
; %bb.288:
	v_readlane_b32 s8, v38, 6
	v_readlane_b32 s6, v38, 4
	v_readlane_b32 s9, v38, 7
	v_readlane_b32 s7, v38, 5
	s_mov_b32 s10, s6
	s_mul_i32 s6, s6, s9
	s_mul_hi_u32 s7, s10, s8
	s_add_i32 s7, s7, s6
	s_mul_i32 s6, s10, s8
	v_readlane_b32 s12, v38, 14
	s_sub_u32 s6, s18, s6
	v_readlane_b32 s14, v38, 16
	v_readlane_b32 s15, v38, 17
	s_subb_u32 s7, 0, s7
	s_mul_i32 s8, s6, s15
	s_mul_hi_u32 s9, s6, s14
	v_readlane_b32 s13, v38, 15
	s_add_i32 s8, s9, s8
	s_mul_i32 s7, s7, s14
	s_add_i32 s7, s8, s7
	s_mul_i32 s8, s10, s13
	s_mul_hi_u32 s9, s10, s12
	s_add_i32 s9, s9, s8
	s_mul_i32 s8, s10, s12
	s_lshl_b64 s[8:9], s[8:9], 3
	v_readlane_b32 s10, v38, 10
	s_mul_i32 s6, s6, s14
	v_readlane_b32 s11, v38, 11
	s_add_u32 s8, s10, s8
	s_addc_u32 s9, s11, s9
	s_lshl_b64 s[6:7], s[6:7], 3
	s_add_u32 s6, s8, s6
	s_addc_u32 s7, s9, s7
	v_mov_b32_e32 v0, 0
	global_store_dwordx2 v0, v[2:3], s[6:7]
.LBB77_289:
	s_or_b64 exec, exec, s[4:5]
.LBB77_290:
	s_or_saveexec_b64 s[2:3], s[2:3]
	s_mov_b64 s[4:5], 0
	s_xor_b64 exec, exec, s[2:3]
	s_cbranch_execnz .LBB77_293
.LBB77_291:
	s_or_b64 exec, exec, s[2:3]
	s_and_b64 s[2:3], s[4:5], exec
	s_andn2_saveexec_b64 s[0:1], s[0:1]
	s_cbranch_execz .LBB77_276
.LBB77_292:
	s_or_b64 s[2:3], s[2:3], exec
	s_trap 2
	s_or_b64 exec, exec, s[0:1]
	s_and_saveexec_b64 s[0:1], s[2:3]
	s_cbranch_execnz .LBB77_277
	s_branch .LBB77_278
.LBB77_293:
	s_mov_b64 s[4:5], exec
	s_trap 2
	s_branch .LBB77_291
	.section	.rodata,"a",@progbits
	.p2align	6, 0x0
	.amdhsa_kernel _ZN2at6native12_GLOBAL__N_112gatherMedianIhmLi2EEEvNS_4cuda6detail10TensorInfoIT_T0_EENS5_IlS7_EENS5_IKS6_S7_EES7_S7_S7_b
		.amdhsa_group_segment_fixed_size 5152
		.amdhsa_private_segment_fixed_size 0
		.amdhsa_kernarg_size 1536
		.amdhsa_user_sgpr_count 6
		.amdhsa_user_sgpr_private_segment_buffer 1
		.amdhsa_user_sgpr_dispatch_ptr 0
		.amdhsa_user_sgpr_queue_ptr 0
		.amdhsa_user_sgpr_kernarg_segment_ptr 1
		.amdhsa_user_sgpr_dispatch_id 0
		.amdhsa_user_sgpr_flat_scratch_init 0
		.amdhsa_user_sgpr_kernarg_preload_length 0
		.amdhsa_user_sgpr_kernarg_preload_offset 0
		.amdhsa_user_sgpr_private_segment_size 0
		.amdhsa_uses_dynamic_stack 0
		.amdhsa_system_sgpr_private_segment_wavefront_offset 0
		.amdhsa_system_sgpr_workgroup_id_x 1
		.amdhsa_system_sgpr_workgroup_id_y 1
		.amdhsa_system_sgpr_workgroup_id_z 1
		.amdhsa_system_sgpr_workgroup_info 0
		.amdhsa_system_vgpr_workitem_id 0
		.amdhsa_next_free_vgpr 39
		.amdhsa_next_free_sgpr 96
		.amdhsa_accum_offset 40
		.amdhsa_reserve_vcc 1
		.amdhsa_reserve_flat_scratch 0
		.amdhsa_float_round_mode_32 0
		.amdhsa_float_round_mode_16_64 0
		.amdhsa_float_denorm_mode_32 3
		.amdhsa_float_denorm_mode_16_64 3
		.amdhsa_dx10_clamp 1
		.amdhsa_ieee_mode 1
		.amdhsa_fp16_overflow 0
		.amdhsa_tg_split 0
		.amdhsa_exception_fp_ieee_invalid_op 0
		.amdhsa_exception_fp_denorm_src 0
		.amdhsa_exception_fp_ieee_div_zero 0
		.amdhsa_exception_fp_ieee_overflow 0
		.amdhsa_exception_fp_ieee_underflow 0
		.amdhsa_exception_fp_ieee_inexact 0
		.amdhsa_exception_int_div_zero 0
	.end_amdhsa_kernel
	.section	.text._ZN2at6native12_GLOBAL__N_112gatherMedianIhmLi2EEEvNS_4cuda6detail10TensorInfoIT_T0_EENS5_IlS7_EENS5_IKS6_S7_EES7_S7_S7_b,"axG",@progbits,_ZN2at6native12_GLOBAL__N_112gatherMedianIhmLi2EEEvNS_4cuda6detail10TensorInfoIT_T0_EENS5_IlS7_EENS5_IKS6_S7_EES7_S7_S7_b,comdat
.Lfunc_end77:
	.size	_ZN2at6native12_GLOBAL__N_112gatherMedianIhmLi2EEEvNS_4cuda6detail10TensorInfoIT_T0_EENS5_IlS7_EENS5_IKS6_S7_EES7_S7_S7_b, .Lfunc_end77-_ZN2at6native12_GLOBAL__N_112gatherMedianIhmLi2EEEvNS_4cuda6detail10TensorInfoIT_T0_EENS5_IlS7_EENS5_IKS6_S7_EES7_S7_S7_b
                                        ; -- End function
	.section	.AMDGPU.csdata,"",@progbits
; Kernel info:
; codeLenInByte = 15372
; NumSgprs: 100
; NumVgprs: 39
; NumAgprs: 0
; TotalNumVgprs: 39
; ScratchSize: 0
; MemoryBound: 0
; FloatMode: 240
; IeeeMode: 1
; LDSByteSize: 5152 bytes/workgroup (compile time only)
; SGPRBlocks: 12
; VGPRBlocks: 4
; NumSGPRsForWavesPerEU: 100
; NumVGPRsForWavesPerEU: 39
; AccumOffset: 40
; Occupancy: 8
; WaveLimiterHint : 1
; COMPUTE_PGM_RSRC2:SCRATCH_EN: 0
; COMPUTE_PGM_RSRC2:USER_SGPR: 6
; COMPUTE_PGM_RSRC2:TRAP_HANDLER: 0
; COMPUTE_PGM_RSRC2:TGID_X_EN: 1
; COMPUTE_PGM_RSRC2:TGID_Y_EN: 1
; COMPUTE_PGM_RSRC2:TGID_Z_EN: 1
; COMPUTE_PGM_RSRC2:TIDIG_COMP_CNT: 0
; COMPUTE_PGM_RSRC3_GFX90A:ACCUM_OFFSET: 9
; COMPUTE_PGM_RSRC3_GFX90A:TG_SPLIT: 0
	.section	.text._ZN2at6native12_GLOBAL__N_112gatherMedianIhmLi3EEEvNS_4cuda6detail10TensorInfoIT_T0_EENS5_IlS7_EENS5_IKS6_S7_EES7_S7_S7_b,"axG",@progbits,_ZN2at6native12_GLOBAL__N_112gatherMedianIhmLi3EEEvNS_4cuda6detail10TensorInfoIT_T0_EENS5_IlS7_EENS5_IKS6_S7_EES7_S7_S7_b,comdat
	.globl	_ZN2at6native12_GLOBAL__N_112gatherMedianIhmLi3EEEvNS_4cuda6detail10TensorInfoIT_T0_EENS5_IlS7_EENS5_IKS6_S7_EES7_S7_S7_b ; -- Begin function _ZN2at6native12_GLOBAL__N_112gatherMedianIhmLi3EEEvNS_4cuda6detail10TensorInfoIT_T0_EENS5_IlS7_EENS5_IKS6_S7_EES7_S7_S7_b
	.p2align	8
	.type	_ZN2at6native12_GLOBAL__N_112gatherMedianIhmLi3EEEvNS_4cuda6detail10TensorInfoIT_T0_EENS5_IlS7_EENS5_IKS6_S7_EES7_S7_S7_b,@function
_ZN2at6native12_GLOBAL__N_112gatherMedianIhmLi3EEEvNS_4cuda6detail10TensorInfoIT_T0_EENS5_IlS7_EENS5_IKS6_S7_EES7_S7_S7_b: ; @_ZN2at6native12_GLOBAL__N_112gatherMedianIhmLi3EEEvNS_4cuda6detail10TensorInfoIT_T0_EENS5_IlS7_EENS5_IKS6_S7_EES7_S7_S7_b
; %bb.0:
	s_load_dwordx4 s[52:55], s[4:5], 0x4e0
	s_load_dwordx2 s[16:17], s[4:5], 0x500
	s_add_u32 s18, s4, 0x500
	s_addc_u32 s19, s5, 0
	s_mov_b32 s31, 0
	s_waitcnt lgkmcnt(0)
	v_mov_b32_e32 v2, s54
	s_mul_i32 s0, s17, s8
	s_add_i32 s0, s0, s7
	s_mul_i32 s0, s0, s16
	v_mov_b32_e32 v3, s55
	s_add_i32 s30, s0, s6
	v_cmp_ge_u64_e32 vcc, s[30:31], v[2:3]
	s_cbranch_vccnz .LBB78_284
; %bb.1:
	s_load_dwordx4 s[8:11], s[4:5], 0x10
	s_mov_b64 s[0:1], 0
                                        ; implicit-def: $vgpr38 : SGPR spill to VGPR lane
	v_writelane_b32 v38, s0, 0
	v_writelane_b32 v38, s1, 1
	s_waitcnt lgkmcnt(0)
	v_pk_mov_b32 v[2:3], s[10:11], s[10:11] op_sel:[0,1]
	v_cmp_lt_u64_e32 vcc, s[30:31], v[2:3]
	s_mov_b64 s[0:1], 0
	s_cbranch_vccnz .LBB78_3
; %bb.2:
	v_cvt_f32_u32_e32 v1, s10
	s_sub_i32 s0, 0, s10
	s_mov_b32 s13, 0
	v_rcp_iflag_f32_e32 v1, v1
	v_mul_f32_e32 v1, 0x4f7ffffe, v1
	v_cvt_u32_f32_e32 v1, v1
	v_readfirstlane_b32 s1, v1
	s_mul_i32 s0, s0, s1
	s_mul_hi_u32 s0, s1, s0
	s_add_i32 s1, s1, s0
	s_mul_hi_u32 s0, s30, s1
	s_mul_i32 s2, s0, s10
	s_sub_i32 s2, s30, s2
	s_add_i32 s1, s0, 1
	s_sub_i32 s3, s2, s10
	s_cmp_ge_u32 s2, s10
	s_cselect_b32 s0, s1, s0
	s_cselect_b32 s2, s3, s2
	s_add_i32 s1, s0, 1
	s_cmp_ge_u32 s2, s10
	s_cselect_b32 s12, s1, s0
	s_mov_b64 s[0:1], s[12:13]
.LBB78_3:
	s_mov_b64 s[12:13], s[0:1]
	s_load_dwordx4 s[0:3], s[4:5], 0x1b0
	v_writelane_b32 v38, s12, 2
	v_writelane_b32 v38, s13, 3
	v_pk_mov_b32 v[2:3], s[8:9], s[8:9] op_sel:[0,1]
	v_cmp_lt_u64_e32 vcc, s[12:13], v[2:3]
	s_waitcnt lgkmcnt(0)
	v_writelane_b32 v38, s0, 4
	v_writelane_b32 v38, s1, 5
	;; [unrolled: 1-line block ×4, first 2 shown]
	s_cbranch_vccnz .LBB78_5
; %bb.4:
	v_cvt_f32_u32_e32 v1, s8
	s_sub_i32 s0, 0, s8
	v_readlane_b32 s12, v38, 2
	v_readlane_b32 s13, v38, 3
	v_rcp_iflag_f32_e32 v1, v1
	v_mul_f32_e32 v1, 0x4f7ffffe, v1
	v_cvt_u32_f32_e32 v1, v1
	v_readfirstlane_b32 s1, v1
	s_mul_i32 s0, s0, s1
	s_mul_hi_u32 s0, s1, s0
	s_add_i32 s1, s1, s0
	s_mul_hi_u32 s0, s12, s1
	s_mul_i32 s2, s0, s8
	s_sub_i32 s2, s12, s2
	s_add_i32 s1, s0, 1
	s_sub_i32 s3, s2, s8
	s_cmp_ge_u32 s2, s8
	s_cselect_b32 s0, s1, s0
	s_cselect_b32 s2, s3, s2
	s_add_i32 s1, s0, 1
	s_cmp_ge_u32 s2, s8
	s_cselect_b32 s0, s1, s0
	v_writelane_b32 v38, s0, 0
	v_writelane_b32 v38, s1, 1
	s_load_dwordx4 s[0:3], s[4:5], 0x1b0
.LBB78_5:
	v_writelane_b32 v38, s8, 8
	s_waitcnt lgkmcnt(0)
	v_pk_mov_b32 v[2:3], s[2:3], s[2:3] op_sel:[0,1]
	v_writelane_b32 v38, s9, 9
	v_cmp_lt_u64_e32 vcc, s[30:31], v[2:3]
	v_writelane_b32 v38, s10, 10
	s_mov_b64 s[14:15], 0
	s_mov_b64 s[12:13], 0
	v_writelane_b32 v38, s11, 11
	s_cbranch_vccnz .LBB78_7
; %bb.6:
	v_cvt_f32_u32_e32 v1, s2
	s_load_dwordx4 s[0:3], s[4:5], 0x1b0
	s_load_dwordx4 s[8:11], s[4:5], 0x1b0
	s_mov_b32 s13, 0
	v_rcp_iflag_f32_e32 v1, v1
	s_waitcnt lgkmcnt(0)
	s_sub_i32 s0, 0, s2
	v_mul_f32_e32 v1, 0x4f7ffffe, v1
	v_cvt_u32_f32_e32 v1, v1
	v_readfirstlane_b32 s1, v1
	s_mul_i32 s0, s0, s1
	s_mul_hi_u32 s0, s1, s0
	s_add_i32 s1, s1, s0
	s_mul_hi_u32 s0, s30, s1
	s_mul_i32 s2, s0, s10
	s_load_dwordx4 s[8:11], s[4:5], 0x1b0
	s_sub_i32 s2, s30, s2
	s_add_i32 s1, s0, 1
	s_waitcnt lgkmcnt(0)
	s_sub_i32 s3, s2, s10
	s_load_dwordx4 s[8:11], s[4:5], 0x1b0
	s_waitcnt lgkmcnt(0)
	s_cmp_ge_u32 s2, s10
	s_load_dwordx4 s[8:11], s[4:5], 0x1b0
	s_cselect_b32 s0, s1, s0
	s_cselect_b32 s2, s3, s2
	s_add_i32 s1, s0, 1
	s_waitcnt lgkmcnt(0)
	s_cmp_ge_u32 s2, s10
	s_cselect_b32 s12, s1, s0
	s_load_dwordx4 s[0:3], s[4:5], 0x1b0
.LBB78_7:
	s_load_dwordx4 s[8:11], s[4:5], 0x350
	s_waitcnt lgkmcnt(0)
	v_pk_mov_b32 v[2:3], s[0:1], s[0:1] op_sel:[0,1]
	v_writelane_b32 v38, s12, 12
	v_cmp_lt_u64_e32 vcc, s[12:13], v[2:3]
	v_writelane_b32 v38, s13, 13
	s_cbranch_vccnz .LBB78_9
; %bb.8:
	s_load_dwordx4 s[12:15], s[4:5], 0x1b0
	s_waitcnt lgkmcnt(0)
	v_readlane_b32 s14, v38, 12
	v_readlane_b32 s15, v38, 13
	v_cvt_f32_u32_e32 v1, s12
	s_sub_i32 s0, 0, s12
	v_rcp_iflag_f32_e32 v1, v1
	v_mul_f32_e32 v1, 0x4f7ffffe, v1
	v_cvt_u32_f32_e32 v1, v1
	v_readfirstlane_b32 s1, v1
	s_mul_i32 s0, s0, s1
	s_mul_hi_u32 s0, s1, s0
	s_add_i32 s1, s1, s0
	s_mul_hi_u32 s0, s14, s1
	s_mul_i32 s2, s0, s12
	s_sub_i32 s2, s14, s2
	s_add_i32 s1, s0, 1
	s_sub_i32 s3, s2, s12
	s_cmp_ge_u32 s2, s12
	s_cselect_b32 s0, s1, s0
	s_cselect_b32 s2, s3, s2
	s_add_i32 s1, s0, 1
	s_cmp_ge_u32 s2, s12
	s_cselect_b32 s14, s1, s0
.LBB78_9:
	s_load_dwordx2 s[80:81], s[4:5], 0x4f0
	v_pk_mov_b32 v[2:3], s[10:11], s[10:11] op_sel:[0,1]
	v_cmp_lt_u64_e32 vcc, s[30:31], v[2:3]
	v_writelane_b32 v38, s14, 14
	s_mov_b64 s[20:21], 0
	s_mov_b64 s[2:3], 0
	v_writelane_b32 v38, s15, 15
	s_cbranch_vccnz .LBB78_11
; %bb.10:
	v_cvt_f32_u32_e32 v1, s10
	s_sub_i32 s0, 0, s10
	s_mov_b32 s3, 0
	v_rcp_iflag_f32_e32 v1, v1
	v_mul_f32_e32 v1, 0x4f7ffffe, v1
	v_cvt_u32_f32_e32 v1, v1
	v_readfirstlane_b32 s1, v1
	s_mul_i32 s0, s0, s1
	s_mul_hi_u32 s0, s1, s0
	s_add_i32 s1, s1, s0
	s_mul_hi_u32 s0, s30, s1
	s_mul_i32 s2, s0, s10
	s_sub_i32 s2, s30, s2
	s_add_i32 s1, s0, 1
	s_sub_i32 s7, s2, s10
	s_cmp_ge_u32 s2, s10
	s_cselect_b32 s0, s1, s0
	s_cselect_b32 s2, s7, s2
	s_add_i32 s1, s0, 1
	s_cmp_ge_u32 s2, s10
	s_cselect_b32 s2, s1, s0
.LBB78_11:
	s_load_dwordx2 s[22:23], s[4:5], 0x420
	s_load_dwordx4 s[12:15], s[4:5], 0x410
	v_pk_mov_b32 v[2:3], s[8:9], s[8:9] op_sel:[0,1]
	v_cmp_lt_u64_e32 vcc, s[2:3], v[2:3]
	s_cbranch_vccnz .LBB78_13
; %bb.12:
	v_cvt_f32_u32_e32 v1, s8
	s_sub_i32 s0, 0, s8
	v_rcp_iflag_f32_e32 v1, v1
	v_mul_f32_e32 v1, 0x4f7ffffe, v1
	v_cvt_u32_f32_e32 v1, v1
	v_readfirstlane_b32 s1, v1
	s_mul_i32 s0, s0, s1
	s_mul_hi_u32 s0, s1, s0
	s_add_i32 s1, s1, s0
	s_mul_hi_u32 s0, s2, s1
	s_mul_i32 s7, s0, s8
	s_sub_i32 s7, s2, s7
	s_add_i32 s1, s0, 1
	s_sub_i32 s17, s7, s8
	s_cmp_ge_u32 s7, s8
	s_cselect_b32 s0, s1, s0
	s_cselect_b32 s7, s17, s7
	s_add_i32 s1, s0, 1
	s_cmp_ge_u32 s7, s8
	s_cselect_b32 s20, s1, s0
.LBB78_13:
	s_load_dwordx2 s[0:1], s[4:5], 0x280
	s_load_dwordx4 s[24:27], s[4:5], 0x270
	s_waitcnt lgkmcnt(0)
	v_writelane_b32 v38, s0, 16
	v_writelane_b32 v38, s1, 17
	;; [unrolled: 1-line block ×4, first 2 shown]
	s_load_dwordx2 s[0:1], s[4:5], 0xe0
	v_writelane_b32 v38, s26, 20
	v_writelane_b32 v38, s27, 21
	s_load_dwordx4 s[24:27], s[4:5], 0xd0
	s_waitcnt lgkmcnt(0)
	v_writelane_b32 v38, s0, 22
	v_writelane_b32 v38, s1, 23
	v_cmp_eq_u32_e64 s[0:1], 0, v0
	v_writelane_b32 v38, s24, 24
	v_writelane_b32 v38, s25, 25
	;; [unrolled: 1-line block ×4, first 2 shown]
	s_load_dwordx2 s[24:25], s[4:5], 0x340
	s_mov_b64 s[26:27], exec
	v_writelane_b32 v38, s0, 28
	v_writelane_b32 v38, s1, 29
	s_and_b64 s[0:1], s[26:27], s[0:1]
	s_mov_b64 exec, s[0:1]
	s_cbranch_execz .LBB78_15
; %bb.14:
	v_mov_b32_e32 v2, 0
	v_mov_b32_e32 v3, v2
	ds_write_b64 v2, v[2:3] offset:5136
.LBB78_15:
	s_or_b64 exec, exec, s[26:27]
	s_load_dwordx2 s[0:1], s[4:5], 0x1a0
	v_mov_b32_e32 v11, 0
	s_waitcnt lgkmcnt(0)
	s_barrier
	v_writelane_b32 v38, s0, 30
	s_barrier
	ds_read_b64 v[2:3], v11 offset:5136
	v_writelane_b32 v38, s1, 31
	s_load_dwordx2 s[0:1], s[4:5], 0x0
	s_waitcnt lgkmcnt(0)
	v_readfirstlane_b32 s26, v2
	v_readfirstlane_b32 s27, v3
	v_writelane_b32 v38, s0, 32
	v_writelane_b32 v38, s1, 33
	s_mov_b64 s[28:29], exec
	v_readlane_b32 s0, v38, 28
	v_readlane_b32 s1, v38, 29
	s_and_b64 s[0:1], s[28:29], s[0:1]
	s_mov_b64 exec, s[0:1]
	s_cbranch_execz .LBB78_17
; %bb.16:
	v_mov_b32_e32 v2, 0
	v_mov_b32_e32 v4, s52
	;; [unrolled: 1-line block ×4, first 2 shown]
	ds_write_b32 v2, v2 offset:5144
	ds_write_b128 v2, v[2:5] offset:5120
.LBB78_17:
	s_or_b64 exec, exec, s[28:29]
	s_load_dword s4, s[4:5], 0x4f8
	v_cmp_lt_i64_e64 s[0:1], s[26:27], 1
	s_mul_i32 s7, s2, s11
	v_mov_b32_e32 v1, 0
	v_mbcnt_lo_u32_b32 v2, -1, 0
	s_waitcnt lgkmcnt(0)
	s_bitcmp1_b32 s4, 0
	s_cselect_b64 s[4:5], -1, 0
	s_not_b64 s[26:27], s[26:27]
	s_or_b64 s[0:1], s[4:5], s[0:1]
	s_add_u32 s4, s26, s52
	s_addc_u32 s5, s27, s53
	s_lshr_b64 s[4:5], s[4:5], 1
	s_add_u32 s4, s4, 1
	s_addc_u32 s5, s5, 0
	s_and_b64 s[0:1], s[0:1], exec
	s_mul_hi_u32 s0, s2, s10
	s_cselect_b32 s95, s5, s53
	s_cselect_b32 s94, s4, s52
	s_add_i32 s0, s0, s7
	s_mul_i32 s1, s2, s10
	s_mov_b32 s4, s30
	v_writelane_b32 v38, s4, 34
	s_sub_u32 s1, s30, s1
	v_writelane_b32 v38, s5, 35
	s_subb_u32 s0, 0, s0
	s_mul_i32 s4, s1, s23
	s_mul_hi_u32 s5, s1, s22
	s_add_i32 s4, s5, s4
	s_mul_i32 s0, s0, s22
	s_add_i32 s4, s4, s0
	s_mul_i32 s0, s20, s9
	s_mul_hi_u32 s5, s20, s8
	s_add_i32 s5, s5, s0
	s_mul_i32 s0, s20, s8
	s_sub_u32 s0, s2, s0
	s_subb_u32 s2, s3, s5
	s_mul_i32 s3, s0, s15
	s_mul_hi_u32 s5, s0, s14
	s_add_i32 s3, s5, s3
	s_mul_i32 s2, s2, s14
	s_add_i32 s3, s3, s2
	s_mul_i32 s2, s20, s13
	s_mul_hi_u32 s5, s20, s12
	s_add_i32 s5, s5, s2
	s_mul_i32 s2, s20, s12
	s_add_u32 s2, s24, s2
	s_mul_i32 s0, s0, s14
	s_addc_u32 s5, s25, s5
	s_add_u32 s0, s2, s0
	s_mul_i32 s1, s1, s22
	s_addc_u32 s2, s5, s3
	s_add_u32 s90, s0, s1
	v_cmp_gt_u64_e64 s[0:1], s[52:53], v[0:1]
	v_writelane_b32 v38, s0, 36
	v_writelane_b32 v38, s1, 37
	v_mbcnt_hi_u32_b32 v24, -1, v2
	v_cmp_gt_u32_e64 s[0:1], 2, v0
	v_mov_b32_e32 v2, 0xc00
	v_writelane_b32 v38, s0, 38
	v_mov_b32_e32 v3, 0
	s_addc_u32 s91, s2, s4
	v_writelane_b32 v38, s1, 39
	v_cmp_gt_u64_e64 s[0:1], s[52:53], v[2:3]
	v_writelane_b32 v38, s0, 40
	v_pk_mov_b32 v[12:13], s[90:91], s[90:91] op_sel:[0,1]
	v_writelane_b32 v38, s1, 41
	v_mad_u64_u32 v[14:15], s[0:1], v0, s80, v[12:13]
	v_mov_b32_e32 v2, v15
	v_mad_u64_u32 v[2:3], s[0:1], v0, s81, v[2:3]
	s_barrier
	s_load_dword s0, s[18:19], 0xc
	v_cmp_gt_u32_e32 vcc, 64, v0
	v_cmp_gt_i32_e64 s[8:9], 4, v24
	s_and_b64 s[84:85], vcc, s[8:9]
	v_mov_b32_e32 v15, v2
	s_waitcnt lgkmcnt(0)
	s_and_b32 s33, s0, 0xffff
	s_bfe_u32 s2, s0, 0xa0006
	v_cmp_gt_u16_e64 s[0:1], s0, 63
	v_writelane_b32 v38, s0, 42
	v_writelane_b32 v38, s1, 43
	s_add_u32 s0, s33, -1
	s_addc_u32 s1, 0, -1
	s_add_u32 s54, s0, s52
	s_addc_u32 s65, s1, s53
	s_cmp_lt_u32 s6, s16
	v_writelane_b32 v38, s0, 44
	s_cselect_b32 s0, 12, 18
	s_add_u32 s66, s18, s0
	s_addc_u32 s67, s19, 0
	s_add_i32 s0, s2, -1
	s_bfe_u32 s3, s33, 0x30006
	s_cmp_gt_u32 s0, 6
	v_lshrrev_b32_e32 v2, 4, v0
	v_writelane_b32 v38, s1, 45
	s_cselect_b64 s[6:7], -1, 0
	v_and_b32_e32 v25, 60, v2
	v_lshlrev_b32_e32 v2, 2, v24
	v_writelane_b32 v38, s6, 46
	s_and_b32 s0, s2, 0x3f8
	v_and_b32_e32 v26, 0x100, v2
	v_lshlrev_b64 v[2:3], v24, -1
	v_writelane_b32 v38, s7, 47
	s_cmp_lg_u32 s3, 0
	s_mov_b32 s93, 0
	v_not_b32_e32 v18, v2
	v_writelane_b32 v38, s3, 48
	s_cselect_b64 s[2:3], -1, 0
	v_mov_b32_e32 v2, 0xc00
	v_cmp_eq_u32_e64 s[4:5], 0, v24
	v_lshlrev_b32_e32 v16, 2, v0
	v_mov_b32_e32 v17, v1
	v_not_b32_e32 v19, v3
	s_mov_b32 s55, s93
	s_mov_b32 s1, 6
	v_writelane_b32 v38, s2, 49
	v_lshl_or_b32 v27, v24, 3, v2
	s_mov_b64 s[68:69], 0
	v_mov_b32_e32 v28, 0x4f800000
	v_mov_b32_e32 v29, 0
	s_mov_b32 s82, 0
	s_mov_b32 s26, 0
	;; [unrolled: 1-line block ×3, first 2 shown]
	v_writelane_b32 v38, s3, 50
                                        ; implicit-def: $sgpr74_sgpr75
                                        ; implicit-def: $sgpr70_sgpr71
                                        ; implicit-def: $sgpr78_sgpr79
                                        ; implicit-def: $sgpr56_sgpr57
                                        ; implicit-def: $sgpr58_sgpr59
                                        ; implicit-def: $sgpr72_sgpr73
	s_branch .LBB78_22
.LBB78_18:                              ;   in Loop: Header=BB78_22 Depth=1
	s_xor_b32 s82, s82, 1
	s_add_i32 s12, s1, -2
	s_cmp_eq_u32 s1, 0
	s_mov_b64 s[6:7], 0
	s_cselect_b64 s[8:9], -1, 0
	s_mov_b32 s1, s12
.LBB78_19:                              ;   in Loop: Header=BB78_22 Depth=1
	s_andn2_b64 s[12:13], s[18:19], exec
	s_and_b64 s[6:7], s[6:7], exec
	s_or_b64 s[18:19], s[12:13], s[6:7]
	s_andn2_b64 s[20:21], s[20:21], exec
	s_andn2_b64 s[16:17], s[16:17], exec
	s_orn2_b64 s[12:13], s[8:9], exec
.LBB78_20:                              ;   in Loop: Header=BB78_22 Depth=1
	s_or_b64 exec, exec, s[2:3]
	s_andn2_b64 s[2:3], s[72:73], exec
	s_and_b64 s[6:7], s[18:19], exec
	s_or_b64 s[72:73], s[2:3], s[6:7]
	s_andn2_b64 s[2:3], s[58:59], exec
	s_and_b64 s[6:7], s[20:21], exec
	s_or_b64 s[58:59], s[2:3], s[6:7]
	;; [unrolled: 3-line block ×3, first 2 shown]
	s_orn2_b64 s[16:17], s[12:13], exec
.LBB78_21:                              ;   in Loop: Header=BB78_22 Depth=1
	s_or_b64 exec, exec, s[10:11]
	s_and_b64 s[2:3], exec, s[16:17]
	s_or_b64 s[68:69], s[2:3], s[68:69]
	s_andn2_b64 s[2:3], s[78:79], exec
	s_and_b64 s[6:7], s[72:73], exec
	s_or_b64 s[78:79], s[2:3], s[6:7]
	s_andn2_b64 s[2:3], s[70:71], exec
	s_and_b64 s[6:7], s[58:59], exec
	;; [unrolled: 3-line block ×3, first 2 shown]
	v_mov_b32_e32 v2, s26
	s_or_b64 s[74:75], s[2:3], s[6:7]
	s_andn2_b64 exec, exec, s[68:69]
	s_cbranch_execz .LBB78_280
.LBB78_22:                              ; =>This Loop Header: Depth=1
                                        ;     Child Loop BB78_27 Depth 2
                                        ;     Child Loop BB78_42 Depth 2
	;; [unrolled: 1-line block ×16, first 2 shown]
	ds_read_b128 v[2:5], v11 offset:5120
	s_waitcnt lgkmcnt(0)
	v_readfirstlane_b32 s61, v3
	v_readfirstlane_b32 s60, v2
	s_cmp_lg_u64 s[60:61], 0
	s_cbranch_scc1 .LBB78_49
; %bb.23:                               ;   in Loop: Header=BB78_22 Depth=1
	v_readlane_b32 s2, v38, 40
	v_readlane_b32 s3, v38, 41
	s_and_b64 vcc, exec, s[2:3]
	s_cbranch_vccz .LBB78_35
; %bb.24:                               ;   in Loop: Header=BB78_22 Depth=1
	s_mov_b64 s[2:3], 0xc01
	v_cmp_gt_u64_e32 vcc, s[2:3], v[4:5]
	s_mov_b64 s[60:61], 0
	s_mov_b64 s[2:3], 0
	s_cbranch_vccz .LBB78_36
; %bb.25:                               ;   in Loop: Header=BB78_22 Depth=1
	global_load_ubyte v5, v[14:15], off
	global_load_ushort v4, v11, s[66:67]
	v_pk_mov_b32 v[2:3], v[0:1], v[0:1] op_sel:[0,1]
	s_branch .LBB78_27
.LBB78_26:                              ;   in Loop: Header=BB78_27 Depth=2
	s_or_b64 exec, exec, s[6:7]
	s_waitcnt vmcnt(0)
	v_mov_b32_e32 v5, v6
	s_andn2_b64 exec, exec, s[2:3]
	s_cbranch_execz .LBB78_149
.LBB78_27:                              ;   Parent Loop BB78_22 Depth=1
                                        ; =>  This Inner Loop Header: Depth=2
	s_waitcnt vmcnt(0)
	v_add_co_u32_sdwa v2, vcc, v2, v4 dst_sel:DWORD dst_unused:UNUSED_PAD src0_sel:DWORD src1_sel:WORD_0
	v_addc_co_u32_e32 v3, vcc, 0, v3, vcc
	v_cmp_gt_u64_e64 s[6:7], s[52:53], v[2:3]
	v_cmp_le_u64_e32 vcc, s[52:53], v[2:3]
	s_waitcnt lgkmcnt(0)
	v_mov_b32_e32 v7, 0
	v_mov_b32_e32 v6, 0
	s_and_saveexec_b64 s[8:9], s[6:7]
	s_cbranch_execz .LBB78_29
; %bb.28:                               ;   in Loop: Header=BB78_27 Depth=2
	v_mad_u64_u32 v[8:9], s[6:7], v2, s80, v[12:13]
	v_mul_lo_u32 v6, v2, s81
	v_mul_lo_u32 v10, v3, s80
	v_add3_u32 v9, v10, v9, v6
	global_load_ubyte v6, v[8:9], off
.LBB78_29:                              ;   in Loop: Header=BB78_27 Depth=2
	s_or_b64 exec, exec, s[8:9]
	v_and_b32_e32 v8, s83, v5
	v_cmp_eq_u32_sdwa s[8:9], v8, s26 src0_sel:BYTE_0 src1_sel:DWORD
	s_cmp_lg_u64 s[8:9], 0
	s_cselect_b64 s[6:7], -1, 0
	s_and_b64 s[6:7], s[4:5], s[6:7]
	s_and_saveexec_b64 s[10:11], s[6:7]
	s_cbranch_execz .LBB78_33
; %bb.30:                               ;   in Loop: Header=BB78_27 Depth=2
	s_mov_b64 s[14:15], exec
	v_mbcnt_lo_u32_b32 v7, s14, 0
	v_mbcnt_hi_u32_b32 v7, s15, v7
	s_bcnt1_i32_b64 s16, s[8:9]
	v_cmp_eq_u32_e64 s[6:7], 0, v7
                                        ; implicit-def: $vgpr8
	s_and_saveexec_b64 s[12:13], s[6:7]
	s_cbranch_execz .LBB78_32
; %bb.31:                               ;   in Loop: Header=BB78_27 Depth=2
	s_bcnt1_i32_b64 s6, s[14:15]
	s_mul_i32 s6, s16, s6
	v_mov_b32_e32 v8, s6
	ds_add_rtn_u32 v8, v11, v8 offset:5144
.LBB78_32:                              ;   in Loop: Header=BB78_27 Depth=2
	s_or_b64 exec, exec, s[12:13]
	s_waitcnt lgkmcnt(0)
	v_readfirstlane_b32 s6, v8
	v_mov_b32_e32 v8, s6
	v_mad_u32_u24 v7, s16, v7, v8
.LBB78_33:                              ;   in Loop: Header=BB78_27 Depth=2
	s_or_b64 exec, exec, s[10:11]
	ds_bpermute_b32 v7, v26, v7
	s_and_b64 s[6:7], exec, vcc
	s_or_b64 s[2:3], s[6:7], s[2:3]
	s_and_saveexec_b64 s[6:7], s[8:9]
	s_cbranch_execz .LBB78_26
; %bb.34:                               ;   in Loop: Header=BB78_27 Depth=2
	v_and_b32_e32 v9, s8, v18
	v_and_b32_e32 v8, s9, v19
	v_bcnt_u32_b32 v9, v9, 0
	v_bcnt_u32_b32 v8, v8, v9
	s_waitcnt lgkmcnt(0)
	v_add_u32_e32 v7, v7, v8
	ds_write_b8 v7, v5
	s_branch .LBB78_26
.LBB78_35:                              ;   in Loop: Header=BB78_22 Depth=1
	s_mov_b64 s[60:61], -1
	s_mov_b64 s[2:3], 0
.LBB78_36:                              ;   in Loop: Header=BB78_22 Depth=1
	s_and_b64 vcc, exec, s[60:61]
	s_cbranch_vccz .LBB78_47
.LBB78_37:                              ;   in Loop: Header=BB78_22 Depth=1
	v_mov_b32_e32 v4, 0
	s_mov_b64 s[2:3], exec
	v_readlane_b32 s6, v38, 36
	v_readlane_b32 s7, v38, 37
	s_and_b64 s[6:7], s[2:3], s[6:7]
	s_mov_b64 exec, s[6:7]
	s_cbranch_execz .LBB78_39
; %bb.38:                               ;   in Loop: Header=BB78_22 Depth=1
	global_load_ubyte v4, v[14:15], off
.LBB78_39:                              ;   in Loop: Header=BB78_22 Depth=1
	s_or_b64 exec, exec, s[2:3]
	s_mov_b64 s[2:3], exec
	v_readlane_b32 s6, v38, 36
	v_readlane_b32 s7, v38, 37
	s_and_b64 s[6:7], s[2:3], s[6:7]
	s_mov_b64 exec, s[6:7]
	s_cbranch_execz .LBB78_44
; %bb.40:                               ;   in Loop: Header=BB78_22 Depth=1
	global_load_ushort v2, v11, s[66:67]
	s_mov_b64 s[8:9], 0
	v_mov_b32_e32 v5, v0
	s_waitcnt vmcnt(0)
	v_and_b32_e32 v6, 0xffff, v2
	v_pk_mov_b32 v[2:3], v[0:1], v[0:1] op_sel:[0,1]
	s_branch .LBB78_42
.LBB78_41:                              ;   in Loop: Header=BB78_42 Depth=2
	s_or_b64 exec, exec, s[10:11]
	s_and_b64 s[6:7], exec, vcc
	s_or_b64 s[8:9], s[6:7], s[8:9]
	ds_write_b8 v5, v4
	v_add_u32_e32 v5, v5, v6
	s_waitcnt vmcnt(0)
	v_mov_b32_e32 v4, v7
	s_andn2_b64 exec, exec, s[8:9]
	s_cbranch_execz .LBB78_44
.LBB78_42:                              ;   Parent Loop BB78_22 Depth=1
                                        ; =>  This Inner Loop Header: Depth=2
	v_add_co_u32_e32 v2, vcc, v2, v6
	v_addc_co_u32_e32 v3, vcc, 0, v3, vcc
	v_cmp_gt_u64_e64 s[6:7], s[52:53], v[2:3]
	v_cmp_le_u64_e32 vcc, s[52:53], v[2:3]
	v_mov_b32_e32 v7, 0
	s_and_saveexec_b64 s[10:11], s[6:7]
	s_cbranch_execz .LBB78_41
; %bb.43:                               ;   in Loop: Header=BB78_42 Depth=2
	v_pk_mov_b32 v[8:9], s[90:91], s[90:91] op_sel:[0,1]
	v_mad_u64_u32 v[8:9], s[6:7], v2, s80, v[8:9]
	v_mul_lo_u32 v7, v2, s81
	v_mul_lo_u32 v10, v3, s80
	v_add3_u32 v9, v10, v9, v7
	global_load_ubyte v7, v[8:9], off
	s_branch .LBB78_41
.LBB78_44:                              ;   in Loop: Header=BB78_22 Depth=1
	s_or_b64 exec, exec, s[2:3]
	s_waitcnt lgkmcnt(0)
	s_barrier
	s_mov_b64 s[2:3], exec
	v_readlane_b32 s6, v38, 28
	v_readlane_b32 s7, v38, 29
	s_and_b64 s[6:7], s[2:3], s[6:7]
	s_mov_b64 exec, s[6:7]
	s_cbranch_execz .LBB78_46
; %bb.45:                               ;   in Loop: Header=BB78_22 Depth=1
	v_pk_mov_b32 v[2:3], s[52:53], s[52:53] op_sel:[0,1]
	ds_write_b64 v11, v[2:3] offset:5120
.LBB78_46:                              ;   in Loop: Header=BB78_22 Depth=1
	s_or_b64 exec, exec, s[2:3]
	s_mov_b64 s[2:3], -1
	s_waitcnt lgkmcnt(0)
	s_barrier
                                        ; implicit-def: $sgpr60_sgpr61
.LBB78_47:                              ;   in Loop: Header=BB78_22 Depth=1
	s_and_b64 vcc, exec, s[2:3]
	s_cbranch_vccz .LBB78_49
; %bb.48:                               ;   in Loop: Header=BB78_22 Depth=1
	ds_read_b64 v[2:3], v11 offset:5120
	s_waitcnt lgkmcnt(0)
	v_readfirstlane_b32 s60, v2
.LBB78_49:                              ;   in Loop: Header=BB78_22 Depth=1
	s_cmp_lt_i32 s60, 1
	s_cbranch_scc0 .LBB78_64
; %bb.50:                               ;   in Loop: Header=BB78_22 Depth=1
	global_load_ushort v30, v11, s[66:67]
	s_mov_b32 s2, s93
	s_waitcnt vmcnt(0)
	v_readfirstlane_b32 s3, v30
	s_and_b32 s3, 0xffff, s3
	s_lshl_b32 s27, s3, 2
	s_mov_b32 s3, s53
	s_cmp_lg_u64 s[2:3], 0
	s_cbranch_scc0 .LBB78_84
; %bb.51:                               ;   in Loop: Header=BB78_22 Depth=1
	v_cvt_f32_u32_e32 v2, s27
	s_sub_u32 s2, 0, s27
	s_subb_u32 s3, 0, 0
	v_mac_f32_e32 v2, 0, v28
	v_rcp_f32_e32 v2, v2
	v_mul_f32_e32 v2, 0x5f7ffffc, v2
	v_mul_f32_e32 v3, 0x2f800000, v2
	v_trunc_f32_e32 v3, v3
	v_mac_f32_e32 v2, 0xcf800000, v3
	v_cvt_u32_f32_e32 v3, v3
	v_cvt_u32_f32_e32 v2, v2
	v_readfirstlane_b32 s6, v3
	v_readfirstlane_b32 s7, v2
	s_mul_i32 s8, s2, s6
	s_mul_hi_u32 s10, s2, s7
	s_mul_i32 s9, s3, s7
	s_add_i32 s8, s10, s8
	s_mul_i32 s11, s2, s7
	s_add_i32 s8, s8, s9
	s_mul_hi_u32 s10, s7, s11
	s_mul_hi_u32 s9, s7, s8
	s_mul_i32 s7, s7, s8
	s_add_u32 s7, s10, s7
	s_addc_u32 s9, 0, s9
	s_mul_hi_u32 s12, s6, s11
	s_mul_i32 s11, s6, s11
	s_add_u32 s7, s7, s11
	s_mul_hi_u32 s10, s6, s8
	s_addc_u32 s7, s9, s12
	s_addc_u32 s9, s10, 0
	s_mul_i32 s8, s6, s8
	s_add_u32 s7, s7, s8
	s_addc_u32 s8, 0, s9
	v_add_co_u32_e32 v2, vcc, s7, v2
	s_cmp_lg_u64 vcc, 0
	s_addc_u32 s6, s6, s8
	v_readfirstlane_b32 s8, v2
	s_mul_i32 s7, s2, s6
	s_mul_hi_u32 s9, s2, s8
	s_add_i32 s7, s9, s7
	s_mul_i32 s3, s3, s8
	s_add_i32 s7, s7, s3
	s_mul_i32 s2, s2, s8
	s_mul_hi_u32 s9, s6, s2
	s_mul_i32 s10, s6, s2
	s_mul_i32 s12, s8, s7
	s_mul_hi_u32 s2, s8, s2
	s_mul_hi_u32 s11, s8, s7
	s_add_u32 s2, s2, s12
	s_addc_u32 s8, 0, s11
	s_add_u32 s2, s2, s10
	s_mul_hi_u32 s3, s6, s7
	s_addc_u32 s2, s8, s9
	s_addc_u32 s3, s3, 0
	s_mul_i32 s7, s6, s7
	s_add_u32 s2, s2, s7
	s_addc_u32 s3, 0, s3
	v_add_co_u32_e32 v2, vcc, s2, v2
	s_cmp_lg_u64 vcc, 0
	s_addc_u32 s2, s6, s3
	v_readfirstlane_b32 s7, v2
	s_mul_i32 s6, s52, s2
	s_mul_hi_u32 s8, s52, s7
	s_mul_hi_u32 s3, s52, s2
	s_add_u32 s6, s8, s6
	s_addc_u32 s3, 0, s3
	s_mul_hi_u32 s9, s53, s7
	s_mul_i32 s7, s53, s7
	s_add_u32 s6, s6, s7
	s_mul_hi_u32 s8, s53, s2
	s_addc_u32 s3, s3, s9
	s_addc_u32 s6, s8, 0
	s_mul_i32 s2, s53, s2
	s_add_u32 s2, s3, s2
	s_addc_u32 s3, 0, s6
	s_mul_hi_u32 s6, s27, s2
	s_mul_i32 s2, s27, s2
	s_mul_i32 s3, s27, s3
	v_mov_b32_e32 v2, s2
	s_add_i32 s6, s6, s3
	v_sub_co_u32_e32 v2, vcc, s52, v2
	s_cmp_lg_u64 vcc, 0
	s_subb_u32 s2, s53, s6
	v_subrev_co_u32_e32 v3, vcc, s27, v2
	s_cmp_lg_u64 vcc, 0
	s_subb_u32 s3, s2, 0
	v_subrev_co_u32_e32 v4, vcc, s27, v3
	s_cmp_lg_u64 vcc, 0
	s_subb_u32 s6, s3, 0
	v_cmp_le_u32_e32 vcc, s27, v3
	s_cmp_eq_u32 s3, 0
	v_cndmask_b32_e64 v5, 0, -1, vcc
	s_cselect_b64 vcc, -1, 0
	v_cndmask_b32_e32 v5, -1, v5, vcc
	v_mov_b32_e32 v6, s3
	v_mov_b32_e32 v7, s6
	v_cmp_ne_u32_e32 vcc, 0, v5
	v_cndmask_b32_e32 v5, v6, v7, vcc
	v_cndmask_b32_e32 v4, v3, v4, vcc
	v_cmp_le_u32_e32 vcc, s27, v2
	s_cmp_eq_u32 s2, 0
	v_cndmask_b32_e64 v3, 0, -1, vcc
	s_cselect_b64 vcc, -1, 0
	v_cndmask_b32_e32 v3, -1, v3, vcc
	v_mov_b32_e32 v6, s2
	v_cmp_ne_u32_e32 vcc, 0, v3
	v_cndmask_b32_e32 v3, v6, v5, vcc
	v_cndmask_b32_e32 v2, v2, v4, vcc
	s_cbranch_execnz .LBB78_53
.LBB78_52:                              ;   in Loop: Header=BB78_22 Depth=1
	v_cvt_f32_u32_e32 v2, s27
	s_sub_i32 s2, 0, s27
	v_rcp_iflag_f32_e32 v2, v2
	v_mul_f32_e32 v2, 0x4f7ffffe, v2
	v_cvt_u32_f32_e32 v2, v2
	v_mul_lo_u32 v3, s2, v2
	v_mul_hi_u32 v3, v2, v3
	v_add_u32_e32 v2, v2, v3
	v_mul_hi_u32 v2, s52, v2
	v_mul_lo_u32 v2, v2, s27
	v_sub_u32_e32 v2, s52, v2
	v_subrev_u32_e32 v3, s27, v2
	v_cmp_le_u32_e32 vcc, s27, v2
	v_cndmask_b32_e32 v2, v2, v3, vcc
	v_subrev_u32_e32 v3, s27, v2
	v_cmp_le_u32_e32 vcc, s27, v2
	v_cndmask_b32_e32 v10, v2, v3, vcc
	v_pk_mov_b32 v[2:3], v[10:11], v[10:11] op_sel:[0,1]
.LBB78_53:                              ;   in Loop: Header=BB78_22 Depth=1
	v_mov_b32_e32 v4, s53
	v_sub_co_u32_e32 v20, vcc, s52, v2
	v_subb_co_u32_e32 v21, vcc, v4, v3, vcc
	v_pk_mov_b32 v[2:3], 0, 0
	v_cmp_gt_u64_e32 vcc, v[20:21], v[16:17]
	s_mov_b64 s[62:63], 0
	v_pk_mov_b32 v[4:5], v[2:3], v[2:3] op_sel:[0,1]
	v_pk_mov_b32 v[6:7], v[2:3], v[2:3] op_sel:[0,1]
	;; [unrolled: 1-line block ×3, first 2 shown]
	s_and_saveexec_b64 s[50:51], vcc
	s_cbranch_execz .LBB78_57
; %bb.54:                               ;   in Loop: Header=BB78_22 Depth=1
	s_and_b32 s2, s1, 0xfe
	s_mov_b64 s[76:77], 0
	s_mov_b64 s[88:89], 0
	;; [unrolled: 1-line block ×4, first 2 shown]
	v_pk_mov_b32 v[22:23], v[16:17], v[16:17] op_sel:[0,1]
.LBB78_55:                              ;   Parent Loop BB78_22 Depth=1
                                        ; =>  This Inner Loop Header: Depth=2
	v_pk_mov_b32 v[2:3], s[90:91], s[90:91] op_sel:[0,1]
	v_mul_lo_u32 v4, v22, s81
	v_mul_lo_u32 v5, v23, s80
	v_mad_u64_u32 v[2:3], s[6:7], v22, s80, v[2:3]
	v_mov_b32_e32 v6, s81
	v_add3_u32 v3, v5, v3, v4
	v_add_co_u32_e64 v4, s[6:7], s80, v2
	v_addc_co_u32_e64 v5, s[6:7], v3, v6, s[6:7]
	v_mov_b32_e32 v7, s81
	global_load_ubyte v9, v[2:3], off
	global_load_ubyte v6, v[4:5], off
	v_add_co_u32_e64 v2, s[6:7], s80, v4
	v_addc_co_u32_e64 v3, s[6:7], v5, v7, s[6:7]
	v_mov_b32_e32 v8, s81
	v_add_co_u32_e64 v4, s[6:7], s80, v2
	global_load_ubyte v2, v[2:3], off
	v_addc_co_u32_e64 v5, s[6:7], v3, v8, s[6:7]
	global_load_ubyte v3, v[4:5], off
	v_add_co_u32_e32 v22, vcc, s27, v22
	v_addc_co_u32_e32 v23, vcc, 0, v23, vcc
	v_cmp_ge_u64_e32 vcc, v[22:23], v[20:21]
	s_waitcnt vmcnt(3)
	v_and_b32_e32 v4, s83, v9
	v_bfe_u32 v5, v9, s2, 2
	v_cmp_eq_u32_e64 s[12:13], s26, v4
	s_waitcnt vmcnt(2)
	v_and_b32_e32 v4, s83, v6
	v_bfe_u32 v6, v6, s2, 2
	v_cmp_eq_u32_e64 s[6:7], 0, v5
	v_cmp_eq_u32_e64 s[10:11], s26, v4
	;; [unrolled: 1-line block ×3, first 2 shown]
	s_and_b64 s[6:7], s[12:13], s[6:7]
	v_cmp_eq_u32_e64 s[28:29], 1, v5
	v_cmp_eq_u32_e64 s[30:31], 2, v5
	;; [unrolled: 1-line block ×3, first 2 shown]
	s_waitcnt vmcnt(1)
	v_and_b32_e32 v4, s83, v2
	v_bfe_u32 v2, v2, s2, 2
	v_cndmask_b32_e64 v5, 0, 1, s[6:7]
	s_and_b64 s[22:23], s[10:11], s[22:23]
	v_cmp_eq_u32_e64 s[18:19], s26, v4
	s_waitcnt vmcnt(0)
	v_and_b32_e32 v4, s83, v3
	v_bfe_u32 v3, v3, s2, 2
	v_cmp_eq_u32_e64 s[6:7], 0, v2
	v_cmp_eq_u32_e64 s[38:39], 1, v2
	;; [unrolled: 1-line block ×4, first 2 shown]
	v_cmp_ne_u32_e64 s[42:43], 0, v5
	v_cndmask_b32_e64 v2, 0, 1, s[22:23]
	v_cmp_eq_u32_e64 s[22:23], s26, v4
	v_cmp_eq_u32_e64 s[44:45], 0, v3
	s_bcnt1_i32_b64 s3, s[42:43]
	v_cmp_ne_u32_e64 s[42:43], 0, v2
	s_and_b64 s[6:7], s[18:19], s[6:7]
	v_cndmask_b32_e64 v2, 0, 1, s[6:7]
	s_bcnt1_i32_b64 s61, s[42:43]
	s_and_b64 s[42:43], s[22:23], s[44:45]
	v_cmp_ne_u32_e64 s[6:7], 0, v2
	v_cndmask_b32_e64 v2, 0, 1, s[42:43]
	s_bcnt1_i32_b64 s42, s[6:7]
	v_cmp_ne_u32_e64 s[6:7], 0, v2
	s_bcnt1_i32_b64 s6, s[6:7]
	s_add_u32 s3, s3, s8
	s_addc_u32 s7, 0, s9
	s_add_u32 s3, s3, s61
	s_addc_u32 s7, s7, 0
	;; [unrolled: 2-line block ×3, first 2 shown]
	s_add_u32 s8, s3, s6
	v_cmp_eq_u32_e64 s[34:35], 1, v6
	s_addc_u32 s9, s7, 0
	s_and_b64 s[6:7], s[12:13], s[28:29]
	v_cndmask_b32_e64 v4, 0, 1, s[6:7]
	s_and_b64 s[6:7], s[10:11], s[34:35]
	v_cmp_eq_u32_e64 s[46:47], 1, v3
	v_cndmask_b32_e64 v5, 0, 1, s[6:7]
	s_and_b64 s[6:7], s[18:19], s[38:39]
	v_cmp_eq_u32_e64 s[36:37], 2, v6
	v_cmp_eq_u32_e64 s[16:17], 3, v6
	v_cndmask_b32_e64 v6, 0, 1, s[6:7]
	s_and_b64 s[6:7], s[22:23], s[46:47]
	v_cndmask_b32_e64 v7, 0, 1, s[6:7]
	v_cmp_ne_u32_e64 s[6:7], 0, v4
	v_cmp_ne_u32_e64 s[28:29], 0, v5
	;; [unrolled: 1-line block ×4, first 2 shown]
	s_bcnt1_i32_b64 s3, s[6:7]
	s_bcnt1_i32_b64 s6, s[28:29]
	;; [unrolled: 1-line block ×4, first 2 shown]
	s_add_u32 s3, s3, s86
	s_addc_u32 s29, 0, s87
	s_add_u32 s3, s3, s6
	s_addc_u32 s6, s29, 0
	;; [unrolled: 2-line block ×4, first 2 shown]
	s_and_b64 s[6:7], s[12:13], s[30:31]
	v_cndmask_b32_e64 v6, 0, 1, s[6:7]
	s_and_b64 s[6:7], s[10:11], s[36:37]
	v_cmp_eq_u32_e64 s[48:49], 2, v3
	v_cndmask_b32_e64 v7, 0, 1, s[6:7]
	s_and_b64 s[6:7], s[18:19], s[40:41]
	v_cndmask_b32_e64 v8, 0, 1, s[6:7]
	s_and_b64 s[6:7], s[22:23], s[48:49]
	v_cndmask_b32_e64 v9, 0, 1, s[6:7]
	v_cmp_ne_u32_e64 s[6:7], 0, v6
	v_cmp_ne_u32_e64 s[28:29], 0, v7
	;; [unrolled: 1-line block ×4, first 2 shown]
	s_bcnt1_i32_b64 s3, s[6:7]
	s_bcnt1_i32_b64 s6, s[28:29]
	;; [unrolled: 1-line block ×4, first 2 shown]
	s_add_u32 s3, s3, s88
	s_addc_u32 s29, 0, s89
	s_add_u32 s3, s3, s6
	s_addc_u32 s6, s29, 0
	;; [unrolled: 2-line block ×4, first 2 shown]
	s_and_b64 s[6:7], s[12:13], s[14:15]
	v_cndmask_b32_e64 v8, 0, 1, s[6:7]
	s_and_b64 s[6:7], s[10:11], s[16:17]
	v_cmp_eq_u32_e64 s[24:25], 3, v3
	v_cndmask_b32_e64 v9, 0, 1, s[6:7]
	s_and_b64 s[6:7], s[18:19], s[20:21]
	v_cndmask_b32_e64 v10, 0, 1, s[6:7]
	s_and_b64 s[6:7], s[22:23], s[24:25]
	v_cndmask_b32_e64 v31, 0, 1, s[6:7]
	v_cmp_ne_u32_e64 s[6:7], 0, v8
	v_cmp_ne_u32_e64 s[10:11], 0, v9
	;; [unrolled: 1-line block ×4, first 2 shown]
	s_bcnt1_i32_b64 s3, s[6:7]
	s_bcnt1_i32_b64 s6, s[10:11]
	;; [unrolled: 1-line block ×4, first 2 shown]
	s_add_u32 s3, s3, s76
	s_addc_u32 s11, 0, s77
	s_add_u32 s3, s3, s6
	s_addc_u32 s6, s11, 0
	;; [unrolled: 2-line block ×4, first 2 shown]
	v_pk_mov_b32 v[2:3], s[8:9], s[8:9] op_sel:[0,1]
	v_pk_mov_b32 v[4:5], s[86:87], s[86:87] op_sel:[0,1]
	v_pk_mov_b32 v[6:7], s[88:89], s[88:89] op_sel:[0,1]
	s_or_b64 s[62:63], vcc, s[62:63]
	v_pk_mov_b32 v[8:9], s[76:77], s[76:77] op_sel:[0,1]
	s_andn2_b64 exec, exec, s[62:63]
	s_cbranch_execnz .LBB78_55
; %bb.56:                               ;   in Loop: Header=BB78_22 Depth=1
	s_or_b64 exec, exec, s[62:63]
.LBB78_57:                              ;   in Loop: Header=BB78_22 Depth=1
	s_or_b64 exec, exec, s[50:51]
	v_add_co_u32_e32 v20, vcc, v20, v0
	v_addc_co_u32_e32 v21, vcc, 0, v21, vcc
	v_cmp_gt_u64_e32 vcc, s[52:53], v[20:21]
	v_mov_b32_e32 v10, 0
	s_and_saveexec_b64 s[2:3], vcc
	s_cbranch_execz .LBB78_59
; %bb.58:                               ;   in Loop: Header=BB78_22 Depth=1
	v_pk_mov_b32 v[22:23], s[90:91], s[90:91] op_sel:[0,1]
	v_mad_u64_u32 v[22:23], s[6:7], v20, s80, v[22:23]
	v_mul_lo_u32 v10, v20, s81
	v_mul_lo_u32 v31, v21, s80
	v_add3_u32 v23, v31, v23, v10
	global_load_ubyte v10, v[22:23], off
.LBB78_59:                              ;   in Loop: Header=BB78_22 Depth=1
	s_or_b64 exec, exec, s[2:3]
	s_and_saveexec_b64 s[2:3], vcc
	s_cbranch_execz .LBB78_66
; %bb.60:                               ;   in Loop: Header=BB78_22 Depth=1
	s_and_b32 s12, s1, 0xfe
	s_mov_b64 s[8:9], 0
	s_branch .LBB78_62
.LBB78_61:                              ;   in Loop: Header=BB78_62 Depth=2
	s_or_b64 exec, exec, s[10:11]
	s_waitcnt vmcnt(0)
	v_and_b32_e32 v10, 0xff, v10
	s_and_b64 s[6:7], exec, vcc
	v_and_b32_e32 v23, s83, v10
	v_bfe_u32 v10, v10, s12, 2
	s_or_b64 s[8:9], s[6:7], s[8:9]
	v_cmp_eq_u32_e32 vcc, s26, v23
	v_cmp_eq_u32_e64 s[6:7], 0, v10
	s_and_b64 s[6:7], vcc, s[6:7]
	v_cndmask_b32_e64 v23, 0, 1, s[6:7]
	v_cmp_ne_u32_e64 s[6:7], 0, v23
	s_bcnt1_i32_b64 s6, s[6:7]
	v_add_co_u32_e64 v2, s[6:7], s6, v2
	v_addc_co_u32_e64 v3, s[6:7], 0, v3, s[6:7]
	v_cmp_eq_u32_e64 s[6:7], 1, v10
	s_and_b64 s[6:7], vcc, s[6:7]
	v_cndmask_b32_e64 v23, 0, 1, s[6:7]
	v_cmp_ne_u32_e64 s[6:7], 0, v23
	s_bcnt1_i32_b64 s6, s[6:7]
	v_add_co_u32_e64 v4, s[6:7], s6, v4
	v_addc_co_u32_e64 v5, s[6:7], 0, v5, s[6:7]
	v_cmp_eq_u32_e64 s[6:7], 2, v10
	s_and_b64 s[6:7], vcc, s[6:7]
	v_cndmask_b32_e64 v23, 0, 1, s[6:7]
	v_cmp_ne_u32_e64 s[6:7], 0, v23
	s_bcnt1_i32_b64 s6, s[6:7]
	v_add_co_u32_e64 v6, s[6:7], s6, v6
	v_addc_co_u32_e64 v7, s[6:7], 0, v7, s[6:7]
	v_cmp_eq_u32_e64 s[6:7], 3, v10
	s_and_b64 s[6:7], vcc, s[6:7]
	v_cndmask_b32_e64 v10, 0, 1, s[6:7]
	v_cmp_ne_u32_e32 vcc, 0, v10
	s_bcnt1_i32_b64 s6, vcc
	v_add_co_u32_e32 v8, vcc, s6, v8
	v_addc_co_u32_e32 v9, vcc, 0, v9, vcc
	v_mov_b32_e32 v10, v22
	s_andn2_b64 exec, exec, s[8:9]
	s_cbranch_execz .LBB78_65
.LBB78_62:                              ;   Parent Loop BB78_22 Depth=1
                                        ; =>  This Inner Loop Header: Depth=2
	v_add_co_u32_sdwa v20, vcc, v20, v30 dst_sel:DWORD dst_unused:UNUSED_PAD src0_sel:DWORD src1_sel:WORD_0
	v_addc_co_u32_e32 v21, vcc, 0, v21, vcc
	v_cmp_gt_u64_e64 s[6:7], s[52:53], v[20:21]
	v_cmp_le_u64_e32 vcc, s[52:53], v[20:21]
	v_mov_b32_e32 v22, 0
	s_and_saveexec_b64 s[10:11], s[6:7]
	s_cbranch_execz .LBB78_61
; %bb.63:                               ;   in Loop: Header=BB78_62 Depth=2
	v_pk_mov_b32 v[22:23], s[90:91], s[90:91] op_sel:[0,1]
	v_mad_u64_u32 v[22:23], s[6:7], v20, s80, v[22:23]
	v_mul_lo_u32 v31, v20, s81
	v_mul_lo_u32 v32, v21, s80
	v_add3_u32 v23, v32, v23, v31
	global_load_ubyte v22, v[22:23], off
	s_branch .LBB78_61
.LBB78_64:                              ;   in Loop: Header=BB78_22 Depth=1
                                        ; implicit-def: $vgpr8_vgpr9
                                        ; implicit-def: $vgpr4_vgpr5
	s_cbranch_execnz .LBB78_67
	s_branch .LBB78_76
.LBB78_65:                              ;   in Loop: Header=BB78_22 Depth=1
	s_or_b64 exec, exec, s[8:9]
.LBB78_66:                              ;   in Loop: Header=BB78_22 Depth=1
	s_or_b64 exec, exec, s[2:3]
	s_branch .LBB78_76
.LBB78_67:                              ;   in Loop: Header=BB78_22 Depth=1
	global_load_ushort v10, v11, s[66:67]
	s_mov_b64 s[62:63], 0
	s_waitcnt vmcnt(0)
	v_readfirstlane_b32 s2, v10
	s_and_b32 s2, 0xffff, s2
	s_lshl_b32 s27, s2, 2
	v_cvt_f32_u32_e32 v2, s27
	s_sub_i32 s2, 0, s27
	v_rcp_iflag_f32_e32 v4, v2
	v_pk_mov_b32 v[2:3], 0, 0
	v_pk_mov_b32 v[6:7], v[2:3], v[2:3] op_sel:[0,1]
	v_mul_f32_e32 v4, 0x4f7ffffe, v4
	v_cvt_u32_f32_e32 v8, v4
	v_pk_mov_b32 v[4:5], v[2:3], v[2:3] op_sel:[0,1]
	v_readfirstlane_b32 s3, v8
	s_mul_i32 s2, s2, s3
	s_mul_hi_u32 s2, s3, s2
	s_add_i32 s3, s3, s2
	s_mul_hi_u32 s2, s60, s3
	s_mul_i32 s2, s2, s27
	s_sub_i32 s2, s60, s2
	s_sub_i32 s3, s2, s27
	s_cmp_ge_u32 s2, s27
	s_cselect_b32 s2, s3, s2
	s_sub_i32 s3, s2, s27
	s_cmp_ge_u32 s2, s27
	s_cselect_b32 s2, s3, s2
	s_sub_i32 s92, s60, s2
	v_cmp_gt_u32_e32 vcc, s92, v16
	v_pk_mov_b32 v[8:9], v[2:3], v[2:3] op_sel:[0,1]
	s_and_saveexec_b64 s[8:9], vcc
	s_cbranch_execz .LBB78_71
; %bb.68:                               ;   in Loop: Header=BB78_22 Depth=1
	s_and_b32 s61, s1, 0xfe
	v_mov_b32_e32 v22, v16
	s_mov_b64 s[76:77], 0
	s_mov_b64 s[86:87], 0
	;; [unrolled: 1-line block ×4, first 2 shown]
	v_pk_mov_b32 v[20:21], v[16:17], v[16:17] op_sel:[0,1]
.LBB78_69:                              ;   Parent Loop BB78_22 Depth=1
                                        ; =>  This Inner Loop Header: Depth=2
	ds_read_b32 v2, v22
	v_add_co_u32_e32 v20, vcc, s27, v20
	v_addc_co_u32_e32 v21, vcc, 0, v21, vcc
	s_waitcnt lgkmcnt(0)
	v_and_b32_e32 v4, 0xff, v2
	v_bfe_u32 v5, v2, 8, 8
	v_and_b32_e32 v6, s83, v4
	v_bfe_u32 v4, v4, s61, 2
	v_lshrrev_b32_e32 v3, 24, v2
	v_bfe_u32 v2, v2, 16, 8
	v_and_b32_e32 v7, s83, v5
	v_bfe_u32 v5, v5, s61, 2
	v_cmp_eq_u32_e64 s[16:17], s26, v6
	v_cmp_eq_u32_e64 s[6:7], 0, v4
	v_and_b32_e32 v8, s83, v2
	v_bfe_u32 v2, v2, s61, 2
	v_cmp_eq_u32_e64 s[14:15], s26, v7
	v_cmp_eq_u32_e64 s[28:29], 0, v5
	s_and_b64 s[6:7], s[16:17], s[6:7]
	v_and_b32_e32 v9, s83, v3
	v_bfe_u32 v3, v3, s61, 2
	v_cmp_eq_u32_e64 s[12:13], s26, v8
	v_cmp_eq_u32_e64 s[30:31], 0, v2
	;; [unrolled: 1-line block ×5, first 2 shown]
	v_cndmask_b32_e64 v2, 0, 1, s[6:7]
	s_and_b64 s[6:7], s[14:15], s[28:29]
	v_cmp_eq_u32_e64 s[10:11], s26, v9
	v_cmp_eq_u32_e64 s[34:35], 0, v3
	;; [unrolled: 1-line block ×5, first 2 shown]
	v_cndmask_b32_e64 v3, 0, 1, s[6:7]
	s_and_b64 s[6:7], s[12:13], s[30:31]
	v_cmp_eq_u32_e64 s[36:37], 1, v4
	v_cmp_eq_u32_e64 s[44:45], 2, v4
	;; [unrolled: 1-line block ×3, first 2 shown]
	v_cndmask_b32_e64 v4, 0, 1, s[6:7]
	s_and_b64 s[6:7], s[10:11], s[34:35]
	v_cmp_eq_u32_e64 s[38:39], 1, v5
	v_cmp_eq_u32_e64 s[46:47], 2, v5
	v_cmp_eq_u32_e64 s[22:23], 3, v5
	v_cndmask_b32_e64 v5, 0, 1, s[6:7]
	v_cmp_ne_u32_e64 s[6:7], 0, v2
	v_cmp_ne_u32_e64 s[28:29], 0, v3
	v_cmp_ne_u32_e64 s[30:31], 0, v4
	v_cmp_ne_u32_e64 s[34:35], 0, v5
	s_bcnt1_i32_b64 s6, s[6:7]
	s_bcnt1_i32_b64 s7, s[28:29]
	s_bcnt1_i32_b64 s28, s[30:31]
	s_bcnt1_i32_b64 s29, s[34:35]
	s_add_u32 s2, s6, s2
	s_addc_u32 s3, 0, s3
	s_add_u32 s2, s2, s7
	s_addc_u32 s3, s3, 0
	s_add_u32 s2, s2, s28
	s_addc_u32 s3, s3, 0
	s_add_u32 s2, s2, s29
	s_addc_u32 s3, s3, 0
	s_and_b64 s[6:7], s[16:17], s[36:37]
	v_cndmask_b32_e64 v4, 0, 1, s[6:7]
	s_and_b64 s[6:7], s[14:15], s[38:39]
	v_cndmask_b32_e64 v5, 0, 1, s[6:7]
	s_and_b64 s[6:7], s[12:13], s[40:41]
	v_cndmask_b32_e64 v6, 0, 1, s[6:7]
	s_and_b64 s[6:7], s[10:11], s[42:43]
	v_cndmask_b32_e64 v7, 0, 1, s[6:7]
	v_cmp_ne_u32_e64 s[6:7], 0, v4
	v_cmp_ne_u32_e64 s[28:29], 0, v5
	v_cmp_ne_u32_e64 s[30:31], 0, v6
	v_cmp_ne_u32_e64 s[34:35], 0, v7
	s_bcnt1_i32_b64 s6, s[6:7]
	s_bcnt1_i32_b64 s7, s[28:29]
	s_bcnt1_i32_b64 s28, s[30:31]
	s_bcnt1_i32_b64 s29, s[34:35]
	s_add_u32 s6, s6, s88
	s_addc_u32 s30, 0, s89
	s_add_u32 s6, s6, s7
	s_addc_u32 s7, s30, 0
	s_add_u32 s6, s6, s28
	s_addc_u32 s7, s7, 0
	s_add_u32 s88, s6, s29
	s_addc_u32 s89, s7, 0
	s_and_b64 s[6:7], s[16:17], s[44:45]
	v_cndmask_b32_e64 v6, 0, 1, s[6:7]
	s_and_b64 s[6:7], s[14:15], s[46:47]
	v_cndmask_b32_e64 v7, 0, 1, s[6:7]
	s_and_b64 s[6:7], s[12:13], s[48:49]
	v_cndmask_b32_e64 v8, 0, 1, s[6:7]
	s_and_b64 s[6:7], s[10:11], s[50:51]
	;; [unrolled: 24-line block ×3, first 2 shown]
	v_cndmask_b32_e64 v30, 0, 1, s[6:7]
	v_cmp_ne_u32_e64 s[6:7], 0, v8
	v_cmp_ne_u32_e64 s[10:11], 0, v9
	;; [unrolled: 1-line block ×4, first 2 shown]
	s_bcnt1_i32_b64 s6, s[6:7]
	s_bcnt1_i32_b64 s7, s[10:11]
	;; [unrolled: 1-line block ×4, first 2 shown]
	s_add_u32 s6, s6, s76
	s_addc_u32 s12, 0, s77
	s_add_u32 s6, s6, s7
	s_addc_u32 s7, s12, 0
	;; [unrolled: 2-line block ×3, first 2 shown]
	s_add_u32 s76, s6, s11
	v_cmp_le_u64_e32 vcc, s[92:93], v[20:21]
	s_addc_u32 s77, s7, 0
	v_add_u32_e32 v22, s27, v22
	v_pk_mov_b32 v[2:3], s[2:3], s[2:3] op_sel:[0,1]
	v_pk_mov_b32 v[4:5], s[88:89], s[88:89] op_sel:[0,1]
	;; [unrolled: 1-line block ×3, first 2 shown]
	s_or_b64 s[62:63], vcc, s[62:63]
	v_pk_mov_b32 v[8:9], s[76:77], s[76:77] op_sel:[0,1]
	s_andn2_b64 exec, exec, s[62:63]
	s_cbranch_execnz .LBB78_69
; %bb.70:                               ;   in Loop: Header=BB78_22 Depth=1
	s_or_b64 exec, exec, s[62:63]
.LBB78_71:                              ;   in Loop: Header=BB78_22 Depth=1
	s_or_b64 exec, exec, s[8:9]
	v_and_b32_e32 v22, 0xffff, v10
	v_add_u32_e32 v10, s92, v0
	v_cmp_gt_u32_e32 vcc, s60, v10
	s_and_saveexec_b64 s[2:3], vcc
	s_cbranch_execz .LBB78_75
; %bb.72:                               ;   in Loop: Header=BB78_22 Depth=1
	s_and_b32 s8, s60, 0x7fffffff
	s_mov_b32 s9, s93
	s_and_b32 s20, s1, 0xfe
	v_add_u32_e32 v23, s92, v0
	s_mov_b64 s[18:19], 0
	v_pk_mov_b32 v[20:21], v[10:11], v[10:11] op_sel:[0,1]
.LBB78_73:                              ;   Parent Loop BB78_22 Depth=1
                                        ; =>  This Inner Loop Header: Depth=2
	ds_read_u8 v10, v23
	v_add_co_u32_e32 v20, vcc, v20, v22
	v_addc_co_u32_e32 v21, vcc, 0, v21, vcc
	s_waitcnt lgkmcnt(0)
	v_and_b32_e32 v30, s83, v10
	v_bfe_u32 v10, v10, s20, 2
	v_cmp_eq_u32_e64 s[6:7], s26, v30
	v_cmp_eq_u32_e64 s[10:11], 0, v10
	;; [unrolled: 1-line block ×3, first 2 shown]
	s_and_b64 s[10:11], s[6:7], s[10:11]
	v_cmp_eq_u32_e64 s[14:15], 2, v10
	v_cmp_eq_u32_e64 s[16:17], 3, v10
	v_cndmask_b32_e64 v10, 0, 1, s[10:11]
	s_and_b64 s[10:11], s[6:7], s[12:13]
	v_cndmask_b32_e64 v30, 0, 1, s[10:11]
	s_and_b64 s[10:11], s[6:7], s[14:15]
	s_and_b64 s[6:7], s[6:7], s[16:17]
	v_cndmask_b32_e64 v31, 0, 1, s[10:11]
	v_cndmask_b32_e64 v32, 0, 1, s[6:7]
	v_cmp_ne_u32_e64 s[6:7], 0, v10
	v_cmp_ne_u32_e64 s[10:11], 0, v30
	;; [unrolled: 1-line block ×4, first 2 shown]
	v_cmp_le_u64_e32 vcc, s[8:9], v[20:21]
	s_bcnt1_i32_b64 s6, s[6:7]
	s_bcnt1_i32_b64 s7, s[10:11]
	;; [unrolled: 1-line block ×4, first 2 shown]
	s_or_b64 s[18:19], vcc, s[18:19]
	v_add_co_u32_e32 v2, vcc, s6, v2
	v_addc_co_u32_e32 v3, vcc, 0, v3, vcc
	v_add_co_u32_e32 v4, vcc, s7, v4
	v_addc_co_u32_e32 v5, vcc, 0, v5, vcc
	;; [unrolled: 2-line block ×3, first 2 shown]
	v_add_co_u32_e32 v8, vcc, s11, v8
	v_add_u32_e32 v23, v23, v22
	v_addc_co_u32_e32 v9, vcc, 0, v9, vcc
	s_andn2_b64 exec, exec, s[18:19]
	s_cbranch_execnz .LBB78_73
; %bb.74:                               ;   in Loop: Header=BB78_22 Depth=1
	s_or_b64 exec, exec, s[18:19]
.LBB78_75:                              ;   in Loop: Header=BB78_22 Depth=1
	s_or_b64 exec, exec, s[2:3]
.LBB78_76:                              ;   in Loop: Header=BB78_22 Depth=1
	s_lshl_b32 s6, s82, 6
	s_and_saveexec_b64 s[2:3], s[4:5]
	s_cbranch_execz .LBB78_78
; %bb.77:                               ;   in Loop: Header=BB78_22 Depth=1
	s_waitcnt vmcnt(0)
	v_or_b32_e32 v10, s6, v25
	v_lshlrev_b32_e32 v10, 3, v10
	ds_write_b128 v10, v[2:5] offset:3072
	ds_write_b128 v10, v[6:9] offset:3088
.LBB78_78:                              ;   in Loop: Header=BB78_22 Depth=1
	s_or_b64 exec, exec, s[2:3]
	s_waitcnt lgkmcnt(0)
	s_barrier
	s_and_saveexec_b64 s[2:3], s[84:85]
	s_cbranch_execz .LBB78_90
; %bb.79:                               ;   in Loop: Header=BB78_22 Depth=1
	v_readlane_b32 s8, v38, 42
	v_readlane_b32 s9, v38, 43
	s_andn2_b64 vcc, exec, s[8:9]
	v_pk_mov_b32 v[2:3], 0, 0
	s_cbranch_vccnz .LBB78_89
; %bb.80:                               ;   in Loop: Header=BB78_22 Depth=1
	v_readlane_b32 s8, v38, 46
	v_readlane_b32 s9, v38, 47
	s_andn2_b64 vcc, exec, s[8:9]
	s_cbranch_vccnz .LBB78_85
; %bb.81:                               ;   in Loop: Header=BB78_22 Depth=1
	s_waitcnt vmcnt(0)
	v_lshl_add_u32 v4, s82, 9, v27
	s_mov_b32 s7, 0
	v_pk_mov_b32 v[2:3], 0, 0
.LBB78_82:                              ;   Parent Loop BB78_22 Depth=1
                                        ; =>  This Inner Loop Header: Depth=2
	ds_read2_b64 v[6:9], v4 offset1:4
	ds_read2_b64 v[20:23], v4 offset0:8 offset1:12
	ds_read2_b64 v[30:33], v4 offset0:16 offset1:20
	;; [unrolled: 1-line block ×3, first 2 shown]
	s_add_i32 s7, s7, 8
	s_waitcnt lgkmcnt(3)
	v_add_co_u32_e32 v2, vcc, v6, v2
	v_addc_co_u32_e32 v3, vcc, v7, v3, vcc
	v_add_co_u32_e32 v2, vcc, v8, v2
	v_addc_co_u32_e32 v3, vcc, v9, v3, vcc
	s_waitcnt lgkmcnt(2)
	v_add_co_u32_e32 v2, vcc, v20, v2
	v_addc_co_u32_e32 v3, vcc, v21, v3, vcc
	v_add_co_u32_e32 v2, vcc, v22, v2
	v_addc_co_u32_e32 v3, vcc, v23, v3, vcc
	;; [unrolled: 5-line block ×3, first 2 shown]
	s_waitcnt lgkmcnt(0)
	v_add_co_u32_e32 v2, vcc, v34, v2
	v_addc_co_u32_e32 v3, vcc, v35, v3, vcc
	v_add_co_u32_e32 v2, vcc, v36, v2
	v_add_u32_e32 v4, 0x100, v4
	s_cmp_eq_u32 s0, s7
	v_addc_co_u32_e32 v3, vcc, v37, v3, vcc
	s_cbranch_scc0 .LBB78_82
; %bb.83:                               ;   in Loop: Header=BB78_22 Depth=1
	s_mov_b32 s7, s0
	s_branch .LBB78_86
.LBB78_84:                              ;   in Loop: Header=BB78_22 Depth=1
                                        ; implicit-def: $vgpr2_vgpr3
	s_branch .LBB78_52
.LBB78_85:                              ;   in Loop: Header=BB78_22 Depth=1
	s_mov_b32 s7, 0
	v_pk_mov_b32 v[2:3], 0, 0
.LBB78_86:                              ;   in Loop: Header=BB78_22 Depth=1
	v_readlane_b32 s8, v38, 49
	v_readlane_b32 s9, v38, 50
	s_andn2_b64 vcc, exec, s[8:9]
	s_cbranch_vccnz .LBB78_89
; %bb.87:                               ;   in Loop: Header=BB78_22 Depth=1
	s_lshl_b32 s8, s82, 9
	s_lshl_b32 s7, s7, 5
	s_add_i32 s8, s8, s7
	s_waitcnt vmcnt(0)
	v_add_u32_e32 v4, s8, v27
	v_readlane_b32 s7, v38, 48
.LBB78_88:                              ;   Parent Loop BB78_22 Depth=1
                                        ; =>  This Inner Loop Header: Depth=2
	ds_read_b64 v[6:7], v4
	s_add_i32 s7, s7, -1
	v_add_u32_e32 v4, 32, v4
	s_cmp_lg_u32 s7, 0
	s_waitcnt lgkmcnt(0)
	v_add_co_u32_e32 v2, vcc, v6, v2
	v_addc_co_u32_e32 v3, vcc, v7, v3, vcc
	s_cbranch_scc1 .LBB78_88
.LBB78_89:                              ;   in Loop: Header=BB78_22 Depth=1
	s_waitcnt vmcnt(0)
	v_add_lshl_u32 v4, s6, v24, 3
	ds_write_b64 v4, v[2:3] offset:3072
.LBB78_90:                              ;   in Loop: Header=BB78_22 Depth=1
	s_or_b64 exec, exec, s[2:3]
	s_lshl_b32 s2, s6, 3
	v_mov_b32_e32 v6, s2
	s_waitcnt lgkmcnt(0)
	s_barrier
	s_waitcnt vmcnt(0)
	ds_read_b128 v[2:5], v6 offset:3072
	ds_read_b128 v[6:9], v6 offset:3088
	s_and_b32 s38, s1, 0xfe
	s_lshl_b32 s27, 3, s38
	s_not_b32 s39, s27
	s_waitcnt lgkmcnt(1)
	v_readfirstlane_b32 s13, v3
	v_readfirstlane_b32 s12, v2
	s_cmp_eq_u64 s[12:13], 1
	s_cselect_b64 s[2:3], -1, 0
	s_cmp_eq_u64 s[94:95], 1
	s_cselect_b64 s[8:9], -1, 0
	s_and_b64 s[18:19], s[2:3], s[8:9]
	v_readfirstlane_b32 s24, v4
	v_readfirstlane_b32 s25, v5
	s_waitcnt lgkmcnt(0)
	v_readfirstlane_b32 s14, v6
	v_readfirstlane_b32 s15, v7
	;; [unrolled: 1-line block ×4, first 2 shown]
	s_mov_b64 s[16:17], -1
	s_and_b64 vcc, exec, s[18:19]
	s_cbranch_vccz .LBB78_104
; %bb.91:                               ;   in Loop: Header=BB78_22 Depth=1
	ds_read_b64 v[2:3], v11 offset:5120
	s_waitcnt lgkmcnt(0)
	s_barrier
	v_readfirstlane_b32 s2, v2
	v_readfirstlane_b32 s3, v3
	s_mov_b64 s[8:9], exec
	v_readlane_b32 s10, v38, 38
	v_readlane_b32 s11, v38, 39
	s_and_b64 s[10:11], s[8:9], s[10:11]
	s_mov_b64 exec, s[10:11]
	s_cbranch_execz .LBB78_93
; %bb.92:                               ;   in Loop: Header=BB78_22 Depth=1
	ds_write_b8 v0, v1 offset:3072
.LBB78_93:                              ;   in Loop: Header=BB78_22 Depth=1
	s_or_b64 exec, exec, s[8:9]
	s_and_b32 s26, s26, s39
	s_or_b32 s83, s83, s27
	s_cmp_eq_u64 s[2:3], 0
	s_waitcnt lgkmcnt(0)
	s_barrier
	s_cbranch_scc1 .LBB78_105
; %bb.94:                               ;   in Loop: Header=BB78_22 Depth=1
	v_readlane_b32 s8, v38, 44
	s_add_u32 s20, s8, s2
	v_readlane_b32 s8, v38, 45
	s_addc_u32 s9, s8, s3
	s_mov_b32 s8, s93
	s_cmp_lg_u64 s[8:9], 0
	s_cbranch_scc0 .LBB78_148
; %bb.95:                               ;   in Loop: Header=BB78_22 Depth=1
	v_cvt_f32_u32_e32 v2, s33
	s_sub_u32 s8, 0, s33
	s_subb_u32 s10, 0, 0
	v_mac_f32_e32 v2, 0, v28
	v_rcp_f32_e32 v2, v2
	v_mul_f32_e32 v2, 0x5f7ffffc, v2
	v_mul_f32_e32 v3, 0x2f800000, v2
	v_trunc_f32_e32 v3, v3
	v_mac_f32_e32 v2, 0xcf800000, v3
	v_cvt_u32_f32_e32 v3, v3
	v_cvt_u32_f32_e32 v2, v2
	v_readfirstlane_b32 s11, v3
	v_readfirstlane_b32 s21, v2
	s_mul_i32 s22, s8, s11
	s_mul_hi_u32 s28, s8, s21
	s_mul_i32 s23, s10, s21
	s_add_i32 s22, s28, s22
	s_mul_i32 s29, s8, s21
	s_add_i32 s22, s22, s23
	s_mul_hi_u32 s28, s21, s29
	s_mul_hi_u32 s23, s21, s22
	s_mul_i32 s21, s21, s22
	s_add_u32 s21, s28, s21
	s_addc_u32 s23, 0, s23
	s_mul_hi_u32 s30, s11, s29
	s_mul_i32 s29, s11, s29
	s_add_u32 s21, s21, s29
	s_mul_hi_u32 s28, s11, s22
	s_addc_u32 s21, s23, s30
	s_addc_u32 s23, s28, 0
	s_mul_i32 s22, s11, s22
	s_add_u32 s21, s21, s22
	s_addc_u32 s22, 0, s23
	v_add_co_u32_e32 v2, vcc, s21, v2
	s_cmp_lg_u64 vcc, 0
	s_addc_u32 s11, s11, s22
	v_readfirstlane_b32 s22, v2
	s_mul_i32 s21, s8, s11
	s_mul_hi_u32 s23, s8, s22
	s_add_i32 s21, s23, s21
	s_mul_i32 s10, s10, s22
	s_add_i32 s21, s21, s10
	s_mul_i32 s8, s8, s22
	s_mul_hi_u32 s23, s11, s8
	s_mul_i32 s28, s11, s8
	s_mul_i32 s30, s22, s21
	s_mul_hi_u32 s8, s22, s8
	s_mul_hi_u32 s29, s22, s21
	s_add_u32 s8, s8, s30
	s_addc_u32 s22, 0, s29
	s_add_u32 s8, s8, s28
	s_mul_hi_u32 s10, s11, s21
	s_addc_u32 s8, s22, s23
	s_addc_u32 s10, s10, 0
	s_mul_i32 s21, s11, s21
	s_add_u32 s8, s8, s21
	s_addc_u32 s10, 0, s10
	v_add_co_u32_e32 v2, vcc, s8, v2
	s_cmp_lg_u64 vcc, 0
	s_addc_u32 s8, s11, s10
	v_readfirstlane_b32 s21, v2
	s_mul_i32 s11, s20, s8
	s_mul_hi_u32 s22, s20, s21
	s_mul_hi_u32 s10, s20, s8
	s_add_u32 s11, s22, s11
	s_addc_u32 s10, 0, s10
	s_mul_hi_u32 s23, s9, s21
	s_mul_i32 s21, s9, s21
	s_add_u32 s11, s11, s21
	s_mul_hi_u32 s22, s9, s8
	s_addc_u32 s10, s10, s23
	s_addc_u32 s11, s22, 0
	s_mul_i32 s8, s9, s8
	s_add_u32 s8, s10, s8
	s_addc_u32 s10, 0, s11
	s_mul_hi_u32 s11, s33, s8
	s_mul_i32 s8, s33, s8
	s_mul_i32 s10, s33, s10
	v_mov_b32_e32 v2, s8
	s_add_i32 s11, s11, s10
	v_sub_co_u32_e32 v2, vcc, s20, v2
	s_cmp_lg_u64 vcc, 0
	s_subb_u32 s8, s9, s11
	v_subrev_co_u32_e32 v3, vcc, s33, v2
	s_cmp_lg_u64 vcc, 0
	s_subb_u32 s10, s8, 0
	v_subrev_co_u32_e32 v4, vcc, s33, v3
	s_cmp_lg_u64 vcc, 0
	s_subb_u32 s11, s10, 0
	v_cmp_le_u32_e32 vcc, s33, v3
	s_cmp_eq_u32 s10, 0
	v_cndmask_b32_e64 v5, 0, -1, vcc
	s_cselect_b64 vcc, -1, 0
	v_cndmask_b32_e32 v5, -1, v5, vcc
	v_mov_b32_e32 v6, s10
	v_mov_b32_e32 v7, s11
	v_cmp_ne_u32_e32 vcc, 0, v5
	v_cndmask_b32_e32 v5, v6, v7, vcc
	v_cndmask_b32_e32 v4, v3, v4, vcc
	v_cmp_le_u32_e32 vcc, s33, v2
	s_cmp_eq_u32 s8, 0
	v_cndmask_b32_e64 v3, 0, -1, vcc
	s_cselect_b64 vcc, -1, 0
	v_cndmask_b32_e32 v3, -1, v3, vcc
	v_mov_b32_e32 v6, s8
	v_cmp_ne_u32_e32 vcc, 0, v3
	v_cndmask_b32_e32 v3, v6, v5, vcc
	v_cndmask_b32_e32 v2, v2, v4, vcc
	s_cbranch_execnz .LBB78_97
.LBB78_96:                              ;   in Loop: Header=BB78_22 Depth=1
	v_cvt_f32_u32_e32 v2, s33
	s_sub_i32 s8, 0, s33
	v_rcp_iflag_f32_e32 v2, v2
	v_mul_f32_e32 v2, 0x4f7ffffe, v2
	v_cvt_u32_f32_e32 v2, v2
	v_mul_lo_u32 v3, s8, v2
	v_mul_hi_u32 v3, v2, v3
	v_add_u32_e32 v2, v2, v3
	v_mul_hi_u32 v2, s20, v2
	v_mul_lo_u32 v2, v2, s33
	v_sub_u32_e32 v2, s20, v2
	v_subrev_u32_e32 v3, s33, v2
	v_cmp_le_u32_e32 vcc, s33, v2
	v_cndmask_b32_e32 v2, v2, v3, vcc
	v_subrev_u32_e32 v3, s33, v2
	v_cmp_le_u32_e32 vcc, s33, v2
	v_cndmask_b32_e32 v10, v2, v3, vcc
	v_pk_mov_b32 v[2:3], v[10:11], v[10:11] op_sel:[0,1]
.LBB78_97:                              ;   in Loop: Header=BB78_22 Depth=1
	v_mov_b32_e32 v4, s9
	v_sub_co_u32_e32 v2, vcc, s20, v2
	v_subb_co_u32_e32 v3, vcc, v4, v3, vcc
	v_cmp_gt_u64_e32 vcc, v[2:3], v[0:1]
	s_mov_b64 s[8:9], 0
                                        ; implicit-def: $vgpr29
	s_and_saveexec_b64 s[10:11], vcc
	s_cbranch_execz .LBB78_107
; %bb.98:                               ;   in Loop: Header=BB78_22 Depth=1
	v_mov_b32_e32 v6, v0
	v_pk_mov_b32 v[4:5], v[0:1], v[0:1] op_sel:[0,1]
                                        ; implicit-def: $sgpr20_sgpr21
	s_branch .LBB78_100
.LBB78_99:                              ;   in Loop: Header=BB78_100 Depth=2
	s_or_b64 exec, exec, s[22:23]
	s_waitcnt lgkmcnt(0)
	s_barrier
	ds_read_u16 v7, v11 offset:3072
	v_mov_b32_e32 v8, s55
	v_add_co_u32_e32 v4, vcc, s33, v4
	v_addc_co_u32_e32 v5, vcc, v5, v8, vcc
	s_waitcnt lgkmcnt(0)
	v_cmp_ne_u16_sdwa s[22:23], v7, v1 src0_sel:BYTE_0 src1_sel:DWORD
	v_cmp_ge_u64_e32 vcc, v[4:5], v[2:3]
	s_or_b64 s[28:29], vcc, s[22:23]
	s_and_b64 s[28:29], exec, s[28:29]
	s_or_b64 s[8:9], s[28:29], s[8:9]
	s_andn2_b64 s[20:21], s[20:21], exec
	s_and_b64 s[22:23], s[22:23], exec
	v_add_u32_e32 v6, s33, v6
	s_or_b64 s[20:21], s[20:21], s[22:23]
	s_barrier
	s_andn2_b64 exec, exec, s[8:9]
	s_cbranch_execz .LBB78_106
.LBB78_100:                             ;   Parent Loop BB78_22 Depth=1
                                        ; =>  This Inner Loop Header: Depth=2
	v_cmp_gt_u64_e32 vcc, s[2:3], v[4:5]
	v_mov_b32_e32 v7, 0
	s_and_saveexec_b64 s[22:23], vcc
	s_cbranch_execz .LBB78_102
; %bb.101:                              ;   in Loop: Header=BB78_100 Depth=2
	ds_read_u8 v7, v6
.LBB78_102:                             ;   in Loop: Header=BB78_100 Depth=2
	s_or_b64 exec, exec, s[22:23]
	s_waitcnt lgkmcnt(0)
	v_and_b32_e32 v8, s83, v7
	v_cmp_eq_u32_sdwa s[22:23], v8, s26 src0_sel:BYTE_0 src1_sel:DWORD
	s_and_b64 s[28:29], vcc, s[22:23]
	s_and_saveexec_b64 s[22:23], s[28:29]
	s_cbranch_execz .LBB78_99
; %bb.103:                              ;   in Loop: Header=BB78_100 Depth=2
	v_lshlrev_b16_e32 v7, 8, v7
	v_or_b32_e32 v7, 1, v7
	ds_write_b16 v11, v7 offset:3072
	s_branch .LBB78_99
.LBB78_104:                             ;   in Loop: Header=BB78_22 Depth=1
	s_mov_b64 s[8:9], -1
                                        ; implicit-def: $sgpr2_sgpr3
                                        ; implicit-def: $sgpr20_sgpr21
                                        ; implicit-def: $sgpr10_sgpr11
	s_branch .LBB78_120
.LBB78_105:                             ;   in Loop: Header=BB78_22 Depth=1
	s_mov_b64 s[2:3], -1
	s_mov_b64 s[8:9], 0
                                        ; implicit-def: $sgpr10_sgpr11
                                        ; implicit-def: $vgpr29
	s_mov_b64 s[20:21], s[2:3]
	s_cbranch_execnz .LBB78_108
	s_branch .LBB78_120
.LBB78_106:                             ;   in Loop: Header=BB78_22 Depth=1
	s_or_b64 exec, exec, s[8:9]
	v_lshrrev_b16_e32 v29, 8, v7
	s_and_b64 s[8:9], s[20:21], exec
.LBB78_107:                             ;   in Loop: Header=BB78_22 Depth=1
	s_or_b64 exec, exec, s[10:11]
	s_mov_b64 s[10:11], -1
	s_mov_b64 s[2:3], 0
	s_mov_b64 s[20:21], s[2:3]
	s_branch .LBB78_120
.LBB78_108:                             ;   in Loop: Header=BB78_22 Depth=1
	s_mov_b32 s64, s93
	s_cmp_lg_u64 s[64:65], 0
	s_cbranch_scc0 .LBB78_152
; %bb.109:                              ;   in Loop: Header=BB78_22 Depth=1
	v_cvt_f32_u32_e32 v2, s33
	s_sub_u32 s2, 0, s33
	s_subb_u32 s3, 0, 0
	v_mac_f32_e32 v2, 0, v28
	v_rcp_f32_e32 v2, v2
	v_mul_f32_e32 v2, 0x5f7ffffc, v2
	v_mul_f32_e32 v3, 0x2f800000, v2
	v_trunc_f32_e32 v3, v3
	v_mac_f32_e32 v2, 0xcf800000, v3
	v_cvt_u32_f32_e32 v3, v3
	v_cvt_u32_f32_e32 v2, v2
	v_readfirstlane_b32 s8, v3
	v_readfirstlane_b32 s9, v2
	s_mul_i32 s10, s2, s8
	s_mul_hi_u32 s20, s2, s9
	s_mul_i32 s11, s3, s9
	s_add_i32 s10, s20, s10
	s_mul_i32 s21, s2, s9
	s_add_i32 s10, s10, s11
	s_mul_hi_u32 s20, s9, s21
	s_mul_hi_u32 s11, s9, s10
	s_mul_i32 s9, s9, s10
	s_add_u32 s9, s20, s9
	s_addc_u32 s11, 0, s11
	s_mul_hi_u32 s22, s8, s21
	s_mul_i32 s21, s8, s21
	s_add_u32 s9, s9, s21
	s_mul_hi_u32 s20, s8, s10
	s_addc_u32 s9, s11, s22
	s_addc_u32 s11, s20, 0
	s_mul_i32 s10, s8, s10
	s_add_u32 s9, s9, s10
	s_addc_u32 s10, 0, s11
	v_add_co_u32_e32 v2, vcc, s9, v2
	s_cmp_lg_u64 vcc, 0
	s_addc_u32 s8, s8, s10
	v_readfirstlane_b32 s10, v2
	s_mul_i32 s9, s2, s8
	s_mul_hi_u32 s11, s2, s10
	s_add_i32 s9, s11, s9
	s_mul_i32 s3, s3, s10
	s_add_i32 s9, s9, s3
	s_mul_i32 s2, s2, s10
	s_mul_hi_u32 s11, s8, s2
	s_mul_i32 s20, s8, s2
	s_mul_i32 s22, s10, s9
	s_mul_hi_u32 s2, s10, s2
	s_mul_hi_u32 s21, s10, s9
	s_add_u32 s2, s2, s22
	s_addc_u32 s10, 0, s21
	s_add_u32 s2, s2, s20
	s_mul_hi_u32 s3, s8, s9
	s_addc_u32 s2, s10, s11
	s_addc_u32 s3, s3, 0
	s_mul_i32 s9, s8, s9
	s_add_u32 s2, s2, s9
	s_addc_u32 s3, 0, s3
	v_add_co_u32_e32 v2, vcc, s2, v2
	s_cmp_lg_u64 vcc, 0
	s_addc_u32 s2, s8, s3
	v_readfirstlane_b32 s9, v2
	s_mul_i32 s8, s54, s2
	s_mul_hi_u32 s10, s54, s9
	s_mul_hi_u32 s3, s54, s2
	s_add_u32 s8, s10, s8
	s_addc_u32 s3, 0, s3
	s_mul_hi_u32 s11, s65, s9
	s_mul_i32 s9, s65, s9
	s_add_u32 s8, s8, s9
	s_mul_hi_u32 s10, s65, s2
	s_addc_u32 s3, s3, s11
	s_addc_u32 s8, s10, 0
	s_mul_i32 s2, s65, s2
	s_add_u32 s2, s3, s2
	s_addc_u32 s3, 0, s8
	s_mul_hi_u32 s8, s33, s2
	s_mul_i32 s2, s33, s2
	s_mul_i32 s3, s33, s3
	v_mov_b32_e32 v2, s2
	s_add_i32 s8, s8, s3
	v_sub_co_u32_e32 v2, vcc, s54, v2
	s_cmp_lg_u64 vcc, 0
	s_subb_u32 s2, s65, s8
	v_subrev_co_u32_e32 v3, vcc, s33, v2
	s_cmp_lg_u64 vcc, 0
	s_subb_u32 s3, s2, 0
	v_subrev_co_u32_e32 v4, vcc, s33, v3
	s_cmp_lg_u64 vcc, 0
	s_subb_u32 s8, s3, 0
	v_cmp_le_u32_e32 vcc, s33, v3
	s_cmp_eq_u32 s3, 0
	v_cndmask_b32_e64 v5, 0, -1, vcc
	s_cselect_b64 vcc, -1, 0
	v_cndmask_b32_e32 v5, -1, v5, vcc
	v_mov_b32_e32 v6, s3
	v_mov_b32_e32 v7, s8
	v_cmp_ne_u32_e32 vcc, 0, v5
	v_cndmask_b32_e32 v5, v6, v7, vcc
	v_cndmask_b32_e32 v4, v3, v4, vcc
	v_cmp_le_u32_e32 vcc, s33, v2
	s_cmp_eq_u32 s2, 0
	v_cndmask_b32_e64 v3, 0, -1, vcc
	s_cselect_b64 vcc, -1, 0
	v_cndmask_b32_e32 v3, -1, v3, vcc
	v_mov_b32_e32 v6, s2
	v_cmp_ne_u32_e32 vcc, 0, v3
	v_cndmask_b32_e32 v3, v6, v5, vcc
	v_cndmask_b32_e32 v2, v2, v4, vcc
	s_cbranch_execnz .LBB78_111
.LBB78_110:                             ;   in Loop: Header=BB78_22 Depth=1
	v_cvt_f32_u32_e32 v2, s33
	s_sub_i32 s2, 0, s33
	v_rcp_iflag_f32_e32 v2, v2
	v_mul_f32_e32 v2, 0x4f7ffffe, v2
	v_cvt_u32_f32_e32 v2, v2
	v_mul_lo_u32 v3, s2, v2
	v_mul_hi_u32 v3, v2, v3
	v_add_u32_e32 v2, v2, v3
	v_mul_hi_u32 v2, s54, v2
	v_mul_lo_u32 v2, v2, s33
	v_sub_u32_e32 v2, s54, v2
	v_subrev_u32_e32 v3, s33, v2
	v_cmp_le_u32_e32 vcc, s33, v2
	v_cndmask_b32_e32 v2, v2, v3, vcc
	v_subrev_u32_e32 v3, s33, v2
	v_cmp_le_u32_e32 vcc, s33, v2
	v_cndmask_b32_e32 v10, v2, v3, vcc
	v_pk_mov_b32 v[2:3], v[10:11], v[10:11] op_sel:[0,1]
.LBB78_111:                             ;   in Loop: Header=BB78_22 Depth=1
	v_mov_b32_e32 v4, s65
	v_sub_co_u32_e32 v2, vcc, s54, v2
	v_subb_co_u32_e32 v3, vcc, v4, v3, vcc
	v_cmp_gt_u64_e32 vcc, v[2:3], v[0:1]
	s_mov_b64 s[8:9], 0
                                        ; implicit-def: $vgpr29
	s_and_saveexec_b64 s[2:3], vcc
	s_cbranch_execz .LBB78_119
; %bb.112:                              ;   in Loop: Header=BB78_22 Depth=1
	v_pk_mov_b32 v[4:5], v[0:1], v[0:1] op_sel:[0,1]
                                        ; implicit-def: $sgpr10_sgpr11
	s_branch .LBB78_114
.LBB78_113:                             ;   in Loop: Header=BB78_114 Depth=2
	s_or_b64 exec, exec, s[20:21]
	s_waitcnt lgkmcnt(0)
	s_barrier
	ds_read_u16 v6, v11 offset:3072
	v_mov_b32_e32 v7, s55
	v_add_co_u32_e32 v4, vcc, s33, v4
	v_addc_co_u32_e32 v5, vcc, v5, v7, vcc
	s_waitcnt lgkmcnt(0)
	v_cmp_ne_u16_sdwa s[20:21], v6, v1 src0_sel:BYTE_0 src1_sel:DWORD
	v_cmp_ge_u64_e32 vcc, v[4:5], v[2:3]
	s_or_b64 s[22:23], vcc, s[20:21]
	s_and_b64 s[22:23], exec, s[22:23]
	s_or_b64 s[8:9], s[22:23], s[8:9]
	s_andn2_b64 s[10:11], s[10:11], exec
	s_and_b64 s[20:21], s[20:21], exec
	s_or_b64 s[10:11], s[10:11], s[20:21]
	s_barrier
	s_andn2_b64 exec, exec, s[8:9]
	s_cbranch_execz .LBB78_118
.LBB78_114:                             ;   Parent Loop BB78_22 Depth=1
                                        ; =>  This Inner Loop Header: Depth=2
	v_cmp_gt_u64_e32 vcc, s[52:53], v[4:5]
	v_mov_b32_e32 v6, 0
	s_and_saveexec_b64 s[20:21], vcc
	s_cbranch_execz .LBB78_116
; %bb.115:                              ;   in Loop: Header=BB78_114 Depth=2
	v_pk_mov_b32 v[6:7], s[90:91], s[90:91] op_sel:[0,1]
	v_mad_u64_u32 v[6:7], s[22:23], v4, s80, v[6:7]
	v_mul_lo_u32 v8, v4, s81
	v_mul_lo_u32 v9, v5, s80
	v_add3_u32 v7, v9, v7, v8
	global_load_ubyte v6, v[6:7], off
.LBB78_116:                             ;   in Loop: Header=BB78_114 Depth=2
	s_or_b64 exec, exec, s[20:21]
	s_waitcnt vmcnt(0)
	v_and_b32_e32 v7, s83, v6
	v_cmp_eq_u32_sdwa s[20:21], v7, s26 src0_sel:BYTE_0 src1_sel:DWORD
	s_and_b64 s[22:23], vcc, s[20:21]
	s_and_saveexec_b64 s[20:21], s[22:23]
	s_cbranch_execz .LBB78_113
; %bb.117:                              ;   in Loop: Header=BB78_114 Depth=2
	v_lshlrev_b16_e32 v6, 8, v6
	v_or_b32_e32 v6, 1, v6
	ds_write_b16 v11, v6 offset:3072
	s_branch .LBB78_113
.LBB78_118:                             ;   in Loop: Header=BB78_22 Depth=1
	s_or_b64 exec, exec, s[8:9]
	v_lshrrev_b16_e32 v29, 8, v6
	s_and_b64 s[8:9], s[10:11], exec
.LBB78_119:                             ;   in Loop: Header=BB78_22 Depth=1
	s_or_b64 exec, exec, s[2:3]
	s_mov_b64 s[20:21], -1
	s_mov_b64 s[2:3], 0
	s_mov_b64 s[10:11], 0
.LBB78_120:                             ;   in Loop: Header=BB78_22 Depth=1
	s_andn2_b64 s[22:23], s[72:73], exec
	s_and_b64 s[2:3], s[2:3], exec
	s_or_b64 s[72:73], s[22:23], s[2:3]
	s_andn2_b64 s[2:3], s[58:59], exec
	s_and_b64 s[20:21], s[20:21], exec
	s_or_b64 s[58:59], s[2:3], s[20:21]
	;; [unrolled: 3-line block ×3, first 2 shown]
	s_and_saveexec_b64 s[10:11], s[8:9]
	s_cbranch_execz .LBB78_21
; %bb.121:                              ;   in Loop: Header=BB78_22 Depth=1
	s_xor_b64 s[2:3], s[18:19], -1
	s_andn2_b64 vcc, exec, s[2:3]
	s_mov_b32 s46, 1
	s_cbranch_vccnz .LBB78_132
; %bb.122:                              ;   in Loop: Header=BB78_22 Depth=1
	v_pk_mov_b32 v[2:3], s[12:13], s[12:13] op_sel:[0,1]
	v_cmp_gt_u64_e32 vcc, s[94:95], v[2:3]
	s_mov_b64 s[2:3], -1
                                        ; implicit-def: $sgpr46
                                        ; implicit-def: $sgpr8
                                        ; implicit-def: $sgpr9
	s_cbranch_vccnz .LBB78_128
; %bb.123:                              ;   in Loop: Header=BB78_22 Depth=1
	ds_read_b64 v[2:3], v11 offset:5120
	s_waitcnt lgkmcnt(0)
	v_cmp_ne_u64_e32 vcc, 0, v[2:3]
	s_cbranch_vccnz .LBB78_127
; %bb.124:                              ;   in Loop: Header=BB78_22 Depth=1
	s_mov_b64 s[2:3], exec
	v_readlane_b32 s8, v38, 28
	v_readlane_b32 s9, v38, 29
	s_and_b64 s[8:9], s[2:3], s[8:9]
	s_mov_b64 exec, s[8:9]
	s_cbranch_execz .LBB78_126
; %bb.125:                              ;   in Loop: Header=BB78_22 Depth=1
	v_pk_mov_b32 v[2:3], s[12:13], s[12:13] op_sel:[0,1]
	ds_write_b64 v11, v[2:3] offset:5128
.LBB78_126:                             ;   in Loop: Header=BB78_22 Depth=1
	s_or_b64 exec, exec, s[2:3]
	s_waitcnt lgkmcnt(0)
	s_barrier
.LBB78_127:                             ;   in Loop: Header=BB78_22 Depth=1
	s_and_b32 s8, s26, s39
	s_or_b32 s9, s83, s27
	s_mov_b64 s[2:3], 0
	s_mov_b32 s46, 8
.LBB78_128:                             ;   in Loop: Header=BB78_22 Depth=1
	s_andn2_b64 vcc, exec, s[2:3]
	s_cbranch_vccnz .LBB78_130
; %bb.129:                              ;   in Loop: Header=BB78_22 Depth=1
	s_sub_u32 s94, s94, s12
	s_subb_u32 s95, s95, s13
	s_mov_b64 s[2:3], -1
	s_mov_b32 s46, 0
	s_mov_b32 s8, s26
	;; [unrolled: 1-line block ×3, first 2 shown]
.LBB78_130:                             ;   in Loop: Header=BB78_22 Depth=1
	s_mov_b32 s83, s9
	s_mov_b32 s26, s8
	s_mov_b64 s[12:13], -1
	s_and_b64 vcc, exec, s[2:3]
	s_cbranch_vccnz .LBB78_133
.LBB78_131:                             ;   in Loop: Header=BB78_22 Depth=1
	s_mov_b64 s[2:3], -1
                                        ; implicit-def: $sgpr16_sgpr17
                                        ; implicit-def: $sgpr20_sgpr21
                                        ; implicit-def: $sgpr18_sgpr19
	s_and_saveexec_b64 s[6:7], s[2:3]
	s_xor_b64 s[2:3], exec, s[6:7]
	s_cbranch_execz .LBB78_20
	s_branch .LBB78_276
.LBB78_132:                             ;   in Loop: Header=BB78_22 Depth=1
	s_mov_b64 s[94:95], 1
	s_mov_b64 s[12:13], -1
	s_branch .LBB78_131
.LBB78_133:                             ;   in Loop: Header=BB78_22 Depth=1
	s_cmp_eq_u64 s[24:25], 1
	s_cselect_b64 s[2:3], -1, 0
	s_cmp_eq_u64 s[94:95], 1
	s_cselect_b64 s[8:9], -1, 0
	s_and_b64 s[28:29], s[2:3], s[8:9]
	s_mov_b64 s[8:9], -1
	s_and_b64 vcc, exec, s[28:29]
	s_cbranch_vccz .LBB78_147
; %bb.134:                              ;   in Loop: Header=BB78_22 Depth=1
	ds_read_b64 v[2:3], v11 offset:5120
	s_waitcnt lgkmcnt(0)
	s_barrier
	v_readfirstlane_b32 s2, v2
	v_readfirstlane_b32 s3, v3
	s_mov_b64 s[8:9], exec
	v_readlane_b32 s16, v38, 38
	v_readlane_b32 s17, v38, 39
	s_and_b64 s[16:17], s[8:9], s[16:17]
	s_mov_b64 exec, s[16:17]
	s_cbranch_execz .LBB78_136
; %bb.135:                              ;   in Loop: Header=BB78_22 Depth=1
	ds_write_b8 v0, v1 offset:3072
.LBB78_136:                             ;   in Loop: Header=BB78_22 Depth=1
	s_or_b64 exec, exec, s[8:9]
	s_lshl_b32 s8, 1, s38
	s_and_b32 s9, s26, s39
	s_or_b32 s26, s9, s8
	s_or_b32 s83, s83, s27
	s_cmp_eq_u64 s[2:3], 0
	s_waitcnt lgkmcnt(0)
	s_barrier
	s_cbranch_scc1 .LBB78_153
; %bb.137:                              ;   in Loop: Header=BB78_22 Depth=1
	v_readlane_b32 s8, v38, 44
	s_add_u32 s18, s8, s2
	v_readlane_b32 s8, v38, 45
	s_addc_u32 s9, s8, s3
	s_mov_b32 s8, s93
	s_cmp_lg_u64 s[8:9], 0
	s_cbranch_scc0 .LBB78_196
; %bb.138:                              ;   in Loop: Header=BB78_22 Depth=1
	v_cvt_f32_u32_e32 v2, s33
	s_sub_u32 s8, 0, s33
	s_subb_u32 s16, 0, 0
	v_mac_f32_e32 v2, 0, v28
	v_rcp_f32_e32 v2, v2
	v_mul_f32_e32 v2, 0x5f7ffffc, v2
	v_mul_f32_e32 v3, 0x2f800000, v2
	v_trunc_f32_e32 v3, v3
	v_mac_f32_e32 v2, 0xcf800000, v3
	v_cvt_u32_f32_e32 v3, v3
	v_cvt_u32_f32_e32 v2, v2
	v_readfirstlane_b32 s17, v3
	v_readfirstlane_b32 s19, v2
	s_mul_i32 s20, s8, s17
	s_mul_hi_u32 s22, s8, s19
	s_mul_i32 s21, s16, s19
	s_add_i32 s20, s22, s20
	s_mul_i32 s23, s8, s19
	s_add_i32 s20, s20, s21
	s_mul_hi_u32 s22, s19, s23
	s_mul_hi_u32 s21, s19, s20
	s_mul_i32 s19, s19, s20
	s_add_u32 s19, s22, s19
	s_addc_u32 s21, 0, s21
	s_mul_hi_u32 s30, s17, s23
	s_mul_i32 s23, s17, s23
	s_add_u32 s19, s19, s23
	s_mul_hi_u32 s22, s17, s20
	s_addc_u32 s19, s21, s30
	s_addc_u32 s21, s22, 0
	s_mul_i32 s20, s17, s20
	s_add_u32 s19, s19, s20
	s_addc_u32 s20, 0, s21
	v_add_co_u32_e32 v2, vcc, s19, v2
	s_cmp_lg_u64 vcc, 0
	s_addc_u32 s17, s17, s20
	v_readfirstlane_b32 s20, v2
	s_mul_i32 s19, s8, s17
	s_mul_hi_u32 s21, s8, s20
	s_add_i32 s19, s21, s19
	s_mul_i32 s16, s16, s20
	s_add_i32 s19, s19, s16
	s_mul_i32 s8, s8, s20
	s_mul_hi_u32 s21, s17, s8
	s_mul_i32 s22, s17, s8
	s_mul_i32 s30, s20, s19
	s_mul_hi_u32 s8, s20, s8
	s_mul_hi_u32 s23, s20, s19
	s_add_u32 s8, s8, s30
	s_addc_u32 s20, 0, s23
	s_add_u32 s8, s8, s22
	s_mul_hi_u32 s16, s17, s19
	s_addc_u32 s8, s20, s21
	s_addc_u32 s16, s16, 0
	s_mul_i32 s19, s17, s19
	s_add_u32 s8, s8, s19
	s_addc_u32 s16, 0, s16
	v_add_co_u32_e32 v2, vcc, s8, v2
	s_cmp_lg_u64 vcc, 0
	s_addc_u32 s8, s17, s16
	v_readfirstlane_b32 s19, v2
	s_mul_i32 s17, s18, s8
	s_mul_hi_u32 s20, s18, s19
	s_mul_hi_u32 s16, s18, s8
	s_add_u32 s17, s20, s17
	s_addc_u32 s16, 0, s16
	s_mul_hi_u32 s21, s9, s19
	s_mul_i32 s19, s9, s19
	s_add_u32 s17, s17, s19
	s_mul_hi_u32 s20, s9, s8
	s_addc_u32 s16, s16, s21
	s_addc_u32 s17, s20, 0
	s_mul_i32 s8, s9, s8
	s_add_u32 s8, s16, s8
	s_addc_u32 s16, 0, s17
	s_mul_hi_u32 s17, s33, s8
	s_mul_i32 s8, s33, s8
	s_mul_i32 s16, s33, s16
	v_mov_b32_e32 v2, s8
	s_add_i32 s17, s17, s16
	v_sub_co_u32_e32 v2, vcc, s18, v2
	s_cmp_lg_u64 vcc, 0
	s_subb_u32 s8, s9, s17
	v_subrev_co_u32_e32 v3, vcc, s33, v2
	s_cmp_lg_u64 vcc, 0
	s_subb_u32 s16, s8, 0
	v_subrev_co_u32_e32 v4, vcc, s33, v3
	s_cmp_lg_u64 vcc, 0
	s_subb_u32 s17, s16, 0
	v_cmp_le_u32_e32 vcc, s33, v3
	s_cmp_eq_u32 s16, 0
	v_cndmask_b32_e64 v5, 0, -1, vcc
	s_cselect_b64 vcc, -1, 0
	v_cndmask_b32_e32 v5, -1, v5, vcc
	v_mov_b32_e32 v6, s16
	v_mov_b32_e32 v7, s17
	v_cmp_ne_u32_e32 vcc, 0, v5
	v_cndmask_b32_e32 v5, v6, v7, vcc
	v_cndmask_b32_e32 v4, v3, v4, vcc
	v_cmp_le_u32_e32 vcc, s33, v2
	s_cmp_eq_u32 s8, 0
	v_cndmask_b32_e64 v3, 0, -1, vcc
	s_cselect_b64 vcc, -1, 0
	v_cndmask_b32_e32 v3, -1, v3, vcc
	v_mov_b32_e32 v6, s8
	v_cmp_ne_u32_e32 vcc, 0, v3
	v_cndmask_b32_e32 v3, v6, v5, vcc
	v_cndmask_b32_e32 v2, v2, v4, vcc
	s_cbranch_execnz .LBB78_140
.LBB78_139:                             ;   in Loop: Header=BB78_22 Depth=1
	v_cvt_f32_u32_e32 v2, s33
	s_sub_i32 s8, 0, s33
	v_rcp_iflag_f32_e32 v2, v2
	v_mul_f32_e32 v2, 0x4f7ffffe, v2
	v_cvt_u32_f32_e32 v2, v2
	v_mul_lo_u32 v3, s8, v2
	v_mul_hi_u32 v3, v2, v3
	v_add_u32_e32 v2, v2, v3
	v_mul_hi_u32 v2, s18, v2
	v_mul_lo_u32 v2, v2, s33
	v_sub_u32_e32 v2, s18, v2
	v_subrev_u32_e32 v3, s33, v2
	v_cmp_le_u32_e32 vcc, s33, v2
	v_cndmask_b32_e32 v2, v2, v3, vcc
	v_subrev_u32_e32 v3, s33, v2
	v_cmp_le_u32_e32 vcc, s33, v2
	v_cndmask_b32_e32 v10, v2, v3, vcc
	v_pk_mov_b32 v[2:3], v[10:11], v[10:11] op_sel:[0,1]
.LBB78_140:                             ;   in Loop: Header=BB78_22 Depth=1
	v_mov_b32_e32 v4, s9
	v_sub_co_u32_e32 v2, vcc, s18, v2
	v_subb_co_u32_e32 v3, vcc, v4, v3, vcc
	v_cmp_gt_u64_e32 vcc, v[2:3], v[0:1]
	s_mov_b64 s[8:9], 0
                                        ; implicit-def: $vgpr29
	s_and_saveexec_b64 s[16:17], vcc
	s_cbranch_execz .LBB78_155
; %bb.141:                              ;   in Loop: Header=BB78_22 Depth=1
	v_mov_b32_e32 v6, v0
	v_pk_mov_b32 v[4:5], v[0:1], v[0:1] op_sel:[0,1]
                                        ; implicit-def: $sgpr18_sgpr19
	s_branch .LBB78_143
.LBB78_142:                             ;   in Loop: Header=BB78_143 Depth=2
	s_or_b64 exec, exec, s[20:21]
	s_waitcnt lgkmcnt(0)
	s_barrier
	ds_read_u16 v7, v11 offset:3072
	v_mov_b32_e32 v8, s55
	v_add_co_u32_e32 v4, vcc, s33, v4
	v_addc_co_u32_e32 v5, vcc, v5, v8, vcc
	s_waitcnt lgkmcnt(0)
	v_cmp_ne_u16_sdwa s[20:21], v7, v1 src0_sel:BYTE_0 src1_sel:DWORD
	v_cmp_ge_u64_e32 vcc, v[4:5], v[2:3]
	s_or_b64 s[22:23], vcc, s[20:21]
	s_and_b64 s[22:23], exec, s[22:23]
	s_or_b64 s[8:9], s[22:23], s[8:9]
	s_andn2_b64 s[18:19], s[18:19], exec
	s_and_b64 s[20:21], s[20:21], exec
	v_add_u32_e32 v6, s33, v6
	s_or_b64 s[18:19], s[18:19], s[20:21]
	s_barrier
	s_andn2_b64 exec, exec, s[8:9]
	s_cbranch_execz .LBB78_154
.LBB78_143:                             ;   Parent Loop BB78_22 Depth=1
                                        ; =>  This Inner Loop Header: Depth=2
	v_cmp_gt_u64_e32 vcc, s[2:3], v[4:5]
	v_mov_b32_e32 v7, 0
	s_and_saveexec_b64 s[20:21], vcc
	s_cbranch_execz .LBB78_145
; %bb.144:                              ;   in Loop: Header=BB78_143 Depth=2
	ds_read_u8 v7, v6
.LBB78_145:                             ;   in Loop: Header=BB78_143 Depth=2
	s_or_b64 exec, exec, s[20:21]
	s_waitcnt lgkmcnt(0)
	v_and_b32_e32 v8, s83, v7
	v_cmp_eq_u32_sdwa s[20:21], v8, s26 src0_sel:BYTE_0 src1_sel:DWORD
	s_and_b64 s[22:23], vcc, s[20:21]
	s_and_saveexec_b64 s[20:21], s[22:23]
	s_cbranch_execz .LBB78_142
; %bb.146:                              ;   in Loop: Header=BB78_143 Depth=2
	v_lshlrev_b16_e32 v7, 8, v7
	v_or_b32_e32 v7, 1, v7
	ds_write_b16 v11, v7 offset:3072
	s_branch .LBB78_142
.LBB78_147:                             ;   in Loop: Header=BB78_22 Depth=1
                                        ; implicit-def: $sgpr18_sgpr19
                                        ; implicit-def: $sgpr20_sgpr21
                                        ; implicit-def: $sgpr16_sgpr17
	s_branch .LBB78_168
.LBB78_148:                             ;   in Loop: Header=BB78_22 Depth=1
                                        ; implicit-def: $vgpr2_vgpr3
	s_branch .LBB78_96
.LBB78_149:                             ;   in Loop: Header=BB78_22 Depth=1
	s_or_b64 exec, exec, s[2:3]
	s_waitcnt lgkmcnt(0)
	s_barrier
	s_mov_b64 s[2:3], exec
	v_readlane_b32 s6, v38, 28
	v_readlane_b32 s7, v38, 29
	s_and_b64 s[6:7], s[2:3], s[6:7]
	s_mov_b64 exec, s[6:7]
	s_cbranch_execz .LBB78_151
; %bb.150:                              ;   in Loop: Header=BB78_22 Depth=1
	ds_read_b32 v2, v11 offset:5144
	s_waitcnt lgkmcnt(0)
	v_ashrrev_i32_e32 v3, 31, v2
	ds_write_b64 v11, v[2:3] offset:5120
.LBB78_151:                             ;   in Loop: Header=BB78_22 Depth=1
	s_or_b64 exec, exec, s[2:3]
	s_waitcnt lgkmcnt(0)
	s_barrier
	s_mov_b64 s[2:3], -1
	s_and_b64 vcc, exec, s[60:61]
	s_cbranch_vccnz .LBB78_37
	s_branch .LBB78_47
.LBB78_152:                             ;   in Loop: Header=BB78_22 Depth=1
                                        ; implicit-def: $vgpr2_vgpr3
	s_branch .LBB78_110
.LBB78_153:                             ;   in Loop: Header=BB78_22 Depth=1
	s_mov_b64 s[18:19], -1
	s_mov_b64 s[8:9], 0
                                        ; implicit-def: $sgpr16_sgpr17
                                        ; implicit-def: $vgpr29
	s_mov_b64 s[20:21], s[18:19]
	s_cbranch_execnz .LBB78_156
	s_branch .LBB78_168
.LBB78_154:                             ;   in Loop: Header=BB78_22 Depth=1
	s_or_b64 exec, exec, s[8:9]
	v_lshrrev_b16_e32 v29, 8, v7
	s_and_b64 s[8:9], s[18:19], exec
.LBB78_155:                             ;   in Loop: Header=BB78_22 Depth=1
	s_or_b64 exec, exec, s[16:17]
	s_mov_b64 s[16:17], -1
	s_mov_b64 s[18:19], 0
	s_mov_b64 s[20:21], s[18:19]
	s_branch .LBB78_168
.LBB78_156:                             ;   in Loop: Header=BB78_22 Depth=1
	s_mov_b32 s64, s93
	s_cmp_lg_u64 s[64:65], 0
	s_cbranch_scc0 .LBB78_197
; %bb.157:                              ;   in Loop: Header=BB78_22 Depth=1
	v_cvt_f32_u32_e32 v2, s33
	s_sub_u32 s2, 0, s33
	s_subb_u32 s3, 0, 0
	v_mac_f32_e32 v2, 0, v28
	v_rcp_f32_e32 v2, v2
	v_mul_f32_e32 v2, 0x5f7ffffc, v2
	v_mul_f32_e32 v3, 0x2f800000, v2
	v_trunc_f32_e32 v3, v3
	v_mac_f32_e32 v2, 0xcf800000, v3
	v_cvt_u32_f32_e32 v3, v3
	v_cvt_u32_f32_e32 v2, v2
	v_readfirstlane_b32 s8, v3
	v_readfirstlane_b32 s9, v2
	s_mul_i32 s16, s2, s8
	s_mul_hi_u32 s18, s2, s9
	s_mul_i32 s17, s3, s9
	s_add_i32 s16, s18, s16
	s_mul_i32 s19, s2, s9
	s_add_i32 s16, s16, s17
	s_mul_hi_u32 s18, s9, s19
	s_mul_hi_u32 s17, s9, s16
	s_mul_i32 s9, s9, s16
	s_add_u32 s9, s18, s9
	s_addc_u32 s17, 0, s17
	s_mul_hi_u32 s20, s8, s19
	s_mul_i32 s19, s8, s19
	s_add_u32 s9, s9, s19
	s_mul_hi_u32 s18, s8, s16
	s_addc_u32 s9, s17, s20
	s_addc_u32 s17, s18, 0
	s_mul_i32 s16, s8, s16
	s_add_u32 s9, s9, s16
	s_addc_u32 s16, 0, s17
	v_add_co_u32_e32 v2, vcc, s9, v2
	s_cmp_lg_u64 vcc, 0
	s_addc_u32 s8, s8, s16
	v_readfirstlane_b32 s16, v2
	s_mul_i32 s9, s2, s8
	s_mul_hi_u32 s17, s2, s16
	s_add_i32 s9, s17, s9
	s_mul_i32 s3, s3, s16
	s_add_i32 s9, s9, s3
	s_mul_i32 s2, s2, s16
	s_mul_hi_u32 s17, s8, s2
	s_mul_i32 s18, s8, s2
	s_mul_i32 s20, s16, s9
	s_mul_hi_u32 s2, s16, s2
	s_mul_hi_u32 s19, s16, s9
	s_add_u32 s2, s2, s20
	s_addc_u32 s16, 0, s19
	s_add_u32 s2, s2, s18
	s_mul_hi_u32 s3, s8, s9
	s_addc_u32 s2, s16, s17
	s_addc_u32 s3, s3, 0
	s_mul_i32 s9, s8, s9
	s_add_u32 s2, s2, s9
	s_addc_u32 s3, 0, s3
	v_add_co_u32_e32 v2, vcc, s2, v2
	s_cmp_lg_u64 vcc, 0
	s_addc_u32 s2, s8, s3
	v_readfirstlane_b32 s9, v2
	s_mul_i32 s8, s54, s2
	s_mul_hi_u32 s16, s54, s9
	s_mul_hi_u32 s3, s54, s2
	s_add_u32 s8, s16, s8
	s_addc_u32 s3, 0, s3
	s_mul_hi_u32 s17, s65, s9
	s_mul_i32 s9, s65, s9
	s_add_u32 s8, s8, s9
	s_mul_hi_u32 s16, s65, s2
	s_addc_u32 s3, s3, s17
	s_addc_u32 s8, s16, 0
	s_mul_i32 s2, s65, s2
	s_add_u32 s2, s3, s2
	s_addc_u32 s3, 0, s8
	s_mul_hi_u32 s8, s33, s2
	s_mul_i32 s2, s33, s2
	s_mul_i32 s3, s33, s3
	v_mov_b32_e32 v2, s2
	s_add_i32 s8, s8, s3
	v_sub_co_u32_e32 v2, vcc, s54, v2
	s_cmp_lg_u64 vcc, 0
	s_subb_u32 s2, s65, s8
	v_subrev_co_u32_e32 v3, vcc, s33, v2
	s_cmp_lg_u64 vcc, 0
	s_subb_u32 s3, s2, 0
	v_subrev_co_u32_e32 v4, vcc, s33, v3
	s_cmp_lg_u64 vcc, 0
	s_subb_u32 s8, s3, 0
	v_cmp_le_u32_e32 vcc, s33, v3
	s_cmp_eq_u32 s3, 0
	v_cndmask_b32_e64 v5, 0, -1, vcc
	s_cselect_b64 vcc, -1, 0
	v_cndmask_b32_e32 v5, -1, v5, vcc
	v_mov_b32_e32 v6, s3
	v_mov_b32_e32 v7, s8
	v_cmp_ne_u32_e32 vcc, 0, v5
	v_cndmask_b32_e32 v5, v6, v7, vcc
	v_cndmask_b32_e32 v4, v3, v4, vcc
	v_cmp_le_u32_e32 vcc, s33, v2
	s_cmp_eq_u32 s2, 0
	v_cndmask_b32_e64 v3, 0, -1, vcc
	s_cselect_b64 vcc, -1, 0
	v_cndmask_b32_e32 v3, -1, v3, vcc
	v_mov_b32_e32 v6, s2
	v_cmp_ne_u32_e32 vcc, 0, v3
	v_cndmask_b32_e32 v3, v6, v5, vcc
	v_cndmask_b32_e32 v2, v2, v4, vcc
	s_cbranch_execnz .LBB78_159
.LBB78_158:                             ;   in Loop: Header=BB78_22 Depth=1
	v_cvt_f32_u32_e32 v2, s33
	s_sub_i32 s2, 0, s33
	v_rcp_iflag_f32_e32 v2, v2
	v_mul_f32_e32 v2, 0x4f7ffffe, v2
	v_cvt_u32_f32_e32 v2, v2
	v_mul_lo_u32 v3, s2, v2
	v_mul_hi_u32 v3, v2, v3
	v_add_u32_e32 v2, v2, v3
	v_mul_hi_u32 v2, s54, v2
	v_mul_lo_u32 v2, v2, s33
	v_sub_u32_e32 v2, s54, v2
	v_subrev_u32_e32 v3, s33, v2
	v_cmp_le_u32_e32 vcc, s33, v2
	v_cndmask_b32_e32 v2, v2, v3, vcc
	v_subrev_u32_e32 v3, s33, v2
	v_cmp_le_u32_e32 vcc, s33, v2
	v_cndmask_b32_e32 v10, v2, v3, vcc
	v_pk_mov_b32 v[2:3], v[10:11], v[10:11] op_sel:[0,1]
.LBB78_159:                             ;   in Loop: Header=BB78_22 Depth=1
	v_mov_b32_e32 v4, s65
	v_sub_co_u32_e32 v2, vcc, s54, v2
	v_subb_co_u32_e32 v3, vcc, v4, v3, vcc
	v_cmp_gt_u64_e32 vcc, v[2:3], v[0:1]
	s_mov_b64 s[8:9], 0
                                        ; implicit-def: $vgpr29
	s_and_saveexec_b64 s[2:3], vcc
	s_cbranch_execz .LBB78_167
; %bb.160:                              ;   in Loop: Header=BB78_22 Depth=1
	v_pk_mov_b32 v[4:5], v[0:1], v[0:1] op_sel:[0,1]
                                        ; implicit-def: $sgpr16_sgpr17
	s_branch .LBB78_162
.LBB78_161:                             ;   in Loop: Header=BB78_162 Depth=2
	s_or_b64 exec, exec, s[18:19]
	s_waitcnt lgkmcnt(0)
	s_barrier
	ds_read_u16 v6, v11 offset:3072
	v_mov_b32_e32 v7, s55
	v_add_co_u32_e32 v4, vcc, s33, v4
	v_addc_co_u32_e32 v5, vcc, v5, v7, vcc
	s_waitcnt lgkmcnt(0)
	v_cmp_ne_u16_sdwa s[18:19], v6, v1 src0_sel:BYTE_0 src1_sel:DWORD
	v_cmp_ge_u64_e32 vcc, v[4:5], v[2:3]
	s_or_b64 s[20:21], vcc, s[18:19]
	s_and_b64 s[20:21], exec, s[20:21]
	s_or_b64 s[8:9], s[20:21], s[8:9]
	s_andn2_b64 s[16:17], s[16:17], exec
	s_and_b64 s[18:19], s[18:19], exec
	s_or_b64 s[16:17], s[16:17], s[18:19]
	s_barrier
	s_andn2_b64 exec, exec, s[8:9]
	s_cbranch_execz .LBB78_166
.LBB78_162:                             ;   Parent Loop BB78_22 Depth=1
                                        ; =>  This Inner Loop Header: Depth=2
	v_cmp_gt_u64_e32 vcc, s[52:53], v[4:5]
	v_mov_b32_e32 v6, 0
	s_and_saveexec_b64 s[18:19], vcc
	s_cbranch_execz .LBB78_164
; %bb.163:                              ;   in Loop: Header=BB78_162 Depth=2
	v_pk_mov_b32 v[6:7], s[90:91], s[90:91] op_sel:[0,1]
	v_mad_u64_u32 v[6:7], s[20:21], v4, s80, v[6:7]
	v_mul_lo_u32 v8, v4, s81
	v_mul_lo_u32 v9, v5, s80
	v_add3_u32 v7, v9, v7, v8
	global_load_ubyte v6, v[6:7], off
.LBB78_164:                             ;   in Loop: Header=BB78_162 Depth=2
	s_or_b64 exec, exec, s[18:19]
	s_waitcnt vmcnt(0)
	v_and_b32_e32 v7, s83, v6
	v_cmp_eq_u32_sdwa s[18:19], v7, s26 src0_sel:BYTE_0 src1_sel:DWORD
	s_and_b64 s[20:21], vcc, s[18:19]
	s_and_saveexec_b64 s[18:19], s[20:21]
	s_cbranch_execz .LBB78_161
; %bb.165:                              ;   in Loop: Header=BB78_162 Depth=2
	v_lshlrev_b16_e32 v6, 8, v6
	v_or_b32_e32 v6, 1, v6
	ds_write_b16 v11, v6 offset:3072
	s_branch .LBB78_161
.LBB78_166:                             ;   in Loop: Header=BB78_22 Depth=1
	s_or_b64 exec, exec, s[8:9]
	v_lshrrev_b16_e32 v29, 8, v6
	s_and_b64 s[8:9], s[16:17], exec
.LBB78_167:                             ;   in Loop: Header=BB78_22 Depth=1
	s_or_b64 exec, exec, s[2:3]
	s_mov_b64 s[20:21], -1
	s_mov_b64 s[18:19], 0
	s_mov_b64 s[16:17], 0
.LBB78_168:                             ;   in Loop: Header=BB78_22 Depth=1
	s_mov_b64 s[2:3], 0
                                        ; implicit-def: $sgpr46
	s_and_saveexec_b64 s[22:23], s[8:9]
	s_cbranch_execz .LBB78_275
; %bb.169:                              ;   in Loop: Header=BB78_22 Depth=1
	s_xor_b64 s[2:3], s[28:29], -1
	s_andn2_b64 vcc, exec, s[2:3]
	s_mov_b32 s46, 1
	s_cbranch_vccnz .LBB78_180
; %bb.170:                              ;   in Loop: Header=BB78_22 Depth=1
	v_pk_mov_b32 v[2:3], s[24:25], s[24:25] op_sel:[0,1]
	v_cmp_gt_u64_e32 vcc, s[94:95], v[2:3]
	s_mov_b64 s[2:3], -1
                                        ; implicit-def: $sgpr46
                                        ; implicit-def: $sgpr8
                                        ; implicit-def: $sgpr9
	s_cbranch_vccnz .LBB78_176
; %bb.171:                              ;   in Loop: Header=BB78_22 Depth=1
	ds_read_b64 v[2:3], v11 offset:5120
	s_waitcnt lgkmcnt(0)
	v_cmp_ne_u64_e32 vcc, 0, v[2:3]
	s_cbranch_vccnz .LBB78_175
; %bb.172:                              ;   in Loop: Header=BB78_22 Depth=1
	s_mov_b64 s[2:3], exec
	v_readlane_b32 s8, v38, 28
	v_readlane_b32 s9, v38, 29
	s_and_b64 s[8:9], s[2:3], s[8:9]
	s_mov_b64 exec, s[8:9]
	s_cbranch_execz .LBB78_174
; %bb.173:                              ;   in Loop: Header=BB78_22 Depth=1
	v_pk_mov_b32 v[2:3], s[24:25], s[24:25] op_sel:[0,1]
	ds_write_b64 v11, v[2:3] offset:5128
.LBB78_174:                             ;   in Loop: Header=BB78_22 Depth=1
	s_or_b64 exec, exec, s[2:3]
	s_waitcnt lgkmcnt(0)
	s_barrier
.LBB78_175:                             ;   in Loop: Header=BB78_22 Depth=1
	s_lshl_b32 s2, 1, s38
	s_and_b32 s3, s26, s39
	s_or_b32 s8, s3, s2
	s_or_b32 s9, s83, s27
	s_mov_b64 s[2:3], 0
	s_mov_b32 s46, 8
.LBB78_176:                             ;   in Loop: Header=BB78_22 Depth=1
	s_andn2_b64 vcc, exec, s[2:3]
	s_cbranch_vccnz .LBB78_178
; %bb.177:                              ;   in Loop: Header=BB78_22 Depth=1
	s_sub_u32 s94, s94, s24
	s_subb_u32 s95, s95, s25
	s_mov_b64 s[2:3], -1
	s_mov_b32 s46, 0
	s_mov_b32 s8, s26
	;; [unrolled: 1-line block ×3, first 2 shown]
.LBB78_178:                             ;   in Loop: Header=BB78_22 Depth=1
	s_mov_b32 s83, s9
	s_mov_b32 s26, s8
	s_andn2_b64 vcc, exec, s[2:3]
	s_mov_b64 s[2:3], -1
	s_cbranch_vccz .LBB78_181
.LBB78_179:                             ;   in Loop: Header=BB78_22 Depth=1
                                        ; implicit-def: $sgpr28_sgpr29
                                        ; implicit-def: $sgpr30_sgpr31
                                        ; implicit-def: $sgpr24_sgpr25
	s_branch .LBB78_274
.LBB78_180:                             ;   in Loop: Header=BB78_22 Depth=1
	s_mov_b64 s[94:95], 1
	s_mov_b64 s[2:3], -1
	s_cbranch_execnz .LBB78_179
.LBB78_181:                             ;   in Loop: Header=BB78_22 Depth=1
	s_cmp_eq_u64 s[14:15], 1
	s_cselect_b64 s[2:3], -1, 0
	s_cmp_eq_u64 s[94:95], 1
	s_cselect_b64 s[8:9], -1, 0
	s_and_b64 s[36:37], s[2:3], s[8:9]
	s_mov_b64 s[8:9], -1
	s_and_b64 vcc, exec, s[36:37]
	s_cbranch_vccz .LBB78_195
; %bb.182:                              ;   in Loop: Header=BB78_22 Depth=1
	ds_read_b64 v[2:3], v11 offset:5120
	s_waitcnt lgkmcnt(0)
	s_barrier
	v_readfirstlane_b32 s2, v2
	v_readfirstlane_b32 s3, v3
	s_mov_b64 s[8:9], exec
	v_readlane_b32 s24, v38, 38
	v_readlane_b32 s25, v38, 39
	s_and_b64 s[24:25], s[8:9], s[24:25]
	s_mov_b64 exec, s[24:25]
	s_cbranch_execz .LBB78_184
; %bb.183:                              ;   in Loop: Header=BB78_22 Depth=1
	ds_write_b8 v0, v1 offset:3072
.LBB78_184:                             ;   in Loop: Header=BB78_22 Depth=1
	s_or_b64 exec, exec, s[8:9]
	s_lshl_b32 s8, 2, s38
	s_and_b32 s9, s26, s39
	s_or_b32 s26, s9, s8
	s_or_b32 s83, s83, s27
	s_cmp_eq_u64 s[2:3], 0
	s_waitcnt lgkmcnt(0)
	s_barrier
	s_cbranch_scc1 .LBB78_198
; %bb.185:                              ;   in Loop: Header=BB78_22 Depth=1
	v_readlane_b32 s8, v38, 44
	s_add_u32 s28, s8, s2
	v_readlane_b32 s8, v38, 45
	s_addc_u32 s9, s8, s3
	s_mov_b32 s8, s93
	s_cmp_lg_u64 s[8:9], 0
	s_cbranch_scc0 .LBB78_241
; %bb.186:                              ;   in Loop: Header=BB78_22 Depth=1
	v_cvt_f32_u32_e32 v2, s33
	s_sub_u32 s8, 0, s33
	s_subb_u32 s24, 0, 0
	v_mac_f32_e32 v2, 0, v28
	v_rcp_f32_e32 v2, v2
	v_mul_f32_e32 v2, 0x5f7ffffc, v2
	v_mul_f32_e32 v3, 0x2f800000, v2
	v_trunc_f32_e32 v3, v3
	v_mac_f32_e32 v2, 0xcf800000, v3
	v_cvt_u32_f32_e32 v3, v3
	v_cvt_u32_f32_e32 v2, v2
	v_readfirstlane_b32 s25, v3
	v_readfirstlane_b32 s29, v2
	s_mul_i32 s30, s8, s25
	s_mul_hi_u32 s34, s8, s29
	s_mul_i32 s31, s24, s29
	s_add_i32 s30, s34, s30
	s_mul_i32 s35, s8, s29
	s_add_i32 s30, s30, s31
	s_mul_hi_u32 s34, s29, s35
	s_mul_hi_u32 s31, s29, s30
	s_mul_i32 s29, s29, s30
	s_add_u32 s29, s34, s29
	s_addc_u32 s31, 0, s31
	s_mul_hi_u32 s40, s25, s35
	s_mul_i32 s35, s25, s35
	s_add_u32 s29, s29, s35
	s_mul_hi_u32 s34, s25, s30
	s_addc_u32 s29, s31, s40
	s_addc_u32 s31, s34, 0
	s_mul_i32 s30, s25, s30
	s_add_u32 s29, s29, s30
	s_addc_u32 s30, 0, s31
	v_add_co_u32_e32 v2, vcc, s29, v2
	s_cmp_lg_u64 vcc, 0
	s_addc_u32 s25, s25, s30
	v_readfirstlane_b32 s30, v2
	s_mul_i32 s29, s8, s25
	s_mul_hi_u32 s31, s8, s30
	s_add_i32 s29, s31, s29
	s_mul_i32 s24, s24, s30
	s_add_i32 s29, s29, s24
	s_mul_i32 s8, s8, s30
	s_mul_hi_u32 s31, s25, s8
	s_mul_i32 s34, s25, s8
	s_mul_i32 s40, s30, s29
	s_mul_hi_u32 s8, s30, s8
	s_mul_hi_u32 s35, s30, s29
	s_add_u32 s8, s8, s40
	s_addc_u32 s30, 0, s35
	s_add_u32 s8, s8, s34
	s_mul_hi_u32 s24, s25, s29
	s_addc_u32 s8, s30, s31
	s_addc_u32 s24, s24, 0
	s_mul_i32 s29, s25, s29
	s_add_u32 s8, s8, s29
	s_addc_u32 s24, 0, s24
	v_add_co_u32_e32 v2, vcc, s8, v2
	s_cmp_lg_u64 vcc, 0
	s_addc_u32 s8, s25, s24
	v_readfirstlane_b32 s29, v2
	s_mul_i32 s25, s28, s8
	s_mul_hi_u32 s30, s28, s29
	s_mul_hi_u32 s24, s28, s8
	s_add_u32 s25, s30, s25
	s_addc_u32 s24, 0, s24
	s_mul_hi_u32 s31, s9, s29
	s_mul_i32 s29, s9, s29
	s_add_u32 s25, s25, s29
	s_mul_hi_u32 s30, s9, s8
	s_addc_u32 s24, s24, s31
	s_addc_u32 s25, s30, 0
	s_mul_i32 s8, s9, s8
	s_add_u32 s8, s24, s8
	s_addc_u32 s24, 0, s25
	s_mul_hi_u32 s25, s33, s8
	s_mul_i32 s8, s33, s8
	s_mul_i32 s24, s33, s24
	v_mov_b32_e32 v2, s8
	s_add_i32 s25, s25, s24
	v_sub_co_u32_e32 v2, vcc, s28, v2
	s_cmp_lg_u64 vcc, 0
	s_subb_u32 s8, s9, s25
	v_subrev_co_u32_e32 v3, vcc, s33, v2
	s_cmp_lg_u64 vcc, 0
	s_subb_u32 s24, s8, 0
	v_subrev_co_u32_e32 v4, vcc, s33, v3
	s_cmp_lg_u64 vcc, 0
	s_subb_u32 s25, s24, 0
	v_cmp_le_u32_e32 vcc, s33, v3
	s_cmp_eq_u32 s24, 0
	v_cndmask_b32_e64 v5, 0, -1, vcc
	s_cselect_b64 vcc, -1, 0
	v_cndmask_b32_e32 v5, -1, v5, vcc
	v_mov_b32_e32 v6, s24
	v_mov_b32_e32 v7, s25
	v_cmp_ne_u32_e32 vcc, 0, v5
	v_cndmask_b32_e32 v5, v6, v7, vcc
	v_cndmask_b32_e32 v4, v3, v4, vcc
	v_cmp_le_u32_e32 vcc, s33, v2
	s_cmp_eq_u32 s8, 0
	v_cndmask_b32_e64 v3, 0, -1, vcc
	s_cselect_b64 vcc, -1, 0
	v_cndmask_b32_e32 v3, -1, v3, vcc
	v_mov_b32_e32 v6, s8
	v_cmp_ne_u32_e32 vcc, 0, v3
	v_cndmask_b32_e32 v3, v6, v5, vcc
	v_cndmask_b32_e32 v2, v2, v4, vcc
	s_cbranch_execnz .LBB78_188
.LBB78_187:                             ;   in Loop: Header=BB78_22 Depth=1
	v_cvt_f32_u32_e32 v2, s33
	s_sub_i32 s8, 0, s33
	v_rcp_iflag_f32_e32 v2, v2
	v_mul_f32_e32 v2, 0x4f7ffffe, v2
	v_cvt_u32_f32_e32 v2, v2
	v_mul_lo_u32 v3, s8, v2
	v_mul_hi_u32 v3, v2, v3
	v_add_u32_e32 v2, v2, v3
	v_mul_hi_u32 v2, s28, v2
	v_mul_lo_u32 v2, v2, s33
	v_sub_u32_e32 v2, s28, v2
	v_subrev_u32_e32 v3, s33, v2
	v_cmp_le_u32_e32 vcc, s33, v2
	v_cndmask_b32_e32 v2, v2, v3, vcc
	v_subrev_u32_e32 v3, s33, v2
	v_cmp_le_u32_e32 vcc, s33, v2
	v_cndmask_b32_e32 v10, v2, v3, vcc
	v_pk_mov_b32 v[2:3], v[10:11], v[10:11] op_sel:[0,1]
.LBB78_188:                             ;   in Loop: Header=BB78_22 Depth=1
	v_mov_b32_e32 v4, s9
	v_sub_co_u32_e32 v2, vcc, s28, v2
	v_subb_co_u32_e32 v3, vcc, v4, v3, vcc
	v_cmp_gt_u64_e32 vcc, v[2:3], v[0:1]
	s_mov_b64 s[8:9], 0
                                        ; implicit-def: $vgpr29
	s_and_saveexec_b64 s[24:25], vcc
	s_cbranch_execz .LBB78_200
; %bb.189:                              ;   in Loop: Header=BB78_22 Depth=1
	v_mov_b32_e32 v6, v0
	v_pk_mov_b32 v[4:5], v[0:1], v[0:1] op_sel:[0,1]
                                        ; implicit-def: $sgpr28_sgpr29
	s_branch .LBB78_191
.LBB78_190:                             ;   in Loop: Header=BB78_191 Depth=2
	s_or_b64 exec, exec, s[30:31]
	s_waitcnt lgkmcnt(0)
	s_barrier
	ds_read_u16 v7, v11 offset:3072
	v_mov_b32_e32 v8, s55
	v_add_co_u32_e32 v4, vcc, s33, v4
	v_addc_co_u32_e32 v5, vcc, v5, v8, vcc
	s_waitcnt lgkmcnt(0)
	v_cmp_ne_u16_sdwa s[30:31], v7, v1 src0_sel:BYTE_0 src1_sel:DWORD
	v_cmp_ge_u64_e32 vcc, v[4:5], v[2:3]
	s_or_b64 s[34:35], vcc, s[30:31]
	s_and_b64 s[34:35], exec, s[34:35]
	s_or_b64 s[8:9], s[34:35], s[8:9]
	s_andn2_b64 s[28:29], s[28:29], exec
	s_and_b64 s[30:31], s[30:31], exec
	v_add_u32_e32 v6, s33, v6
	s_or_b64 s[28:29], s[28:29], s[30:31]
	s_barrier
	s_andn2_b64 exec, exec, s[8:9]
	s_cbranch_execz .LBB78_199
.LBB78_191:                             ;   Parent Loop BB78_22 Depth=1
                                        ; =>  This Inner Loop Header: Depth=2
	v_cmp_gt_u64_e32 vcc, s[2:3], v[4:5]
	v_mov_b32_e32 v7, 0
	s_and_saveexec_b64 s[30:31], vcc
	s_cbranch_execz .LBB78_193
; %bb.192:                              ;   in Loop: Header=BB78_191 Depth=2
	ds_read_u8 v7, v6
.LBB78_193:                             ;   in Loop: Header=BB78_191 Depth=2
	s_or_b64 exec, exec, s[30:31]
	s_waitcnt lgkmcnt(0)
	v_and_b32_e32 v8, s83, v7
	v_cmp_eq_u32_sdwa s[30:31], v8, s26 src0_sel:BYTE_0 src1_sel:DWORD
	s_and_b64 s[34:35], vcc, s[30:31]
	s_and_saveexec_b64 s[30:31], s[34:35]
	s_cbranch_execz .LBB78_190
; %bb.194:                              ;   in Loop: Header=BB78_191 Depth=2
	v_lshlrev_b16_e32 v7, 8, v7
	v_or_b32_e32 v7, 1, v7
	ds_write_b16 v11, v7 offset:3072
	s_branch .LBB78_190
.LBB78_195:                             ;   in Loop: Header=BB78_22 Depth=1
                                        ; implicit-def: $sgpr24_sgpr25
                                        ; implicit-def: $sgpr30_sgpr31
                                        ; implicit-def: $sgpr28_sgpr29
	s_branch .LBB78_213
.LBB78_196:                             ;   in Loop: Header=BB78_22 Depth=1
                                        ; implicit-def: $vgpr2_vgpr3
	s_branch .LBB78_139
.LBB78_197:                             ;   in Loop: Header=BB78_22 Depth=1
                                        ; implicit-def: $vgpr2_vgpr3
	s_branch .LBB78_158
.LBB78_198:                             ;   in Loop: Header=BB78_22 Depth=1
	s_mov_b64 s[24:25], -1
	s_mov_b64 s[8:9], 0
                                        ; implicit-def: $sgpr28_sgpr29
                                        ; implicit-def: $vgpr29
	s_mov_b64 s[30:31], s[24:25]
	s_cbranch_execnz .LBB78_201
	s_branch .LBB78_213
.LBB78_199:                             ;   in Loop: Header=BB78_22 Depth=1
	s_or_b64 exec, exec, s[8:9]
	v_lshrrev_b16_e32 v29, 8, v7
	s_and_b64 s[8:9], s[28:29], exec
.LBB78_200:                             ;   in Loop: Header=BB78_22 Depth=1
	s_or_b64 exec, exec, s[24:25]
	s_mov_b64 s[28:29], -1
	s_mov_b64 s[24:25], 0
	s_mov_b64 s[30:31], s[24:25]
	s_branch .LBB78_213
.LBB78_201:                             ;   in Loop: Header=BB78_22 Depth=1
	s_mov_b32 s64, s93
	s_cmp_lg_u64 s[64:65], 0
	s_cbranch_scc0 .LBB78_242
; %bb.202:                              ;   in Loop: Header=BB78_22 Depth=1
	v_cvt_f32_u32_e32 v2, s33
	s_sub_u32 s2, 0, s33
	s_subb_u32 s3, 0, 0
	v_mac_f32_e32 v2, 0, v28
	v_rcp_f32_e32 v2, v2
	v_mul_f32_e32 v2, 0x5f7ffffc, v2
	v_mul_f32_e32 v3, 0x2f800000, v2
	v_trunc_f32_e32 v3, v3
	v_mac_f32_e32 v2, 0xcf800000, v3
	v_cvt_u32_f32_e32 v3, v3
	v_cvt_u32_f32_e32 v2, v2
	v_readfirstlane_b32 s8, v3
	v_readfirstlane_b32 s9, v2
	s_mul_i32 s24, s2, s8
	s_mul_hi_u32 s28, s2, s9
	s_mul_i32 s25, s3, s9
	s_add_i32 s24, s28, s24
	s_mul_i32 s29, s2, s9
	s_add_i32 s24, s24, s25
	s_mul_hi_u32 s28, s9, s29
	s_mul_hi_u32 s25, s9, s24
	s_mul_i32 s9, s9, s24
	s_add_u32 s9, s28, s9
	s_addc_u32 s25, 0, s25
	s_mul_hi_u32 s30, s8, s29
	s_mul_i32 s29, s8, s29
	s_add_u32 s9, s9, s29
	s_mul_hi_u32 s28, s8, s24
	s_addc_u32 s9, s25, s30
	s_addc_u32 s25, s28, 0
	s_mul_i32 s24, s8, s24
	s_add_u32 s9, s9, s24
	s_addc_u32 s24, 0, s25
	v_add_co_u32_e32 v2, vcc, s9, v2
	s_cmp_lg_u64 vcc, 0
	s_addc_u32 s8, s8, s24
	v_readfirstlane_b32 s24, v2
	s_mul_i32 s9, s2, s8
	s_mul_hi_u32 s25, s2, s24
	s_add_i32 s9, s25, s9
	s_mul_i32 s3, s3, s24
	s_add_i32 s9, s9, s3
	s_mul_i32 s2, s2, s24
	s_mul_hi_u32 s25, s8, s2
	s_mul_i32 s28, s8, s2
	s_mul_i32 s30, s24, s9
	s_mul_hi_u32 s2, s24, s2
	s_mul_hi_u32 s29, s24, s9
	s_add_u32 s2, s2, s30
	s_addc_u32 s24, 0, s29
	s_add_u32 s2, s2, s28
	s_mul_hi_u32 s3, s8, s9
	s_addc_u32 s2, s24, s25
	s_addc_u32 s3, s3, 0
	s_mul_i32 s9, s8, s9
	s_add_u32 s2, s2, s9
	s_addc_u32 s3, 0, s3
	v_add_co_u32_e32 v2, vcc, s2, v2
	s_cmp_lg_u64 vcc, 0
	s_addc_u32 s2, s8, s3
	v_readfirstlane_b32 s9, v2
	s_mul_i32 s8, s54, s2
	s_mul_hi_u32 s24, s54, s9
	s_mul_hi_u32 s3, s54, s2
	s_add_u32 s8, s24, s8
	s_addc_u32 s3, 0, s3
	s_mul_hi_u32 s25, s65, s9
	s_mul_i32 s9, s65, s9
	s_add_u32 s8, s8, s9
	s_mul_hi_u32 s24, s65, s2
	s_addc_u32 s3, s3, s25
	s_addc_u32 s8, s24, 0
	s_mul_i32 s2, s65, s2
	s_add_u32 s2, s3, s2
	s_addc_u32 s3, 0, s8
	s_mul_hi_u32 s8, s33, s2
	s_mul_i32 s2, s33, s2
	s_mul_i32 s3, s33, s3
	v_mov_b32_e32 v2, s2
	s_add_i32 s8, s8, s3
	v_sub_co_u32_e32 v2, vcc, s54, v2
	s_cmp_lg_u64 vcc, 0
	s_subb_u32 s2, s65, s8
	v_subrev_co_u32_e32 v3, vcc, s33, v2
	s_cmp_lg_u64 vcc, 0
	s_subb_u32 s3, s2, 0
	v_subrev_co_u32_e32 v4, vcc, s33, v3
	s_cmp_lg_u64 vcc, 0
	s_subb_u32 s8, s3, 0
	v_cmp_le_u32_e32 vcc, s33, v3
	s_cmp_eq_u32 s3, 0
	v_cndmask_b32_e64 v5, 0, -1, vcc
	s_cselect_b64 vcc, -1, 0
	v_cndmask_b32_e32 v5, -1, v5, vcc
	v_mov_b32_e32 v6, s3
	v_mov_b32_e32 v7, s8
	v_cmp_ne_u32_e32 vcc, 0, v5
	v_cndmask_b32_e32 v5, v6, v7, vcc
	v_cndmask_b32_e32 v4, v3, v4, vcc
	v_cmp_le_u32_e32 vcc, s33, v2
	s_cmp_eq_u32 s2, 0
	v_cndmask_b32_e64 v3, 0, -1, vcc
	s_cselect_b64 vcc, -1, 0
	v_cndmask_b32_e32 v3, -1, v3, vcc
	v_mov_b32_e32 v6, s2
	v_cmp_ne_u32_e32 vcc, 0, v3
	v_cndmask_b32_e32 v3, v6, v5, vcc
	v_cndmask_b32_e32 v2, v2, v4, vcc
	s_cbranch_execnz .LBB78_204
.LBB78_203:                             ;   in Loop: Header=BB78_22 Depth=1
	v_cvt_f32_u32_e32 v2, s33
	s_sub_i32 s2, 0, s33
	v_rcp_iflag_f32_e32 v2, v2
	v_mul_f32_e32 v2, 0x4f7ffffe, v2
	v_cvt_u32_f32_e32 v2, v2
	v_mul_lo_u32 v3, s2, v2
	v_mul_hi_u32 v3, v2, v3
	v_add_u32_e32 v2, v2, v3
	v_mul_hi_u32 v2, s54, v2
	v_mul_lo_u32 v2, v2, s33
	v_sub_u32_e32 v2, s54, v2
	v_subrev_u32_e32 v3, s33, v2
	v_cmp_le_u32_e32 vcc, s33, v2
	v_cndmask_b32_e32 v2, v2, v3, vcc
	v_subrev_u32_e32 v3, s33, v2
	v_cmp_le_u32_e32 vcc, s33, v2
	v_cndmask_b32_e32 v10, v2, v3, vcc
	v_pk_mov_b32 v[2:3], v[10:11], v[10:11] op_sel:[0,1]
.LBB78_204:                             ;   in Loop: Header=BB78_22 Depth=1
	v_mov_b32_e32 v4, s65
	v_sub_co_u32_e32 v2, vcc, s54, v2
	v_subb_co_u32_e32 v3, vcc, v4, v3, vcc
	v_cmp_gt_u64_e32 vcc, v[2:3], v[0:1]
	s_mov_b64 s[8:9], 0
                                        ; implicit-def: $vgpr29
	s_and_saveexec_b64 s[2:3], vcc
	s_cbranch_execz .LBB78_212
; %bb.205:                              ;   in Loop: Header=BB78_22 Depth=1
	v_pk_mov_b32 v[4:5], v[0:1], v[0:1] op_sel:[0,1]
                                        ; implicit-def: $sgpr24_sgpr25
	s_branch .LBB78_207
.LBB78_206:                             ;   in Loop: Header=BB78_207 Depth=2
	s_or_b64 exec, exec, s[28:29]
	s_waitcnt lgkmcnt(0)
	s_barrier
	ds_read_u16 v6, v11 offset:3072
	v_mov_b32_e32 v7, s55
	v_add_co_u32_e32 v4, vcc, s33, v4
	v_addc_co_u32_e32 v5, vcc, v5, v7, vcc
	s_waitcnt lgkmcnt(0)
	v_cmp_ne_u16_sdwa s[28:29], v6, v1 src0_sel:BYTE_0 src1_sel:DWORD
	v_cmp_ge_u64_e32 vcc, v[4:5], v[2:3]
	s_or_b64 s[30:31], vcc, s[28:29]
	s_and_b64 s[30:31], exec, s[30:31]
	s_or_b64 s[8:9], s[30:31], s[8:9]
	s_andn2_b64 s[24:25], s[24:25], exec
	s_and_b64 s[28:29], s[28:29], exec
	s_or_b64 s[24:25], s[24:25], s[28:29]
	s_barrier
	s_andn2_b64 exec, exec, s[8:9]
	s_cbranch_execz .LBB78_211
.LBB78_207:                             ;   Parent Loop BB78_22 Depth=1
                                        ; =>  This Inner Loop Header: Depth=2
	v_cmp_gt_u64_e32 vcc, s[52:53], v[4:5]
	v_mov_b32_e32 v6, 0
	s_and_saveexec_b64 s[28:29], vcc
	s_cbranch_execz .LBB78_209
; %bb.208:                              ;   in Loop: Header=BB78_207 Depth=2
	v_pk_mov_b32 v[6:7], s[90:91], s[90:91] op_sel:[0,1]
	v_mad_u64_u32 v[6:7], s[30:31], v4, s80, v[6:7]
	v_mul_lo_u32 v8, v4, s81
	v_mul_lo_u32 v9, v5, s80
	v_add3_u32 v7, v9, v7, v8
	global_load_ubyte v6, v[6:7], off
.LBB78_209:                             ;   in Loop: Header=BB78_207 Depth=2
	s_or_b64 exec, exec, s[28:29]
	s_waitcnt vmcnt(0)
	v_and_b32_e32 v7, s83, v6
	v_cmp_eq_u32_sdwa s[28:29], v7, s26 src0_sel:BYTE_0 src1_sel:DWORD
	s_and_b64 s[30:31], vcc, s[28:29]
	s_and_saveexec_b64 s[28:29], s[30:31]
	s_cbranch_execz .LBB78_206
; %bb.210:                              ;   in Loop: Header=BB78_207 Depth=2
	v_lshlrev_b16_e32 v6, 8, v6
	v_or_b32_e32 v6, 1, v6
	ds_write_b16 v11, v6 offset:3072
	s_branch .LBB78_206
.LBB78_211:                             ;   in Loop: Header=BB78_22 Depth=1
	s_or_b64 exec, exec, s[8:9]
	v_lshrrev_b16_e32 v29, 8, v6
	s_and_b64 s[8:9], s[24:25], exec
.LBB78_212:                             ;   in Loop: Header=BB78_22 Depth=1
	s_or_b64 exec, exec, s[2:3]
	s_mov_b64 s[30:31], -1
	s_mov_b64 s[24:25], 0
	s_mov_b64 s[28:29], 0
.LBB78_213:                             ;   in Loop: Header=BB78_22 Depth=1
	s_mov_b64 s[2:3], 0
                                        ; implicit-def: $sgpr46
	s_and_saveexec_b64 s[34:35], s[8:9]
	s_cbranch_execz .LBB78_273
; %bb.214:                              ;   in Loop: Header=BB78_22 Depth=1
	s_xor_b64 s[2:3], s[36:37], -1
	s_andn2_b64 vcc, exec, s[2:3]
	s_mov_b32 s46, 1
	s_cbranch_vccnz .LBB78_225
; %bb.215:                              ;   in Loop: Header=BB78_22 Depth=1
	v_pk_mov_b32 v[2:3], s[14:15], s[14:15] op_sel:[0,1]
	v_cmp_gt_u64_e32 vcc, s[94:95], v[2:3]
	s_mov_b64 s[2:3], -1
                                        ; implicit-def: $sgpr46
                                        ; implicit-def: $sgpr8
                                        ; implicit-def: $sgpr9
	s_cbranch_vccnz .LBB78_221
; %bb.216:                              ;   in Loop: Header=BB78_22 Depth=1
	ds_read_b64 v[2:3], v11 offset:5120
	s_waitcnt lgkmcnt(0)
	v_cmp_ne_u64_e32 vcc, 0, v[2:3]
	s_cbranch_vccnz .LBB78_220
; %bb.217:                              ;   in Loop: Header=BB78_22 Depth=1
	s_mov_b64 s[2:3], exec
	v_readlane_b32 s8, v38, 28
	v_readlane_b32 s9, v38, 29
	s_and_b64 s[8:9], s[2:3], s[8:9]
	s_mov_b64 exec, s[8:9]
	s_cbranch_execz .LBB78_219
; %bb.218:                              ;   in Loop: Header=BB78_22 Depth=1
	v_pk_mov_b32 v[2:3], s[14:15], s[14:15] op_sel:[0,1]
	ds_write_b64 v11, v[2:3] offset:5128
.LBB78_219:                             ;   in Loop: Header=BB78_22 Depth=1
	s_or_b64 exec, exec, s[2:3]
	s_waitcnt lgkmcnt(0)
	s_barrier
.LBB78_220:                             ;   in Loop: Header=BB78_22 Depth=1
	s_lshl_b32 s2, 2, s38
	s_and_b32 s3, s26, s39
	s_or_b32 s8, s3, s2
	s_or_b32 s9, s83, s27
	s_mov_b64 s[2:3], 0
	s_mov_b32 s46, 8
.LBB78_221:                             ;   in Loop: Header=BB78_22 Depth=1
	s_andn2_b64 vcc, exec, s[2:3]
	s_cbranch_vccnz .LBB78_223
; %bb.222:                              ;   in Loop: Header=BB78_22 Depth=1
	s_sub_u32 s94, s94, s14
	s_subb_u32 s95, s95, s15
	s_mov_b64 s[2:3], -1
	s_mov_b32 s46, 0
	s_mov_b32 s8, s26
	;; [unrolled: 1-line block ×3, first 2 shown]
.LBB78_223:                             ;   in Loop: Header=BB78_22 Depth=1
	s_mov_b32 s83, s9
	s_mov_b32 s26, s8
	s_andn2_b64 vcc, exec, s[2:3]
	s_mov_b64 s[42:43], -1
	s_cbranch_vccz .LBB78_226
.LBB78_224:                             ;   in Loop: Header=BB78_22 Depth=1
                                        ; implicit-def: $sgpr2_sgpr3
                                        ; implicit-def: $sgpr36_sgpr37
                                        ; implicit-def: $sgpr8_sgpr9
	s_branch .LBB78_272
.LBB78_225:                             ;   in Loop: Header=BB78_22 Depth=1
	s_mov_b64 s[94:95], 1
	s_mov_b64 s[42:43], -1
	s_cbranch_execnz .LBB78_224
.LBB78_226:                             ;   in Loop: Header=BB78_22 Depth=1
	s_cmp_eq_u64 s[6:7], 1
	s_cselect_b64 s[2:3], -1, 0
	s_cmp_eq_u64 s[94:95], 1
	s_cselect_b64 s[8:9], -1, 0
	s_and_b64 s[14:15], s[2:3], s[8:9]
	s_mov_b64 s[38:39], -1
	s_and_b64 vcc, exec, s[14:15]
	s_cbranch_vccz .LBB78_240
; %bb.227:                              ;   in Loop: Header=BB78_22 Depth=1
	ds_read_b64 v[2:3], v11 offset:5120
	s_waitcnt lgkmcnt(0)
	s_barrier
	v_readfirstlane_b32 s2, v2
	v_readfirstlane_b32 s3, v3
	s_mov_b64 s[8:9], exec
	v_readlane_b32 s36, v38, 38
	v_readlane_b32 s37, v38, 39
	s_and_b64 s[36:37], s[8:9], s[36:37]
	s_mov_b64 exec, s[36:37]
	s_cbranch_execz .LBB78_229
; %bb.228:                              ;   in Loop: Header=BB78_22 Depth=1
	ds_write_b8 v0, v1 offset:3072
.LBB78_229:                             ;   in Loop: Header=BB78_22 Depth=1
	s_or_b64 exec, exec, s[8:9]
	s_or_b32 s26, s26, s27
	s_or_b32 s83, s83, s27
	s_cmp_eq_u64 s[2:3], 0
	s_waitcnt lgkmcnt(0)
	s_barrier
	s_cbranch_scc1 .LBB78_243
; %bb.230:                              ;   in Loop: Header=BB78_22 Depth=1
	v_readlane_b32 s8, v38, 44
	s_add_u32 s38, s8, s2
	v_readlane_b32 s8, v38, 45
	s_addc_u32 s9, s8, s3
	s_mov_b32 s8, s93
	s_cmp_lg_u64 s[8:9], 0
	s_cbranch_scc0 .LBB78_278
; %bb.231:                              ;   in Loop: Header=BB78_22 Depth=1
	v_cvt_f32_u32_e32 v2, s33
	s_sub_u32 s8, 0, s33
	s_subb_u32 s36, 0, 0
	v_mac_f32_e32 v2, 0, v28
	v_rcp_f32_e32 v2, v2
	v_mul_f32_e32 v2, 0x5f7ffffc, v2
	v_mul_f32_e32 v3, 0x2f800000, v2
	v_trunc_f32_e32 v3, v3
	v_mac_f32_e32 v2, 0xcf800000, v3
	v_cvt_u32_f32_e32 v3, v3
	v_cvt_u32_f32_e32 v2, v2
	v_readfirstlane_b32 s37, v3
	v_readfirstlane_b32 s39, v2
	s_mul_i32 s40, s8, s37
	s_mul_hi_u32 s42, s8, s39
	s_mul_i32 s41, s36, s39
	s_add_i32 s40, s42, s40
	s_mul_i32 s43, s8, s39
	s_add_i32 s40, s40, s41
	s_mul_hi_u32 s42, s39, s43
	s_mul_hi_u32 s41, s39, s40
	s_mul_i32 s39, s39, s40
	s_add_u32 s39, s42, s39
	s_addc_u32 s41, 0, s41
	s_mul_hi_u32 s44, s37, s43
	s_mul_i32 s43, s37, s43
	s_add_u32 s39, s39, s43
	s_mul_hi_u32 s42, s37, s40
	s_addc_u32 s39, s41, s44
	s_addc_u32 s41, s42, 0
	s_mul_i32 s40, s37, s40
	s_add_u32 s39, s39, s40
	s_addc_u32 s40, 0, s41
	v_add_co_u32_e32 v2, vcc, s39, v2
	s_cmp_lg_u64 vcc, 0
	s_addc_u32 s37, s37, s40
	v_readfirstlane_b32 s40, v2
	s_mul_i32 s39, s8, s37
	s_mul_hi_u32 s41, s8, s40
	s_add_i32 s39, s41, s39
	s_mul_i32 s36, s36, s40
	s_add_i32 s39, s39, s36
	s_mul_i32 s8, s8, s40
	s_mul_hi_u32 s41, s37, s8
	s_mul_i32 s42, s37, s8
	s_mul_i32 s44, s40, s39
	s_mul_hi_u32 s8, s40, s8
	s_mul_hi_u32 s43, s40, s39
	s_add_u32 s8, s8, s44
	s_addc_u32 s40, 0, s43
	s_add_u32 s8, s8, s42
	s_mul_hi_u32 s36, s37, s39
	s_addc_u32 s8, s40, s41
	s_addc_u32 s36, s36, 0
	s_mul_i32 s39, s37, s39
	s_add_u32 s8, s8, s39
	s_addc_u32 s36, 0, s36
	v_add_co_u32_e32 v2, vcc, s8, v2
	s_cmp_lg_u64 vcc, 0
	s_addc_u32 s8, s37, s36
	v_readfirstlane_b32 s39, v2
	s_mul_i32 s37, s38, s8
	s_mul_hi_u32 s40, s38, s39
	s_mul_hi_u32 s36, s38, s8
	s_add_u32 s37, s40, s37
	s_addc_u32 s36, 0, s36
	s_mul_hi_u32 s41, s9, s39
	s_mul_i32 s39, s9, s39
	s_add_u32 s37, s37, s39
	s_mul_hi_u32 s40, s9, s8
	s_addc_u32 s36, s36, s41
	s_addc_u32 s37, s40, 0
	s_mul_i32 s8, s9, s8
	s_add_u32 s8, s36, s8
	s_addc_u32 s36, 0, s37
	s_mul_hi_u32 s37, s33, s8
	s_mul_i32 s8, s33, s8
	s_mul_i32 s36, s33, s36
	v_mov_b32_e32 v2, s8
	s_add_i32 s37, s37, s36
	v_sub_co_u32_e32 v2, vcc, s38, v2
	s_cmp_lg_u64 vcc, 0
	s_subb_u32 s8, s9, s37
	v_subrev_co_u32_e32 v3, vcc, s33, v2
	s_cmp_lg_u64 vcc, 0
	s_subb_u32 s36, s8, 0
	v_subrev_co_u32_e32 v4, vcc, s33, v3
	s_cmp_lg_u64 vcc, 0
	s_subb_u32 s37, s36, 0
	v_cmp_le_u32_e32 vcc, s33, v3
	s_cmp_eq_u32 s36, 0
	v_cndmask_b32_e64 v5, 0, -1, vcc
	s_cselect_b64 vcc, -1, 0
	v_cndmask_b32_e32 v5, -1, v5, vcc
	v_mov_b32_e32 v6, s36
	v_mov_b32_e32 v7, s37
	v_cmp_ne_u32_e32 vcc, 0, v5
	v_cndmask_b32_e32 v5, v6, v7, vcc
	v_cndmask_b32_e32 v4, v3, v4, vcc
	v_cmp_le_u32_e32 vcc, s33, v2
	s_cmp_eq_u32 s8, 0
	v_cndmask_b32_e64 v3, 0, -1, vcc
	s_cselect_b64 vcc, -1, 0
	v_cndmask_b32_e32 v3, -1, v3, vcc
	v_mov_b32_e32 v6, s8
	v_cmp_ne_u32_e32 vcc, 0, v3
	v_cndmask_b32_e32 v3, v6, v5, vcc
	v_cndmask_b32_e32 v2, v2, v4, vcc
	s_cbranch_execnz .LBB78_233
.LBB78_232:                             ;   in Loop: Header=BB78_22 Depth=1
	v_cvt_f32_u32_e32 v2, s33
	s_sub_i32 s8, 0, s33
	v_rcp_iflag_f32_e32 v2, v2
	v_mul_f32_e32 v2, 0x4f7ffffe, v2
	v_cvt_u32_f32_e32 v2, v2
	v_mul_lo_u32 v3, s8, v2
	v_mul_hi_u32 v3, v2, v3
	v_add_u32_e32 v2, v2, v3
	v_mul_hi_u32 v2, s38, v2
	v_mul_lo_u32 v2, v2, s33
	v_sub_u32_e32 v2, s38, v2
	v_subrev_u32_e32 v3, s33, v2
	v_cmp_le_u32_e32 vcc, s33, v2
	v_cndmask_b32_e32 v2, v2, v3, vcc
	v_subrev_u32_e32 v3, s33, v2
	v_cmp_le_u32_e32 vcc, s33, v2
	v_cndmask_b32_e32 v10, v2, v3, vcc
	v_pk_mov_b32 v[2:3], v[10:11], v[10:11] op_sel:[0,1]
.LBB78_233:                             ;   in Loop: Header=BB78_22 Depth=1
	v_mov_b32_e32 v4, s9
	v_sub_co_u32_e32 v2, vcc, s38, v2
	v_subb_co_u32_e32 v3, vcc, v4, v3, vcc
	v_cmp_gt_u64_e32 vcc, v[2:3], v[0:1]
	s_mov_b64 s[38:39], 0
                                        ; implicit-def: $vgpr29
	s_and_saveexec_b64 s[8:9], vcc
	s_cbranch_execz .LBB78_245
; %bb.234:                              ;   in Loop: Header=BB78_22 Depth=1
	s_mov_b64 s[36:37], 0
	v_mov_b32_e32 v6, v0
	v_pk_mov_b32 v[4:5], v[0:1], v[0:1] op_sel:[0,1]
                                        ; implicit-def: $sgpr38_sgpr39
	s_branch .LBB78_236
.LBB78_235:                             ;   in Loop: Header=BB78_236 Depth=2
	s_or_b64 exec, exec, s[40:41]
	s_waitcnt lgkmcnt(0)
	s_barrier
	ds_read_u16 v7, v11 offset:3072
	v_mov_b32_e32 v8, s55
	v_add_co_u32_e32 v4, vcc, s33, v4
	v_addc_co_u32_e32 v5, vcc, v5, v8, vcc
	s_waitcnt lgkmcnt(0)
	v_cmp_ne_u16_sdwa s[40:41], v7, v1 src0_sel:BYTE_0 src1_sel:DWORD
	v_cmp_ge_u64_e32 vcc, v[4:5], v[2:3]
	s_or_b64 s[42:43], vcc, s[40:41]
	s_and_b64 s[42:43], exec, s[42:43]
	s_or_b64 s[36:37], s[42:43], s[36:37]
	s_andn2_b64 s[38:39], s[38:39], exec
	s_and_b64 s[40:41], s[40:41], exec
	v_add_u32_e32 v6, s33, v6
	s_or_b64 s[38:39], s[38:39], s[40:41]
	s_barrier
	s_andn2_b64 exec, exec, s[36:37]
	s_cbranch_execz .LBB78_244
.LBB78_236:                             ;   Parent Loop BB78_22 Depth=1
                                        ; =>  This Inner Loop Header: Depth=2
	v_cmp_gt_u64_e32 vcc, s[2:3], v[4:5]
	v_mov_b32_e32 v7, 0
	s_and_saveexec_b64 s[40:41], vcc
	s_cbranch_execz .LBB78_238
; %bb.237:                              ;   in Loop: Header=BB78_236 Depth=2
	ds_read_u8 v7, v6
.LBB78_238:                             ;   in Loop: Header=BB78_236 Depth=2
	s_or_b64 exec, exec, s[40:41]
	s_waitcnt lgkmcnt(0)
	v_and_b32_e32 v8, s83, v7
	v_cmp_eq_u32_sdwa s[40:41], v8, s26 src0_sel:BYTE_0 src1_sel:DWORD
	s_and_b64 s[42:43], vcc, s[40:41]
	s_and_saveexec_b64 s[40:41], s[42:43]
	s_cbranch_execz .LBB78_235
; %bb.239:                              ;   in Loop: Header=BB78_236 Depth=2
	v_lshlrev_b16_e32 v7, 8, v7
	v_or_b32_e32 v7, 1, v7
	ds_write_b16 v11, v7 offset:3072
	s_branch .LBB78_235
.LBB78_240:                             ;   in Loop: Header=BB78_22 Depth=1
                                        ; implicit-def: $sgpr2_sgpr3
                                        ; implicit-def: $sgpr36_sgpr37
                                        ; implicit-def: $sgpr8_sgpr9
	s_branch .LBB78_258
.LBB78_241:                             ;   in Loop: Header=BB78_22 Depth=1
                                        ; implicit-def: $vgpr2_vgpr3
	s_branch .LBB78_187
.LBB78_242:                             ;   in Loop: Header=BB78_22 Depth=1
                                        ; implicit-def: $vgpr2_vgpr3
	s_branch .LBB78_203
.LBB78_243:                             ;   in Loop: Header=BB78_22 Depth=1
	s_mov_b64 s[2:3], -1
	s_mov_b64 s[38:39], 0
                                        ; implicit-def: $sgpr8_sgpr9
                                        ; implicit-def: $vgpr29
	s_mov_b64 s[36:37], s[2:3]
	s_cbranch_execnz .LBB78_246
	s_branch .LBB78_258
.LBB78_244:                             ;   in Loop: Header=BB78_22 Depth=1
	s_or_b64 exec, exec, s[36:37]
	v_lshrrev_b16_e32 v29, 8, v7
	s_and_b64 s[38:39], s[38:39], exec
.LBB78_245:                             ;   in Loop: Header=BB78_22 Depth=1
	s_or_b64 exec, exec, s[8:9]
	s_mov_b64 s[8:9], -1
	s_mov_b64 s[2:3], 0
	s_mov_b64 s[36:37], s[2:3]
	s_branch .LBB78_258
.LBB78_246:                             ;   in Loop: Header=BB78_22 Depth=1
	s_mov_b32 s64, s93
	s_cmp_lg_u64 s[64:65], 0
	s_cbranch_scc0 .LBB78_279
; %bb.247:                              ;   in Loop: Header=BB78_22 Depth=1
	v_cvt_f32_u32_e32 v2, s33
	s_sub_u32 s2, 0, s33
	s_subb_u32 s3, 0, 0
	v_mac_f32_e32 v2, 0, v28
	v_rcp_f32_e32 v2, v2
	v_mul_f32_e32 v2, 0x5f7ffffc, v2
	v_mul_f32_e32 v3, 0x2f800000, v2
	v_trunc_f32_e32 v3, v3
	v_mac_f32_e32 v2, 0xcf800000, v3
	v_cvt_u32_f32_e32 v3, v3
	v_cvt_u32_f32_e32 v2, v2
	v_readfirstlane_b32 s8, v3
	v_readfirstlane_b32 s9, v2
	s_mul_i32 s36, s2, s8
	s_mul_hi_u32 s38, s2, s9
	s_mul_i32 s37, s3, s9
	s_add_i32 s36, s38, s36
	s_mul_i32 s39, s2, s9
	s_add_i32 s36, s36, s37
	s_mul_hi_u32 s38, s9, s39
	s_mul_hi_u32 s37, s9, s36
	s_mul_i32 s9, s9, s36
	s_add_u32 s9, s38, s9
	s_addc_u32 s37, 0, s37
	s_mul_hi_u32 s40, s8, s39
	s_mul_i32 s39, s8, s39
	s_add_u32 s9, s9, s39
	s_mul_hi_u32 s38, s8, s36
	s_addc_u32 s9, s37, s40
	s_addc_u32 s37, s38, 0
	s_mul_i32 s36, s8, s36
	s_add_u32 s9, s9, s36
	s_addc_u32 s36, 0, s37
	v_add_co_u32_e32 v2, vcc, s9, v2
	s_cmp_lg_u64 vcc, 0
	s_addc_u32 s8, s8, s36
	v_readfirstlane_b32 s36, v2
	s_mul_i32 s9, s2, s8
	s_mul_hi_u32 s37, s2, s36
	s_add_i32 s9, s37, s9
	s_mul_i32 s3, s3, s36
	s_add_i32 s9, s9, s3
	s_mul_i32 s2, s2, s36
	s_mul_hi_u32 s37, s8, s2
	s_mul_i32 s38, s8, s2
	s_mul_i32 s40, s36, s9
	s_mul_hi_u32 s2, s36, s2
	s_mul_hi_u32 s39, s36, s9
	s_add_u32 s2, s2, s40
	s_addc_u32 s36, 0, s39
	s_add_u32 s2, s2, s38
	s_mul_hi_u32 s3, s8, s9
	s_addc_u32 s2, s36, s37
	s_addc_u32 s3, s3, 0
	s_mul_i32 s9, s8, s9
	s_add_u32 s2, s2, s9
	s_addc_u32 s3, 0, s3
	v_add_co_u32_e32 v2, vcc, s2, v2
	s_cmp_lg_u64 vcc, 0
	s_addc_u32 s2, s8, s3
	v_readfirstlane_b32 s9, v2
	s_mul_i32 s8, s54, s2
	s_mul_hi_u32 s36, s54, s9
	s_mul_hi_u32 s3, s54, s2
	s_add_u32 s8, s36, s8
	s_addc_u32 s3, 0, s3
	s_mul_hi_u32 s37, s65, s9
	s_mul_i32 s9, s65, s9
	s_add_u32 s8, s8, s9
	s_mul_hi_u32 s36, s65, s2
	s_addc_u32 s3, s3, s37
	s_addc_u32 s8, s36, 0
	s_mul_i32 s2, s65, s2
	s_add_u32 s2, s3, s2
	s_addc_u32 s3, 0, s8
	s_mul_hi_u32 s8, s33, s2
	s_mul_i32 s2, s33, s2
	s_mul_i32 s3, s33, s3
	v_mov_b32_e32 v2, s2
	s_add_i32 s8, s8, s3
	v_sub_co_u32_e32 v2, vcc, s54, v2
	s_cmp_lg_u64 vcc, 0
	s_subb_u32 s2, s65, s8
	v_subrev_co_u32_e32 v3, vcc, s33, v2
	s_cmp_lg_u64 vcc, 0
	s_subb_u32 s3, s2, 0
	v_subrev_co_u32_e32 v4, vcc, s33, v3
	s_cmp_lg_u64 vcc, 0
	s_subb_u32 s8, s3, 0
	v_cmp_le_u32_e32 vcc, s33, v3
	s_cmp_eq_u32 s3, 0
	v_cndmask_b32_e64 v5, 0, -1, vcc
	s_cselect_b64 vcc, -1, 0
	v_cndmask_b32_e32 v5, -1, v5, vcc
	v_mov_b32_e32 v6, s3
	v_mov_b32_e32 v7, s8
	v_cmp_ne_u32_e32 vcc, 0, v5
	v_cndmask_b32_e32 v5, v6, v7, vcc
	v_cndmask_b32_e32 v4, v3, v4, vcc
	v_cmp_le_u32_e32 vcc, s33, v2
	s_cmp_eq_u32 s2, 0
	v_cndmask_b32_e64 v3, 0, -1, vcc
	s_cselect_b64 vcc, -1, 0
	v_cndmask_b32_e32 v3, -1, v3, vcc
	v_mov_b32_e32 v6, s2
	v_cmp_ne_u32_e32 vcc, 0, v3
	v_cndmask_b32_e32 v3, v6, v5, vcc
	v_cndmask_b32_e32 v2, v2, v4, vcc
	s_cbranch_execnz .LBB78_249
.LBB78_248:                             ;   in Loop: Header=BB78_22 Depth=1
	v_cvt_f32_u32_e32 v2, s33
	s_sub_i32 s2, 0, s33
	v_rcp_iflag_f32_e32 v2, v2
	v_mul_f32_e32 v2, 0x4f7ffffe, v2
	v_cvt_u32_f32_e32 v2, v2
	v_mul_lo_u32 v3, s2, v2
	v_mul_hi_u32 v3, v2, v3
	v_add_u32_e32 v2, v2, v3
	v_mul_hi_u32 v2, s54, v2
	v_mul_lo_u32 v2, v2, s33
	v_sub_u32_e32 v2, s54, v2
	v_subrev_u32_e32 v3, s33, v2
	v_cmp_le_u32_e32 vcc, s33, v2
	v_cndmask_b32_e32 v2, v2, v3, vcc
	v_subrev_u32_e32 v3, s33, v2
	v_cmp_le_u32_e32 vcc, s33, v2
	v_cndmask_b32_e32 v10, v2, v3, vcc
	v_pk_mov_b32 v[2:3], v[10:11], v[10:11] op_sel:[0,1]
.LBB78_249:                             ;   in Loop: Header=BB78_22 Depth=1
	v_mov_b32_e32 v4, s65
	v_sub_co_u32_e32 v2, vcc, s54, v2
	v_subb_co_u32_e32 v3, vcc, v4, v3, vcc
	v_cmp_gt_u64_e32 vcc, v[2:3], v[0:1]
	s_mov_b64 s[38:39], 0
                                        ; implicit-def: $vgpr29
	s_and_saveexec_b64 s[2:3], vcc
	s_cbranch_execz .LBB78_257
; %bb.250:                              ;   in Loop: Header=BB78_22 Depth=1
	s_mov_b64 s[8:9], 0
	v_pk_mov_b32 v[4:5], v[0:1], v[0:1] op_sel:[0,1]
                                        ; implicit-def: $sgpr36_sgpr37
	s_branch .LBB78_252
.LBB78_251:                             ;   in Loop: Header=BB78_252 Depth=2
	s_or_b64 exec, exec, s[38:39]
	s_waitcnt lgkmcnt(0)
	s_barrier
	ds_read_u16 v6, v11 offset:3072
	v_mov_b32_e32 v7, s55
	v_add_co_u32_e32 v4, vcc, s33, v4
	v_addc_co_u32_e32 v5, vcc, v5, v7, vcc
	s_waitcnt lgkmcnt(0)
	v_cmp_ne_u16_sdwa s[38:39], v6, v1 src0_sel:BYTE_0 src1_sel:DWORD
	v_cmp_ge_u64_e32 vcc, v[4:5], v[2:3]
	s_or_b64 s[40:41], vcc, s[38:39]
	s_and_b64 s[40:41], exec, s[40:41]
	s_or_b64 s[8:9], s[40:41], s[8:9]
	s_andn2_b64 s[36:37], s[36:37], exec
	s_and_b64 s[38:39], s[38:39], exec
	s_or_b64 s[36:37], s[36:37], s[38:39]
	s_barrier
	s_andn2_b64 exec, exec, s[8:9]
	s_cbranch_execz .LBB78_256
.LBB78_252:                             ;   Parent Loop BB78_22 Depth=1
                                        ; =>  This Inner Loop Header: Depth=2
	v_cmp_gt_u64_e32 vcc, s[52:53], v[4:5]
	v_mov_b32_e32 v6, 0
	s_and_saveexec_b64 s[38:39], vcc
	s_cbranch_execz .LBB78_254
; %bb.253:                              ;   in Loop: Header=BB78_252 Depth=2
	v_pk_mov_b32 v[6:7], s[90:91], s[90:91] op_sel:[0,1]
	v_mad_u64_u32 v[6:7], s[40:41], v4, s80, v[6:7]
	v_mul_lo_u32 v8, v4, s81
	v_mul_lo_u32 v9, v5, s80
	v_add3_u32 v7, v9, v7, v8
	global_load_ubyte v6, v[6:7], off
.LBB78_254:                             ;   in Loop: Header=BB78_252 Depth=2
	s_or_b64 exec, exec, s[38:39]
	s_waitcnt vmcnt(0)
	v_and_b32_e32 v7, s83, v6
	v_cmp_eq_u32_sdwa s[38:39], v7, s26 src0_sel:BYTE_0 src1_sel:DWORD
	s_and_b64 s[40:41], vcc, s[38:39]
	s_and_saveexec_b64 s[38:39], s[40:41]
	s_cbranch_execz .LBB78_251
; %bb.255:                              ;   in Loop: Header=BB78_252 Depth=2
	v_lshlrev_b16_e32 v6, 8, v6
	v_or_b32_e32 v6, 1, v6
	ds_write_b16 v11, v6 offset:3072
	s_branch .LBB78_251
.LBB78_256:                             ;   in Loop: Header=BB78_22 Depth=1
	s_or_b64 exec, exec, s[8:9]
	v_lshrrev_b16_e32 v29, 8, v6
	s_and_b64 s[38:39], s[36:37], exec
.LBB78_257:                             ;   in Loop: Header=BB78_22 Depth=1
	s_or_b64 exec, exec, s[2:3]
	s_mov_b64 s[36:37], -1
	s_mov_b64 s[2:3], 0
	s_mov_b64 s[8:9], 0
.LBB78_258:                             ;   in Loop: Header=BB78_22 Depth=1
	s_mov_b64 s[42:43], 0
                                        ; implicit-def: $sgpr46
                                        ; implicit-def: $sgpr44_sgpr45
	s_and_saveexec_b64 s[40:41], s[38:39]
	s_cbranch_execz .LBB78_271
; %bb.259:                              ;   in Loop: Header=BB78_22 Depth=1
	s_xor_b64 s[14:15], s[14:15], -1
	s_mov_b64 s[44:45], 1
	s_andn2_b64 vcc, exec, s[14:15]
	s_mov_b32 s46, 1
	s_cbranch_vccnz .LBB78_270
; %bb.260:                              ;   in Loop: Header=BB78_22 Depth=1
	v_pk_mov_b32 v[2:3], s[6:7], s[6:7] op_sel:[0,1]
	v_cmp_gt_u64_e32 vcc, s[94:95], v[2:3]
	s_cbranch_vccnz .LBB78_266
; %bb.261:                              ;   in Loop: Header=BB78_22 Depth=1
	ds_read_b64 v[2:3], v11 offset:5120
	s_waitcnt lgkmcnt(0)
	v_cmp_ne_u64_e32 vcc, 0, v[2:3]
	s_cbranch_vccnz .LBB78_265
; %bb.262:                              ;   in Loop: Header=BB78_22 Depth=1
	s_mov_b64 s[14:15], exec
	v_readlane_b32 s38, v38, 28
	v_readlane_b32 s39, v38, 29
	s_and_b64 s[38:39], s[14:15], s[38:39]
	s_mov_b64 exec, s[38:39]
	s_cbranch_execz .LBB78_264
; %bb.263:                              ;   in Loop: Header=BB78_22 Depth=1
	v_pk_mov_b32 v[2:3], s[6:7], s[6:7] op_sel:[0,1]
	ds_write_b64 v11, v[2:3] offset:5128
.LBB78_264:                             ;   in Loop: Header=BB78_22 Depth=1
	s_or_b64 exec, exec, s[14:15]
	s_waitcnt lgkmcnt(0)
	s_barrier
.LBB78_265:                             ;   in Loop: Header=BB78_22 Depth=1
	s_or_b32 s38, s26, s27
	s_or_b32 s27, s83, s27
	s_mov_b64 s[14:15], 0
	s_mov_b32 s46, 8
	s_branch .LBB78_267
.LBB78_266:                             ;   in Loop: Header=BB78_22 Depth=1
	s_mov_b64 s[14:15], -1
                                        ; implicit-def: $sgpr46
                                        ; implicit-def: $sgpr38
                                        ; implicit-def: $sgpr27
.LBB78_267:                             ;   in Loop: Header=BB78_22 Depth=1
	s_andn2_b64 vcc, exec, s[14:15]
	s_cbranch_vccnz .LBB78_269
; %bb.268:                              ;   in Loop: Header=BB78_22 Depth=1
	s_sub_u32 s94, s94, s6
	s_subb_u32 s95, s95, s7
	s_mov_b32 s46, 8
	s_mov_b32 s38, s26
	;; [unrolled: 1-line block ×3, first 2 shown]
.LBB78_269:                             ;   in Loop: Header=BB78_22 Depth=1
	s_mov_b64 s[44:45], s[94:95]
	s_mov_b32 s26, s38
	s_mov_b32 s83, s27
.LBB78_270:                             ;   in Loop: Header=BB78_22 Depth=1
	s_mov_b64 s[42:43], exec
.LBB78_271:                             ;   in Loop: Header=BB78_22 Depth=1
	s_or_b64 exec, exec, s[40:41]
	s_mov_b64 s[94:95], s[44:45]
.LBB78_272:                             ;   in Loop: Header=BB78_22 Depth=1
	s_andn2_b64 s[6:7], s[24:25], exec
	s_and_b64 s[2:3], s[2:3], exec
	s_or_b64 s[24:25], s[6:7], s[2:3]
	s_andn2_b64 s[2:3], s[30:31], exec
	s_and_b64 s[6:7], s[36:37], exec
	s_or_b64 s[30:31], s[2:3], s[6:7]
	;; [unrolled: 3-line block ×3, first 2 shown]
	s_and_b64 s[2:3], s[42:43], exec
.LBB78_273:                             ;   in Loop: Header=BB78_22 Depth=1
	s_or_b64 exec, exec, s[34:35]
.LBB78_274:                             ;   in Loop: Header=BB78_22 Depth=1
	s_andn2_b64 s[6:7], s[18:19], exec
	s_and_b64 s[8:9], s[24:25], exec
	s_or_b64 s[18:19], s[6:7], s[8:9]
	s_andn2_b64 s[6:7], s[20:21], exec
	s_and_b64 s[8:9], s[30:31], exec
	s_or_b64 s[20:21], s[6:7], s[8:9]
	;; [unrolled: 3-line block ×3, first 2 shown]
	s_and_b64 s[2:3], s[2:3], exec
.LBB78_275:                             ;   in Loop: Header=BB78_22 Depth=1
	s_or_b64 exec, exec, s[22:23]
	s_and_saveexec_b64 s[6:7], s[2:3]
	s_xor_b64 s[2:3], exec, s[6:7]
	s_cbranch_execz .LBB78_20
.LBB78_276:                             ;   in Loop: Header=BB78_22 Depth=1
	s_and_b32 s6, s46, -9
	s_cmp_eq_u32 s6, 0
	s_cbranch_scc1 .LBB78_18
; %bb.277:                              ;   in Loop: Header=BB78_22 Depth=1
	s_mov_b64 s[6:7], -1
                                        ; implicit-def: $sgpr83
                                        ; implicit-def: $sgpr94_sgpr95
                                        ; implicit-def: $sgpr1
                                        ; implicit-def: $sgpr82
	s_mov_b64 s[8:9], -1
	s_branch .LBB78_19
.LBB78_278:                             ;   in Loop: Header=BB78_22 Depth=1
                                        ; implicit-def: $vgpr2_vgpr3
	s_branch .LBB78_232
.LBB78_279:                             ;   in Loop: Header=BB78_22 Depth=1
                                        ; implicit-def: $vgpr2_vgpr3
	s_branch .LBB78_248
.LBB78_280:
	s_or_b64 exec, exec, s[68:69]
	s_xor_b64 s[6:7], s[70:71], -1
	s_xor_b64 s[0:1], s[74:75], -1
	;; [unrolled: 1-line block ×3, first 2 shown]
	s_mov_b64 s[2:3], 0
	s_and_saveexec_b64 s[8:9], s[0:1]
	s_xor_b64 s[0:1], exec, s[8:9]
	s_cbranch_execnz .LBB78_285
; %bb.281:
	s_andn2_saveexec_b64 s[0:1], s[0:1]
	s_cbranch_execnz .LBB78_298
.LBB78_282:
	s_or_b64 exec, exec, s[0:1]
	s_and_saveexec_b64 s[0:1], s[2:3]
.LBB78_283:
	; divergent unreachable
.LBB78_284:
	s_endpgm
.LBB78_285:
	s_and_saveexec_b64 s[2:3], s[6:7]
	s_xor_b64 s[2:3], exec, s[2:3]
	s_cbranch_execz .LBB78_296
; %bb.286:
	s_and_saveexec_b64 s[6:7], s[4:5]
	s_xor_b64 s[4:5], exec, s[6:7]
; %bb.287:
	v_mov_b32_e32 v29, v2
; %bb.288:
	s_or_b64 exec, exec, s[4:5]
	v_readlane_b32 s8, v38, 8
	v_readlane_b32 s4, v38, 0
	;; [unrolled: 1-line block ×4, first 2 shown]
	s_mov_b32 s14, s4
	s_mul_i32 s4, s4, s9
	s_mul_hi_u32 s5, s14, s8
	s_add_i32 s5, s5, s4
	s_mul_i32 s4, s14, s8
	v_readlane_b32 s12, v38, 2
	v_readlane_b32 s16, v38, 24
	;; [unrolled: 1-line block ×3, first 2 shown]
	s_sub_u32 s4, s12, s4
	v_readlane_b32 s18, v38, 26
	v_readlane_b32 s19, v38, 27
	s_subb_u32 s5, s13, s5
	s_mul_i32 s6, s4, s19
	s_mul_hi_u32 s7, s4, s18
	v_readlane_b32 s10, v38, 10
	v_readlane_b32 s11, v38, 11
	;; [unrolled: 1-line block ×3, first 2 shown]
	s_add_i32 s6, s7, s6
	s_mul_i32 s5, s5, s18
	s_add_i32 s6, s6, s5
	s_mul_i32 s5, s14, s17
	s_mul_hi_u32 s7, s14, s16
	s_mul_i32 s8, s12, s11
	s_mul_hi_u32 s9, s12, s10
	s_mul_i32 s4, s4, s18
	s_add_i32 s7, s7, s5
	s_add_i32 s9, s9, s8
	s_mul_i32 s8, s12, s10
	v_readlane_b32 s18, v38, 34
	v_readlane_b32 s12, v38, 22
	s_sub_u32 s8, s18, s8
	v_readlane_b32 s13, v38, 23
	s_subb_u32 s9, 0, s9
	s_mul_i32 s10, s8, s13
	s_mul_hi_u32 s11, s8, s12
	s_add_i32 s10, s11, s10
	s_mul_i32 s9, s9, s12
	s_mul_i32 s5, s14, s16
	s_add_i32 s10, s10, s9
	s_mul_i32 s8, s8, s12
	v_readlane_b32 s12, v38, 32
	v_readlane_b32 s13, v38, 33
	s_add_u32 s5, s12, s5
	s_addc_u32 s7, s13, s7
	s_add_u32 s4, s5, s4
	s_addc_u32 s5, s7, s6
	;; [unrolled: 2-line block ×3, first 2 shown]
	v_mov_b32_e32 v2, 0
	v_readlane_b32 s19, v38, 35
	global_store_byte v2, v29, s[4:5]
	s_mov_b64 s[4:5], exec
	v_readlane_b32 s6, v38, 36
	v_readlane_b32 s7, v38, 37
	s_and_b64 s[6:7], s[4:5], s[6:7]
	s_mov_b64 exec, s[6:7]
	s_cbranch_execz .LBB78_295
; %bb.289:
	s_mov_b64 s[6:7], 0
	v_pk_mov_b32 v[4:5], s[90:91], s[90:91] op_sel:[0,1]
                                        ; implicit-def: $sgpr8_sgpr9
                                        ; implicit-def: $sgpr12_sgpr13
                                        ; implicit-def: $sgpr10_sgpr11
	s_branch .LBB78_291
.LBB78_290:                             ;   in Loop: Header=BB78_291 Depth=1
	s_or_b64 exec, exec, s[14:15]
	s_and_b64 s[14:15], exec, s[12:13]
	s_or_b64 s[6:7], s[14:15], s[6:7]
	s_andn2_b64 s[8:9], s[8:9], exec
	s_and_b64 s[14:15], s[10:11], exec
	s_or_b64 s[8:9], s[8:9], s[14:15]
	s_andn2_b64 exec, exec, s[6:7]
	s_cbranch_execz .LBB78_293
.LBB78_291:                             ; =>This Inner Loop Header: Depth=1
	v_pk_mov_b32 v[2:3], v[0:1], v[0:1] op_sel:[0,1]
	v_mad_u64_u32 v[0:1], s[14:15], v2, s80, v[4:5]
	v_mul_lo_u32 v6, v2, s81
	v_mul_lo_u32 v7, v3, s80
	v_add3_u32 v1, v7, v1, v6
	global_load_ubyte v0, v[0:1], off
	s_or_b64 s[10:11], s[10:11], exec
	s_or_b64 s[12:13], s[12:13], exec
	s_waitcnt vmcnt(0)
	v_cmp_ne_u16_sdwa s[16:17], v0, v29 src0_sel:DWORD src1_sel:BYTE_0
                                        ; implicit-def: $vgpr0_vgpr1
	s_and_saveexec_b64 s[14:15], s[16:17]
	s_cbranch_execz .LBB78_290
; %bb.292:                              ;   in Loop: Header=BB78_291 Depth=1
	v_mov_b32_e32 v1, s55
	v_add_co_u32_e32 v0, vcc, s33, v2
	v_addc_co_u32_e32 v1, vcc, v3, v1, vcc
	v_cmp_le_u64_e32 vcc, s[52:53], v[0:1]
	s_andn2_b64 s[12:13], s[12:13], exec
	s_and_b64 s[16:17], vcc, exec
	s_andn2_b64 s[10:11], s[10:11], exec
	s_or_b64 s[12:13], s[12:13], s[16:17]
	s_branch .LBB78_290
.LBB78_293:
	s_or_b64 exec, exec, s[6:7]
	s_and_saveexec_b64 s[6:7], s[8:9]
	s_xor_b64 s[6:7], exec, s[6:7]
	s_cbranch_execz .LBB78_295
; %bb.294:
	v_readlane_b32 s12, v38, 4
	v_readlane_b32 s6, v38, 14
	;; [unrolled: 1-line block ×4, first 2 shown]
	s_mov_b32 s10, s6
	s_mul_i32 s6, s6, s13
	s_mul_hi_u32 s7, s10, s12
	s_add_i32 s7, s7, s6
	s_mul_i32 s6, s10, s12
	v_readlane_b32 s12, v38, 12
	v_readlane_b32 s20, v38, 18
	v_readlane_b32 s13, v38, 13
	s_sub_u32 s6, s12, s6
	v_readlane_b32 s22, v38, 20
	v_readlane_b32 s23, v38, 21
	s_subb_u32 s7, s13, s7
	s_mul_i32 s8, s6, s23
	s_mul_hi_u32 s9, s6, s22
	v_readlane_b32 s21, v38, 19
	s_add_i32 s8, s9, s8
	s_mul_i32 s7, s7, s22
	v_readlane_b32 s14, v38, 6
	v_readlane_b32 s15, v38, 7
	s_add_i32 s7, s8, s7
	s_mul_i32 s8, s10, s21
	s_mul_hi_u32 s9, s10, s20
	s_add_i32 s9, s9, s8
	s_mul_i32 s8, s10, s20
	s_mul_i32 s10, s12, s15
	s_mul_hi_u32 s11, s12, s14
	s_add_i32 s11, s11, s10
	s_mul_i32 s10, s12, s14
	v_readlane_b32 s14, v38, 16
	s_sub_u32 s10, s18, s10
	v_readlane_b32 s15, v38, 17
	s_subb_u32 s11, 0, s11
	s_mul_i32 s12, s10, s15
	s_mul_hi_u32 s13, s10, s14
	s_add_i32 s12, s13, s12
	s_mul_i32 s11, s11, s14
	s_add_i32 s11, s12, s11
	s_lshl_b64 s[8:9], s[8:9], 3
	v_readlane_b32 s12, v38, 30
	s_mul_i32 s6, s6, s22
	v_readlane_b32 s13, v38, 31
	s_add_u32 s8, s12, s8
	s_addc_u32 s9, s13, s9
	s_lshl_b64 s[6:7], s[6:7], 3
	s_mul_i32 s10, s10, s14
	s_add_u32 s8, s8, s6
	s_addc_u32 s9, s9, s7
	s_lshl_b64 s[6:7], s[10:11], 3
	s_add_u32 s6, s8, s6
	s_addc_u32 s7, s9, s7
	v_mov_b32_e32 v0, 0
	global_store_dwordx2 v0, v[2:3], s[6:7]
.LBB78_295:
	s_or_b64 exec, exec, s[4:5]
.LBB78_296:
	s_or_saveexec_b64 s[2:3], s[2:3]
	s_mov_b64 s[4:5], 0
	s_xor_b64 exec, exec, s[2:3]
	s_cbranch_execnz .LBB78_299
.LBB78_297:
	s_or_b64 exec, exec, s[2:3]
	s_and_b64 s[2:3], s[4:5], exec
	s_andn2_saveexec_b64 s[0:1], s[0:1]
	s_cbranch_execz .LBB78_282
.LBB78_298:
	s_or_b64 s[2:3], s[2:3], exec
	s_trap 2
	s_or_b64 exec, exec, s[0:1]
	s_and_saveexec_b64 s[0:1], s[2:3]
	s_cbranch_execnz .LBB78_283
	s_branch .LBB78_284
.LBB78_299:
	s_mov_b64 s[4:5], exec
	s_trap 2
	s_branch .LBB78_297
	.section	.rodata,"a",@progbits
	.p2align	6, 0x0
	.amdhsa_kernel _ZN2at6native12_GLOBAL__N_112gatherMedianIhmLi3EEEvNS_4cuda6detail10TensorInfoIT_T0_EENS5_IlS7_EENS5_IKS6_S7_EES7_S7_S7_b
		.amdhsa_group_segment_fixed_size 5152
		.amdhsa_private_segment_fixed_size 0
		.amdhsa_kernarg_size 1536
		.amdhsa_user_sgpr_count 6
		.amdhsa_user_sgpr_private_segment_buffer 1
		.amdhsa_user_sgpr_dispatch_ptr 0
		.amdhsa_user_sgpr_queue_ptr 0
		.amdhsa_user_sgpr_kernarg_segment_ptr 1
		.amdhsa_user_sgpr_dispatch_id 0
		.amdhsa_user_sgpr_flat_scratch_init 0
		.amdhsa_user_sgpr_kernarg_preload_length 0
		.amdhsa_user_sgpr_kernarg_preload_offset 0
		.amdhsa_user_sgpr_private_segment_size 0
		.amdhsa_uses_dynamic_stack 0
		.amdhsa_system_sgpr_private_segment_wavefront_offset 0
		.amdhsa_system_sgpr_workgroup_id_x 1
		.amdhsa_system_sgpr_workgroup_id_y 1
		.amdhsa_system_sgpr_workgroup_id_z 1
		.amdhsa_system_sgpr_workgroup_info 0
		.amdhsa_system_vgpr_workitem_id 0
		.amdhsa_next_free_vgpr 39
		.amdhsa_next_free_sgpr 96
		.amdhsa_accum_offset 40
		.amdhsa_reserve_vcc 1
		.amdhsa_reserve_flat_scratch 0
		.amdhsa_float_round_mode_32 0
		.amdhsa_float_round_mode_16_64 0
		.amdhsa_float_denorm_mode_32 3
		.amdhsa_float_denorm_mode_16_64 3
		.amdhsa_dx10_clamp 1
		.amdhsa_ieee_mode 1
		.amdhsa_fp16_overflow 0
		.amdhsa_tg_split 0
		.amdhsa_exception_fp_ieee_invalid_op 0
		.amdhsa_exception_fp_denorm_src 0
		.amdhsa_exception_fp_ieee_div_zero 0
		.amdhsa_exception_fp_ieee_overflow 0
		.amdhsa_exception_fp_ieee_underflow 0
		.amdhsa_exception_fp_ieee_inexact 0
		.amdhsa_exception_int_div_zero 0
	.end_amdhsa_kernel
	.section	.text._ZN2at6native12_GLOBAL__N_112gatherMedianIhmLi3EEEvNS_4cuda6detail10TensorInfoIT_T0_EENS5_IlS7_EENS5_IKS6_S7_EES7_S7_S7_b,"axG",@progbits,_ZN2at6native12_GLOBAL__N_112gatherMedianIhmLi3EEEvNS_4cuda6detail10TensorInfoIT_T0_EENS5_IlS7_EENS5_IKS6_S7_EES7_S7_S7_b,comdat
.Lfunc_end78:
	.size	_ZN2at6native12_GLOBAL__N_112gatherMedianIhmLi3EEEvNS_4cuda6detail10TensorInfoIT_T0_EENS5_IlS7_EENS5_IKS6_S7_EES7_S7_S7_b, .Lfunc_end78-_ZN2at6native12_GLOBAL__N_112gatherMedianIhmLi3EEEvNS_4cuda6detail10TensorInfoIT_T0_EENS5_IlS7_EENS5_IKS6_S7_EES7_S7_S7_b
                                        ; -- End function
	.section	.AMDGPU.csdata,"",@progbits
; Kernel info:
; codeLenInByte = 16216
; NumSgprs: 100
; NumVgprs: 39
; NumAgprs: 0
; TotalNumVgprs: 39
; ScratchSize: 0
; MemoryBound: 0
; FloatMode: 240
; IeeeMode: 1
; LDSByteSize: 5152 bytes/workgroup (compile time only)
; SGPRBlocks: 12
; VGPRBlocks: 4
; NumSGPRsForWavesPerEU: 100
; NumVGPRsForWavesPerEU: 39
; AccumOffset: 40
; Occupancy: 8
; WaveLimiterHint : 1
; COMPUTE_PGM_RSRC2:SCRATCH_EN: 0
; COMPUTE_PGM_RSRC2:USER_SGPR: 6
; COMPUTE_PGM_RSRC2:TRAP_HANDLER: 0
; COMPUTE_PGM_RSRC2:TGID_X_EN: 1
; COMPUTE_PGM_RSRC2:TGID_Y_EN: 1
; COMPUTE_PGM_RSRC2:TGID_Z_EN: 1
; COMPUTE_PGM_RSRC2:TIDIG_COMP_CNT: 0
; COMPUTE_PGM_RSRC3_GFX90A:ACCUM_OFFSET: 9
; COMPUTE_PGM_RSRC3_GFX90A:TG_SPLIT: 0
	.section	.text._ZN2at6native12_GLOBAL__N_112gatherMedianIhmLin1EEEvNS_4cuda6detail10TensorInfoIT_T0_EENS5_IlS7_EENS5_IKS6_S7_EES7_S7_S7_b,"axG",@progbits,_ZN2at6native12_GLOBAL__N_112gatherMedianIhmLin1EEEvNS_4cuda6detail10TensorInfoIT_T0_EENS5_IlS7_EENS5_IKS6_S7_EES7_S7_S7_b,comdat
	.globl	_ZN2at6native12_GLOBAL__N_112gatherMedianIhmLin1EEEvNS_4cuda6detail10TensorInfoIT_T0_EENS5_IlS7_EENS5_IKS6_S7_EES7_S7_S7_b ; -- Begin function _ZN2at6native12_GLOBAL__N_112gatherMedianIhmLin1EEEvNS_4cuda6detail10TensorInfoIT_T0_EENS5_IlS7_EENS5_IKS6_S7_EES7_S7_S7_b
	.p2align	8
	.type	_ZN2at6native12_GLOBAL__N_112gatherMedianIhmLin1EEEvNS_4cuda6detail10TensorInfoIT_T0_EENS5_IlS7_EENS5_IKS6_S7_EES7_S7_S7_b,@function
_ZN2at6native12_GLOBAL__N_112gatherMedianIhmLin1EEEvNS_4cuda6detail10TensorInfoIT_T0_EENS5_IlS7_EENS5_IKS6_S7_EES7_S7_S7_b: ; @_ZN2at6native12_GLOBAL__N_112gatherMedianIhmLin1EEEvNS_4cuda6detail10TensorInfoIT_T0_EENS5_IlS7_EENS5_IKS6_S7_EES7_S7_S7_b
; %bb.0:
	s_load_dwordx4 s[52:55], s[4:5], 0x4e0
	s_load_dwordx2 s[10:11], s[4:5], 0x500
	s_add_u32 s12, s4, 0x500
	s_addc_u32 s13, s5, 0
	s_mov_b32 s3, 0
	s_waitcnt lgkmcnt(0)
	v_mov_b32_e32 v2, s54
	s_mul_i32 s0, s11, s8
	s_add_i32 s0, s0, s7
	s_mul_i32 s0, s0, s10
	v_mov_b32_e32 v3, s55
	s_add_i32 s2, s0, s6
	v_cmp_ge_u64_e32 vcc, s[2:3], v[2:3]
	s_cbranch_vccnz .LBB79_297
; %bb.1:
	s_load_dword s0, s[4:5], 0x198
	s_load_dwordx2 s[56:57], s[4:5], 0x4f0
	s_mov_b64 s[54:55], 0
	s_mov_b64 s[20:21], s[2:3]
	s_waitcnt lgkmcnt(0)
	s_cmp_lt_i32 s0, 2
	s_cbranch_scc1 .LBB79_9
; %bb.2:
	s_mov_b32 s8, 0
	s_add_i32 s7, s0, 1
	s_add_i32 s0, s0, -1
	s_mov_b32 s1, s8
	s_lshl_b64 s[0:1], s[0:1], 3
	s_add_u32 s0, s0, s4
	s_addc_u32 s1, s1, s5
	s_add_u32 s14, s0, 8
	s_addc_u32 s15, s1, 0
	s_mov_b64 s[16:17], s[2:3]
.LBB79_3:                               ; =>This Inner Loop Header: Depth=1
	s_load_dwordx2 s[18:19], s[14:15], 0x0
	s_waitcnt lgkmcnt(0)
	s_or_b64 s[0:1], s[16:17], s[18:19]
	s_mov_b32 s9, s1
	s_cmp_lg_u64 s[8:9], 0
	s_cbranch_scc0 .LBB79_8
; %bb.4:                                ;   in Loop: Header=BB79_3 Depth=1
	v_cvt_f32_u32_e32 v1, s18
	v_cvt_f32_u32_e32 v2, s19
	s_sub_u32 s0, 0, s18
	s_subb_u32 s1, 0, s19
	v_mac_f32_e32 v1, 0x4f800000, v2
	v_rcp_f32_e32 v1, v1
	v_mul_f32_e32 v1, 0x5f7ffffc, v1
	v_mul_f32_e32 v2, 0x2f800000, v1
	v_trunc_f32_e32 v2, v2
	v_mac_f32_e32 v1, 0xcf800000, v2
	v_cvt_u32_f32_e32 v2, v2
	v_cvt_u32_f32_e32 v1, v1
	v_readfirstlane_b32 s9, v2
	v_readfirstlane_b32 s11, v1
	s_mul_i32 s20, s0, s9
	s_mul_hi_u32 s22, s0, s11
	s_mul_i32 s21, s1, s11
	s_add_i32 s20, s22, s20
	s_mul_i32 s23, s0, s11
	s_add_i32 s20, s20, s21
	s_mul_hi_u32 s21, s11, s20
	s_mul_i32 s22, s11, s20
	s_mul_hi_u32 s11, s11, s23
	s_add_u32 s11, s11, s22
	s_addc_u32 s21, 0, s21
	s_mul_hi_u32 s24, s9, s23
	s_mul_i32 s23, s9, s23
	s_add_u32 s11, s11, s23
	s_mul_hi_u32 s22, s9, s20
	s_addc_u32 s11, s21, s24
	s_addc_u32 s21, s22, 0
	s_mul_i32 s20, s9, s20
	s_add_u32 s11, s11, s20
	s_addc_u32 s20, 0, s21
	v_add_co_u32_e32 v1, vcc, s11, v1
	s_cmp_lg_u64 vcc, 0
	s_addc_u32 s9, s9, s20
	v_readfirstlane_b32 s20, v1
	s_mul_i32 s11, s0, s9
	s_mul_hi_u32 s21, s0, s20
	s_add_i32 s11, s21, s11
	s_mul_i32 s1, s1, s20
	s_add_i32 s11, s11, s1
	s_mul_i32 s0, s0, s20
	s_mul_hi_u32 s21, s9, s0
	s_mul_i32 s22, s9, s0
	s_mul_i32 s24, s20, s11
	s_mul_hi_u32 s0, s20, s0
	s_mul_hi_u32 s23, s20, s11
	s_add_u32 s0, s0, s24
	s_addc_u32 s20, 0, s23
	s_add_u32 s0, s0, s22
	s_mul_hi_u32 s1, s9, s11
	s_addc_u32 s0, s20, s21
	s_addc_u32 s1, s1, 0
	s_mul_i32 s11, s9, s11
	s_add_u32 s0, s0, s11
	s_addc_u32 s1, 0, s1
	v_add_co_u32_e32 v1, vcc, s0, v1
	s_cmp_lg_u64 vcc, 0
	s_addc_u32 s0, s9, s1
	v_readfirstlane_b32 s11, v1
	s_mul_i32 s9, s16, s0
	s_mul_hi_u32 s20, s16, s11
	s_mul_hi_u32 s1, s16, s0
	s_add_u32 s9, s20, s9
	s_addc_u32 s1, 0, s1
	s_mul_hi_u32 s21, s17, s11
	s_mul_i32 s11, s17, s11
	s_add_u32 s9, s9, s11
	s_mul_hi_u32 s20, s17, s0
	s_addc_u32 s1, s1, s21
	s_addc_u32 s9, s20, 0
	s_mul_i32 s0, s17, s0
	s_add_u32 s11, s1, s0
	s_addc_u32 s9, 0, s9
	s_mul_i32 s0, s18, s9
	s_mul_hi_u32 s1, s18, s11
	s_add_i32 s0, s1, s0
	s_mul_i32 s1, s19, s11
	s_add_i32 s20, s0, s1
	s_mul_i32 s1, s18, s11
	v_mov_b32_e32 v1, s1
	s_sub_i32 s0, s17, s20
	v_sub_co_u32_e32 v1, vcc, s16, v1
	s_cmp_lg_u64 vcc, 0
	s_subb_u32 s21, s0, s19
	v_subrev_co_u32_e64 v2, s[0:1], s18, v1
	s_cmp_lg_u64 s[0:1], 0
	s_subb_u32 s0, s21, 0
	s_cmp_ge_u32 s0, s19
	v_readfirstlane_b32 s21, v2
	s_cselect_b32 s1, -1, 0
	s_cmp_ge_u32 s21, s18
	s_cselect_b32 s21, -1, 0
	s_cmp_eq_u32 s0, s19
	s_cselect_b32 s0, s21, s1
	s_add_u32 s1, s11, 1
	s_addc_u32 s21, s9, 0
	s_add_u32 s22, s11, 2
	s_addc_u32 s23, s9, 0
	s_cmp_lg_u32 s0, 0
	s_cselect_b32 s0, s22, s1
	s_cselect_b32 s1, s23, s21
	s_cmp_lg_u64 vcc, 0
	s_subb_u32 s20, s17, s20
	s_cmp_ge_u32 s20, s19
	v_readfirstlane_b32 s22, v1
	s_cselect_b32 s21, -1, 0
	s_cmp_ge_u32 s22, s18
	s_cselect_b32 s22, -1, 0
	s_cmp_eq_u32 s20, s19
	s_cselect_b32 s20, s22, s21
	s_cmp_lg_u32 s20, 0
	s_cselect_b32 s21, s1, s9
	s_cselect_b32 s20, s0, s11
	s_cbranch_execnz .LBB79_6
.LBB79_5:                               ;   in Loop: Header=BB79_3 Depth=1
	v_cvt_f32_u32_e32 v1, s18
	s_sub_i32 s0, 0, s18
	s_mov_b32 s21, s8
	v_rcp_iflag_f32_e32 v1, v1
	v_mul_f32_e32 v1, 0x4f7ffffe, v1
	v_cvt_u32_f32_e32 v1, v1
	v_readfirstlane_b32 s1, v1
	s_mul_i32 s0, s0, s1
	s_mul_hi_u32 s0, s1, s0
	s_add_i32 s1, s1, s0
	s_mul_hi_u32 s0, s16, s1
	s_mul_i32 s9, s0, s18
	s_sub_i32 s9, s16, s9
	s_add_i32 s1, s0, 1
	s_sub_i32 s11, s9, s18
	s_cmp_ge_u32 s9, s18
	s_cselect_b32 s0, s1, s0
	s_cselect_b32 s9, s11, s9
	s_add_i32 s1, s0, 1
	s_cmp_ge_u32 s9, s18
	s_cselect_b32 s20, s1, s0
.LBB79_6:                               ;   in Loop: Header=BB79_3 Depth=1
	s_mul_i32 s0, s20, s19
	s_mul_hi_u32 s1, s20, s18
	s_add_i32 s9, s1, s0
	s_load_dwordx2 s[0:1], s[14:15], 0xc8
	s_mul_i32 s11, s21, s18
	s_add_i32 s9, s9, s11
	s_mul_i32 s11, s20, s18
	s_sub_u32 s11, s16, s11
	s_subb_u32 s9, s17, s9
	s_waitcnt lgkmcnt(0)
	s_mul_i32 s9, s0, s9
	s_mul_hi_u32 s16, s0, s11
	s_add_i32 s9, s16, s9
	s_mul_i32 s1, s1, s11
	s_add_i32 s9, s9, s1
	s_mul_i32 s0, s0, s11
	s_add_u32 s54, s0, s54
	s_addc_u32 s55, s9, s55
	s_add_i32 s7, s7, -1
	s_add_u32 s14, s14, -8
	s_addc_u32 s15, s15, -1
	s_cmp_gt_u32 s7, 2
	s_cbranch_scc0 .LBB79_9
; %bb.7:                                ;   in Loop: Header=BB79_3 Depth=1
	s_mov_b64 s[16:17], s[20:21]
	s_branch .LBB79_3
.LBB79_8:                               ;   in Loop: Header=BB79_3 Depth=1
                                        ; implicit-def: $sgpr20_sgpr21
	s_branch .LBB79_5
.LBB79_9:
	s_load_dword s0, s[4:5], 0x338
	s_load_dwordx2 s[8:9], s[4:5], 0xd0
                                        ; implicit-def: $vgpr48 : SGPR spill to VGPR lane
	s_mov_b64 s[58:59], 0
	v_writelane_b32 v48, s20, 0
	v_writelane_b32 v48, s21, 1
	s_mov_b64 s[60:61], s[2:3]
	s_waitcnt lgkmcnt(0)
	v_writelane_b32 v48, s8, 2
	v_writelane_b32 v48, s9, 3
	s_add_u32 s8, s4, 0x1a0
	s_addc_u32 s9, s5, 0
	s_cmp_lt_i32 s0, 2
	s_cbranch_scc1 .LBB79_17
; %bb.10:
	s_mov_b32 s14, 0
	s_add_i32 s7, s0, 1
	s_add_i32 s0, s0, -1
	s_mov_b32 s1, s14
	s_lshl_b64 s[0:1], s[0:1], 3
	s_add_u32 s0, s0, s8
	s_addc_u32 s1, s1, s9
	s_add_u32 s16, s0, 8
	s_addc_u32 s17, s1, 0
	s_mov_b64 s[18:19], s[2:3]
.LBB79_11:                              ; =>This Inner Loop Header: Depth=1
	s_load_dwordx2 s[20:21], s[16:17], 0x0
	s_waitcnt lgkmcnt(0)
	s_or_b64 s[0:1], s[18:19], s[20:21]
	s_mov_b32 s15, s1
	s_cmp_lg_u64 s[14:15], 0
	s_cbranch_scc0 .LBB79_16
; %bb.12:                               ;   in Loop: Header=BB79_11 Depth=1
	v_cvt_f32_u32_e32 v1, s20
	v_cvt_f32_u32_e32 v2, s21
	s_sub_u32 s0, 0, s20
	s_subb_u32 s1, 0, s21
	v_mac_f32_e32 v1, 0x4f800000, v2
	v_rcp_f32_e32 v1, v1
	v_mul_f32_e32 v1, 0x5f7ffffc, v1
	v_mul_f32_e32 v2, 0x2f800000, v1
	v_trunc_f32_e32 v2, v2
	v_mac_f32_e32 v1, 0xcf800000, v2
	v_cvt_u32_f32_e32 v2, v2
	v_cvt_u32_f32_e32 v1, v1
	v_readfirstlane_b32 s11, v2
	v_readfirstlane_b32 s15, v1
	s_mul_i32 s22, s0, s11
	s_mul_hi_u32 s24, s0, s15
	s_mul_i32 s23, s1, s15
	s_add_i32 s22, s24, s22
	s_mul_i32 s25, s0, s15
	s_add_i32 s22, s22, s23
	s_mul_hi_u32 s23, s15, s22
	s_mul_i32 s24, s15, s22
	s_mul_hi_u32 s15, s15, s25
	s_add_u32 s15, s15, s24
	s_addc_u32 s23, 0, s23
	s_mul_hi_u32 s26, s11, s25
	s_mul_i32 s25, s11, s25
	s_add_u32 s15, s15, s25
	s_mul_hi_u32 s24, s11, s22
	s_addc_u32 s15, s23, s26
	s_addc_u32 s23, s24, 0
	s_mul_i32 s22, s11, s22
	s_add_u32 s15, s15, s22
	s_addc_u32 s22, 0, s23
	v_add_co_u32_e32 v1, vcc, s15, v1
	s_cmp_lg_u64 vcc, 0
	s_addc_u32 s11, s11, s22
	v_readfirstlane_b32 s22, v1
	s_mul_i32 s15, s0, s11
	s_mul_hi_u32 s23, s0, s22
	s_add_i32 s15, s23, s15
	s_mul_i32 s1, s1, s22
	s_add_i32 s15, s15, s1
	s_mul_i32 s0, s0, s22
	s_mul_hi_u32 s23, s11, s0
	s_mul_i32 s24, s11, s0
	s_mul_i32 s26, s22, s15
	s_mul_hi_u32 s0, s22, s0
	s_mul_hi_u32 s25, s22, s15
	s_add_u32 s0, s0, s26
	s_addc_u32 s22, 0, s25
	s_add_u32 s0, s0, s24
	s_mul_hi_u32 s1, s11, s15
	s_addc_u32 s0, s22, s23
	s_addc_u32 s1, s1, 0
	s_mul_i32 s15, s11, s15
	s_add_u32 s0, s0, s15
	s_addc_u32 s1, 0, s1
	v_add_co_u32_e32 v1, vcc, s0, v1
	s_cmp_lg_u64 vcc, 0
	s_addc_u32 s0, s11, s1
	v_readfirstlane_b32 s15, v1
	s_mul_i32 s11, s18, s0
	s_mul_hi_u32 s22, s18, s15
	s_mul_hi_u32 s1, s18, s0
	s_add_u32 s11, s22, s11
	s_addc_u32 s1, 0, s1
	s_mul_hi_u32 s23, s19, s15
	s_mul_i32 s15, s19, s15
	s_add_u32 s11, s11, s15
	s_mul_hi_u32 s22, s19, s0
	s_addc_u32 s1, s1, s23
	s_addc_u32 s11, s22, 0
	s_mul_i32 s0, s19, s0
	s_add_u32 s15, s1, s0
	s_addc_u32 s11, 0, s11
	s_mul_i32 s0, s20, s11
	s_mul_hi_u32 s1, s20, s15
	s_add_i32 s0, s1, s0
	s_mul_i32 s1, s21, s15
	s_add_i32 s22, s0, s1
	s_mul_i32 s1, s20, s15
	v_mov_b32_e32 v1, s1
	s_sub_i32 s0, s19, s22
	v_sub_co_u32_e32 v1, vcc, s18, v1
	s_cmp_lg_u64 vcc, 0
	s_subb_u32 s23, s0, s21
	v_subrev_co_u32_e64 v2, s[0:1], s20, v1
	s_cmp_lg_u64 s[0:1], 0
	s_subb_u32 s0, s23, 0
	s_cmp_ge_u32 s0, s21
	v_readfirstlane_b32 s23, v2
	s_cselect_b32 s1, -1, 0
	s_cmp_ge_u32 s23, s20
	s_cselect_b32 s23, -1, 0
	s_cmp_eq_u32 s0, s21
	s_cselect_b32 s0, s23, s1
	s_add_u32 s1, s15, 1
	s_addc_u32 s23, s11, 0
	s_add_u32 s24, s15, 2
	s_addc_u32 s25, s11, 0
	s_cmp_lg_u32 s0, 0
	s_cselect_b32 s0, s24, s1
	s_cselect_b32 s1, s25, s23
	s_cmp_lg_u64 vcc, 0
	s_subb_u32 s22, s19, s22
	s_cmp_ge_u32 s22, s21
	v_readfirstlane_b32 s24, v1
	s_cselect_b32 s23, -1, 0
	s_cmp_ge_u32 s24, s20
	s_cselect_b32 s24, -1, 0
	s_cmp_eq_u32 s22, s21
	s_cselect_b32 s22, s24, s23
	s_cmp_lg_u32 s22, 0
	s_cselect_b32 s61, s1, s11
	s_cselect_b32 s60, s0, s15
	s_cbranch_execnz .LBB79_14
.LBB79_13:                              ;   in Loop: Header=BB79_11 Depth=1
	v_cvt_f32_u32_e32 v1, s20
	s_sub_i32 s0, 0, s20
	s_mov_b32 s61, s14
	v_rcp_iflag_f32_e32 v1, v1
	v_mul_f32_e32 v1, 0x4f7ffffe, v1
	v_cvt_u32_f32_e32 v1, v1
	v_readfirstlane_b32 s1, v1
	s_mul_i32 s0, s0, s1
	s_mul_hi_u32 s0, s1, s0
	s_add_i32 s1, s1, s0
	s_mul_hi_u32 s0, s18, s1
	s_mul_i32 s11, s0, s20
	s_sub_i32 s11, s18, s11
	s_add_i32 s1, s0, 1
	s_sub_i32 s15, s11, s20
	s_cmp_ge_u32 s11, s20
	s_cselect_b32 s0, s1, s0
	s_cselect_b32 s11, s15, s11
	s_add_i32 s1, s0, 1
	s_cmp_ge_u32 s11, s20
	s_cselect_b32 s60, s1, s0
.LBB79_14:                              ;   in Loop: Header=BB79_11 Depth=1
	s_mul_i32 s0, s60, s21
	s_mul_hi_u32 s1, s60, s20
	s_add_i32 s11, s1, s0
	s_load_dwordx2 s[0:1], s[16:17], 0xc8
	s_mul_i32 s15, s61, s20
	s_add_i32 s11, s11, s15
	s_mul_i32 s15, s60, s20
	s_sub_u32 s15, s18, s15
	s_subb_u32 s11, s19, s11
	s_waitcnt lgkmcnt(0)
	s_mul_i32 s11, s0, s11
	s_mul_hi_u32 s18, s0, s15
	s_add_i32 s11, s18, s11
	s_mul_i32 s1, s1, s15
	s_add_i32 s11, s11, s1
	s_mul_i32 s0, s0, s15
	s_add_u32 s58, s0, s58
	s_addc_u32 s59, s11, s59
	s_add_i32 s7, s7, -1
	s_add_u32 s16, s16, -8
	s_addc_u32 s17, s17, -1
	s_cmp_gt_u32 s7, 2
	s_cbranch_scc0 .LBB79_17
; %bb.15:                               ;   in Loop: Header=BB79_11 Depth=1
	s_mov_b64 s[18:19], s[60:61]
	s_branch .LBB79_11
.LBB79_16:                              ;   in Loop: Header=BB79_11 Depth=1
                                        ; implicit-def: $sgpr60_sgpr61
	s_branch .LBB79_13
.LBB79_17:
	s_load_dword s11, s[4:5], 0x4d8
	s_load_dwordx2 s[0:1], s[8:9], 0xd0
	s_mov_b64 s[14:15], 0
                                        ; kill: killed $sgpr8 killed $sgpr9
	s_waitcnt lgkmcnt(0)
	v_writelane_b32 v48, s0, 4
	v_writelane_b32 v48, s1, 5
	s_add_u32 s0, s4, 0x340
	s_addc_u32 s1, s5, 0
	s_cmp_lt_i32 s11, 2
	s_cbranch_scc1 .LBB79_25
; %bb.18:
	s_mov_b32 s8, 0
	s_add_i32 s14, s11, -1
	s_mov_b32 s15, s8
	s_add_i32 s7, s11, 1
	s_lshl_b64 s[14:15], s[14:15], 3
	s_add_u32 s0, s14, s0
	s_addc_u32 s1, s15, s1
	s_add_u32 s16, s0, 8
	s_addc_u32 s17, s1, 0
	s_mov_b64 s[14:15], 0
.LBB79_19:                              ; =>This Inner Loop Header: Depth=1
	s_load_dwordx2 s[18:19], s[16:17], 0x0
	s_waitcnt lgkmcnt(0)
	s_or_b64 s[0:1], s[2:3], s[18:19]
	s_mov_b32 s9, s1
	s_cmp_lg_u64 s[8:9], 0
	s_cbranch_scc0 .LBB79_24
; %bb.20:                               ;   in Loop: Header=BB79_19 Depth=1
	v_cvt_f32_u32_e32 v1, s18
	v_cvt_f32_u32_e32 v2, s19
	s_sub_u32 s0, 0, s18
	s_subb_u32 s1, 0, s19
	v_mac_f32_e32 v1, 0x4f800000, v2
	v_rcp_f32_e32 v1, v1
	v_mul_f32_e32 v1, 0x5f7ffffc, v1
	v_mul_f32_e32 v2, 0x2f800000, v1
	v_trunc_f32_e32 v2, v2
	v_mac_f32_e32 v1, 0xcf800000, v2
	v_cvt_u32_f32_e32 v2, v2
	v_cvt_u32_f32_e32 v1, v1
	v_readfirstlane_b32 s9, v2
	v_readfirstlane_b32 s11, v1
	s_mul_i32 s20, s0, s9
	s_mul_hi_u32 s22, s0, s11
	s_mul_i32 s21, s1, s11
	s_add_i32 s20, s22, s20
	s_mul_i32 s23, s0, s11
	s_add_i32 s20, s20, s21
	s_mul_hi_u32 s21, s11, s20
	s_mul_i32 s22, s11, s20
	s_mul_hi_u32 s11, s11, s23
	s_add_u32 s11, s11, s22
	s_addc_u32 s21, 0, s21
	s_mul_hi_u32 s24, s9, s23
	s_mul_i32 s23, s9, s23
	s_add_u32 s11, s11, s23
	s_mul_hi_u32 s22, s9, s20
	s_addc_u32 s11, s21, s24
	s_addc_u32 s21, s22, 0
	s_mul_i32 s20, s9, s20
	s_add_u32 s11, s11, s20
	s_addc_u32 s20, 0, s21
	v_add_co_u32_e32 v1, vcc, s11, v1
	s_cmp_lg_u64 vcc, 0
	s_addc_u32 s9, s9, s20
	v_readfirstlane_b32 s20, v1
	s_mul_i32 s11, s0, s9
	s_mul_hi_u32 s21, s0, s20
	s_add_i32 s11, s21, s11
	s_mul_i32 s1, s1, s20
	s_add_i32 s11, s11, s1
	s_mul_i32 s0, s0, s20
	s_mul_hi_u32 s21, s9, s0
	s_mul_i32 s22, s9, s0
	s_mul_i32 s24, s20, s11
	s_mul_hi_u32 s0, s20, s0
	s_mul_hi_u32 s23, s20, s11
	s_add_u32 s0, s0, s24
	s_addc_u32 s20, 0, s23
	s_add_u32 s0, s0, s22
	s_mul_hi_u32 s1, s9, s11
	s_addc_u32 s0, s20, s21
	s_addc_u32 s1, s1, 0
	s_mul_i32 s11, s9, s11
	s_add_u32 s0, s0, s11
	s_addc_u32 s1, 0, s1
	v_add_co_u32_e32 v1, vcc, s0, v1
	s_cmp_lg_u64 vcc, 0
	s_addc_u32 s0, s9, s1
	v_readfirstlane_b32 s11, v1
	s_mul_i32 s9, s2, s0
	s_mul_hi_u32 s20, s2, s11
	s_mul_hi_u32 s1, s2, s0
	s_add_u32 s9, s20, s9
	s_addc_u32 s1, 0, s1
	s_mul_hi_u32 s21, s3, s11
	s_mul_i32 s11, s3, s11
	s_add_u32 s9, s9, s11
	s_mul_hi_u32 s20, s3, s0
	s_addc_u32 s1, s1, s21
	s_addc_u32 s9, s20, 0
	s_mul_i32 s0, s3, s0
	s_add_u32 s11, s1, s0
	s_addc_u32 s9, 0, s9
	s_mul_i32 s0, s18, s9
	s_mul_hi_u32 s1, s18, s11
	s_add_i32 s0, s1, s0
	s_mul_i32 s1, s19, s11
	s_add_i32 s20, s0, s1
	s_mul_i32 s1, s18, s11
	v_mov_b32_e32 v1, s1
	s_sub_i32 s0, s3, s20
	v_sub_co_u32_e32 v1, vcc, s2, v1
	s_cmp_lg_u64 vcc, 0
	s_subb_u32 s21, s0, s19
	v_subrev_co_u32_e64 v2, s[0:1], s18, v1
	s_cmp_lg_u64 s[0:1], 0
	s_subb_u32 s0, s21, 0
	s_cmp_ge_u32 s0, s19
	v_readfirstlane_b32 s21, v2
	s_cselect_b32 s1, -1, 0
	s_cmp_ge_u32 s21, s18
	s_cselect_b32 s21, -1, 0
	s_cmp_eq_u32 s0, s19
	s_cselect_b32 s0, s21, s1
	s_add_u32 s1, s11, 1
	s_addc_u32 s21, s9, 0
	s_add_u32 s22, s11, 2
	s_addc_u32 s23, s9, 0
	s_cmp_lg_u32 s0, 0
	s_cselect_b32 s0, s22, s1
	s_cselect_b32 s1, s23, s21
	s_cmp_lg_u64 vcc, 0
	s_subb_u32 s20, s3, s20
	s_cmp_ge_u32 s20, s19
	v_readfirstlane_b32 s22, v1
	s_cselect_b32 s21, -1, 0
	s_cmp_ge_u32 s22, s18
	s_cselect_b32 s22, -1, 0
	s_cmp_eq_u32 s20, s19
	s_cselect_b32 s20, s22, s21
	s_cmp_lg_u32 s20, 0
	s_cselect_b32 s21, s1, s9
	s_cselect_b32 s20, s0, s11
	s_cbranch_execnz .LBB79_22
.LBB79_21:                              ;   in Loop: Header=BB79_19 Depth=1
	v_cvt_f32_u32_e32 v1, s18
	s_sub_i32 s0, 0, s18
	s_mov_b32 s21, s8
	v_rcp_iflag_f32_e32 v1, v1
	v_mul_f32_e32 v1, 0x4f7ffffe, v1
	v_cvt_u32_f32_e32 v1, v1
	v_readfirstlane_b32 s1, v1
	s_mul_i32 s0, s0, s1
	s_mul_hi_u32 s0, s1, s0
	s_add_i32 s1, s1, s0
	s_mul_hi_u32 s0, s2, s1
	s_mul_i32 s9, s0, s18
	s_sub_i32 s9, s2, s9
	s_add_i32 s1, s0, 1
	s_sub_i32 s11, s9, s18
	s_cmp_ge_u32 s9, s18
	s_cselect_b32 s0, s1, s0
	s_cselect_b32 s9, s11, s9
	s_add_i32 s1, s0, 1
	s_cmp_ge_u32 s9, s18
	s_cselect_b32 s20, s1, s0
.LBB79_22:                              ;   in Loop: Header=BB79_19 Depth=1
	s_mul_i32 s0, s20, s19
	s_mul_hi_u32 s1, s20, s18
	s_add_i32 s9, s1, s0
	s_load_dwordx2 s[0:1], s[16:17], 0xc8
	s_mul_i32 s11, s21, s18
	s_add_i32 s9, s9, s11
	s_mul_i32 s11, s20, s18
	s_sub_u32 s2, s2, s11
	s_subb_u32 s3, s3, s9
	s_waitcnt lgkmcnt(0)
	s_mul_i32 s3, s0, s3
	s_mul_hi_u32 s9, s0, s2
	s_add_i32 s3, s9, s3
	s_mul_i32 s1, s1, s2
	s_add_i32 s3, s3, s1
	s_mul_i32 s0, s0, s2
	s_add_u32 s14, s0, s14
	s_addc_u32 s15, s3, s15
	s_add_i32 s7, s7, -1
	s_add_u32 s16, s16, -8
	s_addc_u32 s17, s17, -1
	s_cmp_gt_u32 s7, 2
	s_cbranch_scc0 .LBB79_26
; %bb.23:                               ;   in Loop: Header=BB79_19 Depth=1
	s_mov_b64 s[2:3], s[20:21]
	s_branch .LBB79_19
.LBB79_24:                              ;   in Loop: Header=BB79_19 Depth=1
                                        ; implicit-def: $sgpr20_sgpr21
	s_branch .LBB79_21
.LBB79_25:
	s_mov_b64 s[20:21], s[2:3]
.LBB79_26:
	s_load_dwordx2 s[2:3], s[4:5], 0x410
	s_load_dwordx2 s[0:1], s[4:5], 0x340
	v_cmp_eq_u32_e64 s[16:17], 0, v0
	s_mov_b64 s[8:9], exec
	v_writelane_b32 v48, s16, 6
	v_writelane_b32 v48, s17, 7
	s_and_b64 s[16:17], s[8:9], s[16:17]
	s_mov_b64 exec, s[16:17]
	s_cbranch_execz .LBB79_28
; %bb.27:
	v_mov_b32_e32 v2, 0
	v_mov_b32_e32 v3, v2
	ds_write_b64 v2, v[2:3] offset:5136
.LBB79_28:
	s_or_b64 exec, exec, s[8:9]
	s_load_dwordx2 s[8:9], s[4:5], 0x0
	v_mov_b32_e32 v11, 0
	s_waitcnt lgkmcnt(0)
	s_barrier
	v_writelane_b32 v48, s8, 8
	v_writelane_b32 v48, s9, 9
	s_load_dwordx2 s[8:9], s[4:5], 0x1a0
	s_waitcnt lgkmcnt(0)
	s_barrier
	ds_read_b64 v[2:3], v11 offset:5136
	v_writelane_b32 v48, s8, 10
	v_writelane_b32 v48, s9, 11
	s_waitcnt lgkmcnt(0)
	v_readfirstlane_b32 s8, v2
	v_readfirstlane_b32 s9, v3
	s_mov_b64 s[16:17], exec
	v_readlane_b32 s18, v48, 6
	v_readlane_b32 s19, v48, 7
	s_and_b64 s[18:19], s[16:17], s[18:19]
	s_mov_b64 exec, s[18:19]
	s_cbranch_execz .LBB79_30
; %bb.29:
	v_mov_b32_e32 v2, 0
	v_mov_b32_e32 v4, s52
	;; [unrolled: 1-line block ×4, first 2 shown]
	ds_write_b32 v2, v2 offset:5144
	ds_write_b128 v2, v[2:5] offset:5120
.LBB79_30:
	s_or_b64 exec, exec, s[16:17]
	s_load_dword s7, s[4:5], 0x4f8
	v_cmp_lt_i64_e64 s[4:5], s[8:9], 1
	s_mul_i32 s11, s2, s21
	s_mul_i32 s3, s3, s20
	v_mov_b32_e32 v1, 0
	s_waitcnt lgkmcnt(0)
	s_bitcmp1_b32 s7, 0
	s_cselect_b64 s[16:17], -1, 0
	s_not_b64 s[8:9], s[8:9]
	s_or_b64 s[4:5], s[16:17], s[4:5]
	s_add_u32 s8, s8, s52
	s_addc_u32 s9, s9, s53
	s_lshr_b64 s[8:9], s[8:9], 1
	s_add_u32 s7, s8, 1
	s_addc_u32 s8, s9, 0
	s_and_b64 s[4:5], s[4:5], exec
	s_mul_hi_u32 s4, s2, s20
	s_cselect_b32 s47, s8, s53
	s_cselect_b32 s46, s7, s52
	s_add_i32 s4, s4, s11
	s_add_i32 s7, s4, s3
	s_mul_i32 s11, s2, s20
	s_add_u32 s2, s0, s11
	s_addc_u32 s3, s1, s7
	s_add_u32 s72, s2, s14
	s_addc_u32 s73, s3, s15
	v_cmp_gt_u64_e64 s[2:3], s[52:53], v[0:1]
	v_writelane_b32 v48, s2, 12
	v_mbcnt_lo_u32_b32 v2, -1, 0
	v_writelane_b32 v48, s3, 13
	v_mbcnt_hi_u32_b32 v34, -1, v2
	v_cmp_gt_u32_e64 s[2:3], 2, v0
	v_mov_b32_e32 v2, 0xc00
	v_writelane_b32 v48, s2, 14
	v_mov_b32_e32 v3, 0
	v_writelane_b32 v48, s3, 15
	v_cmp_gt_u64_e64 s[2:3], s[52:53], v[2:3]
	v_writelane_b32 v48, s2, 16
	v_pk_mov_b32 v[4:5], s[72:73], s[72:73] op_sel:[0,1]
	v_writelane_b32 v48, s3, 17
	v_mad_u64_u32 v[2:3], s[2:3], v0, s56, 0
	v_mad_u64_u32 v[14:15], s[2:3], v0, s56, v[4:5]
	s_barrier
	s_load_dword s2, s[12:13], 0xc
	v_cmp_gt_u32_e32 vcc, 64, v0
	v_cmp_gt_i32_e64 s[8:9], 4, v34
	s_and_b64 s[44:45], vcc, s[8:9]
	v_lshrrev_b32_e32 v4, 4, v0
	s_waitcnt lgkmcnt(0)
	s_and_b32 s33, s2, 0xffff
	s_bfe_u32 s3, s2, 0xa0006
	v_cmp_gt_u16_e64 s[8:9], s2, 63
	v_writelane_b32 v48, s8, 18
	s_add_u32 s2, s33, -1
	v_writelane_b32 v48, s9, 19
	s_addc_u32 s8, 0, -1
	v_writelane_b32 v48, s2, 20
	s_add_u32 s2, s2, s52
	s_addc_u32 s49, s8, s53
	s_cmp_lt_u32 s6, s10
	v_writelane_b32 v48, s2, 21
	s_cselect_b32 s2, 12, 18
	s_add_u32 s50, s12, s2
	s_addc_u32 s51, s13, 0
	s_add_i32 s2, s3, -1
	s_bfe_u32 s6, s33, 0x30006
	s_cmp_gt_u32 s2, 6
	v_writelane_b32 v48, s8, 22
	s_cselect_b64 s[8:9], -1, 0
	v_writelane_b32 v48, s8, 23
	s_and_b32 s85, s3, 0x3f8
	v_writelane_b32 v48, s9, 24
	s_cmp_lg_u32 s6, 0
	v_writelane_b32 v48, s6, 25
	s_cselect_b64 s[2:3], -1, 0
	v_writelane_b32 v48, s2, 26
	v_and_b32_e32 v35, 60, v4
	v_lshlrev_b32_e32 v4, 2, v34
	v_writelane_b32 v48, s3, 27
	s_add_u32 s2, s14, s11
	v_lshlrev_b32_e32 v16, 2, v0
	v_and_b32_e32 v36, 0x100, v4
	v_lshlrev_b64 v[4:5], v34, -1
	s_addc_u32 s3, s15, s7
	v_not_b32_e32 v19, v5
	s_add_u32 s2, s0, s2
	v_or_b32_e32 v5, 3, v16
	s_addc_u32 s3, s1, s3
	v_mad_u64_u32 v[20:21], s[0:1], s56, v5, 0
	v_not_b32_e32 v18, v4
	v_mov_b32_e32 v4, v21
	v_mad_u64_u32 v[4:5], s[0:1], s57, v5, v[4:5]
	s_lshl_b64 s[0:1], s[56:57], 2
	v_writelane_b32 v48, s0, 28
	v_or_b32_e32 v5, 2, v16
	v_writelane_b32 v48, s1, 29
	v_mad_u64_u32 v[22:23], s[0:1], s56, v5, 0
	v_mov_b32_e32 v21, v4
	v_mov_b32_e32 v4, v23
	v_mul_lo_u32 v6, v0, s57
	v_mad_u64_u32 v[4:5], s[0:1], s57, v5, v[4:5]
	v_writelane_b32 v48, s2, 30
	v_add_u32_e32 v3, v3, v6
	v_mov_b32_e32 v23, v4
	v_pk_mov_b32 v[4:5], s[56:57], s[56:57] op_sel:[0,1]
	v_writelane_b32 v48, s3, 31
	v_mad_u64_u32 v[24:25], s[0:1], s56, v16, v[4:5]
	v_lshlrev_b64 v[26:27], 2, v[2:3]
	v_mov_b32_e32 v2, 0xc00
	v_writelane_b32 v48, s44, 32
	v_mov_b32_e32 v4, v25
	v_lshl_or_b32 v37, v34, 3, v2
	v_pk_mov_b32 v[2:3], s[2:3], s[2:3] op_sel:[0,1]
	v_writelane_b32 v48, s45, 33
	v_mad_u64_u32 v[4:5], s[0:1], s57, v16, v[4:5]
	v_mad_u64_u32 v[12:13], s[0:1], v0, s56, v[2:3]
	v_writelane_b32 v48, s50, 34
	s_mov_b32 s75, 0
	s_mul_i32 s0, s57, s33
	s_mul_hi_u32 s1, s56, s33
	v_writelane_b32 v48, s51, 35
	v_cmp_eq_u32_e64 s[4:5], 0, v34
	v_add_u32_e32 v15, v6, v15
	v_mov_b32_e32 v17, v1
	s_mov_b32 s76, s75
	s_mov_b32 s80, 6
	v_mov_b32_e32 v25, v4
	v_add_u32_e32 v13, v6, v13
	s_add_i32 s77, s1, s0
	s_mul_i32 s84, s56, s33
	s_mov_b64 s[94:95], 0
	v_mov_b32_e32 v38, 0x4f800000
	v_mov_b32_e32 v39, 0
	s_mov_b32 s65, 0
	s_mov_b32 s83, 0
	;; [unrolled: 1-line block ×3, first 2 shown]
	v_writelane_b32 v48, s60, 36
                                        ; implicit-def: $sgpr66_sgpr67
                                        ; implicit-def: $sgpr62_sgpr63
                                        ; implicit-def: $sgpr70_sgpr71
                                        ; implicit-def: $sgpr68_sgpr69
                                        ; implicit-def: $sgpr86_sgpr87
                                        ; implicit-def: $sgpr88_sgpr89
	v_writelane_b32 v48, s61, 37
	s_branch .LBB79_35
.LBB79_31:                              ;   in Loop: Header=BB79_35 Depth=1
	s_xor_b32 s65, s65, 1
	s_add_i32 s8, s80, -2
	s_cmp_eq_u32 s80, 0
	s_mov_b64 s[2:3], 0
	s_cselect_b64 s[6:7], -1, 0
	s_mov_b32 s80, s8
.LBB79_32:                              ;   in Loop: Header=BB79_35 Depth=1
	s_andn2_b64 s[8:9], s[18:19], exec
	s_and_b64 s[2:3], s[2:3], exec
	s_or_b64 s[18:19], s[8:9], s[2:3]
	s_andn2_b64 s[20:21], s[20:21], exec
	s_andn2_b64 s[16:17], s[16:17], exec
	s_orn2_b64 s[12:13], s[6:7], exec
.LBB79_33:                              ;   in Loop: Header=BB79_35 Depth=1
	s_or_b64 exec, exec, s[0:1]
	s_andn2_b64 s[0:1], s[88:89], exec
	s_and_b64 s[2:3], s[18:19], exec
	s_or_b64 s[88:89], s[0:1], s[2:3]
	s_andn2_b64 s[0:1], s[86:87], exec
	s_and_b64 s[2:3], s[20:21], exec
	s_or_b64 s[86:87], s[0:1], s[2:3]
	;; [unrolled: 3-line block ×3, first 2 shown]
	s_orn2_b64 s[16:17], s[12:13], exec
.LBB79_34:                              ;   in Loop: Header=BB79_35 Depth=1
	s_or_b64 exec, exec, s[10:11]
	s_and_b64 s[0:1], exec, s[16:17]
	s_or_b64 s[94:95], s[0:1], s[94:95]
	s_andn2_b64 s[0:1], s[70:71], exec
	s_and_b64 s[2:3], s[88:89], exec
	s_or_b64 s[70:71], s[0:1], s[2:3]
	s_andn2_b64 s[0:1], s[62:63], exec
	s_and_b64 s[2:3], s[86:87], exec
	;; [unrolled: 3-line block ×3, first 2 shown]
	v_mov_b32_e32 v2, s83
	s_or_b64 s[66:67], s[0:1], s[2:3]
	s_andn2_b64 exec, exec, s[94:95]
	s_cbranch_execz .LBB79_293
.LBB79_35:                              ; =>This Loop Header: Depth=1
                                        ;     Child Loop BB79_40 Depth 2
                                        ;     Child Loop BB79_55 Depth 2
	;; [unrolled: 1-line block ×16, first 2 shown]
	ds_read_b128 v[2:5], v11 offset:5120
	s_waitcnt lgkmcnt(0)
	v_readfirstlane_b32 s91, v3
	v_readfirstlane_b32 s90, v2
	s_cmp_lg_u64 s[90:91], 0
	s_cbranch_scc1 .LBB79_62
; %bb.36:                               ;   in Loop: Header=BB79_35 Depth=1
	v_readlane_b32 s0, v48, 16
	v_readlane_b32 s1, v48, 17
	s_and_b64 vcc, exec, s[0:1]
	s_cbranch_vccz .LBB79_48
; %bb.37:                               ;   in Loop: Header=BB79_35 Depth=1
	s_mov_b64 s[0:1], 0xc01
	v_cmp_gt_u64_e32 vcc, s[0:1], v[4:5]
	s_mov_b64 s[90:91], 0
	s_mov_b64 s[0:1], 0
	s_cbranch_vccz .LBB79_49
; %bb.38:                               ;   in Loop: Header=BB79_35 Depth=1
	global_load_ushort v6, v11, s[50:51]
	global_load_ubyte v7, v[14:15], off
	v_readlane_b32 s0, v48, 30
	v_readlane_b32 s1, v48, 31
	v_pk_mov_b32 v[2:3], s[0:1], s[0:1] op_sel:[0,1]
	s_mov_b64 s[0:1], 0
	s_waitcnt vmcnt(1)
	v_readfirstlane_b32 s2, v6
	s_and_b32 s2, 0xffff, s2
	v_add_u32_e32 v5, s2, v0
	s_mul_i32 s6, s57, s2
	s_mul_hi_u32 s7, s56, s2
	s_mul_i32 s14, s56, s2
	v_mad_u64_u32 v[2:3], s[2:3], s56, v5, v[2:3]
	v_mov_b32_e32 v4, v3
	v_mad_u64_u32 v[4:5], s[2:3], s57, v5, v[4:5]
	s_add_i32 s15, s7, s6
	v_mov_b32_e32 v3, v4
	v_pk_mov_b32 v[4:5], v[0:1], v[0:1] op_sel:[0,1]
	s_branch .LBB79_40
.LBB79_39:                              ;   in Loop: Header=BB79_40 Depth=2
	s_or_b64 exec, exec, s[6:7]
	v_mov_b32_e32 v7, s15
	v_add_co_u32_e32 v2, vcc, s14, v2
	v_addc_co_u32_e32 v3, vcc, v3, v7, vcc
	v_mov_b32_e32 v7, v8
	s_andn2_b64 exec, exec, s[0:1]
	s_cbranch_execz .LBB79_162
.LBB79_40:                              ;   Parent Loop BB79_35 Depth=1
                                        ; =>  This Inner Loop Header: Depth=2
	v_add_co_u32_sdwa v4, vcc, v4, v6 dst_sel:DWORD dst_unused:UNUSED_PAD src0_sel:DWORD src1_sel:WORD_0
	v_addc_co_u32_e32 v5, vcc, 0, v5, vcc
	v_cmp_gt_u64_e64 s[6:7], s[52:53], v[4:5]
	v_cmp_le_u64_e32 vcc, s[52:53], v[4:5]
	s_waitcnt lgkmcnt(0)
	v_mov_b32_e32 v9, 0
	v_mov_b32_e32 v8, 0
	s_and_saveexec_b64 s[2:3], s[6:7]
	s_cbranch_execz .LBB79_42
; %bb.41:                               ;   in Loop: Header=BB79_40 Depth=2
	global_load_ubyte v8, v[2:3], off
.LBB79_42:                              ;   in Loop: Header=BB79_40 Depth=2
	s_or_b64 exec, exec, s[2:3]
	s_waitcnt vmcnt(0)
	v_and_b32_e32 v10, s82, v7
	v_cmp_eq_u32_sdwa s[2:3], v10, s83 src0_sel:BYTE_0 src1_sel:DWORD
	s_cmp_lg_u64 s[2:3], 0
	s_cselect_b64 s[6:7], -1, 0
	s_and_b64 s[6:7], s[4:5], s[6:7]
	s_and_saveexec_b64 s[8:9], s[6:7]
	s_cbranch_execz .LBB79_46
; %bb.43:                               ;   in Loop: Header=BB79_40 Depth=2
	s_mov_b64 s[12:13], exec
	v_mbcnt_lo_u32_b32 v9, s12, 0
	v_mbcnt_hi_u32_b32 v9, s13, v9
	s_bcnt1_i32_b64 s16, s[2:3]
	v_cmp_eq_u32_e64 s[6:7], 0, v9
                                        ; implicit-def: $vgpr10
	s_and_saveexec_b64 s[10:11], s[6:7]
	s_cbranch_execz .LBB79_45
; %bb.44:                               ;   in Loop: Header=BB79_40 Depth=2
	s_bcnt1_i32_b64 s6, s[12:13]
	s_mul_i32 s6, s16, s6
	v_mov_b32_e32 v10, s6
	ds_add_rtn_u32 v10, v11, v10 offset:5144
.LBB79_45:                              ;   in Loop: Header=BB79_40 Depth=2
	s_or_b64 exec, exec, s[10:11]
	s_waitcnt lgkmcnt(0)
	v_readfirstlane_b32 s6, v10
	v_mov_b32_e32 v10, s6
	v_mad_u32_u24 v9, s16, v9, v10
.LBB79_46:                              ;   in Loop: Header=BB79_40 Depth=2
	s_or_b64 exec, exec, s[8:9]
	ds_bpermute_b32 v9, v36, v9
	s_and_b64 s[6:7], exec, vcc
	s_or_b64 s[0:1], s[6:7], s[0:1]
	s_and_saveexec_b64 s[6:7], s[2:3]
	s_cbranch_execz .LBB79_39
; %bb.47:                               ;   in Loop: Header=BB79_40 Depth=2
	v_and_b32_e32 v28, s2, v18
	v_and_b32_e32 v10, s3, v19
	v_bcnt_u32_b32 v28, v28, 0
	v_bcnt_u32_b32 v10, v10, v28
	s_waitcnt lgkmcnt(0)
	v_add_u32_e32 v9, v9, v10
	ds_write_b8 v9, v7
	s_branch .LBB79_39
.LBB79_48:                              ;   in Loop: Header=BB79_35 Depth=1
	s_mov_b64 s[90:91], -1
	s_mov_b64 s[0:1], 0
.LBB79_49:                              ;   in Loop: Header=BB79_35 Depth=1
	s_and_b64 vcc, exec, s[90:91]
	s_cbranch_vccz .LBB79_60
.LBB79_50:                              ;   in Loop: Header=BB79_35 Depth=1
	v_mov_b32_e32 v6, 0
	s_mov_b64 s[0:1], exec
	v_readlane_b32 s2, v48, 12
	v_readlane_b32 s3, v48, 13
	s_and_b64 s[2:3], s[0:1], s[2:3]
	s_mov_b64 exec, s[2:3]
	s_cbranch_execz .LBB79_52
; %bb.51:                               ;   in Loop: Header=BB79_35 Depth=1
	global_load_ubyte v6, v[14:15], off
.LBB79_52:                              ;   in Loop: Header=BB79_35 Depth=1
	s_or_b64 exec, exec, s[0:1]
	s_mov_b64 s[0:1], exec
	v_readlane_b32 s2, v48, 12
	v_readlane_b32 s3, v48, 13
	s_and_b64 s[2:3], s[0:1], s[2:3]
	s_mov_b64 exec, s[2:3]
	s_cbranch_execz .LBB79_57
; %bb.53:                               ;   in Loop: Header=BB79_35 Depth=1
	global_load_ushort v7, v11, s[50:51]
	v_readlane_b32 s2, v48, 30
	v_readlane_b32 s3, v48, 31
	v_pk_mov_b32 v[2:3], s[2:3], s[2:3] op_sel:[0,1]
	s_mov_b64 s[2:3], 0
	v_mov_b32_e32 v8, v0
	s_waitcnt vmcnt(0)
	v_readfirstlane_b32 s6, v7
	s_and_b32 s10, 0xffff, s6
	v_add_u32_e32 v5, s10, v0
	v_mad_u64_u32 v[2:3], s[6:7], s56, v5, v[2:3]
	v_mov_b32_e32 v4, v3
	s_mul_i32 s8, s57, s10
	s_mul_hi_u32 s9, s56, s10
	v_mad_u64_u32 v[4:5], s[6:7], s57, v5, v[4:5]
	s_mul_i32 s11, s56, s10
	s_add_i32 s12, s9, s8
	v_mov_b32_e32 v3, v4
	v_pk_mov_b32 v[4:5], v[0:1], v[0:1] op_sel:[0,1]
	s_branch .LBB79_55
.LBB79_54:                              ;   in Loop: Header=BB79_55 Depth=2
	s_or_b64 exec, exec, s[8:9]
	s_and_b64 s[6:7], exec, vcc
	ds_write_b8 v8, v6
	v_mov_b32_e32 v6, s12
	v_add_co_u32_e32 v2, vcc, s11, v2
	s_or_b64 s[2:3], s[6:7], s[2:3]
	v_add_u32_e32 v8, s10, v8
	v_addc_co_u32_e32 v3, vcc, v3, v6, vcc
	s_waitcnt vmcnt(0)
	v_mov_b32_e32 v6, v9
	s_andn2_b64 exec, exec, s[2:3]
	s_cbranch_execz .LBB79_57
.LBB79_55:                              ;   Parent Loop BB79_35 Depth=1
                                        ; =>  This Inner Loop Header: Depth=2
	v_add_co_u32_sdwa v4, vcc, v4, v7 dst_sel:DWORD dst_unused:UNUSED_PAD src0_sel:DWORD src1_sel:WORD_0
	v_addc_co_u32_e32 v5, vcc, 0, v5, vcc
	v_cmp_gt_u64_e64 s[6:7], s[52:53], v[4:5]
	v_cmp_le_u64_e32 vcc, s[52:53], v[4:5]
	v_mov_b32_e32 v9, 0
	s_and_saveexec_b64 s[8:9], s[6:7]
	s_cbranch_execz .LBB79_54
; %bb.56:                               ;   in Loop: Header=BB79_55 Depth=2
	global_load_ubyte v9, v[2:3], off
	s_branch .LBB79_54
.LBB79_57:                              ;   in Loop: Header=BB79_35 Depth=1
	s_or_b64 exec, exec, s[0:1]
	s_waitcnt lgkmcnt(0)
	s_barrier
	s_mov_b64 s[0:1], exec
	v_readlane_b32 s2, v48, 6
	v_readlane_b32 s3, v48, 7
	s_and_b64 s[2:3], s[0:1], s[2:3]
	s_mov_b64 exec, s[2:3]
	s_cbranch_execz .LBB79_59
; %bb.58:                               ;   in Loop: Header=BB79_35 Depth=1
	v_pk_mov_b32 v[2:3], s[52:53], s[52:53] op_sel:[0,1]
	ds_write_b64 v11, v[2:3] offset:5120
.LBB79_59:                              ;   in Loop: Header=BB79_35 Depth=1
	s_or_b64 exec, exec, s[0:1]
	s_mov_b64 s[0:1], -1
	s_waitcnt lgkmcnt(0)
	s_barrier
                                        ; implicit-def: $sgpr90_sgpr91
.LBB79_60:                              ;   in Loop: Header=BB79_35 Depth=1
	s_and_b64 vcc, exec, s[0:1]
	s_cbranch_vccz .LBB79_62
; %bb.61:                               ;   in Loop: Header=BB79_35 Depth=1
	ds_read_b64 v[2:3], v11 offset:5120
	s_waitcnt lgkmcnt(0)
	v_readfirstlane_b32 s90, v2
.LBB79_62:                              ;   in Loop: Header=BB79_35 Depth=1
	s_cmp_lt_i32 s90, 1
	s_cbranch_scc0 .LBB79_77
; %bb.63:                               ;   in Loop: Header=BB79_35 Depth=1
	global_load_ushort v4, v11, s[50:51]
	s_mov_b32 s0, s75
	s_waitcnt vmcnt(0)
	v_readfirstlane_b32 s1, v4
	s_and_b32 s1, 0xffff, s1
	s_lshl_b32 s74, s1, 2
	s_mov_b32 s1, s53
	s_cmp_lg_u64 s[0:1], 0
	s_cbranch_scc0 .LBB79_97
; %bb.64:                               ;   in Loop: Header=BB79_35 Depth=1
	v_cvt_f32_u32_e32 v2, s74
	s_sub_u32 s0, 0, s74
	s_subb_u32 s1, 0, 0
	v_mac_f32_e32 v2, 0, v38
	v_rcp_f32_e32 v2, v2
	v_mul_f32_e32 v2, 0x5f7ffffc, v2
	v_mul_f32_e32 v3, 0x2f800000, v2
	v_trunc_f32_e32 v3, v3
	v_mac_f32_e32 v2, 0xcf800000, v3
	v_cvt_u32_f32_e32 v3, v3
	v_cvt_u32_f32_e32 v2, v2
	v_readfirstlane_b32 s2, v3
	v_readfirstlane_b32 s3, v2
	s_mul_i32 s6, s0, s2
	s_mul_hi_u32 s8, s0, s3
	s_mul_i32 s7, s1, s3
	s_add_i32 s6, s8, s6
	s_mul_i32 s9, s0, s3
	s_add_i32 s6, s6, s7
	s_mul_hi_u32 s8, s3, s9
	s_mul_hi_u32 s7, s3, s6
	s_mul_i32 s3, s3, s6
	s_add_u32 s3, s8, s3
	s_addc_u32 s7, 0, s7
	s_mul_hi_u32 s10, s2, s9
	s_mul_i32 s9, s2, s9
	s_add_u32 s3, s3, s9
	s_mul_hi_u32 s8, s2, s6
	s_addc_u32 s3, s7, s10
	s_addc_u32 s7, s8, 0
	s_mul_i32 s6, s2, s6
	s_add_u32 s3, s3, s6
	s_addc_u32 s6, 0, s7
	v_add_co_u32_e32 v2, vcc, s3, v2
	s_cmp_lg_u64 vcc, 0
	s_addc_u32 s2, s2, s6
	v_readfirstlane_b32 s6, v2
	s_mul_i32 s3, s0, s2
	s_mul_hi_u32 s7, s0, s6
	s_add_i32 s3, s7, s3
	s_mul_i32 s1, s1, s6
	s_add_i32 s3, s3, s1
	s_mul_i32 s0, s0, s6
	s_mul_hi_u32 s7, s2, s0
	s_mul_i32 s8, s2, s0
	s_mul_i32 s10, s6, s3
	s_mul_hi_u32 s0, s6, s0
	s_mul_hi_u32 s9, s6, s3
	s_add_u32 s0, s0, s10
	s_addc_u32 s6, 0, s9
	s_add_u32 s0, s0, s8
	s_mul_hi_u32 s1, s2, s3
	s_addc_u32 s0, s6, s7
	s_addc_u32 s1, s1, 0
	s_mul_i32 s3, s2, s3
	s_add_u32 s0, s0, s3
	s_addc_u32 s1, 0, s1
	v_add_co_u32_e32 v2, vcc, s0, v2
	s_cmp_lg_u64 vcc, 0
	s_addc_u32 s0, s2, s1
	v_readfirstlane_b32 s3, v2
	s_mul_i32 s2, s52, s0
	s_mul_hi_u32 s6, s52, s3
	s_mul_hi_u32 s1, s52, s0
	s_add_u32 s2, s6, s2
	s_addc_u32 s1, 0, s1
	s_mul_hi_u32 s7, s53, s3
	s_mul_i32 s3, s53, s3
	s_add_u32 s2, s2, s3
	s_mul_hi_u32 s6, s53, s0
	s_addc_u32 s1, s1, s7
	s_addc_u32 s2, s6, 0
	s_mul_i32 s0, s53, s0
	s_add_u32 s0, s1, s0
	s_addc_u32 s1, 0, s2
	s_mul_hi_u32 s2, s74, s0
	s_mul_i32 s0, s74, s0
	s_mul_i32 s1, s74, s1
	v_mov_b32_e32 v2, s0
	s_add_i32 s2, s2, s1
	v_sub_co_u32_e32 v2, vcc, s52, v2
	s_cmp_lg_u64 vcc, 0
	s_subb_u32 s0, s53, s2
	v_subrev_co_u32_e32 v3, vcc, s74, v2
	s_cmp_lg_u64 vcc, 0
	s_subb_u32 s1, s0, 0
	v_subrev_co_u32_e32 v5, vcc, s74, v3
	s_cmp_lg_u64 vcc, 0
	s_subb_u32 s2, s1, 0
	v_cmp_le_u32_e32 vcc, s74, v3
	s_cmp_eq_u32 s1, 0
	v_cndmask_b32_e64 v6, 0, -1, vcc
	s_cselect_b64 vcc, -1, 0
	v_cndmask_b32_e32 v6, -1, v6, vcc
	v_mov_b32_e32 v7, s1
	v_mov_b32_e32 v8, s2
	v_cmp_ne_u32_e32 vcc, 0, v6
	v_cndmask_b32_e32 v6, v7, v8, vcc
	v_cndmask_b32_e32 v5, v3, v5, vcc
	v_cmp_le_u32_e32 vcc, s74, v2
	s_cmp_eq_u32 s0, 0
	v_cndmask_b32_e64 v3, 0, -1, vcc
	s_cselect_b64 vcc, -1, 0
	v_cndmask_b32_e32 v3, -1, v3, vcc
	v_mov_b32_e32 v7, s0
	v_cmp_ne_u32_e32 vcc, 0, v3
	v_cndmask_b32_e32 v3, v7, v6, vcc
	v_cndmask_b32_e32 v2, v2, v5, vcc
	s_cbranch_execnz .LBB79_66
.LBB79_65:                              ;   in Loop: Header=BB79_35 Depth=1
	v_cvt_f32_u32_e32 v2, s74
	s_sub_i32 s0, 0, s74
	v_rcp_iflag_f32_e32 v2, v2
	v_mul_f32_e32 v2, 0x4f7ffffe, v2
	v_cvt_u32_f32_e32 v2, v2
	v_mul_lo_u32 v3, s0, v2
	v_mul_hi_u32 v3, v2, v3
	v_add_u32_e32 v2, v2, v3
	v_mul_hi_u32 v2, s52, v2
	v_mul_lo_u32 v2, v2, s74
	v_sub_u32_e32 v2, s52, v2
	v_subrev_u32_e32 v3, s74, v2
	v_cmp_le_u32_e32 vcc, s74, v2
	v_cndmask_b32_e32 v2, v2, v3, vcc
	v_subrev_u32_e32 v3, s74, v2
	v_cmp_le_u32_e32 vcc, s74, v2
	v_cndmask_b32_e32 v10, v2, v3, vcc
	v_pk_mov_b32 v[2:3], v[10:11], v[10:11] op_sel:[0,1]
.LBB79_66:                              ;   in Loop: Header=BB79_35 Depth=1
	v_and_b32_e32 v10, 0xffff, v4
	v_mov_b32_e32 v4, s53
	v_sub_co_u32_e32 v28, vcc, s52, v2
	v_subb_co_u32_e32 v29, vcc, v4, v3, vcc
	v_pk_mov_b32 v[2:3], 0, 0
	v_cmp_gt_u64_e32 vcc, v[28:29], v[16:17]
	s_mov_b64 s[2:3], 0
	v_pk_mov_b32 v[4:5], v[2:3], v[2:3] op_sel:[0,1]
	v_pk_mov_b32 v[6:7], v[2:3], v[2:3] op_sel:[0,1]
	;; [unrolled: 1-line block ×3, first 2 shown]
	s_and_saveexec_b64 s[8:9], vcc
	s_cbranch_execz .LBB79_70
; %bb.67:                               ;   in Loop: Header=BB79_35 Depth=1
	v_readlane_b32 s0, v48, 28
	v_readlane_b32 s1, v48, 29
	v_mul_lo_u32 v2, s1, v10
	v_mul_hi_u32 v3, s0, v10
	s_mov_b32 s61, s49
	s_mov_b64 s[78:79], s[46:47]
	s_mov_b32 s60, s80
	s_and_b32 s91, s80, 0xfe
	v_add_u32_e32 v40, v3, v2
	v_mul_lo_u32 v41, s0, v10
	v_pk_mov_b32 v[30:31], s[72:73], s[72:73] op_sel:[0,1]
	s_mov_b64 s[0:1], 0
	s_mov_b64 s[80:81], 0
	;; [unrolled: 1-line block ×4, first 2 shown]
	v_pk_mov_b32 v[32:33], v[16:17], v[16:17] op_sel:[0,1]
.LBB79_68:                              ;   Parent Loop BB79_35 Depth=1
                                        ; =>  This Inner Loop Header: Depth=2
	v_add_co_u32_e32 v2, vcc, v30, v26
	v_addc_co_u32_e32 v3, vcc, v31, v27, vcc
	v_add_co_u32_e32 v4, vcc, v30, v24
	v_addc_co_u32_e32 v5, vcc, v31, v25, vcc
	;; [unrolled: 2-line block ×4, first 2 shown]
	global_load_ubyte v2, v[2:3], off
	s_nop 0
	global_load_ubyte v3, v[4:5], off
	s_nop 0
	global_load_ubyte v4, v[6:7], off
	global_load_ubyte v5, v[8:9], off
	v_add_co_u32_e32 v32, vcc, s74, v32
	v_addc_co_u32_e32 v33, vcc, 0, v33, vcc
	v_add_co_u32_e32 v30, vcc, v30, v41
	v_addc_co_u32_e32 v31, vcc, v31, v40, vcc
	v_cmp_ge_u64_e32 vcc, v[32:33], v[28:29]
	s_waitcnt vmcnt(3)
	v_and_b32_e32 v6, s82, v2
	v_bfe_u32 v2, v2, s91, 2
	s_waitcnt vmcnt(2)
	v_and_b32_e32 v7, s82, v3
	v_bfe_u32 v3, v3, s91, 2
	v_cmp_eq_u32_e64 s[16:17], s83, v6
	v_cmp_eq_u32_e64 s[6:7], 0, v2
	s_waitcnt vmcnt(1)
	v_and_b32_e32 v8, s82, v4
	v_bfe_u32 v4, v4, s91, 2
	v_cmp_eq_u32_e64 s[14:15], s83, v7
	v_cmp_eq_u32_e64 s[28:29], 0, v3
	s_and_b64 s[6:7], s[16:17], s[6:7]
	s_waitcnt vmcnt(0)
	v_and_b32_e32 v9, s82, v5
	v_bfe_u32 v5, v5, s91, 2
	v_cmp_eq_u32_e64 s[12:13], s83, v8
	v_cmp_eq_u32_e64 s[30:31], 0, v4
	;; [unrolled: 1-line block ×5, first 2 shown]
	v_cndmask_b32_e64 v2, 0, 1, s[6:7]
	s_and_b64 s[6:7], s[14:15], s[28:29]
	v_cmp_eq_u32_e64 s[10:11], s83, v9
	v_cmp_eq_u32_e64 s[34:35], 0, v5
	;; [unrolled: 1-line block ×5, first 2 shown]
	v_cndmask_b32_e64 v3, 0, 1, s[6:7]
	s_and_b64 s[6:7], s[12:13], s[30:31]
	v_cmp_eq_u32_e64 s[40:41], 1, v4
	v_cmp_eq_u32_e64 s[48:49], 2, v4
	;; [unrolled: 1-line block ×3, first 2 shown]
	v_cndmask_b32_e64 v4, 0, 1, s[6:7]
	s_and_b64 s[6:7], s[10:11], s[34:35]
	v_cmp_eq_u32_e64 s[42:43], 1, v5
	v_cmp_eq_u32_e64 s[50:51], 2, v5
	;; [unrolled: 1-line block ×3, first 2 shown]
	v_cndmask_b32_e64 v5, 0, 1, s[6:7]
	v_cmp_ne_u32_e64 s[6:7], 0, v2
	v_cmp_ne_u32_e64 s[28:29], 0, v3
	v_cmp_ne_u32_e64 s[30:31], 0, v4
	v_cmp_ne_u32_e64 s[34:35], 0, v5
	s_bcnt1_i32_b64 s6, s[6:7]
	s_bcnt1_i32_b64 s7, s[28:29]
	s_bcnt1_i32_b64 s28, s[30:31]
	s_bcnt1_i32_b64 s29, s[34:35]
	s_add_u32 s6, s6, s92
	s_addc_u32 s30, 0, s93
	s_add_u32 s6, s6, s7
	s_addc_u32 s7, s30, 0
	s_add_u32 s6, s6, s28
	s_addc_u32 s7, s7, 0
	s_add_u32 s92, s6, s29
	s_addc_u32 s93, s7, 0
	s_and_b64 s[6:7], s[16:17], s[36:37]
	v_cndmask_b32_e64 v4, 0, 1, s[6:7]
	s_and_b64 s[6:7], s[14:15], s[38:39]
	v_cndmask_b32_e64 v5, 0, 1, s[6:7]
	s_and_b64 s[6:7], s[12:13], s[40:41]
	v_cndmask_b32_e64 v6, 0, 1, s[6:7]
	s_and_b64 s[6:7], s[10:11], s[42:43]
	v_cndmask_b32_e64 v7, 0, 1, s[6:7]
	v_cmp_ne_u32_e64 s[6:7], 0, v4
	v_cmp_ne_u32_e64 s[28:29], 0, v5
	v_cmp_ne_u32_e64 s[30:31], 0, v6
	v_cmp_ne_u32_e64 s[34:35], 0, v7
	s_bcnt1_i32_b64 s6, s[6:7]
	s_bcnt1_i32_b64 s7, s[28:29]
	s_bcnt1_i32_b64 s28, s[30:31]
	s_bcnt1_i32_b64 s29, s[34:35]
	s_add_u32 s6, s6, s26
	s_addc_u32 s26, 0, s27
	s_add_u32 s6, s6, s7
	s_addc_u32 s7, s26, 0
	s_add_u32 s6, s6, s28
	s_addc_u32 s7, s7, 0
	s_add_u32 s26, s6, s29
	s_addc_u32 s27, s7, 0
	s_and_b64 s[6:7], s[16:17], s[44:45]
	v_cndmask_b32_e64 v6, 0, 1, s[6:7]
	s_and_b64 s[6:7], s[14:15], s[46:47]
	v_cndmask_b32_e64 v7, 0, 1, s[6:7]
	s_and_b64 s[6:7], s[12:13], s[48:49]
	v_cndmask_b32_e64 v8, 0, 1, s[6:7]
	s_and_b64 s[6:7], s[10:11], s[50:51]
	;; [unrolled: 24-line block ×3, first 2 shown]
	v_cndmask_b32_e64 v43, 0, 1, s[6:7]
	v_cmp_ne_u32_e64 s[6:7], 0, v8
	v_cmp_ne_u32_e64 s[10:11], 0, v9
	;; [unrolled: 1-line block ×4, first 2 shown]
	s_bcnt1_i32_b64 s6, s[6:7]
	s_bcnt1_i32_b64 s7, s[10:11]
	;; [unrolled: 1-line block ×4, first 2 shown]
	s_add_u32 s0, s6, s0
	s_addc_u32 s1, 0, s1
	s_add_u32 s0, s0, s7
	s_addc_u32 s1, s1, 0
	;; [unrolled: 2-line block ×4, first 2 shown]
	v_pk_mov_b32 v[2:3], s[92:93], s[92:93] op_sel:[0,1]
	v_pk_mov_b32 v[4:5], s[26:27], s[26:27] op_sel:[0,1]
	;; [unrolled: 1-line block ×3, first 2 shown]
	s_or_b64 s[2:3], vcc, s[2:3]
	v_pk_mov_b32 v[8:9], s[0:1], s[0:1] op_sel:[0,1]
	s_andn2_b64 exec, exec, s[2:3]
	s_cbranch_execnz .LBB79_68
; %bb.69:                               ;   in Loop: Header=BB79_35 Depth=1
	s_or_b64 exec, exec, s[2:3]
	v_readlane_b32 s44, v48, 32
	s_mov_b32 s49, s61
	v_readlane_b32 s50, v48, 34
	s_mov_b32 s80, s60
	v_readlane_b32 s60, v48, 36
	v_readlane_b32 s45, v48, 33
	s_mov_b64 s[46:47], s[78:79]
	v_readlane_b32 s51, v48, 35
	v_readlane_b32 s61, v48, 37
.LBB79_70:                              ;   in Loop: Header=BB79_35 Depth=1
	s_or_b64 exec, exec, s[8:9]
	v_add_co_u32_e32 v28, vcc, v28, v0
	v_addc_co_u32_e32 v29, vcc, 0, v29, vcc
	v_cmp_gt_u64_e32 vcc, s[52:53], v[28:29]
	v_mov_b32_e32 v30, 0
	s_and_saveexec_b64 s[0:1], vcc
	s_cbranch_execz .LBB79_72
; %bb.71:                               ;   in Loop: Header=BB79_35 Depth=1
	v_pk_mov_b32 v[30:31], s[72:73], s[72:73] op_sel:[0,1]
	v_mad_u64_u32 v[30:31], s[2:3], v28, s56, v[30:31]
	v_mul_lo_u32 v32, v28, s57
	v_mul_lo_u32 v33, v29, s56
	v_add3_u32 v31, v33, v31, v32
	global_load_ubyte v30, v[30:31], off
.LBB79_72:                              ;   in Loop: Header=BB79_35 Depth=1
	s_or_b64 exec, exec, s[0:1]
	s_and_saveexec_b64 s[0:1], vcc
	s_cbranch_execz .LBB79_79
; %bb.73:                               ;   in Loop: Header=BB79_35 Depth=1
	s_and_b32 s10, s80, 0xfe
	s_mov_b64 s[2:3], 0
	s_branch .LBB79_75
.LBB79_74:                              ;   in Loop: Header=BB79_75 Depth=2
	s_or_b64 exec, exec, s[8:9]
	s_waitcnt vmcnt(0)
	v_and_b32_e32 v30, 0xff, v30
	s_and_b64 s[6:7], exec, vcc
	v_and_b32_e32 v32, s82, v30
	v_bfe_u32 v30, v30, s10, 2
	s_or_b64 s[2:3], s[6:7], s[2:3]
	v_cmp_eq_u32_e32 vcc, s83, v32
	v_cmp_eq_u32_e64 s[6:7], 0, v30
	s_and_b64 s[6:7], vcc, s[6:7]
	v_cndmask_b32_e64 v32, 0, 1, s[6:7]
	v_cmp_ne_u32_e64 s[6:7], 0, v32
	s_bcnt1_i32_b64 s6, s[6:7]
	v_add_co_u32_e64 v2, s[6:7], s6, v2
	v_addc_co_u32_e64 v3, s[6:7], 0, v3, s[6:7]
	v_cmp_eq_u32_e64 s[6:7], 1, v30
	s_and_b64 s[6:7], vcc, s[6:7]
	v_cndmask_b32_e64 v32, 0, 1, s[6:7]
	v_cmp_ne_u32_e64 s[6:7], 0, v32
	s_bcnt1_i32_b64 s6, s[6:7]
	v_add_co_u32_e64 v4, s[6:7], s6, v4
	v_addc_co_u32_e64 v5, s[6:7], 0, v5, s[6:7]
	;; [unrolled: 7-line block ×3, first 2 shown]
	v_cmp_eq_u32_e64 s[6:7], 3, v30
	s_and_b64 s[6:7], vcc, s[6:7]
	v_cndmask_b32_e64 v30, 0, 1, s[6:7]
	v_cmp_ne_u32_e32 vcc, 0, v30
	s_bcnt1_i32_b64 s6, vcc
	v_add_co_u32_e32 v8, vcc, s6, v8
	v_addc_co_u32_e32 v9, vcc, 0, v9, vcc
	v_mov_b32_e32 v30, v31
	s_andn2_b64 exec, exec, s[2:3]
	s_cbranch_execz .LBB79_78
.LBB79_75:                              ;   Parent Loop BB79_35 Depth=1
                                        ; =>  This Inner Loop Header: Depth=2
	v_add_co_u32_e32 v28, vcc, v28, v10
	v_addc_co_u32_e32 v29, vcc, 0, v29, vcc
	v_cmp_gt_u64_e64 s[6:7], s[52:53], v[28:29]
	v_cmp_le_u64_e32 vcc, s[52:53], v[28:29]
	v_mov_b32_e32 v31, 0
	s_and_saveexec_b64 s[8:9], s[6:7]
	s_cbranch_execz .LBB79_74
; %bb.76:                               ;   in Loop: Header=BB79_75 Depth=2
	v_pk_mov_b32 v[32:33], s[72:73], s[72:73] op_sel:[0,1]
	v_mad_u64_u32 v[32:33], s[6:7], v28, s56, v[32:33]
	v_mul_lo_u32 v31, v28, s57
	v_mul_lo_u32 v40, v29, s56
	v_add3_u32 v33, v40, v33, v31
	global_load_ubyte v31, v[32:33], off
	s_branch .LBB79_74
.LBB79_77:                              ;   in Loop: Header=BB79_35 Depth=1
                                        ; implicit-def: $vgpr8_vgpr9
                                        ; implicit-def: $vgpr4_vgpr5
	s_cbranch_execnz .LBB79_80
	s_branch .LBB79_89
.LBB79_78:                              ;   in Loop: Header=BB79_35 Depth=1
	s_or_b64 exec, exec, s[2:3]
.LBB79_79:                              ;   in Loop: Header=BB79_35 Depth=1
	s_or_b64 exec, exec, s[0:1]
	s_branch .LBB79_89
.LBB79_80:                              ;   in Loop: Header=BB79_35 Depth=1
	global_load_ushort v10, v11, s[50:51]
	s_mov_b64 s[2:3], 0
	s_waitcnt vmcnt(0)
	v_readfirstlane_b32 s0, v10
	s_and_b32 s0, 0xffff, s0
	s_lshl_b32 s91, s0, 2
	v_cvt_f32_u32_e32 v2, s91
	s_sub_i32 s0, 0, s91
	v_rcp_iflag_f32_e32 v4, v2
	v_pk_mov_b32 v[2:3], 0, 0
	v_pk_mov_b32 v[6:7], v[2:3], v[2:3] op_sel:[0,1]
	v_mul_f32_e32 v4, 0x4f7ffffe, v4
	v_cvt_u32_f32_e32 v8, v4
	v_pk_mov_b32 v[4:5], v[2:3], v[2:3] op_sel:[0,1]
	v_readfirstlane_b32 s1, v8
	s_mul_i32 s0, s0, s1
	s_mul_hi_u32 s0, s1, s0
	s_add_i32 s1, s1, s0
	s_mul_hi_u32 s0, s90, s1
	s_mul_i32 s0, s0, s91
	s_sub_i32 s0, s90, s0
	s_sub_i32 s1, s0, s91
	s_cmp_ge_u32 s0, s91
	s_cselect_b32 s0, s1, s0
	s_sub_i32 s1, s0, s91
	s_cmp_ge_u32 s0, s91
	s_cselect_b32 s0, s1, s0
	s_sub_i32 s74, s90, s0
	v_cmp_gt_u32_e32 vcc, s74, v16
	v_pk_mov_b32 v[8:9], v[2:3], v[2:3] op_sel:[0,1]
	s_and_saveexec_b64 s[0:1], vcc
	s_cbranch_execz .LBB79_84
; %bb.81:                               ;   in Loop: Header=BB79_35 Depth=1
	s_mov_b32 s79, s49
	s_mov_b64 s[60:61], s[46:47]
	s_mov_b32 s78, s84
	s_mov_b32 s64, s80
	s_and_b32 s84, s80, 0xfe
	v_mov_b32_e32 v30, v16
	s_mov_b64 s[8:9], 0
	s_mov_b64 s[26:27], 0
	;; [unrolled: 1-line block ×4, first 2 shown]
	v_pk_mov_b32 v[28:29], v[16:17], v[16:17] op_sel:[0,1]
.LBB79_82:                              ;   Parent Loop BB79_35 Depth=1
                                        ; =>  This Inner Loop Header: Depth=2
	ds_read_b32 v2, v30
	v_add_co_u32_e32 v28, vcc, s91, v28
	v_addc_co_u32_e32 v29, vcc, 0, v29, vcc
	s_waitcnt lgkmcnt(0)
	v_and_b32_e32 v4, 0xff, v2
	v_bfe_u32 v5, v2, 8, 8
	v_and_b32_e32 v6, s82, v4
	v_bfe_u32 v4, v4, s84, 2
	v_lshrrev_b32_e32 v3, 24, v2
	v_bfe_u32 v2, v2, 16, 8
	v_and_b32_e32 v7, s82, v5
	v_bfe_u32 v5, v5, s84, 2
	v_cmp_eq_u32_e64 s[16:17], s83, v6
	v_cmp_eq_u32_e64 s[6:7], 0, v4
	v_and_b32_e32 v8, s82, v2
	v_bfe_u32 v2, v2, s84, 2
	v_cmp_eq_u32_e64 s[14:15], s83, v7
	v_cmp_eq_u32_e64 s[28:29], 0, v5
	s_and_b64 s[6:7], s[16:17], s[6:7]
	v_and_b32_e32 v9, s82, v3
	v_bfe_u32 v3, v3, s84, 2
	v_cmp_eq_u32_e64 s[12:13], s83, v8
	v_cmp_eq_u32_e64 s[30:31], 0, v2
	v_cmp_eq_u32_e64 s[40:41], 1, v2
	v_cmp_eq_u32_e64 s[48:49], 2, v2
	v_cmp_eq_u32_e64 s[20:21], 3, v2
	v_cndmask_b32_e64 v2, 0, 1, s[6:7]
	s_and_b64 s[6:7], s[14:15], s[28:29]
	v_cmp_eq_u32_e64 s[10:11], s83, v9
	v_cmp_eq_u32_e64 s[34:35], 0, v3
	;; [unrolled: 1-line block ×5, first 2 shown]
	v_cndmask_b32_e64 v3, 0, 1, s[6:7]
	s_and_b64 s[6:7], s[12:13], s[30:31]
	v_cmp_eq_u32_e64 s[36:37], 1, v4
	v_cmp_eq_u32_e64 s[44:45], 2, v4
	;; [unrolled: 1-line block ×3, first 2 shown]
	v_cndmask_b32_e64 v4, 0, 1, s[6:7]
	s_and_b64 s[6:7], s[10:11], s[34:35]
	v_cmp_eq_u32_e64 s[38:39], 1, v5
	v_cmp_eq_u32_e64 s[46:47], 2, v5
	;; [unrolled: 1-line block ×3, first 2 shown]
	v_cndmask_b32_e64 v5, 0, 1, s[6:7]
	v_cmp_ne_u32_e64 s[6:7], 0, v2
	v_cmp_ne_u32_e64 s[28:29], 0, v3
	v_cmp_ne_u32_e64 s[30:31], 0, v4
	v_cmp_ne_u32_e64 s[34:35], 0, v5
	s_bcnt1_i32_b64 s6, s[6:7]
	s_bcnt1_i32_b64 s7, s[28:29]
	s_bcnt1_i32_b64 s28, s[30:31]
	s_bcnt1_i32_b64 s29, s[34:35]
	s_add_u32 s6, s6, s92
	s_addc_u32 s30, 0, s93
	s_add_u32 s6, s6, s7
	s_addc_u32 s7, s30, 0
	s_add_u32 s6, s6, s28
	s_addc_u32 s7, s7, 0
	s_add_u32 s92, s6, s29
	s_addc_u32 s93, s7, 0
	s_and_b64 s[6:7], s[16:17], s[36:37]
	v_cndmask_b32_e64 v4, 0, 1, s[6:7]
	s_and_b64 s[6:7], s[14:15], s[38:39]
	v_cndmask_b32_e64 v5, 0, 1, s[6:7]
	s_and_b64 s[6:7], s[12:13], s[40:41]
	v_cndmask_b32_e64 v6, 0, 1, s[6:7]
	s_and_b64 s[6:7], s[10:11], s[42:43]
	v_cndmask_b32_e64 v7, 0, 1, s[6:7]
	v_cmp_ne_u32_e64 s[6:7], 0, v4
	v_cmp_ne_u32_e64 s[28:29], 0, v5
	v_cmp_ne_u32_e64 s[30:31], 0, v6
	v_cmp_ne_u32_e64 s[34:35], 0, v7
	s_bcnt1_i32_b64 s6, s[6:7]
	s_bcnt1_i32_b64 s7, s[28:29]
	s_bcnt1_i32_b64 s28, s[30:31]
	s_bcnt1_i32_b64 s29, s[34:35]
	s_add_u32 s6, s6, s80
	s_addc_u32 s30, 0, s81
	s_add_u32 s6, s6, s7
	s_addc_u32 s7, s30, 0
	s_add_u32 s6, s6, s28
	s_addc_u32 s7, s7, 0
	s_add_u32 s80, s6, s29
	s_addc_u32 s81, s7, 0
	s_and_b64 s[6:7], s[16:17], s[44:45]
	v_cndmask_b32_e64 v6, 0, 1, s[6:7]
	s_and_b64 s[6:7], s[14:15], s[46:47]
	v_cndmask_b32_e64 v7, 0, 1, s[6:7]
	s_and_b64 s[6:7], s[12:13], s[48:49]
	v_cndmask_b32_e64 v8, 0, 1, s[6:7]
	s_and_b64 s[6:7], s[10:11], s[50:51]
	;; [unrolled: 24-line block ×3, first 2 shown]
	v_cndmask_b32_e64 v32, 0, 1, s[6:7]
	v_cmp_ne_u32_e64 s[6:7], 0, v8
	v_cmp_ne_u32_e64 s[10:11], 0, v9
	;; [unrolled: 1-line block ×4, first 2 shown]
	s_bcnt1_i32_b64 s6, s[6:7]
	s_bcnt1_i32_b64 s7, s[10:11]
	;; [unrolled: 1-line block ×4, first 2 shown]
	s_add_u32 s6, s6, s8
	s_addc_u32 s8, 0, s9
	s_add_u32 s6, s6, s7
	s_addc_u32 s7, s8, 0
	;; [unrolled: 2-line block ×3, first 2 shown]
	s_add_u32 s8, s6, s11
	v_cmp_le_u64_e32 vcc, s[74:75], v[28:29]
	s_addc_u32 s9, s7, 0
	v_add_u32_e32 v30, s91, v30
	v_pk_mov_b32 v[2:3], s[92:93], s[92:93] op_sel:[0,1]
	v_pk_mov_b32 v[4:5], s[80:81], s[80:81] op_sel:[0,1]
	v_pk_mov_b32 v[6:7], s[26:27], s[26:27] op_sel:[0,1]
	s_or_b64 s[2:3], vcc, s[2:3]
	v_pk_mov_b32 v[8:9], s[8:9], s[8:9] op_sel:[0,1]
	s_andn2_b64 exec, exec, s[2:3]
	s_cbranch_execnz .LBB79_82
; %bb.83:                               ;   in Loop: Header=BB79_35 Depth=1
	s_or_b64 exec, exec, s[2:3]
	v_readlane_b32 s44, v48, 32
	s_mov_b64 s[46:47], s[60:61]
	v_readlane_b32 s50, v48, 34
	v_readlane_b32 s60, v48, 36
	s_mov_b32 s84, s78
	v_readlane_b32 s45, v48, 33
	s_mov_b32 s49, s79
	;; [unrolled: 2-line block ×3, first 2 shown]
	v_readlane_b32 s61, v48, 37
.LBB79_84:                              ;   in Loop: Header=BB79_35 Depth=1
	s_or_b64 exec, exec, s[0:1]
	v_and_b32_e32 v30, 0xffff, v10
	v_add_u32_e32 v10, s74, v0
	v_cmp_gt_u32_e32 vcc, s90, v10
	s_and_saveexec_b64 s[0:1], vcc
	s_cbranch_execz .LBB79_88
; %bb.85:                               ;   in Loop: Header=BB79_35 Depth=1
	s_and_b32 s2, s90, 0x7fffffff
	s_mov_b32 s3, s75
	s_and_b32 s18, s80, 0xfe
	v_add_u32_e32 v31, s74, v0
	s_mov_b64 s[8:9], 0
	v_pk_mov_b32 v[28:29], v[10:11], v[10:11] op_sel:[0,1]
.LBB79_86:                              ;   Parent Loop BB79_35 Depth=1
                                        ; =>  This Inner Loop Header: Depth=2
	ds_read_u8 v10, v31
	v_add_co_u32_e32 v28, vcc, v28, v30
	v_addc_co_u32_e32 v29, vcc, 0, v29, vcc
	s_waitcnt lgkmcnt(0)
	v_and_b32_e32 v32, s82, v10
	v_bfe_u32 v10, v10, s18, 2
	v_cmp_eq_u32_e64 s[6:7], s83, v32
	v_cmp_eq_u32_e64 s[10:11], 0, v10
	;; [unrolled: 1-line block ×3, first 2 shown]
	s_and_b64 s[10:11], s[6:7], s[10:11]
	v_cmp_eq_u32_e64 s[14:15], 2, v10
	v_cmp_eq_u32_e64 s[16:17], 3, v10
	v_cndmask_b32_e64 v10, 0, 1, s[10:11]
	s_and_b64 s[10:11], s[6:7], s[12:13]
	v_cndmask_b32_e64 v32, 0, 1, s[10:11]
	s_and_b64 s[10:11], s[6:7], s[14:15]
	s_and_b64 s[6:7], s[6:7], s[16:17]
	v_cndmask_b32_e64 v40, 0, 1, s[6:7]
	v_cmp_ne_u32_e64 s[6:7], 0, v10
	s_bcnt1_i32_b64 s6, s[6:7]
	v_cndmask_b32_e64 v33, 0, 1, s[10:11]
	v_cmp_ne_u32_e64 s[10:11], 0, v32
	v_add_co_u32_e64 v2, s[6:7], s6, v2
	s_bcnt1_i32_b64 s10, s[10:11]
	v_addc_co_u32_e64 v3, s[6:7], 0, v3, s[6:7]
	v_cmp_ne_u32_e64 s[12:13], 0, v33
	v_cmp_ne_u32_e64 s[14:15], 0, v40
	v_add_co_u32_e64 v4, s[6:7], s10, v4
	v_cmp_le_u64_e32 vcc, s[2:3], v[28:29]
	s_bcnt1_i32_b64 s11, s[12:13]
	s_bcnt1_i32_b64 s12, s[14:15]
	v_addc_co_u32_e64 v5, s[6:7], 0, v5, s[6:7]
	v_add_co_u32_e64 v6, s[6:7], s11, v6
	s_or_b64 s[8:9], vcc, s[8:9]
	v_add_co_u32_e32 v8, vcc, s12, v8
	v_add_u32_e32 v31, v31, v30
	v_addc_co_u32_e64 v7, s[6:7], 0, v7, s[6:7]
	v_addc_co_u32_e32 v9, vcc, 0, v9, vcc
	s_andn2_b64 exec, exec, s[8:9]
	s_cbranch_execnz .LBB79_86
; %bb.87:                               ;   in Loop: Header=BB79_35 Depth=1
	s_or_b64 exec, exec, s[8:9]
.LBB79_88:                              ;   in Loop: Header=BB79_35 Depth=1
	s_or_b64 exec, exec, s[0:1]
.LBB79_89:                              ;   in Loop: Header=BB79_35 Depth=1
	s_lshl_b32 s2, s65, 6
	s_and_saveexec_b64 s[0:1], s[4:5]
	s_cbranch_execz .LBB79_91
; %bb.90:                               ;   in Loop: Header=BB79_35 Depth=1
	v_or_b32_e32 v10, s2, v35
	v_lshlrev_b32_e32 v10, 3, v10
	ds_write_b128 v10, v[2:5] offset:3072
	s_waitcnt vmcnt(0)
	ds_write_b128 v10, v[6:9] offset:3088
.LBB79_91:                              ;   in Loop: Header=BB79_35 Depth=1
	s_or_b64 exec, exec, s[0:1]
	s_waitcnt lgkmcnt(0)
	s_barrier
	s_and_saveexec_b64 s[0:1], s[44:45]
	s_cbranch_execz .LBB79_103
; %bb.92:                               ;   in Loop: Header=BB79_35 Depth=1
	v_readlane_b32 s6, v48, 18
	v_readlane_b32 s7, v48, 19
	s_andn2_b64 vcc, exec, s[6:7]
	v_pk_mov_b32 v[2:3], 0, 0
	s_cbranch_vccnz .LBB79_102
; %bb.93:                               ;   in Loop: Header=BB79_35 Depth=1
	v_readlane_b32 s6, v48, 23
	v_readlane_b32 s7, v48, 24
	s_andn2_b64 vcc, exec, s[6:7]
	s_cbranch_vccnz .LBB79_98
; %bb.94:                               ;   in Loop: Header=BB79_35 Depth=1
	v_lshl_add_u32 v4, s65, 9, v37
	s_mov_b32 s3, 0
	v_pk_mov_b32 v[2:3], 0, 0
.LBB79_95:                              ;   Parent Loop BB79_35 Depth=1
                                        ; =>  This Inner Loop Header: Depth=2
	s_waitcnt vmcnt(0)
	ds_read2_b64 v[6:9], v4 offset1:4
	ds_read2_b64 v[28:31], v4 offset0:8 offset1:12
	ds_read2_b64 v[40:43], v4 offset0:16 offset1:20
	;; [unrolled: 1-line block ×3, first 2 shown]
	s_add_i32 s3, s3, 8
	s_waitcnt lgkmcnt(3)
	v_add_co_u32_e32 v2, vcc, v6, v2
	v_addc_co_u32_e32 v3, vcc, v7, v3, vcc
	v_add_co_u32_e32 v2, vcc, v8, v2
	v_addc_co_u32_e32 v3, vcc, v9, v3, vcc
	s_waitcnt lgkmcnt(2)
	v_add_co_u32_e32 v2, vcc, v28, v2
	v_addc_co_u32_e32 v3, vcc, v29, v3, vcc
	v_add_co_u32_e32 v2, vcc, v30, v2
	v_addc_co_u32_e32 v3, vcc, v31, v3, vcc
	;; [unrolled: 5-line block ×3, first 2 shown]
	s_waitcnt lgkmcnt(0)
	v_add_co_u32_e32 v2, vcc, v44, v2
	v_addc_co_u32_e32 v3, vcc, v45, v3, vcc
	v_add_co_u32_e32 v2, vcc, v46, v2
	v_add_u32_e32 v4, 0x100, v4
	s_cmp_eq_u32 s85, s3
	v_addc_co_u32_e32 v3, vcc, v47, v3, vcc
	s_cbranch_scc0 .LBB79_95
; %bb.96:                               ;   in Loop: Header=BB79_35 Depth=1
	s_mov_b32 s3, s85
	s_branch .LBB79_99
.LBB79_97:                              ;   in Loop: Header=BB79_35 Depth=1
                                        ; implicit-def: $vgpr2_vgpr3
	s_branch .LBB79_65
.LBB79_98:                              ;   in Loop: Header=BB79_35 Depth=1
	s_mov_b32 s3, 0
	v_pk_mov_b32 v[2:3], 0, 0
.LBB79_99:                              ;   in Loop: Header=BB79_35 Depth=1
	v_readlane_b32 s6, v48, 26
	v_readlane_b32 s7, v48, 27
	s_andn2_b64 vcc, exec, s[6:7]
	s_cbranch_vccnz .LBB79_102
; %bb.100:                              ;   in Loop: Header=BB79_35 Depth=1
	s_lshl_b32 s6, s65, 9
	s_lshl_b32 s3, s3, 5
	s_add_i32 s6, s6, s3
	v_add_u32_e32 v4, s6, v37
	v_readlane_b32 s3, v48, 25
.LBB79_101:                             ;   Parent Loop BB79_35 Depth=1
                                        ; =>  This Inner Loop Header: Depth=2
	s_waitcnt vmcnt(0)
	ds_read_b64 v[6:7], v4
	s_add_i32 s3, s3, -1
	v_add_u32_e32 v4, 32, v4
	s_cmp_lg_u32 s3, 0
	s_waitcnt lgkmcnt(0)
	v_add_co_u32_e32 v2, vcc, v6, v2
	v_addc_co_u32_e32 v3, vcc, v7, v3, vcc
	s_cbranch_scc1 .LBB79_101
.LBB79_102:                             ;   in Loop: Header=BB79_35 Depth=1
	v_add_lshl_u32 v4, s2, v34, 3
	ds_write_b64 v4, v[2:3] offset:3072
.LBB79_103:                             ;   in Loop: Header=BB79_35 Depth=1
	s_or_b64 exec, exec, s[0:1]
	s_lshl_b32 s0, s2, 3
	s_waitcnt vmcnt(0)
	v_mov_b32_e32 v6, s0
	s_waitcnt lgkmcnt(0)
	s_barrier
	ds_read_b128 v[2:5], v6 offset:3072
	ds_read_b128 v[6:9], v6 offset:3088
	s_and_b32 s38, s80, 0xfe
	s_lshl_b32 s42, 3, s38
	s_not_b32 s39, s42
	s_waitcnt lgkmcnt(1)
	v_readfirstlane_b32 s13, v3
	v_readfirstlane_b32 s12, v2
	s_cmp_eq_u64 s[12:13], 1
	s_cselect_b64 s[0:1], -1, 0
	s_cmp_eq_u64 s[46:47], 1
	s_cselect_b64 s[2:3], -1, 0
	s_and_b64 s[18:19], s[0:1], s[2:3]
	v_readfirstlane_b32 s24, v4
	v_readfirstlane_b32 s25, v5
	s_waitcnt lgkmcnt(0)
	v_readfirstlane_b32 s14, v6
	v_readfirstlane_b32 s15, v7
	;; [unrolled: 1-line block ×4, first 2 shown]
	s_mov_b64 s[16:17], -1
	s_and_b64 vcc, exec, s[18:19]
	s_cbranch_vccz .LBB79_117
; %bb.104:                              ;   in Loop: Header=BB79_35 Depth=1
	ds_read_b64 v[2:3], v11 offset:5120
	s_waitcnt lgkmcnt(0)
	s_barrier
	v_readfirstlane_b32 s0, v2
	v_readfirstlane_b32 s1, v3
	s_mov_b64 s[2:3], exec
	v_readlane_b32 s8, v48, 14
	v_readlane_b32 s9, v48, 15
	s_and_b64 s[8:9], s[2:3], s[8:9]
	s_mov_b64 exec, s[8:9]
	s_cbranch_execz .LBB79_106
; %bb.105:                              ;   in Loop: Header=BB79_35 Depth=1
	ds_write_b8 v0, v1 offset:3072
.LBB79_106:                             ;   in Loop: Header=BB79_35 Depth=1
	s_or_b64 exec, exec, s[2:3]
	s_and_b32 s83, s83, s39
	s_or_b32 s82, s82, s42
	s_cmp_eq_u64 s[0:1], 0
	s_waitcnt lgkmcnt(0)
	s_barrier
	s_cbranch_scc1 .LBB79_118
; %bb.107:                              ;   in Loop: Header=BB79_35 Depth=1
	v_readlane_b32 s2, v48, 20
	s_add_u32 s10, s2, s0
	v_readlane_b32 s2, v48, 22
	s_addc_u32 s3, s2, s1
	s_mov_b32 s2, s75
	s_cmp_lg_u64 s[2:3], 0
	s_cbranch_scc0 .LBB79_161
; %bb.108:                              ;   in Loop: Header=BB79_35 Depth=1
	v_cvt_f32_u32_e32 v2, s33
	s_sub_u32 s2, 0, s33
	s_subb_u32 s8, 0, 0
	v_mac_f32_e32 v2, 0, v38
	v_rcp_f32_e32 v2, v2
	v_mul_f32_e32 v2, 0x5f7ffffc, v2
	v_mul_f32_e32 v3, 0x2f800000, v2
	v_trunc_f32_e32 v3, v3
	v_mac_f32_e32 v2, 0xcf800000, v3
	v_cvt_u32_f32_e32 v3, v3
	v_cvt_u32_f32_e32 v2, v2
	v_readfirstlane_b32 s9, v3
	v_readfirstlane_b32 s11, v2
	s_mul_i32 s20, s2, s9
	s_mul_hi_u32 s22, s2, s11
	s_mul_i32 s21, s8, s11
	s_add_i32 s20, s22, s20
	s_mul_i32 s23, s2, s11
	s_add_i32 s20, s20, s21
	s_mul_hi_u32 s22, s11, s23
	s_mul_hi_u32 s21, s11, s20
	s_mul_i32 s11, s11, s20
	s_add_u32 s11, s22, s11
	s_addc_u32 s21, 0, s21
	s_mul_hi_u32 s26, s9, s23
	s_mul_i32 s23, s9, s23
	s_add_u32 s11, s11, s23
	s_mul_hi_u32 s22, s9, s20
	s_addc_u32 s11, s21, s26
	s_addc_u32 s21, s22, 0
	s_mul_i32 s20, s9, s20
	s_add_u32 s11, s11, s20
	s_addc_u32 s20, 0, s21
	v_add_co_u32_e32 v2, vcc, s11, v2
	s_cmp_lg_u64 vcc, 0
	s_addc_u32 s9, s9, s20
	v_readfirstlane_b32 s20, v2
	s_mul_i32 s11, s2, s9
	s_mul_hi_u32 s21, s2, s20
	s_add_i32 s11, s21, s11
	s_mul_i32 s8, s8, s20
	s_add_i32 s11, s11, s8
	s_mul_i32 s2, s2, s20
	s_mul_hi_u32 s21, s9, s2
	s_mul_i32 s22, s9, s2
	s_mul_i32 s26, s20, s11
	s_mul_hi_u32 s2, s20, s2
	s_mul_hi_u32 s23, s20, s11
	s_add_u32 s2, s2, s26
	s_addc_u32 s20, 0, s23
	s_add_u32 s2, s2, s22
	s_mul_hi_u32 s8, s9, s11
	s_addc_u32 s2, s20, s21
	s_addc_u32 s8, s8, 0
	s_mul_i32 s11, s9, s11
	s_add_u32 s2, s2, s11
	s_addc_u32 s8, 0, s8
	v_add_co_u32_e32 v2, vcc, s2, v2
	s_cmp_lg_u64 vcc, 0
	s_addc_u32 s2, s9, s8
	v_readfirstlane_b32 s11, v2
	s_mul_i32 s9, s10, s2
	s_mul_hi_u32 s20, s10, s11
	s_mul_hi_u32 s8, s10, s2
	s_add_u32 s9, s20, s9
	s_addc_u32 s8, 0, s8
	s_mul_hi_u32 s21, s3, s11
	s_mul_i32 s11, s3, s11
	s_add_u32 s9, s9, s11
	s_mul_hi_u32 s20, s3, s2
	s_addc_u32 s8, s8, s21
	s_addc_u32 s9, s20, 0
	s_mul_i32 s2, s3, s2
	s_add_u32 s2, s8, s2
	s_addc_u32 s8, 0, s9
	s_mul_hi_u32 s9, s33, s2
	s_mul_i32 s2, s33, s2
	s_mul_i32 s8, s33, s8
	v_mov_b32_e32 v2, s2
	s_add_i32 s9, s9, s8
	v_sub_co_u32_e32 v2, vcc, s10, v2
	s_cmp_lg_u64 vcc, 0
	s_subb_u32 s2, s3, s9
	v_subrev_co_u32_e32 v3, vcc, s33, v2
	s_cmp_lg_u64 vcc, 0
	s_subb_u32 s8, s2, 0
	v_subrev_co_u32_e32 v4, vcc, s33, v3
	s_cmp_lg_u64 vcc, 0
	s_subb_u32 s9, s8, 0
	v_cmp_le_u32_e32 vcc, s33, v3
	s_cmp_eq_u32 s8, 0
	v_cndmask_b32_e64 v5, 0, -1, vcc
	s_cselect_b64 vcc, -1, 0
	v_cndmask_b32_e32 v5, -1, v5, vcc
	v_mov_b32_e32 v6, s8
	v_mov_b32_e32 v7, s9
	v_cmp_ne_u32_e32 vcc, 0, v5
	v_cndmask_b32_e32 v5, v6, v7, vcc
	v_cndmask_b32_e32 v4, v3, v4, vcc
	v_cmp_le_u32_e32 vcc, s33, v2
	s_cmp_eq_u32 s2, 0
	v_cndmask_b32_e64 v3, 0, -1, vcc
	s_cselect_b64 vcc, -1, 0
	v_cndmask_b32_e32 v3, -1, v3, vcc
	v_mov_b32_e32 v6, s2
	v_cmp_ne_u32_e32 vcc, 0, v3
	v_cndmask_b32_e32 v3, v6, v5, vcc
	v_cndmask_b32_e32 v2, v2, v4, vcc
	s_cbranch_execnz .LBB79_110
.LBB79_109:                             ;   in Loop: Header=BB79_35 Depth=1
	v_cvt_f32_u32_e32 v2, s33
	s_sub_i32 s2, 0, s33
	v_rcp_iflag_f32_e32 v2, v2
	v_mul_f32_e32 v2, 0x4f7ffffe, v2
	v_cvt_u32_f32_e32 v2, v2
	v_mul_lo_u32 v3, s2, v2
	v_mul_hi_u32 v3, v2, v3
	v_add_u32_e32 v2, v2, v3
	v_mul_hi_u32 v2, s10, v2
	v_mul_lo_u32 v2, v2, s33
	v_sub_u32_e32 v2, s10, v2
	v_subrev_u32_e32 v3, s33, v2
	v_cmp_le_u32_e32 vcc, s33, v2
	v_cndmask_b32_e32 v2, v2, v3, vcc
	v_subrev_u32_e32 v3, s33, v2
	v_cmp_le_u32_e32 vcc, s33, v2
	v_cndmask_b32_e32 v10, v2, v3, vcc
	v_pk_mov_b32 v[2:3], v[10:11], v[10:11] op_sel:[0,1]
.LBB79_110:                             ;   in Loop: Header=BB79_35 Depth=1
	v_mov_b32_e32 v4, s3
	v_sub_co_u32_e32 v2, vcc, s10, v2
	v_subb_co_u32_e32 v3, vcc, v4, v3, vcc
	v_cmp_gt_u64_e32 vcc, v[2:3], v[0:1]
	s_mov_b64 s[2:3], 0
                                        ; implicit-def: $vgpr39
	s_and_saveexec_b64 s[8:9], vcc
	s_cbranch_execz .LBB79_120
; %bb.111:                              ;   in Loop: Header=BB79_35 Depth=1
	v_mov_b32_e32 v6, v0
	v_pk_mov_b32 v[4:5], v[0:1], v[0:1] op_sel:[0,1]
                                        ; implicit-def: $sgpr10_sgpr11
	s_branch .LBB79_113
.LBB79_112:                             ;   in Loop: Header=BB79_113 Depth=2
	s_or_b64 exec, exec, s[20:21]
	s_waitcnt lgkmcnt(0)
	s_barrier
	ds_read_u16 v7, v11 offset:3072
	v_mov_b32_e32 v8, s76
	v_add_co_u32_e32 v4, vcc, s33, v4
	v_addc_co_u32_e32 v5, vcc, v5, v8, vcc
	s_waitcnt lgkmcnt(0)
	v_cmp_ne_u16_sdwa s[20:21], v7, v1 src0_sel:BYTE_0 src1_sel:DWORD
	v_cmp_ge_u64_e32 vcc, v[4:5], v[2:3]
	s_or_b64 s[22:23], vcc, s[20:21]
	s_and_b64 s[22:23], exec, s[22:23]
	s_or_b64 s[2:3], s[22:23], s[2:3]
	s_andn2_b64 s[10:11], s[10:11], exec
	s_and_b64 s[20:21], s[20:21], exec
	v_add_u32_e32 v6, s33, v6
	s_or_b64 s[10:11], s[10:11], s[20:21]
	s_barrier
	s_andn2_b64 exec, exec, s[2:3]
	s_cbranch_execz .LBB79_119
.LBB79_113:                             ;   Parent Loop BB79_35 Depth=1
                                        ; =>  This Inner Loop Header: Depth=2
	v_cmp_gt_u64_e32 vcc, s[0:1], v[4:5]
	v_mov_b32_e32 v7, 0
	s_and_saveexec_b64 s[20:21], vcc
	s_cbranch_execz .LBB79_115
; %bb.114:                              ;   in Loop: Header=BB79_113 Depth=2
	ds_read_u8 v7, v6
.LBB79_115:                             ;   in Loop: Header=BB79_113 Depth=2
	s_or_b64 exec, exec, s[20:21]
	s_waitcnt lgkmcnt(0)
	v_and_b32_e32 v8, s82, v7
	v_cmp_eq_u32_sdwa s[20:21], v8, s83 src0_sel:BYTE_0 src1_sel:DWORD
	s_and_b64 s[22:23], vcc, s[20:21]
	s_and_saveexec_b64 s[20:21], s[22:23]
	s_cbranch_execz .LBB79_112
; %bb.116:                              ;   in Loop: Header=BB79_113 Depth=2
	v_lshlrev_b16_e32 v7, 8, v7
	v_or_b32_e32 v7, 1, v7
	ds_write_b16 v11, v7 offset:3072
	s_branch .LBB79_112
.LBB79_117:                             ;   in Loop: Header=BB79_35 Depth=1
	s_mov_b64 s[2:3], -1
                                        ; implicit-def: $sgpr0_sgpr1
                                        ; implicit-def: $sgpr10_sgpr11
                                        ; implicit-def: $sgpr8_sgpr9
	s_branch .LBB79_133
.LBB79_118:                             ;   in Loop: Header=BB79_35 Depth=1
	s_mov_b64 s[0:1], -1
	s_mov_b64 s[2:3], 0
                                        ; implicit-def: $sgpr8_sgpr9
                                        ; implicit-def: $vgpr39
	s_mov_b64 s[10:11], s[0:1]
	s_cbranch_execnz .LBB79_121
	s_branch .LBB79_133
.LBB79_119:                             ;   in Loop: Header=BB79_35 Depth=1
	s_or_b64 exec, exec, s[2:3]
	v_lshrrev_b16_e32 v39, 8, v7
	s_and_b64 s[2:3], s[10:11], exec
.LBB79_120:                             ;   in Loop: Header=BB79_35 Depth=1
	s_or_b64 exec, exec, s[8:9]
	s_mov_b64 s[8:9], -1
	s_mov_b64 s[0:1], 0
	s_mov_b64 s[10:11], s[0:1]
	s_branch .LBB79_133
.LBB79_121:                             ;   in Loop: Header=BB79_35 Depth=1
	s_mov_b32 s48, s75
	s_cmp_lg_u64 s[48:49], 0
	s_cbranch_scc0 .LBB79_165
; %bb.122:                              ;   in Loop: Header=BB79_35 Depth=1
	v_cvt_f32_u32_e32 v2, s33
	s_sub_u32 s0, 0, s33
	s_subb_u32 s1, 0, 0
	v_mac_f32_e32 v2, 0, v38
	v_rcp_f32_e32 v2, v2
	v_mul_f32_e32 v2, 0x5f7ffffc, v2
	v_mul_f32_e32 v3, 0x2f800000, v2
	v_trunc_f32_e32 v3, v3
	v_mac_f32_e32 v2, 0xcf800000, v3
	v_cvt_u32_f32_e32 v3, v3
	v_cvt_u32_f32_e32 v2, v2
	v_readfirstlane_b32 s2, v3
	v_readfirstlane_b32 s3, v2
	s_mul_i32 s8, s0, s2
	s_mul_hi_u32 s10, s0, s3
	s_mul_i32 s9, s1, s3
	s_add_i32 s8, s10, s8
	s_mul_i32 s11, s0, s3
	s_add_i32 s8, s8, s9
	s_mul_hi_u32 s10, s3, s11
	s_mul_hi_u32 s9, s3, s8
	s_mul_i32 s3, s3, s8
	s_add_u32 s3, s10, s3
	s_addc_u32 s9, 0, s9
	s_mul_hi_u32 s20, s2, s11
	s_mul_i32 s11, s2, s11
	s_add_u32 s3, s3, s11
	s_mul_hi_u32 s10, s2, s8
	s_addc_u32 s3, s9, s20
	s_addc_u32 s9, s10, 0
	s_mul_i32 s8, s2, s8
	s_add_u32 s3, s3, s8
	s_addc_u32 s8, 0, s9
	v_add_co_u32_e32 v2, vcc, s3, v2
	s_cmp_lg_u64 vcc, 0
	s_addc_u32 s2, s2, s8
	v_readfirstlane_b32 s8, v2
	s_mul_i32 s3, s0, s2
	s_mul_hi_u32 s9, s0, s8
	s_add_i32 s3, s9, s3
	s_mul_i32 s1, s1, s8
	s_add_i32 s3, s3, s1
	s_mul_i32 s0, s0, s8
	s_mul_hi_u32 s9, s2, s0
	s_mul_i32 s10, s2, s0
	s_mul_i32 s20, s8, s3
	s_mul_hi_u32 s0, s8, s0
	s_mul_hi_u32 s11, s8, s3
	s_add_u32 s0, s0, s20
	s_addc_u32 s8, 0, s11
	s_add_u32 s0, s0, s10
	s_mul_hi_u32 s1, s2, s3
	s_addc_u32 s0, s8, s9
	s_addc_u32 s1, s1, 0
	s_mul_i32 s3, s2, s3
	s_add_u32 s0, s0, s3
	s_addc_u32 s1, 0, s1
	v_add_co_u32_e32 v2, vcc, s0, v2
	s_cmp_lg_u64 vcc, 0
	s_addc_u32 s0, s2, s1
	v_readlane_b32 s10, v48, 21
	v_readfirstlane_b32 s3, v2
	s_mul_i32 s2, s10, s0
	s_mul_hi_u32 s8, s10, s3
	s_mul_hi_u32 s1, s10, s0
	s_add_u32 s2, s8, s2
	s_addc_u32 s1, 0, s1
	s_mul_hi_u32 s9, s49, s3
	s_mul_i32 s3, s49, s3
	s_add_u32 s2, s2, s3
	s_mul_hi_u32 s8, s49, s0
	s_addc_u32 s1, s1, s9
	s_addc_u32 s2, s8, 0
	s_mul_i32 s0, s49, s0
	s_add_u32 s0, s1, s0
	s_addc_u32 s1, 0, s2
	s_mul_hi_u32 s2, s33, s0
	s_mul_i32 s0, s33, s0
	s_mul_i32 s1, s33, s1
	v_mov_b32_e32 v2, s0
	s_add_i32 s2, s2, s1
	v_sub_co_u32_e32 v2, vcc, s10, v2
	s_cmp_lg_u64 vcc, 0
	s_subb_u32 s0, s49, s2
	v_subrev_co_u32_e32 v3, vcc, s33, v2
	s_cmp_lg_u64 vcc, 0
	s_subb_u32 s1, s0, 0
	v_subrev_co_u32_e32 v4, vcc, s33, v3
	s_cmp_lg_u64 vcc, 0
	s_subb_u32 s2, s1, 0
	v_cmp_le_u32_e32 vcc, s33, v3
	s_cmp_eq_u32 s1, 0
	v_cndmask_b32_e64 v5, 0, -1, vcc
	s_cselect_b64 vcc, -1, 0
	v_cndmask_b32_e32 v5, -1, v5, vcc
	v_mov_b32_e32 v6, s1
	v_mov_b32_e32 v7, s2
	v_cmp_ne_u32_e32 vcc, 0, v5
	v_cndmask_b32_e32 v5, v6, v7, vcc
	v_cndmask_b32_e32 v4, v3, v4, vcc
	v_cmp_le_u32_e32 vcc, s33, v2
	s_cmp_eq_u32 s0, 0
	v_cndmask_b32_e64 v3, 0, -1, vcc
	s_cselect_b64 vcc, -1, 0
	v_cndmask_b32_e32 v3, -1, v3, vcc
	v_mov_b32_e32 v6, s0
	v_cmp_ne_u32_e32 vcc, 0, v3
	v_cndmask_b32_e32 v3, v6, v5, vcc
	v_cndmask_b32_e32 v2, v2, v4, vcc
	s_cbranch_execnz .LBB79_124
.LBB79_123:                             ;   in Loop: Header=BB79_35 Depth=1
	v_cvt_f32_u32_e32 v2, s33
	s_sub_i32 s0, 0, s33
	v_rcp_iflag_f32_e32 v2, v2
	v_mul_f32_e32 v2, 0x4f7ffffe, v2
	v_cvt_u32_f32_e32 v2, v2
	v_mul_lo_u32 v3, s0, v2
	v_mul_hi_u32 v3, v2, v3
	v_add_u32_e32 v2, v2, v3
	v_readlane_b32 s0, v48, 21
	v_mul_hi_u32 v2, s0, v2
	v_mul_lo_u32 v2, v2, s33
	v_sub_u32_e32 v2, s0, v2
	v_subrev_u32_e32 v3, s33, v2
	v_cmp_le_u32_e32 vcc, s33, v2
	v_cndmask_b32_e32 v2, v2, v3, vcc
	v_subrev_u32_e32 v3, s33, v2
	v_cmp_le_u32_e32 vcc, s33, v2
	v_cndmask_b32_e32 v10, v2, v3, vcc
	v_pk_mov_b32 v[2:3], v[10:11], v[10:11] op_sel:[0,1]
.LBB79_124:                             ;   in Loop: Header=BB79_35 Depth=1
	v_readlane_b32 s0, v48, 21
	v_mov_b32_e32 v4, s49
	v_sub_co_u32_e32 v2, vcc, s0, v2
	v_subb_co_u32_e32 v3, vcc, v4, v3, vcc
	v_cmp_gt_u64_e32 vcc, v[2:3], v[0:1]
	s_mov_b64 s[2:3], 0
                                        ; implicit-def: $vgpr39
	s_and_saveexec_b64 s[0:1], vcc
	s_cbranch_execz .LBB79_132
; %bb.125:                              ;   in Loop: Header=BB79_35 Depth=1
	v_pk_mov_b32 v[4:5], v[12:13], v[12:13] op_sel:[0,1]
	v_pk_mov_b32 v[6:7], v[0:1], v[0:1] op_sel:[0,1]
                                        ; implicit-def: $sgpr8_sgpr9
	s_branch .LBB79_127
.LBB79_126:                             ;   in Loop: Header=BB79_127 Depth=2
	s_or_b64 exec, exec, s[10:11]
	s_waitcnt lgkmcnt(0)
	s_barrier
	ds_read_u16 v8, v11 offset:3072
	v_mov_b32_e32 v9, s76
	v_add_co_u32_e32 v6, vcc, s33, v6
	v_addc_co_u32_e32 v7, vcc, v7, v9, vcc
	s_waitcnt lgkmcnt(0)
	v_cmp_ne_u16_sdwa s[10:11], v8, v1 src0_sel:BYTE_0 src1_sel:DWORD
	v_cmp_ge_u64_e32 vcc, v[6:7], v[2:3]
	s_or_b64 s[20:21], vcc, s[10:11]
	s_and_b64 s[20:21], exec, s[20:21]
	s_or_b64 s[2:3], s[20:21], s[2:3]
	v_mov_b32_e32 v9, s77
	v_add_co_u32_e32 v4, vcc, s84, v4
	s_andn2_b64 s[8:9], s[8:9], exec
	s_and_b64 s[10:11], s[10:11], exec
	v_addc_co_u32_e32 v5, vcc, v5, v9, vcc
	s_or_b64 s[8:9], s[8:9], s[10:11]
	s_barrier
	s_andn2_b64 exec, exec, s[2:3]
	s_cbranch_execz .LBB79_131
.LBB79_127:                             ;   Parent Loop BB79_35 Depth=1
                                        ; =>  This Inner Loop Header: Depth=2
	v_cmp_gt_u64_e32 vcc, s[52:53], v[6:7]
	v_mov_b32_e32 v8, 0
	s_and_saveexec_b64 s[10:11], vcc
	s_cbranch_execz .LBB79_129
; %bb.128:                              ;   in Loop: Header=BB79_127 Depth=2
	global_load_ubyte v8, v[4:5], off
.LBB79_129:                             ;   in Loop: Header=BB79_127 Depth=2
	s_or_b64 exec, exec, s[10:11]
	s_waitcnt vmcnt(0)
	v_and_b32_e32 v9, s82, v8
	v_cmp_eq_u32_sdwa s[10:11], v9, s83 src0_sel:BYTE_0 src1_sel:DWORD
	s_and_b64 s[20:21], vcc, s[10:11]
	s_and_saveexec_b64 s[10:11], s[20:21]
	s_cbranch_execz .LBB79_126
; %bb.130:                              ;   in Loop: Header=BB79_127 Depth=2
	v_lshlrev_b16_e32 v8, 8, v8
	v_or_b32_e32 v8, 1, v8
	ds_write_b16 v11, v8 offset:3072
	s_branch .LBB79_126
.LBB79_131:                             ;   in Loop: Header=BB79_35 Depth=1
	s_or_b64 exec, exec, s[2:3]
	v_lshrrev_b16_e32 v39, 8, v8
	s_and_b64 s[2:3], s[8:9], exec
.LBB79_132:                             ;   in Loop: Header=BB79_35 Depth=1
	s_or_b64 exec, exec, s[0:1]
	s_mov_b64 s[10:11], -1
	s_mov_b64 s[0:1], 0
	s_mov_b64 s[8:9], 0
.LBB79_133:                             ;   in Loop: Header=BB79_35 Depth=1
	s_andn2_b64 s[20:21], s[88:89], exec
	s_and_b64 s[0:1], s[0:1], exec
	s_or_b64 s[88:89], s[20:21], s[0:1]
	s_andn2_b64 s[0:1], s[86:87], exec
	s_and_b64 s[10:11], s[10:11], exec
	s_or_b64 s[86:87], s[0:1], s[10:11]
	;; [unrolled: 3-line block ×3, first 2 shown]
	s_and_saveexec_b64 s[10:11], s[2:3]
	s_cbranch_execz .LBB79_34
; %bb.134:                              ;   in Loop: Header=BB79_35 Depth=1
	s_xor_b64 s[0:1], s[18:19], -1
	s_andn2_b64 vcc, exec, s[0:1]
	s_mov_b32 s43, 1
	s_cbranch_vccnz .LBB79_145
; %bb.135:                              ;   in Loop: Header=BB79_35 Depth=1
	v_pk_mov_b32 v[2:3], s[12:13], s[12:13] op_sel:[0,1]
	v_cmp_gt_u64_e32 vcc, s[46:47], v[2:3]
	s_mov_b64 s[0:1], -1
                                        ; implicit-def: $sgpr43
                                        ; implicit-def: $sgpr2
                                        ; implicit-def: $sgpr3
	s_cbranch_vccnz .LBB79_141
; %bb.136:                              ;   in Loop: Header=BB79_35 Depth=1
	ds_read_b64 v[2:3], v11 offset:5120
	s_waitcnt lgkmcnt(0)
	v_cmp_ne_u64_e32 vcc, 0, v[2:3]
	s_cbranch_vccnz .LBB79_140
; %bb.137:                              ;   in Loop: Header=BB79_35 Depth=1
	s_mov_b64 s[0:1], exec
	v_readlane_b32 s2, v48, 6
	v_readlane_b32 s3, v48, 7
	s_and_b64 s[2:3], s[0:1], s[2:3]
	s_mov_b64 exec, s[2:3]
	s_cbranch_execz .LBB79_139
; %bb.138:                              ;   in Loop: Header=BB79_35 Depth=1
	v_pk_mov_b32 v[2:3], s[12:13], s[12:13] op_sel:[0,1]
	ds_write_b64 v11, v[2:3] offset:5128
.LBB79_139:                             ;   in Loop: Header=BB79_35 Depth=1
	s_or_b64 exec, exec, s[0:1]
	s_waitcnt lgkmcnt(0)
	s_barrier
.LBB79_140:                             ;   in Loop: Header=BB79_35 Depth=1
	s_and_b32 s2, s83, s39
	s_or_b32 s3, s82, s42
	s_mov_b64 s[0:1], 0
	s_mov_b32 s43, 8
.LBB79_141:                             ;   in Loop: Header=BB79_35 Depth=1
	s_andn2_b64 vcc, exec, s[0:1]
	s_cbranch_vccnz .LBB79_143
; %bb.142:                              ;   in Loop: Header=BB79_35 Depth=1
	s_sub_u32 s46, s46, s12
	s_subb_u32 s47, s47, s13
	s_mov_b64 s[0:1], -1
	s_mov_b32 s43, 0
	s_mov_b32 s2, s83
	;; [unrolled: 1-line block ×3, first 2 shown]
.LBB79_143:                             ;   in Loop: Header=BB79_35 Depth=1
	s_mov_b32 s82, s3
	s_mov_b32 s83, s2
	s_mov_b64 s[12:13], -1
	s_and_b64 vcc, exec, s[0:1]
	s_cbranch_vccnz .LBB79_146
.LBB79_144:                             ;   in Loop: Header=BB79_35 Depth=1
	s_mov_b64 s[0:1], -1
                                        ; implicit-def: $sgpr16_sgpr17
                                        ; implicit-def: $sgpr20_sgpr21
                                        ; implicit-def: $sgpr18_sgpr19
	s_and_saveexec_b64 s[2:3], s[0:1]
	s_xor_b64 s[0:1], exec, s[2:3]
	s_cbranch_execz .LBB79_33
	s_branch .LBB79_289
.LBB79_145:                             ;   in Loop: Header=BB79_35 Depth=1
	s_mov_b64 s[46:47], 1
	s_mov_b64 s[12:13], -1
	s_branch .LBB79_144
.LBB79_146:                             ;   in Loop: Header=BB79_35 Depth=1
	s_cmp_eq_u64 s[24:25], 1
	s_cselect_b64 s[0:1], -1, 0
	s_cmp_eq_u64 s[46:47], 1
	s_cselect_b64 s[2:3], -1, 0
	s_and_b64 s[28:29], s[0:1], s[2:3]
	s_mov_b64 s[2:3], -1
	s_and_b64 vcc, exec, s[28:29]
	s_cbranch_vccz .LBB79_160
; %bb.147:                              ;   in Loop: Header=BB79_35 Depth=1
	ds_read_b64 v[2:3], v11 offset:5120
	s_waitcnt lgkmcnt(0)
	s_barrier
	v_readfirstlane_b32 s0, v2
	v_readfirstlane_b32 s1, v3
	s_mov_b64 s[2:3], exec
	v_readlane_b32 s8, v48, 14
	v_readlane_b32 s9, v48, 15
	s_and_b64 s[8:9], s[2:3], s[8:9]
	s_mov_b64 exec, s[8:9]
	s_cbranch_execz .LBB79_149
; %bb.148:                              ;   in Loop: Header=BB79_35 Depth=1
	ds_write_b8 v0, v1 offset:3072
.LBB79_149:                             ;   in Loop: Header=BB79_35 Depth=1
	s_or_b64 exec, exec, s[2:3]
	s_lshl_b32 s2, 1, s38
	s_and_b32 s3, s83, s39
	s_or_b32 s83, s3, s2
	s_or_b32 s82, s82, s42
	s_cmp_eq_u64 s[0:1], 0
	s_waitcnt lgkmcnt(0)
	s_barrier
	s_cbranch_scc1 .LBB79_166
; %bb.150:                              ;   in Loop: Header=BB79_35 Depth=1
	v_readlane_b32 s2, v48, 20
	s_add_u32 s16, s2, s0
	v_readlane_b32 s2, v48, 22
	s_addc_u32 s3, s2, s1
	s_mov_b32 s2, s75
	s_cmp_lg_u64 s[2:3], 0
	s_cbranch_scc0 .LBB79_209
; %bb.151:                              ;   in Loop: Header=BB79_35 Depth=1
	v_cvt_f32_u32_e32 v2, s33
	s_sub_u32 s2, 0, s33
	s_subb_u32 s8, 0, 0
	v_mac_f32_e32 v2, 0, v38
	v_rcp_f32_e32 v2, v2
	v_mul_f32_e32 v2, 0x5f7ffffc, v2
	v_mul_f32_e32 v3, 0x2f800000, v2
	v_trunc_f32_e32 v3, v3
	v_mac_f32_e32 v2, 0xcf800000, v3
	v_cvt_u32_f32_e32 v3, v3
	v_cvt_u32_f32_e32 v2, v2
	v_readfirstlane_b32 s9, v3
	v_readfirstlane_b32 s17, v2
	s_mul_i32 s18, s2, s9
	s_mul_hi_u32 s20, s2, s17
	s_mul_i32 s19, s8, s17
	s_add_i32 s18, s20, s18
	s_mul_i32 s21, s2, s17
	s_add_i32 s18, s18, s19
	s_mul_hi_u32 s20, s17, s21
	s_mul_hi_u32 s19, s17, s18
	s_mul_i32 s17, s17, s18
	s_add_u32 s17, s20, s17
	s_addc_u32 s19, 0, s19
	s_mul_hi_u32 s22, s9, s21
	s_mul_i32 s21, s9, s21
	s_add_u32 s17, s17, s21
	s_mul_hi_u32 s20, s9, s18
	s_addc_u32 s17, s19, s22
	s_addc_u32 s19, s20, 0
	s_mul_i32 s18, s9, s18
	s_add_u32 s17, s17, s18
	s_addc_u32 s18, 0, s19
	v_add_co_u32_e32 v2, vcc, s17, v2
	s_cmp_lg_u64 vcc, 0
	s_addc_u32 s9, s9, s18
	v_readfirstlane_b32 s18, v2
	s_mul_i32 s17, s2, s9
	s_mul_hi_u32 s19, s2, s18
	s_add_i32 s17, s19, s17
	s_mul_i32 s8, s8, s18
	s_add_i32 s17, s17, s8
	s_mul_i32 s2, s2, s18
	s_mul_hi_u32 s19, s9, s2
	s_mul_i32 s20, s9, s2
	s_mul_i32 s22, s18, s17
	s_mul_hi_u32 s2, s18, s2
	s_mul_hi_u32 s21, s18, s17
	s_add_u32 s2, s2, s22
	s_addc_u32 s18, 0, s21
	s_add_u32 s2, s2, s20
	s_mul_hi_u32 s8, s9, s17
	s_addc_u32 s2, s18, s19
	s_addc_u32 s8, s8, 0
	s_mul_i32 s17, s9, s17
	s_add_u32 s2, s2, s17
	s_addc_u32 s8, 0, s8
	v_add_co_u32_e32 v2, vcc, s2, v2
	s_cmp_lg_u64 vcc, 0
	s_addc_u32 s2, s9, s8
	v_readfirstlane_b32 s17, v2
	s_mul_i32 s9, s16, s2
	s_mul_hi_u32 s18, s16, s17
	s_mul_hi_u32 s8, s16, s2
	s_add_u32 s9, s18, s9
	s_addc_u32 s8, 0, s8
	s_mul_hi_u32 s19, s3, s17
	s_mul_i32 s17, s3, s17
	s_add_u32 s9, s9, s17
	s_mul_hi_u32 s18, s3, s2
	s_addc_u32 s8, s8, s19
	s_addc_u32 s9, s18, 0
	s_mul_i32 s2, s3, s2
	s_add_u32 s2, s8, s2
	s_addc_u32 s8, 0, s9
	s_mul_hi_u32 s9, s33, s2
	s_mul_i32 s2, s33, s2
	s_mul_i32 s8, s33, s8
	v_mov_b32_e32 v2, s2
	s_add_i32 s9, s9, s8
	v_sub_co_u32_e32 v2, vcc, s16, v2
	s_cmp_lg_u64 vcc, 0
	s_subb_u32 s2, s3, s9
	v_subrev_co_u32_e32 v3, vcc, s33, v2
	s_cmp_lg_u64 vcc, 0
	s_subb_u32 s8, s2, 0
	v_subrev_co_u32_e32 v4, vcc, s33, v3
	s_cmp_lg_u64 vcc, 0
	s_subb_u32 s9, s8, 0
	v_cmp_le_u32_e32 vcc, s33, v3
	s_cmp_eq_u32 s8, 0
	v_cndmask_b32_e64 v5, 0, -1, vcc
	s_cselect_b64 vcc, -1, 0
	v_cndmask_b32_e32 v5, -1, v5, vcc
	v_mov_b32_e32 v6, s8
	v_mov_b32_e32 v7, s9
	v_cmp_ne_u32_e32 vcc, 0, v5
	v_cndmask_b32_e32 v5, v6, v7, vcc
	v_cndmask_b32_e32 v4, v3, v4, vcc
	v_cmp_le_u32_e32 vcc, s33, v2
	s_cmp_eq_u32 s2, 0
	v_cndmask_b32_e64 v3, 0, -1, vcc
	s_cselect_b64 vcc, -1, 0
	v_cndmask_b32_e32 v3, -1, v3, vcc
	v_mov_b32_e32 v6, s2
	v_cmp_ne_u32_e32 vcc, 0, v3
	v_cndmask_b32_e32 v3, v6, v5, vcc
	v_cndmask_b32_e32 v2, v2, v4, vcc
	s_cbranch_execnz .LBB79_153
.LBB79_152:                             ;   in Loop: Header=BB79_35 Depth=1
	v_cvt_f32_u32_e32 v2, s33
	s_sub_i32 s2, 0, s33
	v_rcp_iflag_f32_e32 v2, v2
	v_mul_f32_e32 v2, 0x4f7ffffe, v2
	v_cvt_u32_f32_e32 v2, v2
	v_mul_lo_u32 v3, s2, v2
	v_mul_hi_u32 v3, v2, v3
	v_add_u32_e32 v2, v2, v3
	v_mul_hi_u32 v2, s16, v2
	v_mul_lo_u32 v2, v2, s33
	v_sub_u32_e32 v2, s16, v2
	v_subrev_u32_e32 v3, s33, v2
	v_cmp_le_u32_e32 vcc, s33, v2
	v_cndmask_b32_e32 v2, v2, v3, vcc
	v_subrev_u32_e32 v3, s33, v2
	v_cmp_le_u32_e32 vcc, s33, v2
	v_cndmask_b32_e32 v10, v2, v3, vcc
	v_pk_mov_b32 v[2:3], v[10:11], v[10:11] op_sel:[0,1]
.LBB79_153:                             ;   in Loop: Header=BB79_35 Depth=1
	v_mov_b32_e32 v4, s3
	v_sub_co_u32_e32 v2, vcc, s16, v2
	v_subb_co_u32_e32 v3, vcc, v4, v3, vcc
	v_cmp_gt_u64_e32 vcc, v[2:3], v[0:1]
	s_mov_b64 s[2:3], 0
                                        ; implicit-def: $vgpr39
	s_and_saveexec_b64 s[8:9], vcc
	s_cbranch_execz .LBB79_168
; %bb.154:                              ;   in Loop: Header=BB79_35 Depth=1
	v_mov_b32_e32 v6, v0
	v_pk_mov_b32 v[4:5], v[0:1], v[0:1] op_sel:[0,1]
                                        ; implicit-def: $sgpr16_sgpr17
	s_branch .LBB79_156
.LBB79_155:                             ;   in Loop: Header=BB79_156 Depth=2
	s_or_b64 exec, exec, s[18:19]
	s_waitcnt lgkmcnt(0)
	s_barrier
	ds_read_u16 v7, v11 offset:3072
	v_mov_b32_e32 v8, s76
	v_add_co_u32_e32 v4, vcc, s33, v4
	v_addc_co_u32_e32 v5, vcc, v5, v8, vcc
	s_waitcnt lgkmcnt(0)
	v_cmp_ne_u16_sdwa s[18:19], v7, v1 src0_sel:BYTE_0 src1_sel:DWORD
	v_cmp_ge_u64_e32 vcc, v[4:5], v[2:3]
	s_or_b64 s[20:21], vcc, s[18:19]
	s_and_b64 s[20:21], exec, s[20:21]
	s_or_b64 s[2:3], s[20:21], s[2:3]
	s_andn2_b64 s[16:17], s[16:17], exec
	s_and_b64 s[18:19], s[18:19], exec
	v_add_u32_e32 v6, s33, v6
	s_or_b64 s[16:17], s[16:17], s[18:19]
	s_barrier
	s_andn2_b64 exec, exec, s[2:3]
	s_cbranch_execz .LBB79_167
.LBB79_156:                             ;   Parent Loop BB79_35 Depth=1
                                        ; =>  This Inner Loop Header: Depth=2
	v_cmp_gt_u64_e32 vcc, s[0:1], v[4:5]
	v_mov_b32_e32 v7, 0
	s_and_saveexec_b64 s[18:19], vcc
	s_cbranch_execz .LBB79_158
; %bb.157:                              ;   in Loop: Header=BB79_156 Depth=2
	ds_read_u8 v7, v6
.LBB79_158:                             ;   in Loop: Header=BB79_156 Depth=2
	s_or_b64 exec, exec, s[18:19]
	s_waitcnt lgkmcnt(0)
	v_and_b32_e32 v8, s82, v7
	v_cmp_eq_u32_sdwa s[18:19], v8, s83 src0_sel:BYTE_0 src1_sel:DWORD
	s_and_b64 s[20:21], vcc, s[18:19]
	s_and_saveexec_b64 s[18:19], s[20:21]
	s_cbranch_execz .LBB79_155
; %bb.159:                              ;   in Loop: Header=BB79_156 Depth=2
	v_lshlrev_b16_e32 v7, 8, v7
	v_or_b32_e32 v7, 1, v7
	ds_write_b16 v11, v7 offset:3072
	s_branch .LBB79_155
.LBB79_160:                             ;   in Loop: Header=BB79_35 Depth=1
                                        ; implicit-def: $sgpr18_sgpr19
                                        ; implicit-def: $sgpr20_sgpr21
                                        ; implicit-def: $sgpr16_sgpr17
	s_branch .LBB79_181
.LBB79_161:                             ;   in Loop: Header=BB79_35 Depth=1
                                        ; implicit-def: $vgpr2_vgpr3
	s_branch .LBB79_109
.LBB79_162:                             ;   in Loop: Header=BB79_35 Depth=1
	s_or_b64 exec, exec, s[0:1]
	s_waitcnt lgkmcnt(0)
	s_barrier
	s_mov_b64 s[0:1], exec
	v_readlane_b32 s2, v48, 6
	v_readlane_b32 s3, v48, 7
	s_and_b64 s[2:3], s[0:1], s[2:3]
	s_mov_b64 exec, s[2:3]
	s_cbranch_execz .LBB79_164
; %bb.163:                              ;   in Loop: Header=BB79_35 Depth=1
	ds_read_b32 v2, v11 offset:5144
	s_waitcnt lgkmcnt(0)
	v_ashrrev_i32_e32 v3, 31, v2
	ds_write_b64 v11, v[2:3] offset:5120
.LBB79_164:                             ;   in Loop: Header=BB79_35 Depth=1
	s_or_b64 exec, exec, s[0:1]
	s_waitcnt lgkmcnt(0)
	s_barrier
	s_mov_b64 s[0:1], -1
	s_and_b64 vcc, exec, s[90:91]
	s_cbranch_vccnz .LBB79_50
	s_branch .LBB79_60
.LBB79_165:                             ;   in Loop: Header=BB79_35 Depth=1
                                        ; implicit-def: $vgpr2_vgpr3
	s_branch .LBB79_123
.LBB79_166:                             ;   in Loop: Header=BB79_35 Depth=1
	s_mov_b64 s[18:19], -1
	s_mov_b64 s[2:3], 0
                                        ; implicit-def: $sgpr16_sgpr17
                                        ; implicit-def: $vgpr39
	s_mov_b64 s[20:21], s[18:19]
	s_cbranch_execnz .LBB79_169
	s_branch .LBB79_181
.LBB79_167:                             ;   in Loop: Header=BB79_35 Depth=1
	s_or_b64 exec, exec, s[2:3]
	v_lshrrev_b16_e32 v39, 8, v7
	s_and_b64 s[2:3], s[16:17], exec
.LBB79_168:                             ;   in Loop: Header=BB79_35 Depth=1
	s_or_b64 exec, exec, s[8:9]
	s_mov_b64 s[16:17], -1
	s_mov_b64 s[18:19], 0
	s_mov_b64 s[20:21], s[18:19]
	s_branch .LBB79_181
.LBB79_169:                             ;   in Loop: Header=BB79_35 Depth=1
	s_mov_b32 s48, s75
	s_cmp_lg_u64 s[48:49], 0
	s_cbranch_scc0 .LBB79_210
; %bb.170:                              ;   in Loop: Header=BB79_35 Depth=1
	v_cvt_f32_u32_e32 v2, s33
	s_sub_u32 s0, 0, s33
	s_subb_u32 s1, 0, 0
	v_mac_f32_e32 v2, 0, v38
	v_rcp_f32_e32 v2, v2
	v_mul_f32_e32 v2, 0x5f7ffffc, v2
	v_mul_f32_e32 v3, 0x2f800000, v2
	v_trunc_f32_e32 v3, v3
	v_mac_f32_e32 v2, 0xcf800000, v3
	v_cvt_u32_f32_e32 v3, v3
	v_cvt_u32_f32_e32 v2, v2
	v_readfirstlane_b32 s2, v3
	v_readfirstlane_b32 s3, v2
	s_mul_i32 s8, s0, s2
	s_mul_hi_u32 s16, s0, s3
	s_mul_i32 s9, s1, s3
	s_add_i32 s8, s16, s8
	s_mul_i32 s17, s0, s3
	s_add_i32 s8, s8, s9
	s_mul_hi_u32 s16, s3, s17
	s_mul_hi_u32 s9, s3, s8
	s_mul_i32 s3, s3, s8
	s_add_u32 s3, s16, s3
	s_addc_u32 s9, 0, s9
	s_mul_hi_u32 s18, s2, s17
	s_mul_i32 s17, s2, s17
	s_add_u32 s3, s3, s17
	s_mul_hi_u32 s16, s2, s8
	s_addc_u32 s3, s9, s18
	s_addc_u32 s9, s16, 0
	s_mul_i32 s8, s2, s8
	s_add_u32 s3, s3, s8
	s_addc_u32 s8, 0, s9
	v_add_co_u32_e32 v2, vcc, s3, v2
	s_cmp_lg_u64 vcc, 0
	s_addc_u32 s2, s2, s8
	v_readfirstlane_b32 s8, v2
	s_mul_i32 s3, s0, s2
	s_mul_hi_u32 s9, s0, s8
	s_add_i32 s3, s9, s3
	s_mul_i32 s1, s1, s8
	s_add_i32 s3, s3, s1
	s_mul_i32 s0, s0, s8
	s_mul_hi_u32 s9, s2, s0
	s_mul_i32 s16, s2, s0
	s_mul_i32 s18, s8, s3
	s_mul_hi_u32 s0, s8, s0
	s_mul_hi_u32 s17, s8, s3
	s_add_u32 s0, s0, s18
	s_addc_u32 s8, 0, s17
	s_add_u32 s0, s0, s16
	s_mul_hi_u32 s1, s2, s3
	s_addc_u32 s0, s8, s9
	s_addc_u32 s1, s1, 0
	s_mul_i32 s3, s2, s3
	s_add_u32 s0, s0, s3
	s_addc_u32 s1, 0, s1
	v_add_co_u32_e32 v2, vcc, s0, v2
	s_cmp_lg_u64 vcc, 0
	s_addc_u32 s0, s2, s1
	v_readlane_b32 s16, v48, 21
	v_readfirstlane_b32 s3, v2
	s_mul_i32 s2, s16, s0
	s_mul_hi_u32 s8, s16, s3
	s_mul_hi_u32 s1, s16, s0
	s_add_u32 s2, s8, s2
	s_addc_u32 s1, 0, s1
	s_mul_hi_u32 s9, s49, s3
	s_mul_i32 s3, s49, s3
	s_add_u32 s2, s2, s3
	s_mul_hi_u32 s8, s49, s0
	s_addc_u32 s1, s1, s9
	s_addc_u32 s2, s8, 0
	s_mul_i32 s0, s49, s0
	s_add_u32 s0, s1, s0
	s_addc_u32 s1, 0, s2
	s_mul_hi_u32 s2, s33, s0
	s_mul_i32 s0, s33, s0
	s_mul_i32 s1, s33, s1
	v_mov_b32_e32 v2, s0
	s_add_i32 s2, s2, s1
	v_sub_co_u32_e32 v2, vcc, s16, v2
	s_cmp_lg_u64 vcc, 0
	s_subb_u32 s0, s49, s2
	v_subrev_co_u32_e32 v3, vcc, s33, v2
	s_cmp_lg_u64 vcc, 0
	s_subb_u32 s1, s0, 0
	v_subrev_co_u32_e32 v4, vcc, s33, v3
	s_cmp_lg_u64 vcc, 0
	s_subb_u32 s2, s1, 0
	v_cmp_le_u32_e32 vcc, s33, v3
	s_cmp_eq_u32 s1, 0
	v_cndmask_b32_e64 v5, 0, -1, vcc
	s_cselect_b64 vcc, -1, 0
	v_cndmask_b32_e32 v5, -1, v5, vcc
	v_mov_b32_e32 v6, s1
	v_mov_b32_e32 v7, s2
	v_cmp_ne_u32_e32 vcc, 0, v5
	v_cndmask_b32_e32 v5, v6, v7, vcc
	v_cndmask_b32_e32 v4, v3, v4, vcc
	v_cmp_le_u32_e32 vcc, s33, v2
	s_cmp_eq_u32 s0, 0
	v_cndmask_b32_e64 v3, 0, -1, vcc
	s_cselect_b64 vcc, -1, 0
	v_cndmask_b32_e32 v3, -1, v3, vcc
	v_mov_b32_e32 v6, s0
	v_cmp_ne_u32_e32 vcc, 0, v3
	v_cndmask_b32_e32 v3, v6, v5, vcc
	v_cndmask_b32_e32 v2, v2, v4, vcc
	s_cbranch_execnz .LBB79_172
.LBB79_171:                             ;   in Loop: Header=BB79_35 Depth=1
	v_cvt_f32_u32_e32 v2, s33
	s_sub_i32 s0, 0, s33
	v_rcp_iflag_f32_e32 v2, v2
	v_mul_f32_e32 v2, 0x4f7ffffe, v2
	v_cvt_u32_f32_e32 v2, v2
	v_mul_lo_u32 v3, s0, v2
	v_mul_hi_u32 v3, v2, v3
	v_add_u32_e32 v2, v2, v3
	v_readlane_b32 s0, v48, 21
	v_mul_hi_u32 v2, s0, v2
	v_mul_lo_u32 v2, v2, s33
	v_sub_u32_e32 v2, s0, v2
	v_subrev_u32_e32 v3, s33, v2
	v_cmp_le_u32_e32 vcc, s33, v2
	v_cndmask_b32_e32 v2, v2, v3, vcc
	v_subrev_u32_e32 v3, s33, v2
	v_cmp_le_u32_e32 vcc, s33, v2
	v_cndmask_b32_e32 v10, v2, v3, vcc
	v_pk_mov_b32 v[2:3], v[10:11], v[10:11] op_sel:[0,1]
.LBB79_172:                             ;   in Loop: Header=BB79_35 Depth=1
	v_readlane_b32 s0, v48, 21
	v_mov_b32_e32 v4, s49
	v_sub_co_u32_e32 v2, vcc, s0, v2
	v_subb_co_u32_e32 v3, vcc, v4, v3, vcc
	v_cmp_gt_u64_e32 vcc, v[2:3], v[0:1]
	s_mov_b64 s[2:3], 0
                                        ; implicit-def: $vgpr39
	s_and_saveexec_b64 s[0:1], vcc
	s_cbranch_execz .LBB79_180
; %bb.173:                              ;   in Loop: Header=BB79_35 Depth=1
	v_pk_mov_b32 v[4:5], v[12:13], v[12:13] op_sel:[0,1]
	v_pk_mov_b32 v[6:7], v[0:1], v[0:1] op_sel:[0,1]
                                        ; implicit-def: $sgpr8_sgpr9
	s_branch .LBB79_175
.LBB79_174:                             ;   in Loop: Header=BB79_175 Depth=2
	s_or_b64 exec, exec, s[16:17]
	s_waitcnt lgkmcnt(0)
	s_barrier
	ds_read_u16 v8, v11 offset:3072
	v_mov_b32_e32 v9, s76
	v_add_co_u32_e32 v6, vcc, s33, v6
	v_addc_co_u32_e32 v7, vcc, v7, v9, vcc
	s_waitcnt lgkmcnt(0)
	v_cmp_ne_u16_sdwa s[16:17], v8, v1 src0_sel:BYTE_0 src1_sel:DWORD
	v_cmp_ge_u64_e32 vcc, v[6:7], v[2:3]
	s_or_b64 s[18:19], vcc, s[16:17]
	s_and_b64 s[18:19], exec, s[18:19]
	s_or_b64 s[2:3], s[18:19], s[2:3]
	v_mov_b32_e32 v9, s77
	v_add_co_u32_e32 v4, vcc, s84, v4
	s_andn2_b64 s[8:9], s[8:9], exec
	s_and_b64 s[16:17], s[16:17], exec
	v_addc_co_u32_e32 v5, vcc, v5, v9, vcc
	s_or_b64 s[8:9], s[8:9], s[16:17]
	s_barrier
	s_andn2_b64 exec, exec, s[2:3]
	s_cbranch_execz .LBB79_179
.LBB79_175:                             ;   Parent Loop BB79_35 Depth=1
                                        ; =>  This Inner Loop Header: Depth=2
	v_cmp_gt_u64_e32 vcc, s[52:53], v[6:7]
	v_mov_b32_e32 v8, 0
	s_and_saveexec_b64 s[16:17], vcc
	s_cbranch_execz .LBB79_177
; %bb.176:                              ;   in Loop: Header=BB79_175 Depth=2
	global_load_ubyte v8, v[4:5], off
.LBB79_177:                             ;   in Loop: Header=BB79_175 Depth=2
	s_or_b64 exec, exec, s[16:17]
	s_waitcnt vmcnt(0)
	v_and_b32_e32 v9, s82, v8
	v_cmp_eq_u32_sdwa s[16:17], v9, s83 src0_sel:BYTE_0 src1_sel:DWORD
	s_and_b64 s[18:19], vcc, s[16:17]
	s_and_saveexec_b64 s[16:17], s[18:19]
	s_cbranch_execz .LBB79_174
; %bb.178:                              ;   in Loop: Header=BB79_175 Depth=2
	v_lshlrev_b16_e32 v8, 8, v8
	v_or_b32_e32 v8, 1, v8
	ds_write_b16 v11, v8 offset:3072
	s_branch .LBB79_174
.LBB79_179:                             ;   in Loop: Header=BB79_35 Depth=1
	s_or_b64 exec, exec, s[2:3]
	v_lshrrev_b16_e32 v39, 8, v8
	s_and_b64 s[2:3], s[8:9], exec
.LBB79_180:                             ;   in Loop: Header=BB79_35 Depth=1
	s_or_b64 exec, exec, s[0:1]
	s_mov_b64 s[20:21], -1
	s_mov_b64 s[18:19], 0
	s_mov_b64 s[16:17], 0
.LBB79_181:                             ;   in Loop: Header=BB79_35 Depth=1
	s_mov_b64 s[0:1], 0
                                        ; implicit-def: $sgpr43
	s_and_saveexec_b64 s[22:23], s[2:3]
	s_cbranch_execz .LBB79_288
; %bb.182:                              ;   in Loop: Header=BB79_35 Depth=1
	s_xor_b64 s[0:1], s[28:29], -1
	s_andn2_b64 vcc, exec, s[0:1]
	s_mov_b32 s43, 1
	s_cbranch_vccnz .LBB79_193
; %bb.183:                              ;   in Loop: Header=BB79_35 Depth=1
	v_pk_mov_b32 v[2:3], s[24:25], s[24:25] op_sel:[0,1]
	v_cmp_gt_u64_e32 vcc, s[46:47], v[2:3]
	s_mov_b64 s[0:1], -1
                                        ; implicit-def: $sgpr43
                                        ; implicit-def: $sgpr2
                                        ; implicit-def: $sgpr3
	s_cbranch_vccnz .LBB79_189
; %bb.184:                              ;   in Loop: Header=BB79_35 Depth=1
	ds_read_b64 v[2:3], v11 offset:5120
	s_waitcnt lgkmcnt(0)
	v_cmp_ne_u64_e32 vcc, 0, v[2:3]
	s_cbranch_vccnz .LBB79_188
; %bb.185:                              ;   in Loop: Header=BB79_35 Depth=1
	s_mov_b64 s[0:1], exec
	v_readlane_b32 s2, v48, 6
	v_readlane_b32 s3, v48, 7
	s_and_b64 s[2:3], s[0:1], s[2:3]
	s_mov_b64 exec, s[2:3]
	s_cbranch_execz .LBB79_187
; %bb.186:                              ;   in Loop: Header=BB79_35 Depth=1
	v_pk_mov_b32 v[2:3], s[24:25], s[24:25] op_sel:[0,1]
	ds_write_b64 v11, v[2:3] offset:5128
.LBB79_187:                             ;   in Loop: Header=BB79_35 Depth=1
	s_or_b64 exec, exec, s[0:1]
	s_waitcnt lgkmcnt(0)
	s_barrier
.LBB79_188:                             ;   in Loop: Header=BB79_35 Depth=1
	s_lshl_b32 s0, 1, s38
	s_and_b32 s1, s83, s39
	s_or_b32 s2, s1, s0
	s_or_b32 s3, s82, s42
	s_mov_b64 s[0:1], 0
	s_mov_b32 s43, 8
.LBB79_189:                             ;   in Loop: Header=BB79_35 Depth=1
	s_andn2_b64 vcc, exec, s[0:1]
	s_cbranch_vccnz .LBB79_191
; %bb.190:                              ;   in Loop: Header=BB79_35 Depth=1
	s_sub_u32 s46, s46, s24
	s_subb_u32 s47, s47, s25
	s_mov_b64 s[0:1], -1
	s_mov_b32 s43, 0
	s_mov_b32 s2, s83
	;; [unrolled: 1-line block ×3, first 2 shown]
.LBB79_191:                             ;   in Loop: Header=BB79_35 Depth=1
	s_mov_b32 s82, s3
	s_mov_b32 s83, s2
	s_andn2_b64 vcc, exec, s[0:1]
	s_mov_b64 s[0:1], -1
	s_cbranch_vccz .LBB79_194
.LBB79_192:                             ;   in Loop: Header=BB79_35 Depth=1
                                        ; implicit-def: $sgpr28_sgpr29
                                        ; implicit-def: $sgpr30_sgpr31
                                        ; implicit-def: $sgpr24_sgpr25
	s_branch .LBB79_287
.LBB79_193:                             ;   in Loop: Header=BB79_35 Depth=1
	s_mov_b64 s[46:47], 1
	s_mov_b64 s[0:1], -1
	s_cbranch_execnz .LBB79_192
.LBB79_194:                             ;   in Loop: Header=BB79_35 Depth=1
	s_cmp_eq_u64 s[14:15], 1
	s_cselect_b64 s[0:1], -1, 0
	s_cmp_eq_u64 s[46:47], 1
	s_cselect_b64 s[2:3], -1, 0
	s_and_b64 s[36:37], s[0:1], s[2:3]
	s_mov_b64 s[2:3], -1
	s_and_b64 vcc, exec, s[36:37]
	s_cbranch_vccz .LBB79_208
; %bb.195:                              ;   in Loop: Header=BB79_35 Depth=1
	ds_read_b64 v[2:3], v11 offset:5120
	s_waitcnt lgkmcnt(0)
	s_barrier
	v_readfirstlane_b32 s0, v2
	v_readfirstlane_b32 s1, v3
	s_mov_b64 s[2:3], exec
	v_readlane_b32 s8, v48, 14
	v_readlane_b32 s9, v48, 15
	s_and_b64 s[8:9], s[2:3], s[8:9]
	s_mov_b64 exec, s[8:9]
	s_cbranch_execz .LBB79_197
; %bb.196:                              ;   in Loop: Header=BB79_35 Depth=1
	ds_write_b8 v0, v1 offset:3072
.LBB79_197:                             ;   in Loop: Header=BB79_35 Depth=1
	s_or_b64 exec, exec, s[2:3]
	s_lshl_b32 s2, 2, s38
	s_and_b32 s3, s83, s39
	s_or_b32 s83, s3, s2
	s_or_b32 s82, s82, s42
	s_cmp_eq_u64 s[0:1], 0
	s_waitcnt lgkmcnt(0)
	s_barrier
	s_cbranch_scc1 .LBB79_211
; %bb.198:                              ;   in Loop: Header=BB79_35 Depth=1
	v_readlane_b32 s2, v48, 20
	s_add_u32 s24, s2, s0
	v_readlane_b32 s2, v48, 22
	s_addc_u32 s3, s2, s1
	s_mov_b32 s2, s75
	s_cmp_lg_u64 s[2:3], 0
	s_cbranch_scc0 .LBB79_254
; %bb.199:                              ;   in Loop: Header=BB79_35 Depth=1
	v_cvt_f32_u32_e32 v2, s33
	s_sub_u32 s2, 0, s33
	s_subb_u32 s8, 0, 0
	v_mac_f32_e32 v2, 0, v38
	v_rcp_f32_e32 v2, v2
	v_mul_f32_e32 v2, 0x5f7ffffc, v2
	v_mul_f32_e32 v3, 0x2f800000, v2
	v_trunc_f32_e32 v3, v3
	v_mac_f32_e32 v2, 0xcf800000, v3
	v_cvt_u32_f32_e32 v3, v3
	v_cvt_u32_f32_e32 v2, v2
	v_readfirstlane_b32 s9, v3
	v_readfirstlane_b32 s25, v2
	s_mul_i32 s26, s2, s9
	s_mul_hi_u32 s28, s2, s25
	s_mul_i32 s27, s8, s25
	s_add_i32 s26, s28, s26
	s_mul_i32 s29, s2, s25
	s_add_i32 s26, s26, s27
	s_mul_hi_u32 s28, s25, s29
	s_mul_hi_u32 s27, s25, s26
	s_mul_i32 s25, s25, s26
	s_add_u32 s25, s28, s25
	s_addc_u32 s27, 0, s27
	s_mul_hi_u32 s30, s9, s29
	s_mul_i32 s29, s9, s29
	s_add_u32 s25, s25, s29
	s_mul_hi_u32 s28, s9, s26
	s_addc_u32 s25, s27, s30
	s_addc_u32 s27, s28, 0
	s_mul_i32 s26, s9, s26
	s_add_u32 s25, s25, s26
	s_addc_u32 s26, 0, s27
	v_add_co_u32_e32 v2, vcc, s25, v2
	s_cmp_lg_u64 vcc, 0
	s_addc_u32 s9, s9, s26
	v_readfirstlane_b32 s26, v2
	s_mul_i32 s25, s2, s9
	s_mul_hi_u32 s27, s2, s26
	s_add_i32 s25, s27, s25
	s_mul_i32 s8, s8, s26
	s_add_i32 s25, s25, s8
	s_mul_i32 s2, s2, s26
	s_mul_hi_u32 s27, s9, s2
	s_mul_i32 s28, s9, s2
	s_mul_i32 s30, s26, s25
	s_mul_hi_u32 s2, s26, s2
	s_mul_hi_u32 s29, s26, s25
	s_add_u32 s2, s2, s30
	s_addc_u32 s26, 0, s29
	s_add_u32 s2, s2, s28
	s_mul_hi_u32 s8, s9, s25
	s_addc_u32 s2, s26, s27
	s_addc_u32 s8, s8, 0
	s_mul_i32 s25, s9, s25
	s_add_u32 s2, s2, s25
	s_addc_u32 s8, 0, s8
	v_add_co_u32_e32 v2, vcc, s2, v2
	s_cmp_lg_u64 vcc, 0
	s_addc_u32 s2, s9, s8
	v_readfirstlane_b32 s25, v2
	s_mul_i32 s9, s24, s2
	s_mul_hi_u32 s26, s24, s25
	s_mul_hi_u32 s8, s24, s2
	s_add_u32 s9, s26, s9
	s_addc_u32 s8, 0, s8
	s_mul_hi_u32 s27, s3, s25
	s_mul_i32 s25, s3, s25
	s_add_u32 s9, s9, s25
	s_mul_hi_u32 s26, s3, s2
	s_addc_u32 s8, s8, s27
	s_addc_u32 s9, s26, 0
	s_mul_i32 s2, s3, s2
	s_add_u32 s2, s8, s2
	s_addc_u32 s8, 0, s9
	s_mul_hi_u32 s9, s33, s2
	s_mul_i32 s2, s33, s2
	s_mul_i32 s8, s33, s8
	v_mov_b32_e32 v2, s2
	s_add_i32 s9, s9, s8
	v_sub_co_u32_e32 v2, vcc, s24, v2
	s_cmp_lg_u64 vcc, 0
	s_subb_u32 s2, s3, s9
	v_subrev_co_u32_e32 v3, vcc, s33, v2
	s_cmp_lg_u64 vcc, 0
	s_subb_u32 s8, s2, 0
	v_subrev_co_u32_e32 v4, vcc, s33, v3
	s_cmp_lg_u64 vcc, 0
	s_subb_u32 s9, s8, 0
	v_cmp_le_u32_e32 vcc, s33, v3
	s_cmp_eq_u32 s8, 0
	v_cndmask_b32_e64 v5, 0, -1, vcc
	s_cselect_b64 vcc, -1, 0
	v_cndmask_b32_e32 v5, -1, v5, vcc
	v_mov_b32_e32 v6, s8
	v_mov_b32_e32 v7, s9
	v_cmp_ne_u32_e32 vcc, 0, v5
	v_cndmask_b32_e32 v5, v6, v7, vcc
	v_cndmask_b32_e32 v4, v3, v4, vcc
	v_cmp_le_u32_e32 vcc, s33, v2
	s_cmp_eq_u32 s2, 0
	v_cndmask_b32_e64 v3, 0, -1, vcc
	s_cselect_b64 vcc, -1, 0
	v_cndmask_b32_e32 v3, -1, v3, vcc
	v_mov_b32_e32 v6, s2
	v_cmp_ne_u32_e32 vcc, 0, v3
	v_cndmask_b32_e32 v3, v6, v5, vcc
	v_cndmask_b32_e32 v2, v2, v4, vcc
	s_cbranch_execnz .LBB79_201
.LBB79_200:                             ;   in Loop: Header=BB79_35 Depth=1
	v_cvt_f32_u32_e32 v2, s33
	s_sub_i32 s2, 0, s33
	v_rcp_iflag_f32_e32 v2, v2
	v_mul_f32_e32 v2, 0x4f7ffffe, v2
	v_cvt_u32_f32_e32 v2, v2
	v_mul_lo_u32 v3, s2, v2
	v_mul_hi_u32 v3, v2, v3
	v_add_u32_e32 v2, v2, v3
	v_mul_hi_u32 v2, s24, v2
	v_mul_lo_u32 v2, v2, s33
	v_sub_u32_e32 v2, s24, v2
	v_subrev_u32_e32 v3, s33, v2
	v_cmp_le_u32_e32 vcc, s33, v2
	v_cndmask_b32_e32 v2, v2, v3, vcc
	v_subrev_u32_e32 v3, s33, v2
	v_cmp_le_u32_e32 vcc, s33, v2
	v_cndmask_b32_e32 v10, v2, v3, vcc
	v_pk_mov_b32 v[2:3], v[10:11], v[10:11] op_sel:[0,1]
.LBB79_201:                             ;   in Loop: Header=BB79_35 Depth=1
	v_mov_b32_e32 v4, s3
	v_sub_co_u32_e32 v2, vcc, s24, v2
	v_subb_co_u32_e32 v3, vcc, v4, v3, vcc
	v_cmp_gt_u64_e32 vcc, v[2:3], v[0:1]
	s_mov_b64 s[2:3], 0
                                        ; implicit-def: $vgpr39
	s_and_saveexec_b64 s[8:9], vcc
	s_cbranch_execz .LBB79_213
; %bb.202:                              ;   in Loop: Header=BB79_35 Depth=1
	v_mov_b32_e32 v6, v0
	v_pk_mov_b32 v[4:5], v[0:1], v[0:1] op_sel:[0,1]
                                        ; implicit-def: $sgpr24_sgpr25
	s_branch .LBB79_204
.LBB79_203:                             ;   in Loop: Header=BB79_204 Depth=2
	s_or_b64 exec, exec, s[26:27]
	s_waitcnt lgkmcnt(0)
	s_barrier
	ds_read_u16 v7, v11 offset:3072
	v_mov_b32_e32 v8, s76
	v_add_co_u32_e32 v4, vcc, s33, v4
	v_addc_co_u32_e32 v5, vcc, v5, v8, vcc
	s_waitcnt lgkmcnt(0)
	v_cmp_ne_u16_sdwa s[26:27], v7, v1 src0_sel:BYTE_0 src1_sel:DWORD
	v_cmp_ge_u64_e32 vcc, v[4:5], v[2:3]
	s_or_b64 s[28:29], vcc, s[26:27]
	s_and_b64 s[28:29], exec, s[28:29]
	s_or_b64 s[2:3], s[28:29], s[2:3]
	s_andn2_b64 s[24:25], s[24:25], exec
	s_and_b64 s[26:27], s[26:27], exec
	v_add_u32_e32 v6, s33, v6
	s_or_b64 s[24:25], s[24:25], s[26:27]
	s_barrier
	s_andn2_b64 exec, exec, s[2:3]
	s_cbranch_execz .LBB79_212
.LBB79_204:                             ;   Parent Loop BB79_35 Depth=1
                                        ; =>  This Inner Loop Header: Depth=2
	v_cmp_gt_u64_e32 vcc, s[0:1], v[4:5]
	v_mov_b32_e32 v7, 0
	s_and_saveexec_b64 s[26:27], vcc
	s_cbranch_execz .LBB79_206
; %bb.205:                              ;   in Loop: Header=BB79_204 Depth=2
	ds_read_u8 v7, v6
.LBB79_206:                             ;   in Loop: Header=BB79_204 Depth=2
	s_or_b64 exec, exec, s[26:27]
	s_waitcnt lgkmcnt(0)
	v_and_b32_e32 v8, s82, v7
	v_cmp_eq_u32_sdwa s[26:27], v8, s83 src0_sel:BYTE_0 src1_sel:DWORD
	s_and_b64 s[28:29], vcc, s[26:27]
	s_and_saveexec_b64 s[26:27], s[28:29]
	s_cbranch_execz .LBB79_203
; %bb.207:                              ;   in Loop: Header=BB79_204 Depth=2
	v_lshlrev_b16_e32 v7, 8, v7
	v_or_b32_e32 v7, 1, v7
	ds_write_b16 v11, v7 offset:3072
	s_branch .LBB79_203
.LBB79_208:                             ;   in Loop: Header=BB79_35 Depth=1
                                        ; implicit-def: $sgpr24_sgpr25
                                        ; implicit-def: $sgpr30_sgpr31
                                        ; implicit-def: $sgpr28_sgpr29
	s_branch .LBB79_226
.LBB79_209:                             ;   in Loop: Header=BB79_35 Depth=1
                                        ; implicit-def: $vgpr2_vgpr3
	s_branch .LBB79_152
.LBB79_210:                             ;   in Loop: Header=BB79_35 Depth=1
                                        ; implicit-def: $vgpr2_vgpr3
	s_branch .LBB79_171
.LBB79_211:                             ;   in Loop: Header=BB79_35 Depth=1
	s_mov_b64 s[24:25], -1
	s_mov_b64 s[2:3], 0
                                        ; implicit-def: $sgpr28_sgpr29
                                        ; implicit-def: $vgpr39
	s_mov_b64 s[30:31], s[24:25]
	s_cbranch_execnz .LBB79_214
	s_branch .LBB79_226
.LBB79_212:                             ;   in Loop: Header=BB79_35 Depth=1
	s_or_b64 exec, exec, s[2:3]
	v_lshrrev_b16_e32 v39, 8, v7
	s_and_b64 s[2:3], s[24:25], exec
.LBB79_213:                             ;   in Loop: Header=BB79_35 Depth=1
	s_or_b64 exec, exec, s[8:9]
	s_mov_b64 s[28:29], -1
	s_mov_b64 s[24:25], 0
	s_mov_b64 s[30:31], s[24:25]
	s_branch .LBB79_226
.LBB79_214:                             ;   in Loop: Header=BB79_35 Depth=1
	s_mov_b32 s48, s75
	s_cmp_lg_u64 s[48:49], 0
	s_cbranch_scc0 .LBB79_255
; %bb.215:                              ;   in Loop: Header=BB79_35 Depth=1
	v_cvt_f32_u32_e32 v2, s33
	s_sub_u32 s0, 0, s33
	s_subb_u32 s1, 0, 0
	v_mac_f32_e32 v2, 0, v38
	v_rcp_f32_e32 v2, v2
	v_mul_f32_e32 v2, 0x5f7ffffc, v2
	v_mul_f32_e32 v3, 0x2f800000, v2
	v_trunc_f32_e32 v3, v3
	v_mac_f32_e32 v2, 0xcf800000, v3
	v_cvt_u32_f32_e32 v3, v3
	v_cvt_u32_f32_e32 v2, v2
	v_readfirstlane_b32 s2, v3
	v_readfirstlane_b32 s3, v2
	s_mul_i32 s8, s0, s2
	s_mul_hi_u32 s24, s0, s3
	s_mul_i32 s9, s1, s3
	s_add_i32 s8, s24, s8
	s_mul_i32 s25, s0, s3
	s_add_i32 s8, s8, s9
	s_mul_hi_u32 s24, s3, s25
	s_mul_hi_u32 s9, s3, s8
	s_mul_i32 s3, s3, s8
	s_add_u32 s3, s24, s3
	s_addc_u32 s9, 0, s9
	s_mul_hi_u32 s26, s2, s25
	s_mul_i32 s25, s2, s25
	s_add_u32 s3, s3, s25
	s_mul_hi_u32 s24, s2, s8
	s_addc_u32 s3, s9, s26
	s_addc_u32 s9, s24, 0
	s_mul_i32 s8, s2, s8
	s_add_u32 s3, s3, s8
	s_addc_u32 s8, 0, s9
	v_add_co_u32_e32 v2, vcc, s3, v2
	s_cmp_lg_u64 vcc, 0
	s_addc_u32 s2, s2, s8
	v_readfirstlane_b32 s8, v2
	s_mul_i32 s3, s0, s2
	s_mul_hi_u32 s9, s0, s8
	s_add_i32 s3, s9, s3
	s_mul_i32 s1, s1, s8
	s_add_i32 s3, s3, s1
	s_mul_i32 s0, s0, s8
	s_mul_hi_u32 s9, s2, s0
	s_mul_i32 s24, s2, s0
	s_mul_i32 s26, s8, s3
	s_mul_hi_u32 s0, s8, s0
	s_mul_hi_u32 s25, s8, s3
	s_add_u32 s0, s0, s26
	s_addc_u32 s8, 0, s25
	s_add_u32 s0, s0, s24
	s_mul_hi_u32 s1, s2, s3
	s_addc_u32 s0, s8, s9
	s_addc_u32 s1, s1, 0
	s_mul_i32 s3, s2, s3
	s_add_u32 s0, s0, s3
	s_addc_u32 s1, 0, s1
	v_add_co_u32_e32 v2, vcc, s0, v2
	s_cmp_lg_u64 vcc, 0
	s_addc_u32 s0, s2, s1
	v_readlane_b32 s24, v48, 21
	v_readfirstlane_b32 s3, v2
	s_mul_i32 s2, s24, s0
	s_mul_hi_u32 s8, s24, s3
	s_mul_hi_u32 s1, s24, s0
	s_add_u32 s2, s8, s2
	s_addc_u32 s1, 0, s1
	s_mul_hi_u32 s9, s49, s3
	s_mul_i32 s3, s49, s3
	s_add_u32 s2, s2, s3
	s_mul_hi_u32 s8, s49, s0
	s_addc_u32 s1, s1, s9
	s_addc_u32 s2, s8, 0
	s_mul_i32 s0, s49, s0
	s_add_u32 s0, s1, s0
	s_addc_u32 s1, 0, s2
	s_mul_hi_u32 s2, s33, s0
	s_mul_i32 s0, s33, s0
	s_mul_i32 s1, s33, s1
	v_mov_b32_e32 v2, s0
	s_add_i32 s2, s2, s1
	v_sub_co_u32_e32 v2, vcc, s24, v2
	s_cmp_lg_u64 vcc, 0
	s_subb_u32 s0, s49, s2
	v_subrev_co_u32_e32 v3, vcc, s33, v2
	s_cmp_lg_u64 vcc, 0
	s_subb_u32 s1, s0, 0
	v_subrev_co_u32_e32 v4, vcc, s33, v3
	s_cmp_lg_u64 vcc, 0
	s_subb_u32 s2, s1, 0
	v_cmp_le_u32_e32 vcc, s33, v3
	s_cmp_eq_u32 s1, 0
	v_cndmask_b32_e64 v5, 0, -1, vcc
	s_cselect_b64 vcc, -1, 0
	v_cndmask_b32_e32 v5, -1, v5, vcc
	v_mov_b32_e32 v6, s1
	v_mov_b32_e32 v7, s2
	v_cmp_ne_u32_e32 vcc, 0, v5
	v_cndmask_b32_e32 v5, v6, v7, vcc
	v_cndmask_b32_e32 v4, v3, v4, vcc
	v_cmp_le_u32_e32 vcc, s33, v2
	s_cmp_eq_u32 s0, 0
	v_cndmask_b32_e64 v3, 0, -1, vcc
	s_cselect_b64 vcc, -1, 0
	v_cndmask_b32_e32 v3, -1, v3, vcc
	v_mov_b32_e32 v6, s0
	v_cmp_ne_u32_e32 vcc, 0, v3
	v_cndmask_b32_e32 v3, v6, v5, vcc
	v_cndmask_b32_e32 v2, v2, v4, vcc
	s_cbranch_execnz .LBB79_217
.LBB79_216:                             ;   in Loop: Header=BB79_35 Depth=1
	v_cvt_f32_u32_e32 v2, s33
	s_sub_i32 s0, 0, s33
	v_rcp_iflag_f32_e32 v2, v2
	v_mul_f32_e32 v2, 0x4f7ffffe, v2
	v_cvt_u32_f32_e32 v2, v2
	v_mul_lo_u32 v3, s0, v2
	v_mul_hi_u32 v3, v2, v3
	v_add_u32_e32 v2, v2, v3
	v_readlane_b32 s0, v48, 21
	v_mul_hi_u32 v2, s0, v2
	v_mul_lo_u32 v2, v2, s33
	v_sub_u32_e32 v2, s0, v2
	v_subrev_u32_e32 v3, s33, v2
	v_cmp_le_u32_e32 vcc, s33, v2
	v_cndmask_b32_e32 v2, v2, v3, vcc
	v_subrev_u32_e32 v3, s33, v2
	v_cmp_le_u32_e32 vcc, s33, v2
	v_cndmask_b32_e32 v10, v2, v3, vcc
	v_pk_mov_b32 v[2:3], v[10:11], v[10:11] op_sel:[0,1]
.LBB79_217:                             ;   in Loop: Header=BB79_35 Depth=1
	v_readlane_b32 s0, v48, 21
	v_mov_b32_e32 v4, s49
	v_sub_co_u32_e32 v2, vcc, s0, v2
	v_subb_co_u32_e32 v3, vcc, v4, v3, vcc
	v_cmp_gt_u64_e32 vcc, v[2:3], v[0:1]
	s_mov_b64 s[2:3], 0
                                        ; implicit-def: $vgpr39
	s_and_saveexec_b64 s[0:1], vcc
	s_cbranch_execz .LBB79_225
; %bb.218:                              ;   in Loop: Header=BB79_35 Depth=1
	v_pk_mov_b32 v[4:5], v[12:13], v[12:13] op_sel:[0,1]
	v_pk_mov_b32 v[6:7], v[0:1], v[0:1] op_sel:[0,1]
                                        ; implicit-def: $sgpr8_sgpr9
	s_branch .LBB79_220
.LBB79_219:                             ;   in Loop: Header=BB79_220 Depth=2
	s_or_b64 exec, exec, s[24:25]
	s_waitcnt lgkmcnt(0)
	s_barrier
	ds_read_u16 v8, v11 offset:3072
	v_mov_b32_e32 v9, s76
	v_add_co_u32_e32 v6, vcc, s33, v6
	v_addc_co_u32_e32 v7, vcc, v7, v9, vcc
	s_waitcnt lgkmcnt(0)
	v_cmp_ne_u16_sdwa s[24:25], v8, v1 src0_sel:BYTE_0 src1_sel:DWORD
	v_cmp_ge_u64_e32 vcc, v[6:7], v[2:3]
	s_or_b64 s[26:27], vcc, s[24:25]
	s_and_b64 s[26:27], exec, s[26:27]
	s_or_b64 s[2:3], s[26:27], s[2:3]
	v_mov_b32_e32 v9, s77
	v_add_co_u32_e32 v4, vcc, s84, v4
	s_andn2_b64 s[8:9], s[8:9], exec
	s_and_b64 s[24:25], s[24:25], exec
	v_addc_co_u32_e32 v5, vcc, v5, v9, vcc
	s_or_b64 s[8:9], s[8:9], s[24:25]
	s_barrier
	s_andn2_b64 exec, exec, s[2:3]
	s_cbranch_execz .LBB79_224
.LBB79_220:                             ;   Parent Loop BB79_35 Depth=1
                                        ; =>  This Inner Loop Header: Depth=2
	v_cmp_gt_u64_e32 vcc, s[52:53], v[6:7]
	v_mov_b32_e32 v8, 0
	s_and_saveexec_b64 s[24:25], vcc
	s_cbranch_execz .LBB79_222
; %bb.221:                              ;   in Loop: Header=BB79_220 Depth=2
	global_load_ubyte v8, v[4:5], off
.LBB79_222:                             ;   in Loop: Header=BB79_220 Depth=2
	s_or_b64 exec, exec, s[24:25]
	s_waitcnt vmcnt(0)
	v_and_b32_e32 v9, s82, v8
	v_cmp_eq_u32_sdwa s[24:25], v9, s83 src0_sel:BYTE_0 src1_sel:DWORD
	s_and_b64 s[26:27], vcc, s[24:25]
	s_and_saveexec_b64 s[24:25], s[26:27]
	s_cbranch_execz .LBB79_219
; %bb.223:                              ;   in Loop: Header=BB79_220 Depth=2
	v_lshlrev_b16_e32 v8, 8, v8
	v_or_b32_e32 v8, 1, v8
	ds_write_b16 v11, v8 offset:3072
	s_branch .LBB79_219
.LBB79_224:                             ;   in Loop: Header=BB79_35 Depth=1
	s_or_b64 exec, exec, s[2:3]
	v_lshrrev_b16_e32 v39, 8, v8
	s_and_b64 s[2:3], s[8:9], exec
.LBB79_225:                             ;   in Loop: Header=BB79_35 Depth=1
	s_or_b64 exec, exec, s[0:1]
	s_mov_b64 s[30:31], -1
	s_mov_b64 s[24:25], 0
	s_mov_b64 s[28:29], 0
.LBB79_226:                             ;   in Loop: Header=BB79_35 Depth=1
	s_mov_b64 s[0:1], 0
                                        ; implicit-def: $sgpr43
	s_and_saveexec_b64 s[34:35], s[2:3]
	s_cbranch_execz .LBB79_286
; %bb.227:                              ;   in Loop: Header=BB79_35 Depth=1
	s_xor_b64 s[0:1], s[36:37], -1
	s_andn2_b64 vcc, exec, s[0:1]
	s_mov_b32 s43, 1
	s_cbranch_vccnz .LBB79_238
; %bb.228:                              ;   in Loop: Header=BB79_35 Depth=1
	v_pk_mov_b32 v[2:3], s[14:15], s[14:15] op_sel:[0,1]
	v_cmp_gt_u64_e32 vcc, s[46:47], v[2:3]
	s_mov_b64 s[0:1], -1
                                        ; implicit-def: $sgpr43
                                        ; implicit-def: $sgpr2
                                        ; implicit-def: $sgpr3
	s_cbranch_vccnz .LBB79_234
; %bb.229:                              ;   in Loop: Header=BB79_35 Depth=1
	ds_read_b64 v[2:3], v11 offset:5120
	s_waitcnt lgkmcnt(0)
	v_cmp_ne_u64_e32 vcc, 0, v[2:3]
	s_cbranch_vccnz .LBB79_233
; %bb.230:                              ;   in Loop: Header=BB79_35 Depth=1
	s_mov_b64 s[0:1], exec
	v_readlane_b32 s2, v48, 6
	v_readlane_b32 s3, v48, 7
	s_and_b64 s[2:3], s[0:1], s[2:3]
	s_mov_b64 exec, s[2:3]
	s_cbranch_execz .LBB79_232
; %bb.231:                              ;   in Loop: Header=BB79_35 Depth=1
	v_pk_mov_b32 v[2:3], s[14:15], s[14:15] op_sel:[0,1]
	ds_write_b64 v11, v[2:3] offset:5128
.LBB79_232:                             ;   in Loop: Header=BB79_35 Depth=1
	s_or_b64 exec, exec, s[0:1]
	s_waitcnt lgkmcnt(0)
	s_barrier
.LBB79_233:                             ;   in Loop: Header=BB79_35 Depth=1
	s_lshl_b32 s0, 2, s38
	s_and_b32 s1, s83, s39
	s_or_b32 s2, s1, s0
	s_or_b32 s3, s82, s42
	s_mov_b64 s[0:1], 0
	s_mov_b32 s43, 8
.LBB79_234:                             ;   in Loop: Header=BB79_35 Depth=1
	s_andn2_b64 vcc, exec, s[0:1]
	s_cbranch_vccnz .LBB79_236
; %bb.235:                              ;   in Loop: Header=BB79_35 Depth=1
	s_sub_u32 s46, s46, s14
	s_subb_u32 s47, s47, s15
	s_mov_b64 s[0:1], -1
	s_mov_b32 s43, 0
	s_mov_b32 s2, s83
	;; [unrolled: 1-line block ×3, first 2 shown]
.LBB79_236:                             ;   in Loop: Header=BB79_35 Depth=1
	s_mov_b32 s82, s3
	s_mov_b32 s83, s2
	s_andn2_b64 vcc, exec, s[0:1]
	s_mov_b64 s[38:39], -1
	s_cbranch_vccz .LBB79_239
.LBB79_237:                             ;   in Loop: Header=BB79_35 Depth=1
                                        ; implicit-def: $sgpr0_sgpr1
                                        ; implicit-def: $sgpr8_sgpr9
                                        ; implicit-def: $sgpr2_sgpr3
	s_branch .LBB79_285
.LBB79_238:                             ;   in Loop: Header=BB79_35 Depth=1
	s_mov_b64 s[46:47], 1
	s_mov_b64 s[38:39], -1
	s_cbranch_execnz .LBB79_237
.LBB79_239:                             ;   in Loop: Header=BB79_35 Depth=1
	s_cmp_eq_u64 s[6:7], 1
	s_cselect_b64 s[0:1], -1, 0
	s_cmp_eq_u64 s[46:47], 1
	s_cselect_b64 s[2:3], -1, 0
	s_and_b64 s[14:15], s[0:1], s[2:3]
	s_mov_b64 s[26:27], -1
	s_and_b64 vcc, exec, s[14:15]
	s_cbranch_vccz .LBB79_253
; %bb.240:                              ;   in Loop: Header=BB79_35 Depth=1
	ds_read_b64 v[2:3], v11 offset:5120
	s_waitcnt lgkmcnt(0)
	s_barrier
	v_readfirstlane_b32 s0, v2
	v_readfirstlane_b32 s1, v3
	s_mov_b64 s[2:3], exec
	v_readlane_b32 s8, v48, 14
	v_readlane_b32 s9, v48, 15
	s_and_b64 s[8:9], s[2:3], s[8:9]
	s_mov_b64 exec, s[8:9]
	s_cbranch_execz .LBB79_242
; %bb.241:                              ;   in Loop: Header=BB79_35 Depth=1
	ds_write_b8 v0, v1 offset:3072
.LBB79_242:                             ;   in Loop: Header=BB79_35 Depth=1
	s_or_b64 exec, exec, s[2:3]
	s_or_b32 s83, s83, s42
	s_or_b32 s82, s82, s42
	s_cmp_eq_u64 s[0:1], 0
	s_waitcnt lgkmcnt(0)
	s_barrier
	s_cbranch_scc1 .LBB79_256
; %bb.243:                              ;   in Loop: Header=BB79_35 Depth=1
	v_readlane_b32 s2, v48, 20
	s_add_u32 s26, s2, s0
	v_readlane_b32 s2, v48, 22
	s_addc_u32 s3, s2, s1
	s_mov_b32 s2, s75
	s_cmp_lg_u64 s[2:3], 0
	s_cbranch_scc0 .LBB79_291
; %bb.244:                              ;   in Loop: Header=BB79_35 Depth=1
	v_cvt_f32_u32_e32 v2, s33
	s_sub_u32 s2, 0, s33
	s_subb_u32 s8, 0, 0
	v_mac_f32_e32 v2, 0, v38
	v_rcp_f32_e32 v2, v2
	v_mul_f32_e32 v2, 0x5f7ffffc, v2
	v_mul_f32_e32 v3, 0x2f800000, v2
	v_trunc_f32_e32 v3, v3
	v_mac_f32_e32 v2, 0xcf800000, v3
	v_cvt_u32_f32_e32 v3, v3
	v_cvt_u32_f32_e32 v2, v2
	v_readfirstlane_b32 s9, v3
	v_readfirstlane_b32 s27, v2
	s_mul_i32 s36, s2, s9
	s_mul_hi_u32 s38, s2, s27
	s_mul_i32 s37, s8, s27
	s_add_i32 s36, s38, s36
	s_mul_i32 s39, s2, s27
	s_add_i32 s36, s36, s37
	s_mul_hi_u32 s38, s27, s39
	s_mul_hi_u32 s37, s27, s36
	s_mul_i32 s27, s27, s36
	s_add_u32 s27, s38, s27
	s_addc_u32 s37, 0, s37
	s_mul_hi_u32 s40, s9, s39
	s_mul_i32 s39, s9, s39
	s_add_u32 s27, s27, s39
	s_mul_hi_u32 s38, s9, s36
	s_addc_u32 s27, s37, s40
	s_addc_u32 s37, s38, 0
	s_mul_i32 s36, s9, s36
	s_add_u32 s27, s27, s36
	s_addc_u32 s36, 0, s37
	v_add_co_u32_e32 v2, vcc, s27, v2
	s_cmp_lg_u64 vcc, 0
	s_addc_u32 s9, s9, s36
	v_readfirstlane_b32 s36, v2
	s_mul_i32 s27, s2, s9
	s_mul_hi_u32 s37, s2, s36
	s_add_i32 s27, s37, s27
	s_mul_i32 s8, s8, s36
	s_add_i32 s27, s27, s8
	s_mul_i32 s2, s2, s36
	s_mul_hi_u32 s37, s9, s2
	s_mul_i32 s38, s9, s2
	s_mul_i32 s40, s36, s27
	s_mul_hi_u32 s2, s36, s2
	s_mul_hi_u32 s39, s36, s27
	s_add_u32 s2, s2, s40
	s_addc_u32 s36, 0, s39
	s_add_u32 s2, s2, s38
	s_mul_hi_u32 s8, s9, s27
	s_addc_u32 s2, s36, s37
	s_addc_u32 s8, s8, 0
	s_mul_i32 s27, s9, s27
	s_add_u32 s2, s2, s27
	s_addc_u32 s8, 0, s8
	v_add_co_u32_e32 v2, vcc, s2, v2
	s_cmp_lg_u64 vcc, 0
	s_addc_u32 s2, s9, s8
	v_readfirstlane_b32 s27, v2
	s_mul_i32 s9, s26, s2
	s_mul_hi_u32 s36, s26, s27
	s_mul_hi_u32 s8, s26, s2
	s_add_u32 s9, s36, s9
	s_addc_u32 s8, 0, s8
	s_mul_hi_u32 s37, s3, s27
	s_mul_i32 s27, s3, s27
	s_add_u32 s9, s9, s27
	s_mul_hi_u32 s36, s3, s2
	s_addc_u32 s8, s8, s37
	s_addc_u32 s9, s36, 0
	s_mul_i32 s2, s3, s2
	s_add_u32 s2, s8, s2
	s_addc_u32 s8, 0, s9
	s_mul_hi_u32 s9, s33, s2
	s_mul_i32 s2, s33, s2
	s_mul_i32 s8, s33, s8
	v_mov_b32_e32 v2, s2
	s_add_i32 s9, s9, s8
	v_sub_co_u32_e32 v2, vcc, s26, v2
	s_cmp_lg_u64 vcc, 0
	s_subb_u32 s2, s3, s9
	v_subrev_co_u32_e32 v3, vcc, s33, v2
	s_cmp_lg_u64 vcc, 0
	s_subb_u32 s8, s2, 0
	v_subrev_co_u32_e32 v4, vcc, s33, v3
	s_cmp_lg_u64 vcc, 0
	s_subb_u32 s9, s8, 0
	v_cmp_le_u32_e32 vcc, s33, v3
	s_cmp_eq_u32 s8, 0
	v_cndmask_b32_e64 v5, 0, -1, vcc
	s_cselect_b64 vcc, -1, 0
	v_cndmask_b32_e32 v5, -1, v5, vcc
	v_mov_b32_e32 v6, s8
	v_mov_b32_e32 v7, s9
	v_cmp_ne_u32_e32 vcc, 0, v5
	v_cndmask_b32_e32 v5, v6, v7, vcc
	v_cndmask_b32_e32 v4, v3, v4, vcc
	v_cmp_le_u32_e32 vcc, s33, v2
	s_cmp_eq_u32 s2, 0
	v_cndmask_b32_e64 v3, 0, -1, vcc
	s_cselect_b64 vcc, -1, 0
	v_cndmask_b32_e32 v3, -1, v3, vcc
	v_mov_b32_e32 v6, s2
	v_cmp_ne_u32_e32 vcc, 0, v3
	v_cndmask_b32_e32 v3, v6, v5, vcc
	v_cndmask_b32_e32 v2, v2, v4, vcc
	s_cbranch_execnz .LBB79_246
.LBB79_245:                             ;   in Loop: Header=BB79_35 Depth=1
	v_cvt_f32_u32_e32 v2, s33
	s_sub_i32 s2, 0, s33
	v_rcp_iflag_f32_e32 v2, v2
	v_mul_f32_e32 v2, 0x4f7ffffe, v2
	v_cvt_u32_f32_e32 v2, v2
	v_mul_lo_u32 v3, s2, v2
	v_mul_hi_u32 v3, v2, v3
	v_add_u32_e32 v2, v2, v3
	v_mul_hi_u32 v2, s26, v2
	v_mul_lo_u32 v2, v2, s33
	v_sub_u32_e32 v2, s26, v2
	v_subrev_u32_e32 v3, s33, v2
	v_cmp_le_u32_e32 vcc, s33, v2
	v_cndmask_b32_e32 v2, v2, v3, vcc
	v_subrev_u32_e32 v3, s33, v2
	v_cmp_le_u32_e32 vcc, s33, v2
	v_cndmask_b32_e32 v10, v2, v3, vcc
	v_pk_mov_b32 v[2:3], v[10:11], v[10:11] op_sel:[0,1]
.LBB79_246:                             ;   in Loop: Header=BB79_35 Depth=1
	v_mov_b32_e32 v4, s3
	v_sub_co_u32_e32 v2, vcc, s26, v2
	v_subb_co_u32_e32 v3, vcc, v4, v3, vcc
	v_cmp_gt_u64_e32 vcc, v[2:3], v[0:1]
	s_mov_b64 s[26:27], 0
                                        ; implicit-def: $vgpr39
	s_and_saveexec_b64 s[2:3], vcc
	s_cbranch_execz .LBB79_258
; %bb.247:                              ;   in Loop: Header=BB79_35 Depth=1
	s_mov_b64 s[8:9], 0
	v_mov_b32_e32 v6, v0
	v_pk_mov_b32 v[4:5], v[0:1], v[0:1] op_sel:[0,1]
                                        ; implicit-def: $sgpr26_sgpr27
	s_branch .LBB79_249
.LBB79_248:                             ;   in Loop: Header=BB79_249 Depth=2
	s_or_b64 exec, exec, s[36:37]
	s_waitcnt lgkmcnt(0)
	s_barrier
	ds_read_u16 v7, v11 offset:3072
	v_mov_b32_e32 v8, s76
	v_add_co_u32_e32 v4, vcc, s33, v4
	v_addc_co_u32_e32 v5, vcc, v5, v8, vcc
	s_waitcnt lgkmcnt(0)
	v_cmp_ne_u16_sdwa s[36:37], v7, v1 src0_sel:BYTE_0 src1_sel:DWORD
	v_cmp_ge_u64_e32 vcc, v[4:5], v[2:3]
	s_or_b64 s[38:39], vcc, s[36:37]
	s_and_b64 s[38:39], exec, s[38:39]
	s_or_b64 s[8:9], s[38:39], s[8:9]
	s_andn2_b64 s[26:27], s[26:27], exec
	s_and_b64 s[36:37], s[36:37], exec
	v_add_u32_e32 v6, s33, v6
	s_or_b64 s[26:27], s[26:27], s[36:37]
	s_barrier
	s_andn2_b64 exec, exec, s[8:9]
	s_cbranch_execz .LBB79_257
.LBB79_249:                             ;   Parent Loop BB79_35 Depth=1
                                        ; =>  This Inner Loop Header: Depth=2
	v_cmp_gt_u64_e32 vcc, s[0:1], v[4:5]
	v_mov_b32_e32 v7, 0
	s_and_saveexec_b64 s[36:37], vcc
	s_cbranch_execz .LBB79_251
; %bb.250:                              ;   in Loop: Header=BB79_249 Depth=2
	ds_read_u8 v7, v6
.LBB79_251:                             ;   in Loop: Header=BB79_249 Depth=2
	s_or_b64 exec, exec, s[36:37]
	s_waitcnt lgkmcnt(0)
	v_and_b32_e32 v8, s82, v7
	v_cmp_eq_u32_sdwa s[36:37], v8, s83 src0_sel:BYTE_0 src1_sel:DWORD
	s_and_b64 s[38:39], vcc, s[36:37]
	s_and_saveexec_b64 s[36:37], s[38:39]
	s_cbranch_execz .LBB79_248
; %bb.252:                              ;   in Loop: Header=BB79_249 Depth=2
	v_lshlrev_b16_e32 v7, 8, v7
	v_or_b32_e32 v7, 1, v7
	ds_write_b16 v11, v7 offset:3072
	s_branch .LBB79_248
.LBB79_253:                             ;   in Loop: Header=BB79_35 Depth=1
                                        ; implicit-def: $sgpr0_sgpr1
                                        ; implicit-def: $sgpr8_sgpr9
                                        ; implicit-def: $sgpr2_sgpr3
	s_branch .LBB79_271
.LBB79_254:                             ;   in Loop: Header=BB79_35 Depth=1
                                        ; implicit-def: $vgpr2_vgpr3
	s_branch .LBB79_200
.LBB79_255:                             ;   in Loop: Header=BB79_35 Depth=1
                                        ; implicit-def: $vgpr2_vgpr3
	s_branch .LBB79_216
.LBB79_256:                             ;   in Loop: Header=BB79_35 Depth=1
	s_mov_b64 s[0:1], -1
	s_mov_b64 s[26:27], 0
                                        ; implicit-def: $sgpr2_sgpr3
                                        ; implicit-def: $vgpr39
	s_mov_b64 s[8:9], s[0:1]
	s_cbranch_execnz .LBB79_259
	s_branch .LBB79_271
.LBB79_257:                             ;   in Loop: Header=BB79_35 Depth=1
	s_or_b64 exec, exec, s[8:9]
	v_lshrrev_b16_e32 v39, 8, v7
	s_and_b64 s[26:27], s[26:27], exec
.LBB79_258:                             ;   in Loop: Header=BB79_35 Depth=1
	s_or_b64 exec, exec, s[2:3]
	s_mov_b64 s[2:3], -1
	s_mov_b64 s[0:1], 0
	s_mov_b64 s[8:9], s[0:1]
	s_branch .LBB79_271
.LBB79_259:                             ;   in Loop: Header=BB79_35 Depth=1
	s_mov_b32 s48, s75
	s_cmp_lg_u64 s[48:49], 0
	s_cbranch_scc0 .LBB79_292
; %bb.260:                              ;   in Loop: Header=BB79_35 Depth=1
	v_cvt_f32_u32_e32 v2, s33
	s_sub_u32 s0, 0, s33
	s_subb_u32 s1, 0, 0
	v_mac_f32_e32 v2, 0, v38
	v_rcp_f32_e32 v2, v2
	v_mul_f32_e32 v2, 0x5f7ffffc, v2
	v_mul_f32_e32 v3, 0x2f800000, v2
	v_trunc_f32_e32 v3, v3
	v_mac_f32_e32 v2, 0xcf800000, v3
	v_cvt_u32_f32_e32 v3, v3
	v_cvt_u32_f32_e32 v2, v2
	v_readfirstlane_b32 s2, v3
	v_readfirstlane_b32 s3, v2
	s_mul_i32 s8, s0, s2
	s_mul_hi_u32 s26, s0, s3
	s_mul_i32 s9, s1, s3
	s_add_i32 s8, s26, s8
	s_mul_i32 s27, s0, s3
	s_add_i32 s8, s8, s9
	s_mul_hi_u32 s26, s3, s27
	s_mul_hi_u32 s9, s3, s8
	s_mul_i32 s3, s3, s8
	s_add_u32 s3, s26, s3
	s_addc_u32 s9, 0, s9
	s_mul_hi_u32 s36, s2, s27
	s_mul_i32 s27, s2, s27
	s_add_u32 s3, s3, s27
	s_mul_hi_u32 s26, s2, s8
	s_addc_u32 s3, s9, s36
	s_addc_u32 s9, s26, 0
	s_mul_i32 s8, s2, s8
	s_add_u32 s3, s3, s8
	s_addc_u32 s8, 0, s9
	v_add_co_u32_e32 v2, vcc, s3, v2
	s_cmp_lg_u64 vcc, 0
	s_addc_u32 s2, s2, s8
	v_readfirstlane_b32 s8, v2
	s_mul_i32 s3, s0, s2
	s_mul_hi_u32 s9, s0, s8
	s_add_i32 s3, s9, s3
	s_mul_i32 s1, s1, s8
	s_add_i32 s3, s3, s1
	s_mul_i32 s0, s0, s8
	s_mul_hi_u32 s9, s2, s0
	s_mul_i32 s26, s2, s0
	s_mul_i32 s36, s8, s3
	s_mul_hi_u32 s0, s8, s0
	s_mul_hi_u32 s27, s8, s3
	s_add_u32 s0, s0, s36
	s_addc_u32 s8, 0, s27
	s_add_u32 s0, s0, s26
	s_mul_hi_u32 s1, s2, s3
	s_addc_u32 s0, s8, s9
	s_addc_u32 s1, s1, 0
	s_mul_i32 s3, s2, s3
	s_add_u32 s0, s0, s3
	s_addc_u32 s1, 0, s1
	v_add_co_u32_e32 v2, vcc, s0, v2
	s_cmp_lg_u64 vcc, 0
	s_addc_u32 s0, s2, s1
	v_readlane_b32 s26, v48, 21
	v_readfirstlane_b32 s3, v2
	s_mul_i32 s2, s26, s0
	s_mul_hi_u32 s8, s26, s3
	s_mul_hi_u32 s1, s26, s0
	s_add_u32 s2, s8, s2
	s_addc_u32 s1, 0, s1
	s_mul_hi_u32 s9, s49, s3
	s_mul_i32 s3, s49, s3
	s_add_u32 s2, s2, s3
	s_mul_hi_u32 s8, s49, s0
	s_addc_u32 s1, s1, s9
	s_addc_u32 s2, s8, 0
	s_mul_i32 s0, s49, s0
	s_add_u32 s0, s1, s0
	s_addc_u32 s1, 0, s2
	s_mul_hi_u32 s2, s33, s0
	s_mul_i32 s0, s33, s0
	s_mul_i32 s1, s33, s1
	v_mov_b32_e32 v2, s0
	s_add_i32 s2, s2, s1
	v_sub_co_u32_e32 v2, vcc, s26, v2
	s_cmp_lg_u64 vcc, 0
	s_subb_u32 s0, s49, s2
	v_subrev_co_u32_e32 v3, vcc, s33, v2
	s_cmp_lg_u64 vcc, 0
	s_subb_u32 s1, s0, 0
	v_subrev_co_u32_e32 v4, vcc, s33, v3
	s_cmp_lg_u64 vcc, 0
	s_subb_u32 s2, s1, 0
	v_cmp_le_u32_e32 vcc, s33, v3
	s_cmp_eq_u32 s1, 0
	v_cndmask_b32_e64 v5, 0, -1, vcc
	s_cselect_b64 vcc, -1, 0
	v_cndmask_b32_e32 v5, -1, v5, vcc
	v_mov_b32_e32 v6, s1
	v_mov_b32_e32 v7, s2
	v_cmp_ne_u32_e32 vcc, 0, v5
	v_cndmask_b32_e32 v5, v6, v7, vcc
	v_cndmask_b32_e32 v4, v3, v4, vcc
	v_cmp_le_u32_e32 vcc, s33, v2
	s_cmp_eq_u32 s0, 0
	v_cndmask_b32_e64 v3, 0, -1, vcc
	s_cselect_b64 vcc, -1, 0
	v_cndmask_b32_e32 v3, -1, v3, vcc
	v_mov_b32_e32 v6, s0
	v_cmp_ne_u32_e32 vcc, 0, v3
	v_cndmask_b32_e32 v3, v6, v5, vcc
	v_cndmask_b32_e32 v2, v2, v4, vcc
	s_cbranch_execnz .LBB79_262
.LBB79_261:                             ;   in Loop: Header=BB79_35 Depth=1
	v_cvt_f32_u32_e32 v2, s33
	s_sub_i32 s0, 0, s33
	v_rcp_iflag_f32_e32 v2, v2
	v_mul_f32_e32 v2, 0x4f7ffffe, v2
	v_cvt_u32_f32_e32 v2, v2
	v_mul_lo_u32 v3, s0, v2
	v_mul_hi_u32 v3, v2, v3
	v_add_u32_e32 v2, v2, v3
	v_readlane_b32 s0, v48, 21
	v_mul_hi_u32 v2, s0, v2
	v_mul_lo_u32 v2, v2, s33
	v_sub_u32_e32 v2, s0, v2
	v_subrev_u32_e32 v3, s33, v2
	v_cmp_le_u32_e32 vcc, s33, v2
	v_cndmask_b32_e32 v2, v2, v3, vcc
	v_subrev_u32_e32 v3, s33, v2
	v_cmp_le_u32_e32 vcc, s33, v2
	v_cndmask_b32_e32 v10, v2, v3, vcc
	v_pk_mov_b32 v[2:3], v[10:11], v[10:11] op_sel:[0,1]
.LBB79_262:                             ;   in Loop: Header=BB79_35 Depth=1
	v_readlane_b32 s0, v48, 21
	v_mov_b32_e32 v4, s49
	v_sub_co_u32_e32 v2, vcc, s0, v2
	v_subb_co_u32_e32 v3, vcc, v4, v3, vcc
	v_cmp_gt_u64_e32 vcc, v[2:3], v[0:1]
	s_mov_b64 s[26:27], 0
                                        ; implicit-def: $vgpr39
	s_and_saveexec_b64 s[0:1], vcc
	s_cbranch_execz .LBB79_270
; %bb.263:                              ;   in Loop: Header=BB79_35 Depth=1
	s_mov_b64 s[2:3], 0
	v_pk_mov_b32 v[4:5], v[12:13], v[12:13] op_sel:[0,1]
	v_pk_mov_b32 v[6:7], v[0:1], v[0:1] op_sel:[0,1]
                                        ; implicit-def: $sgpr8_sgpr9
	s_branch .LBB79_265
.LBB79_264:                             ;   in Loop: Header=BB79_265 Depth=2
	s_or_b64 exec, exec, s[26:27]
	s_waitcnt lgkmcnt(0)
	s_barrier
	ds_read_u16 v8, v11 offset:3072
	v_mov_b32_e32 v9, s76
	v_add_co_u32_e32 v6, vcc, s33, v6
	v_addc_co_u32_e32 v7, vcc, v7, v9, vcc
	s_waitcnt lgkmcnt(0)
	v_cmp_ne_u16_sdwa s[26:27], v8, v1 src0_sel:BYTE_0 src1_sel:DWORD
	v_cmp_ge_u64_e32 vcc, v[6:7], v[2:3]
	s_or_b64 s[36:37], vcc, s[26:27]
	s_and_b64 s[36:37], exec, s[36:37]
	s_or_b64 s[2:3], s[36:37], s[2:3]
	v_mov_b32_e32 v9, s77
	v_add_co_u32_e32 v4, vcc, s84, v4
	s_andn2_b64 s[8:9], s[8:9], exec
	s_and_b64 s[26:27], s[26:27], exec
	v_addc_co_u32_e32 v5, vcc, v5, v9, vcc
	s_or_b64 s[8:9], s[8:9], s[26:27]
	s_barrier
	s_andn2_b64 exec, exec, s[2:3]
	s_cbranch_execz .LBB79_269
.LBB79_265:                             ;   Parent Loop BB79_35 Depth=1
                                        ; =>  This Inner Loop Header: Depth=2
	v_cmp_gt_u64_e32 vcc, s[52:53], v[6:7]
	v_mov_b32_e32 v8, 0
	s_and_saveexec_b64 s[26:27], vcc
	s_cbranch_execz .LBB79_267
; %bb.266:                              ;   in Loop: Header=BB79_265 Depth=2
	global_load_ubyte v8, v[4:5], off
.LBB79_267:                             ;   in Loop: Header=BB79_265 Depth=2
	s_or_b64 exec, exec, s[26:27]
	s_waitcnt vmcnt(0)
	v_and_b32_e32 v9, s82, v8
	v_cmp_eq_u32_sdwa s[26:27], v9, s83 src0_sel:BYTE_0 src1_sel:DWORD
	s_and_b64 s[36:37], vcc, s[26:27]
	s_and_saveexec_b64 s[26:27], s[36:37]
	s_cbranch_execz .LBB79_264
; %bb.268:                              ;   in Loop: Header=BB79_265 Depth=2
	v_lshlrev_b16_e32 v8, 8, v8
	v_or_b32_e32 v8, 1, v8
	ds_write_b16 v11, v8 offset:3072
	s_branch .LBB79_264
.LBB79_269:                             ;   in Loop: Header=BB79_35 Depth=1
	s_or_b64 exec, exec, s[2:3]
	v_lshrrev_b16_e32 v39, 8, v8
	s_and_b64 s[26:27], s[8:9], exec
.LBB79_270:                             ;   in Loop: Header=BB79_35 Depth=1
	s_or_b64 exec, exec, s[0:1]
	s_mov_b64 s[8:9], -1
	s_mov_b64 s[0:1], 0
	s_mov_b64 s[2:3], 0
.LBB79_271:                             ;   in Loop: Header=BB79_35 Depth=1
	s_mov_b64 s[38:39], 0
                                        ; implicit-def: $sgpr43
                                        ; implicit-def: $sgpr40_sgpr41
	s_and_saveexec_b64 s[36:37], s[26:27]
	s_cbranch_execz .LBB79_284
; %bb.272:                              ;   in Loop: Header=BB79_35 Depth=1
	s_xor_b64 s[14:15], s[14:15], -1
	s_mov_b64 s[40:41], 1
	s_andn2_b64 vcc, exec, s[14:15]
	s_mov_b32 s43, 1
	s_cbranch_vccnz .LBB79_283
; %bb.273:                              ;   in Loop: Header=BB79_35 Depth=1
	v_pk_mov_b32 v[2:3], s[6:7], s[6:7] op_sel:[0,1]
	v_cmp_gt_u64_e32 vcc, s[46:47], v[2:3]
	s_cbranch_vccnz .LBB79_279
; %bb.274:                              ;   in Loop: Header=BB79_35 Depth=1
	ds_read_b64 v[2:3], v11 offset:5120
	s_waitcnt lgkmcnt(0)
	v_cmp_ne_u64_e32 vcc, 0, v[2:3]
	s_cbranch_vccnz .LBB79_278
; %bb.275:                              ;   in Loop: Header=BB79_35 Depth=1
	s_mov_b64 s[14:15], exec
	v_readlane_b32 s26, v48, 6
	v_readlane_b32 s27, v48, 7
	s_and_b64 s[26:27], s[14:15], s[26:27]
	s_mov_b64 exec, s[26:27]
	s_cbranch_execz .LBB79_277
; %bb.276:                              ;   in Loop: Header=BB79_35 Depth=1
	v_pk_mov_b32 v[2:3], s[6:7], s[6:7] op_sel:[0,1]
	ds_write_b64 v11, v[2:3] offset:5128
.LBB79_277:                             ;   in Loop: Header=BB79_35 Depth=1
	s_or_b64 exec, exec, s[14:15]
	s_waitcnt lgkmcnt(0)
	s_barrier
.LBB79_278:                             ;   in Loop: Header=BB79_35 Depth=1
	s_or_b32 s26, s83, s42
	s_or_b32 s27, s82, s42
	s_mov_b64 s[14:15], 0
	s_mov_b32 s43, 8
	s_branch .LBB79_280
.LBB79_279:                             ;   in Loop: Header=BB79_35 Depth=1
	s_mov_b64 s[14:15], -1
                                        ; implicit-def: $sgpr43
                                        ; implicit-def: $sgpr26
                                        ; implicit-def: $sgpr27
.LBB79_280:                             ;   in Loop: Header=BB79_35 Depth=1
	s_andn2_b64 vcc, exec, s[14:15]
	s_cbranch_vccnz .LBB79_282
; %bb.281:                              ;   in Loop: Header=BB79_35 Depth=1
	s_sub_u32 s46, s46, s6
	s_subb_u32 s47, s47, s7
	s_mov_b32 s43, 8
	s_mov_b32 s26, s83
	;; [unrolled: 1-line block ×3, first 2 shown]
.LBB79_282:                             ;   in Loop: Header=BB79_35 Depth=1
	s_mov_b64 s[40:41], s[46:47]
	s_mov_b32 s83, s26
	s_mov_b32 s82, s27
.LBB79_283:                             ;   in Loop: Header=BB79_35 Depth=1
	s_mov_b64 s[38:39], exec
.LBB79_284:                             ;   in Loop: Header=BB79_35 Depth=1
	s_or_b64 exec, exec, s[36:37]
	s_mov_b64 s[46:47], s[40:41]
.LBB79_285:                             ;   in Loop: Header=BB79_35 Depth=1
	s_andn2_b64 s[6:7], s[24:25], exec
	s_and_b64 s[0:1], s[0:1], exec
	s_or_b64 s[24:25], s[6:7], s[0:1]
	s_andn2_b64 s[0:1], s[30:31], exec
	s_and_b64 s[6:7], s[8:9], exec
	s_or_b64 s[30:31], s[0:1], s[6:7]
	;; [unrolled: 3-line block ×3, first 2 shown]
	s_and_b64 s[0:1], s[38:39], exec
.LBB79_286:                             ;   in Loop: Header=BB79_35 Depth=1
	s_or_b64 exec, exec, s[34:35]
.LBB79_287:                             ;   in Loop: Header=BB79_35 Depth=1
	s_andn2_b64 s[2:3], s[18:19], exec
	s_and_b64 s[6:7], s[24:25], exec
	s_or_b64 s[18:19], s[2:3], s[6:7]
	s_andn2_b64 s[2:3], s[20:21], exec
	s_and_b64 s[6:7], s[30:31], exec
	s_or_b64 s[20:21], s[2:3], s[6:7]
	;; [unrolled: 3-line block ×3, first 2 shown]
	s_and_b64 s[0:1], s[0:1], exec
.LBB79_288:                             ;   in Loop: Header=BB79_35 Depth=1
	s_or_b64 exec, exec, s[22:23]
	s_and_saveexec_b64 s[2:3], s[0:1]
	s_xor_b64 s[0:1], exec, s[2:3]
	s_cbranch_execz .LBB79_33
.LBB79_289:                             ;   in Loop: Header=BB79_35 Depth=1
	s_and_b32 s2, s43, -9
	s_cmp_eq_u32 s2, 0
	s_cbranch_scc1 .LBB79_31
; %bb.290:                              ;   in Loop: Header=BB79_35 Depth=1
	s_mov_b64 s[2:3], -1
                                        ; implicit-def: $sgpr82
                                        ; implicit-def: $sgpr46_sgpr47
                                        ; implicit-def: $sgpr80
                                        ; implicit-def: $sgpr65
	s_mov_b64 s[6:7], -1
	s_branch .LBB79_32
.LBB79_291:                             ;   in Loop: Header=BB79_35 Depth=1
                                        ; implicit-def: $vgpr2_vgpr3
	s_branch .LBB79_245
.LBB79_292:                             ;   in Loop: Header=BB79_35 Depth=1
                                        ; implicit-def: $vgpr2_vgpr3
	s_branch .LBB79_261
.LBB79_293:
	s_or_b64 exec, exec, s[94:95]
	s_xor_b64 s[6:7], s[62:63], -1
	s_xor_b64 s[0:1], s[66:67], -1
	;; [unrolled: 1-line block ×3, first 2 shown]
	s_mov_b64 s[2:3], 0
	s_and_saveexec_b64 s[8:9], s[0:1]
	s_xor_b64 s[0:1], exec, s[8:9]
	s_cbranch_execnz .LBB79_298
; %bb.294:
	s_andn2_saveexec_b64 s[0:1], s[0:1]
	s_cbranch_execnz .LBB79_311
.LBB79_295:
	s_or_b64 exec, exec, s[0:1]
	s_and_saveexec_b64 s[0:1], s[2:3]
.LBB79_296:
	; divergent unreachable
.LBB79_297:
	s_endpgm
.LBB79_298:
	s_and_saveexec_b64 s[2:3], s[6:7]
	s_xor_b64 s[2:3], exec, s[2:3]
	s_cbranch_execz .LBB79_309
; %bb.299:
	s_and_saveexec_b64 s[6:7], s[4:5]
	s_xor_b64 s[4:5], exec, s[6:7]
; %bb.300:
	v_mov_b32_e32 v39, v2
; %bb.301:
	s_or_b64 exec, exec, s[4:5]
	v_readlane_b32 s8, v48, 0
	v_readlane_b32 s6, v48, 2
	v_readlane_b32 s9, v48, 1
	v_readlane_b32 s7, v48, 3
	s_mul_i32 s4, s6, s9
	s_mul_hi_u32 s5, s6, s8
	s_add_i32 s4, s5, s4
	s_mul_i32 s5, s7, s8
	s_add_i32 s4, s4, s5
	s_mul_i32 s5, s6, s8
	v_readlane_b32 s6, v48, 8
	v_readlane_b32 s7, v48, 9
	s_add_u32 s5, s6, s5
	s_addc_u32 s6, s7, s4
	s_add_u32 s4, s5, s54
	s_addc_u32 s5, s6, s55
	v_mov_b32_e32 v2, 0
	global_store_byte v2, v39, s[4:5]
	s_mov_b64 s[4:5], exec
	v_readlane_b32 s6, v48, 12
	v_readlane_b32 s7, v48, 13
	s_and_b64 s[6:7], s[4:5], s[6:7]
	s_mov_b64 exec, s[6:7]
	s_cbranch_execz .LBB79_308
; %bb.302:
	s_mov_b64 s[6:7], 0
                                        ; implicit-def: $sgpr8_sgpr9
                                        ; implicit-def: $sgpr12_sgpr13
                                        ; implicit-def: $sgpr10_sgpr11
	s_branch .LBB79_304
.LBB79_303:                             ;   in Loop: Header=BB79_304 Depth=1
	s_or_b64 exec, exec, s[14:15]
	s_and_b64 s[14:15], exec, s[12:13]
	s_or_b64 s[6:7], s[14:15], s[6:7]
	s_andn2_b64 s[8:9], s[8:9], exec
	s_and_b64 s[14:15], s[10:11], exec
	s_or_b64 s[8:9], s[8:9], s[14:15]
	s_andn2_b64 exec, exec, s[6:7]
	s_cbranch_execz .LBB79_306
.LBB79_304:                             ; =>This Inner Loop Header: Depth=1
	global_load_ubyte v4, v[12:13], off
	v_pk_mov_b32 v[2:3], v[0:1], v[0:1] op_sel:[0,1]
	s_or_b64 s[10:11], s[10:11], exec
	s_or_b64 s[12:13], s[12:13], exec
                                        ; implicit-def: $vgpr0_vgpr1
	s_waitcnt vmcnt(0)
	v_cmp_ne_u16_sdwa s[16:17], v4, v39 src0_sel:DWORD src1_sel:BYTE_0
	s_and_saveexec_b64 s[14:15], s[16:17]
	s_cbranch_execz .LBB79_303
; %bb.305:                              ;   in Loop: Header=BB79_304 Depth=1
	v_mov_b32_e32 v1, s76
	v_add_co_u32_e32 v0, vcc, s33, v2
	v_addc_co_u32_e32 v1, vcc, v3, v1, vcc
	v_mov_b32_e32 v4, s77
	v_add_co_u32_e32 v12, vcc, s84, v12
	v_addc_co_u32_e32 v13, vcc, v13, v4, vcc
	v_cmp_le_u64_e32 vcc, s[52:53], v[0:1]
	s_andn2_b64 s[12:13], s[12:13], exec
	s_and_b64 s[16:17], vcc, exec
	s_andn2_b64 s[10:11], s[10:11], exec
	s_or_b64 s[12:13], s[12:13], s[16:17]
	s_branch .LBB79_303
.LBB79_306:
	s_or_b64 exec, exec, s[6:7]
	s_and_saveexec_b64 s[6:7], s[8:9]
	s_xor_b64 s[6:7], exec, s[6:7]
	s_cbranch_execz .LBB79_308
; %bb.307:
	v_readlane_b32 s8, v48, 4
	v_readlane_b32 s9, v48, 5
	s_mul_i32 s6, s8, s61
	s_mul_hi_u32 s7, s8, s60
	s_add_i32 s6, s7, s6
	s_mul_i32 s7, s9, s60
	s_add_i32 s7, s6, s7
	s_mul_i32 s6, s8, s60
	s_lshl_b64 s[6:7], s[6:7], 3
	v_readlane_b32 s8, v48, 10
	v_readlane_b32 s9, v48, 11
	s_add_u32 s8, s8, s6
	s_addc_u32 s9, s9, s7
	s_lshl_b64 s[6:7], s[58:59], 3
	s_add_u32 s6, s8, s6
	s_addc_u32 s7, s9, s7
	v_mov_b32_e32 v0, 0
	global_store_dwordx2 v0, v[2:3], s[6:7]
.LBB79_308:
	s_or_b64 exec, exec, s[4:5]
.LBB79_309:
	s_or_saveexec_b64 s[2:3], s[2:3]
	s_mov_b64 s[4:5], 0
	s_xor_b64 exec, exec, s[2:3]
	s_cbranch_execnz .LBB79_312
.LBB79_310:
	s_or_b64 exec, exec, s[2:3]
	s_and_b64 s[2:3], s[4:5], exec
	s_andn2_saveexec_b64 s[0:1], s[0:1]
	s_cbranch_execz .LBB79_295
.LBB79_311:
	s_or_b64 s[2:3], s[2:3], exec
	s_trap 2
	s_or_b64 exec, exec, s[0:1]
	s_and_saveexec_b64 s[0:1], s[2:3]
	s_cbranch_execnz .LBB79_296
	s_branch .LBB79_297
.LBB79_312:
	s_mov_b64 s[4:5], exec
	s_trap 2
	s_branch .LBB79_310
	.section	.rodata,"a",@progbits
	.p2align	6, 0x0
	.amdhsa_kernel _ZN2at6native12_GLOBAL__N_112gatherMedianIhmLin1EEEvNS_4cuda6detail10TensorInfoIT_T0_EENS5_IlS7_EENS5_IKS6_S7_EES7_S7_S7_b
		.amdhsa_group_segment_fixed_size 5152
		.amdhsa_private_segment_fixed_size 0
		.amdhsa_kernarg_size 1536
		.amdhsa_user_sgpr_count 6
		.amdhsa_user_sgpr_private_segment_buffer 1
		.amdhsa_user_sgpr_dispatch_ptr 0
		.amdhsa_user_sgpr_queue_ptr 0
		.amdhsa_user_sgpr_kernarg_segment_ptr 1
		.amdhsa_user_sgpr_dispatch_id 0
		.amdhsa_user_sgpr_flat_scratch_init 0
		.amdhsa_user_sgpr_kernarg_preload_length 0
		.amdhsa_user_sgpr_kernarg_preload_offset 0
		.amdhsa_user_sgpr_private_segment_size 0
		.amdhsa_uses_dynamic_stack 0
		.amdhsa_system_sgpr_private_segment_wavefront_offset 0
		.amdhsa_system_sgpr_workgroup_id_x 1
		.amdhsa_system_sgpr_workgroup_id_y 1
		.amdhsa_system_sgpr_workgroup_id_z 1
		.amdhsa_system_sgpr_workgroup_info 0
		.amdhsa_system_vgpr_workitem_id 0
		.amdhsa_next_free_vgpr 49
		.amdhsa_next_free_sgpr 96
		.amdhsa_accum_offset 52
		.amdhsa_reserve_vcc 1
		.amdhsa_reserve_flat_scratch 0
		.amdhsa_float_round_mode_32 0
		.amdhsa_float_round_mode_16_64 0
		.amdhsa_float_denorm_mode_32 3
		.amdhsa_float_denorm_mode_16_64 3
		.amdhsa_dx10_clamp 1
		.amdhsa_ieee_mode 1
		.amdhsa_fp16_overflow 0
		.amdhsa_tg_split 0
		.amdhsa_exception_fp_ieee_invalid_op 0
		.amdhsa_exception_fp_denorm_src 0
		.amdhsa_exception_fp_ieee_div_zero 0
		.amdhsa_exception_fp_ieee_overflow 0
		.amdhsa_exception_fp_ieee_underflow 0
		.amdhsa_exception_fp_ieee_inexact 0
		.amdhsa_exception_int_div_zero 0
	.end_amdhsa_kernel
	.section	.text._ZN2at6native12_GLOBAL__N_112gatherMedianIhmLin1EEEvNS_4cuda6detail10TensorInfoIT_T0_EENS5_IlS7_EENS5_IKS6_S7_EES7_S7_S7_b,"axG",@progbits,_ZN2at6native12_GLOBAL__N_112gatherMedianIhmLin1EEEvNS_4cuda6detail10TensorInfoIT_T0_EENS5_IlS7_EENS5_IKS6_S7_EES7_S7_S7_b,comdat
.Lfunc_end79:
	.size	_ZN2at6native12_GLOBAL__N_112gatherMedianIhmLin1EEEvNS_4cuda6detail10TensorInfoIT_T0_EENS5_IlS7_EENS5_IKS6_S7_EES7_S7_S7_b, .Lfunc_end79-_ZN2at6native12_GLOBAL__N_112gatherMedianIhmLin1EEEvNS_4cuda6detail10TensorInfoIT_T0_EENS5_IlS7_EENS5_IKS6_S7_EES7_S7_S7_b
                                        ; -- End function
	.section	.AMDGPU.csdata,"",@progbits
; Kernel info:
; codeLenInByte = 17572
; NumSgprs: 100
; NumVgprs: 49
; NumAgprs: 0
; TotalNumVgprs: 49
; ScratchSize: 0
; MemoryBound: 0
; FloatMode: 240
; IeeeMode: 1
; LDSByteSize: 5152 bytes/workgroup (compile time only)
; SGPRBlocks: 12
; VGPRBlocks: 6
; NumSGPRsForWavesPerEU: 100
; NumVGPRsForWavesPerEU: 49
; AccumOffset: 52
; Occupancy: 8
; WaveLimiterHint : 1
; COMPUTE_PGM_RSRC2:SCRATCH_EN: 0
; COMPUTE_PGM_RSRC2:USER_SGPR: 6
; COMPUTE_PGM_RSRC2:TRAP_HANDLER: 0
; COMPUTE_PGM_RSRC2:TGID_X_EN: 1
; COMPUTE_PGM_RSRC2:TGID_Y_EN: 1
; COMPUTE_PGM_RSRC2:TGID_Z_EN: 1
; COMPUTE_PGM_RSRC2:TIDIG_COMP_CNT: 0
; COMPUTE_PGM_RSRC3_GFX90A:ACCUM_OFFSET: 12
; COMPUTE_PGM_RSRC3_GFX90A:TG_SPLIT: 0
	.section	.text._ZN2at6native12_GLOBAL__N_112gatherMedianIajLi1EEEvNS_4cuda6detail10TensorInfoIT_T0_EENS5_IlS7_EENS5_IKS6_S7_EES7_S7_S7_b,"axG",@progbits,_ZN2at6native12_GLOBAL__N_112gatherMedianIajLi1EEEvNS_4cuda6detail10TensorInfoIT_T0_EENS5_IlS7_EENS5_IKS6_S7_EES7_S7_S7_b,comdat
	.globl	_ZN2at6native12_GLOBAL__N_112gatherMedianIajLi1EEEvNS_4cuda6detail10TensorInfoIT_T0_EENS5_IlS7_EENS5_IKS6_S7_EES7_S7_S7_b ; -- Begin function _ZN2at6native12_GLOBAL__N_112gatherMedianIajLi1EEEvNS_4cuda6detail10TensorInfoIT_T0_EENS5_IlS7_EENS5_IKS6_S7_EES7_S7_S7_b
	.p2align	8
	.type	_ZN2at6native12_GLOBAL__N_112gatherMedianIajLi1EEEvNS_4cuda6detail10TensorInfoIT_T0_EENS5_IlS7_EENS5_IKS6_S7_EES7_S7_S7_b,@function
_ZN2at6native12_GLOBAL__N_112gatherMedianIajLi1EEEvNS_4cuda6detail10TensorInfoIT_T0_EENS5_IlS7_EENS5_IKS6_S7_EES7_S7_S7_b: ; @_ZN2at6native12_GLOBAL__N_112gatherMedianIajLi1EEEvNS_4cuda6detail10TensorInfoIT_T0_EENS5_IlS7_EENS5_IKS6_S7_EES7_S7_S7_b
; %bb.0:
	s_load_dwordx2 s[12:13], s[4:5], 0x298
	s_load_dwordx4 s[56:59], s[4:5], 0x288
	s_add_u32 s10, s4, 0x298
	s_addc_u32 s11, s5, 0
	s_waitcnt lgkmcnt(0)
	s_mul_i32 s0, s13, s8
	s_add_i32 s0, s0, s7
	s_mul_i32 s0, s0, s12
	s_add_i32 s7, s0, s6
	s_cmp_ge_u32 s7, s57
	s_cbranch_scc1 .LBB80_250
; %bb.1:
	v_cmp_eq_u32_e64 s[0:1], 0, v0
	s_mov_b64 s[2:3], exec
                                        ; implicit-def: $vgpr42 : SGPR spill to VGPR lane
	v_writelane_b32 v42, s0, 0
	v_writelane_b32 v42, s1, 1
	s_and_b64 s[0:1], s[2:3], s[0:1]
	s_mov_b64 exec, s[0:1]
	s_cbranch_execz .LBB80_3
; %bb.2:
	v_mov_b32_e32 v2, 0
	v_mov_b32_e32 v3, v2
	ds_write_b64 v2, v[2:3] offset:4096
.LBB80_3:
	s_or_b64 exec, exec, s[2:3]
	v_mov_b32_e32 v1, 0
	s_waitcnt lgkmcnt(0)
	s_barrier
	s_barrier
	ds_read_b64 v[2:3], v1 offset:4096
	s_load_dwordx2 s[2:3], s[4:5], 0x1b0
	s_bitcmp1_b32 s59, 0
	s_cselect_b64 s[0:1], -1, 0
	s_mov_b32 s71, s56
	s_waitcnt lgkmcnt(0)
	v_cmp_gt_i64_e32 vcc, 1, v[2:3]
	s_or_b64 s[0:1], s[0:1], vcc
	s_andn2_b64 vcc, exec, s[0:1]
	s_cbranch_vccnz .LBB80_5
; %bb.4:
	v_not_b32_e32 v1, v2
	v_not_b32_e32 v2, v3
	v_add_co_u32_e32 v1, vcc, s56, v1
	v_addc_co_u32_e32 v2, vcc, 0, v2, vcc
	v_lshrrev_b32_e32 v3, 31, v2
	v_add_co_u32_e32 v1, vcc, v1, v3
	v_addc_co_u32_e32 v2, vcc, 0, v2, vcc
	v_alignbit_b32 v1, v2, v1, 1
	v_readfirstlane_b32 s0, v1
	s_add_i32 s71, s0, 1
.LBB80_5:
	s_load_dword s0, s[4:5], 0x21c
	s_load_dwordx2 s[8:9], s[4:5], 0xd8
	s_waitcnt lgkmcnt(0)
	v_writelane_b32 v42, s8, 2
	v_writelane_b32 v42, s9, 3
	s_load_dwordx2 s[8:9], s[4:5], 0x0
	s_waitcnt lgkmcnt(0)
	v_writelane_b32 v42, s8, 4
	v_writelane_b32 v42, s9, 5
	s_mov_b64 s[8:9], exec
	v_readlane_b32 s14, v42, 0
	v_readlane_b32 s15, v42, 1
	s_and_b64 s[14:15], s[8:9], s[14:15]
	s_mov_b64 exec, s[14:15]
	s_cbranch_execz .LBB80_7
; %bb.6:
	v_mov_b32_e32 v2, 0
	v_mov_b32_e32 v3, s56
	ds_write_b32 v2, v2 offset:4112
	ds_write_b64 v2, v[2:3] offset:4104
.LBB80_7:
	s_or_b64 exec, exec, s[8:9]
	s_load_dword s1, s[4:5], 0x144
	s_waitcnt lgkmcnt(0)
	s_barrier
	s_mul_i32 s0, s0, s7
	v_writelane_b32 v42, s1, 6
	s_load_dword s1, s[4:5], 0x6c
	s_add_u32 s62, s2, s0
	s_addc_u32 s63, s3, 0
	v_cmp_gt_u32_e64 s[2:3], s56, v0
	v_mbcnt_lo_u32_b32 v1, -1, 0
	s_waitcnt lgkmcnt(0)
	v_writelane_b32 v42, s1, 7
	s_load_dword s1, s[10:11], 0xc
	v_writelane_b32 v42, s7, 8
	v_writelane_b32 v42, s2, 9
	v_mbcnt_hi_u32_b32 v12, -1, v1
                                        ; kill: killed $sgpr4 killed $sgpr5
	v_writelane_b32 v42, s3, 10
	s_waitcnt lgkmcnt(0)
	s_and_b32 s59, s1, 0xffff
	v_cmp_gt_u32_e32 vcc, 64, v0
	v_cmp_gt_i32_e64 s[4:5], 4, v12
	s_add_i32 s0, s59, -1
	s_lshl_b32 s57, s59, 2
	s_bfe_u32 s3, s1, 0xa0006
	s_and_b64 s[68:69], vcc, s[4:5]
	v_writelane_b32 v42, s0, 11
	s_add_i32 s0, s0, s56
	s_cmpk_gt_u32 s56, 0xc00
	s_cselect_b64 s[4:5], -1, 0
	s_cmp_gt_u32 s59, 63
	s_cselect_b64 s[72:73], -1, 0
	s_cmp_lt_u32 s6, s12
	v_writelane_b32 v42, s4, 12
	s_cselect_b32 s1, 12, 18
	v_writelane_b32 v42, s5, 13
	s_add_u32 s4, s10, s1
	s_addc_u32 s5, s11, 0
	s_add_i32 s1, s3, -2
	s_lshr_b32 s2, s1, 1
	s_add_i32 s2, s2, 1
	v_lshlrev_b64 v[2:3], v12, -1
	v_writelane_b32 v42, s4, 14
	s_cmpk_gt_u32 s59, 0x7f
	v_not_b32_e32 v8, v2
	v_cvt_f32_u32_e32 v2, s57
	v_writelane_b32 v42, s5, 15
	s_cselect_b64 s[4:5], -1, 0
	s_and_b32 s8, s3, 0x3fe
	s_and_b32 s9, s2, 7
	v_writelane_b32 v42, s4, 16
	s_cmp_gt_u32 s1, 13
	v_writelane_b32 v42, s5, 17
	s_cselect_b64 s[10:11], -1, 0
	v_writelane_b32 v42, s10, 18
	v_rcp_iflag_f32_e32 v2, v2
	v_writelane_b32 v42, s11, 19
	s_and_b32 s1, s2, -8
	v_writelane_b32 v42, s1, 20
	s_cmp_lg_u32 s9, 0
	v_writelane_b32 v42, s9, 21
	s_cselect_b64 s[10:11], -1, 0
	v_writelane_b32 v42, s10, 22
	v_mul_f32_e32 v2, 0x4f7ffffe, v2
	v_writelane_b32 v42, s11, 23
	v_cvt_u32_f32_e32 v2, v2
	v_writelane_b32 v42, s3, 24
	s_cmp_lg_u32 s8, s3
	v_writelane_b32 v42, s8, 25
	s_cselect_b64 s[2:3], -1, 0
	v_writelane_b32 v42, s2, 26
	v_writelane_b32 v42, s3, 27
	v_readfirstlane_b32 s2, v2
	v_cvt_f32_u32_e32 v2, s59
	s_sub_i32 s1, 0, s57
	s_mul_i32 s1, s1, s2
	s_mul_hi_u32 s1, s2, s1
	s_add_i32 s82, s2, s1
	v_rcp_iflag_f32_e32 v2, v2
	s_mul_hi_u32 s1, s56, s82
	s_mul_i32 s1, s1, s57
	s_sub_i32 s1, s56, s1
	s_sub_i32 s2, s1, s57
	v_mul_f32_e32 v2, 0x4f7ffffe, v2
	s_cmp_ge_u32 s1, s57
	v_cvt_u32_f32_e32 v2, v2
	s_cselect_b32 s1, s2, s1
	s_sub_i32 s2, s1, s57
	s_cmp_ge_u32 s1, s57
	s_cselect_b32 s1, s2, s1
	s_sub_i32 s2, 0, s59
	v_readfirstlane_b32 s3, v2
	s_mul_i32 s2, s2, s3
	s_mul_hi_u32 s2, s3, s2
	s_add_i32 s2, s3, s2
	v_writelane_b32 v42, s2, 28
	s_mul_hi_u32 s2, s0, s2
	s_mul_i32 s2, s2, s59
	s_sub_i32 s2, s0, s2
	s_sub_i32 s83, s56, s1
	;; [unrolled: 1-line block ×3, first 2 shown]
	s_cmp_ge_u32 s2, s59
	s_cselect_b32 s2, s3, s2
	v_lshlrev_b32_e32 v13, 2, v0
	s_sub_i32 s3, s2, s59
	v_mul_lo_u32 v9, v0, s58
	s_cmp_ge_u32 s2, s59
	v_mul_lo_u32 v2, s58, v13
	v_mov_b32_e32 v1, s63
	v_add_co_u32_e32 v6, vcc, s62, v9
	s_cselect_b32 s2, s3, s2
	v_add_u32_e32 v17, s58, v2
	v_or_b32_e32 v2, 2, v13
	v_addc_co_u32_e32 v7, vcc, 0, v1, vcc
	v_lshrrev_b32_e32 v1, 4, v0
	v_add_u32_e32 v16, s83, v0
	s_sub_i32 s74, s0, s2
	v_mul_lo_u32 v18, s58, v2
	v_or_b32_e32 v2, 3, v13
	s_add_i32 s0, s59, s56
	v_and_b32_e32 v14, 60, v1
	v_not_b32_e32 v1, v3
	v_mul_lo_u32 v3, v16, s58
	v_mul_lo_u32 v19, s58, v2
	v_add_u32_e32 v2, s0, v0
	v_lshlrev_b32_e32 v4, 2, v12
	v_mov_b32_e32 v5, s63
	v_add_co_u32_e32 v10, vcc, s62, v3
	v_cmp_gt_u32_e64 s[2:3], s74, v0
	s_mul_i32 s81, s58, s59
	v_subrev_u32_e32 v2, s1, v2
	s_mov_b32 s66, 0
	v_cmp_eq_u32_e64 s[4:5], 0, v12
	v_cmp_gt_u32_e64 s[6:7], 2, v0
	v_and_b32_e32 v15, 0x100, v4
	v_cmp_gt_u32_e64 s[8:9], s83, v13
	v_cmp_gt_u32_e64 s[10:11], s56, v16
	v_addc_co_u32_e32 v11, vcc, 0, v5, vcc
	v_writelane_b32 v42, s2, 29
	s_lshl_b32 s75, s81, 2
	v_lshlrev_b32_e32 v20, 2, v9
	v_mul_lo_u32 v21, s58, v2
	v_or_b32_e32 v22, 0xc00, v4
	s_mov_b32 s77, 6
	s_mov_b64 s[84:85], 0
	v_mov_b32_e32 v23, 0
	s_movk_i32 s76, 0x80
	v_mov_b32_e32 v24, 0xc00
	v_mov_b32_e32 v25, 0
	s_mov_b32 s12, 0
	s_mov_b32 s70, 0
	;; [unrolled: 1-line block ×3, first 2 shown]
	v_writelane_b32 v42, s3, 30
                                        ; implicit-def: $sgpr86_sgpr87
                                        ; implicit-def: $sgpr90_sgpr91
                                        ; implicit-def: $sgpr88_sgpr89
                                        ; implicit-def: $sgpr92_sgpr93
                                        ; implicit-def: $sgpr94_sgpr95
                                        ; implicit-def: $sgpr60_sgpr61
	s_branch .LBB80_12
.LBB80_8:                               ;   in Loop: Header=BB80_12 Depth=1
	s_xor_b32 s12, s12, 1
	s_add_i32 s0, s77, -2
	s_cmp_eq_u32 s77, 0
	s_mov_b64 s[16:17], 0
	s_cselect_b64 s[26:27], -1, 0
	s_mov_b32 s77, s0
.LBB80_9:                               ;   in Loop: Header=BB80_12 Depth=1
	s_andn2_b64 s[0:1], s[20:21], exec
	s_and_b64 s[2:3], s[16:17], exec
	s_or_b64 s[20:21], s[0:1], s[2:3]
	s_andn2_b64 s[22:23], s[22:23], exec
	s_andn2_b64 s[18:19], s[18:19], exec
	s_orn2_b64 s[16:17], s[26:27], exec
	s_mov_b32 s71, s35
.LBB80_10:                              ;   in Loop: Header=BB80_12 Depth=1
	s_or_b64 exec, exec, s[24:25]
	s_andn2_b64 s[0:1], s[60:61], exec
	s_and_b64 s[2:3], s[20:21], exec
	s_or_b64 s[60:61], s[0:1], s[2:3]
	s_andn2_b64 s[0:1], s[94:95], exec
	s_and_b64 s[2:3], s[22:23], exec
	s_or_b64 s[94:95], s[0:1], s[2:3]
	;; [unrolled: 3-line block ×3, first 2 shown]
	s_orn2_b64 s[16:17], s[16:17], exec
.LBB80_11:                              ;   in Loop: Header=BB80_12 Depth=1
	s_or_b64 exec, exec, s[14:15]
	s_and_b64 s[0:1], exec, s[16:17]
	s_or_b64 s[84:85], s[0:1], s[84:85]
	s_andn2_b64 s[0:1], s[88:89], exec
	s_and_b64 s[2:3], s[60:61], exec
	s_or_b64 s[88:89], s[0:1], s[2:3]
	s_andn2_b64 s[0:1], s[90:91], exec
	s_and_b64 s[2:3], s[94:95], exec
	;; [unrolled: 3-line block ×3, first 2 shown]
	v_mov_b32_e32 v2, s70
	s_or_b64 s[86:87], s[0:1], s[2:3]
	s_andn2_b64 exec, exec, s[84:85]
	s_cbranch_execz .LBB80_246
.LBB80_12:                              ; =>This Loop Header: Depth=1
                                        ;     Child Loop BB80_17 Depth 2
                                        ;     Child Loop BB80_35 Depth 2
	;; [unrolled: 1-line block ×17, first 2 shown]
	ds_read_b64 v[2:3], v23 offset:4104
	s_waitcnt lgkmcnt(0)
	v_readfirstlane_b32 s67, v2
	s_cmp_lg_u32 s67, 0
	s_cbranch_scc1 .LBB80_42
; %bb.13:                               ;   in Loop: Header=BB80_12 Depth=1
	v_readlane_b32 s0, v42, 12
	v_readlane_b32 s1, v42, 13
	s_and_b64 vcc, exec, s[0:1]
	s_cbranch_vccz .LBB80_25
; %bb.14:                               ;   in Loop: Header=BB80_12 Depth=1
	s_movk_i32 s0, 0xc01
	v_cmp_gt_u32_e32 vcc, s0, v3
	s_mov_b64 s[18:19], 0
	s_mov_b64 s[14:15], 0
	s_cbranch_vccz .LBB80_26
; %bb.15:                               ;   in Loop: Header=BB80_12 Depth=1
	v_readlane_b32 s0, v42, 14
	v_readlane_b32 s1, v42, 15
	s_nop 4
	global_load_ushort v2, v23, s[0:1]
	global_load_ubyte v4, v[6:7], off
	s_mov_b64 s[20:21], 0
	v_mov_b32_e32 v26, v0
	s_waitcnt vmcnt(1)
	v_add_u32_e32 v5, v0, v2
	v_mul_lo_u32 v3, s58, v2
	v_mul_lo_u32 v5, s58, v5
	s_branch .LBB80_17
.LBB80_16:                              ;   in Loop: Header=BB80_17 Depth=2
	s_or_b64 exec, exec, s[16:17]
	v_add_u32_e32 v5, v5, v3
	v_mov_b32_e32 v4, v27
	s_andn2_b64 exec, exec, s[20:21]
	s_cbranch_execz .LBB80_27
.LBB80_17:                              ;   Parent Loop BB80_12 Depth=1
                                        ; =>  This Inner Loop Header: Depth=2
	v_add_u32_e32 v26, v26, v2
	v_cmp_gt_u32_e64 s[14:15], s56, v26
	v_cmp_le_u32_e32 vcc, s56, v26
	s_waitcnt lgkmcnt(0)
	v_mov_b32_e32 v28, 0
	v_mov_b32_e32 v27, 0
	s_and_saveexec_b64 s[16:17], s[14:15]
	s_cbranch_execz .LBB80_19
; %bb.18:                               ;   in Loop: Header=BB80_17 Depth=2
	global_load_ubyte v27, v5, s[62:63]
.LBB80_19:                              ;   in Loop: Header=BB80_17 Depth=2
	s_or_b64 exec, exec, s[16:17]
	s_waitcnt vmcnt(0)
	v_add_u32_sdwa v29, sext(v4), s76 dst_sel:DWORD dst_unused:UNUSED_PAD src0_sel:BYTE_0 src1_sel:DWORD
	v_and_b32_e32 v29, s13, v29
	v_cmp_eq_u32_e64 s[14:15], s70, v29
	s_cmp_lg_u64 s[14:15], 0
	s_cselect_b64 s[0:1], -1, 0
	s_and_b64 s[0:1], s[4:5], s[0:1]
	s_and_saveexec_b64 s[22:23], s[0:1]
	s_cbranch_execz .LBB80_23
; %bb.20:                               ;   in Loop: Header=BB80_17 Depth=2
	s_mov_b64 s[26:27], exec
	v_mbcnt_lo_u32_b32 v28, s26, 0
	v_mbcnt_hi_u32_b32 v28, s27, v28
	s_bcnt1_i32_b64 s0, s[14:15]
	v_cmp_eq_u32_e64 s[16:17], 0, v28
                                        ; implicit-def: $vgpr29
	s_and_saveexec_b64 s[24:25], s[16:17]
	s_cbranch_execz .LBB80_22
; %bb.21:                               ;   in Loop: Header=BB80_17 Depth=2
	s_bcnt1_i32_b64 s1, s[26:27]
	s_mul_i32 s1, s0, s1
	v_mov_b32_e32 v29, s1
	ds_add_rtn_u32 v29, v23, v29 offset:4112
.LBB80_22:                              ;   in Loop: Header=BB80_17 Depth=2
	s_or_b64 exec, exec, s[24:25]
	s_waitcnt lgkmcnt(0)
	v_readfirstlane_b32 s1, v29
	v_mov_b32_e32 v29, s1
	v_mad_u32_u24 v28, s0, v28, v29
.LBB80_23:                              ;   in Loop: Header=BB80_17 Depth=2
	s_or_b64 exec, exec, s[22:23]
	ds_bpermute_b32 v28, v15, v28
	s_and_b64 s[0:1], exec, vcc
	s_or_b64 s[20:21], s[0:1], s[20:21]
	s_and_saveexec_b64 s[16:17], s[14:15]
	s_cbranch_execz .LBB80_16
; %bb.24:                               ;   in Loop: Header=BB80_17 Depth=2
	v_and_b32_e32 v30, s14, v8
	v_and_b32_e32 v29, s15, v1
	v_bcnt_u32_b32 v30, v30, 0
	v_bcnt_u32_b32 v29, v29, v30
	s_waitcnt lgkmcnt(0)
	v_add_u32_e32 v28, v28, v29
	ds_write_b8 v28, v4
	s_branch .LBB80_16
.LBB80_25:                              ;   in Loop: Header=BB80_12 Depth=1
	s_mov_b64 s[14:15], 0
                                        ; implicit-def: $sgpr67
	s_cbranch_execnz .LBB80_30
	s_branch .LBB80_40
.LBB80_26:                              ;   in Loop: Header=BB80_12 Depth=1
	s_mov_b32 s67, 0
	s_and_b64 vcc, exec, s[18:19]
	s_cbranch_vccnz .LBB80_30
	s_branch .LBB80_40
.LBB80_27:                              ;   in Loop: Header=BB80_12 Depth=1
	s_or_b64 exec, exec, s[20:21]
	s_waitcnt lgkmcnt(0)
	s_barrier
	s_mov_b64 s[14:15], exec
	v_readlane_b32 s0, v42, 0
	v_readlane_b32 s1, v42, 1
	s_and_b64 s[0:1], s[14:15], s[0:1]
	s_mov_b64 exec, s[0:1]
	s_cbranch_execz .LBB80_29
; %bb.28:                               ;   in Loop: Header=BB80_12 Depth=1
	ds_read_b32 v2, v23 offset:4112
	s_waitcnt lgkmcnt(0)
	ds_write_b32 v23, v2 offset:4104
.LBB80_29:                              ;   in Loop: Header=BB80_12 Depth=1
	s_or_b64 exec, exec, s[14:15]
	s_waitcnt lgkmcnt(0)
	s_barrier
	s_mov_b64 s[14:15], -1
	s_mov_b32 s67, 0
	s_and_b64 vcc, exec, s[18:19]
	s_cbranch_vccz .LBB80_40
.LBB80_30:                              ;   in Loop: Header=BB80_12 Depth=1
	v_mov_b32_e32 v2, 0
	s_mov_b64 s[14:15], exec
	v_readlane_b32 s0, v42, 9
	v_readlane_b32 s1, v42, 10
	s_and_b64 s[0:1], s[14:15], s[0:1]
	s_mov_b64 exec, s[0:1]
	s_cbranch_execz .LBB80_32
; %bb.31:                               ;   in Loop: Header=BB80_12 Depth=1
	global_load_ubyte v2, v[6:7], off
.LBB80_32:                              ;   in Loop: Header=BB80_12 Depth=1
	s_or_b64 exec, exec, s[14:15]
	s_mov_b64 s[16:17], exec
	v_readlane_b32 s0, v42, 9
	v_readlane_b32 s1, v42, 10
	s_and_b64 s[0:1], s[16:17], s[0:1]
	s_mov_b64 exec, s[0:1]
	s_cbranch_execz .LBB80_37
; %bb.33:                               ;   in Loop: Header=BB80_12 Depth=1
	v_readlane_b32 s0, v42, 14
	v_readlane_b32 s1, v42, 15
	s_mov_b64 s[18:19], 0
	v_mov_b32_e32 v26, v0
	s_nop 2
	global_load_ushort v3, v23, s[0:1]
	s_waitcnt vmcnt(0)
	v_add_u32_e32 v5, v0, v3
	v_mul_lo_u32 v4, s58, v3
	v_mul_lo_u32 v5, s58, v5
	s_branch .LBB80_35
.LBB80_34:                              ;   in Loop: Header=BB80_35 Depth=2
	s_or_b64 exec, exec, s[20:21]
	s_and_b64 s[0:1], exec, vcc
	s_or_b64 s[18:19], s[0:1], s[18:19]
	ds_write_b8 v26, v2
	v_add_u32_e32 v5, v5, v4
	s_waitcnt vmcnt(0)
	v_mov_b32_e32 v2, v28
	v_mov_b32_e32 v26, v27
	s_andn2_b64 exec, exec, s[18:19]
	s_cbranch_execz .LBB80_37
.LBB80_35:                              ;   Parent Loop BB80_12 Depth=1
                                        ; =>  This Inner Loop Header: Depth=2
	v_add_u32_e32 v27, v26, v3
	v_cmp_gt_u32_e64 s[14:15], s56, v27
	v_cmp_le_u32_e32 vcc, s56, v27
	v_mov_b32_e32 v28, 0
	s_and_saveexec_b64 s[20:21], s[14:15]
	s_cbranch_execz .LBB80_34
; %bb.36:                               ;   in Loop: Header=BB80_35 Depth=2
	global_load_ubyte v28, v5, s[62:63]
	s_branch .LBB80_34
.LBB80_37:                              ;   in Loop: Header=BB80_12 Depth=1
	s_or_b64 exec, exec, s[16:17]
	s_waitcnt lgkmcnt(0)
	s_barrier
	s_mov_b64 s[14:15], exec
	v_readlane_b32 s0, v42, 0
	v_readlane_b32 s1, v42, 1
	s_and_b64 s[0:1], s[14:15], s[0:1]
	s_mov_b64 exec, s[0:1]
	s_cbranch_execz .LBB80_39
; %bb.38:                               ;   in Loop: Header=BB80_12 Depth=1
	s_waitcnt vmcnt(0)
	v_mov_b32_e32 v2, s56
	ds_write_b32 v23, v2 offset:4104
.LBB80_39:                              ;   in Loop: Header=BB80_12 Depth=1
	s_or_b64 exec, exec, s[14:15]
	s_mov_b64 s[14:15], -1
	s_waitcnt lgkmcnt(0)
	s_barrier
                                        ; implicit-def: $sgpr67
.LBB80_40:                              ;   in Loop: Header=BB80_12 Depth=1
	s_and_b64 vcc, exec, s[14:15]
	s_cbranch_vccz .LBB80_42
; %bb.41:                               ;   in Loop: Header=BB80_12 Depth=1
	s_waitcnt vmcnt(0)
	ds_read_b32 v2, v23 offset:4104
	s_waitcnt lgkmcnt(0)
	v_readfirstlane_b32 s67, v2
.LBB80_42:                              ;   in Loop: Header=BB80_12 Depth=1
	s_cmp_lt_i32 s67, 1
	s_cbranch_scc0 .LBB80_46
; %bb.43:                               ;   in Loop: Header=BB80_12 Depth=1
	s_waitcnt vmcnt(0)
	v_mov_b32_e32 v2, 0
	s_mov_b32 s2, 0
	v_mov_b32_e32 v3, 0
	v_mov_b32_e32 v4, v2
	;; [unrolled: 1-line block ×3, first 2 shown]
	s_and_saveexec_b64 s[64:65], s[8:9]
	s_cbranch_execnz .LBB80_47
; %bb.44:                               ;   in Loop: Header=BB80_12 Depth=1
	s_or_b64 exec, exec, s[64:65]
	v_mov_b32_e32 v28, 0
	s_and_saveexec_b64 s[14:15], s[10:11]
	s_cbranch_execnz .LBB80_50
.LBB80_45:                              ;   in Loop: Header=BB80_12 Depth=1
	s_or_b64 exec, exec, s[14:15]
	s_and_saveexec_b64 s[16:17], s[10:11]
	s_cbranch_execnz .LBB80_51
	s_branch .LBB80_56
.LBB80_46:                              ;   in Loop: Header=BB80_12 Depth=1
                                        ; implicit-def: $vgpr5
	s_cbranch_execnz .LBB80_57
	s_branch .LBB80_66
.LBB80_47:                              ;   in Loop: Header=BB80_12 Depth=1
	s_and_b32 s3, s77, 0xfe
	s_mov_b64 s[78:79], 0
	s_mov_b32 s0, 0
	s_mov_b32 s1, 0
	;; [unrolled: 1-line block ×4, first 2 shown]
	v_mov_b32_e32 v26, v13
.LBB80_48:                              ;   Parent Loop BB80_12 Depth=1
                                        ; =>  This Inner Loop Header: Depth=2
	v_add_u32_e32 v2, s2, v20
	v_add_u32_e32 v3, s2, v17
	;; [unrolled: 1-line block ×4, first 2 shown]
	global_load_sbyte v2, v2, s[62:63]
	s_nop 0
	global_load_sbyte v3, v3, s[62:63]
	s_nop 0
	;; [unrolled: 2-line block ×3, first 2 shown]
	global_load_sbyte v5, v5, s[62:63]
	v_add_u32_e32 v26, s57, v26
	s_add_i32 s2, s2, s75
	v_cmp_le_u32_e32 vcc, s83, v26
	s_waitcnt vmcnt(3)
	v_add_u32_e32 v2, 0x80, v2
	s_waitcnt vmcnt(2)
	v_add_u32_e32 v3, 0x80, v3
	v_and_b32_e32 v27, s13, v2
	v_bfe_u32 v2, v2, s3, 2
	s_waitcnt vmcnt(1)
	v_add_u32_e32 v4, 0x80, v4
	v_and_b32_e32 v28, s13, v3
	v_bfe_u32 v3, v3, s3, 2
	v_cmp_eq_u32_e64 s[14:15], s70, v27
	v_cmp_eq_u32_e64 s[22:23], 0, v2
	s_waitcnt vmcnt(0)
	v_add_u32_e32 v5, 0x80, v5
	v_and_b32_e32 v29, s13, v4
	v_bfe_u32 v4, v4, s3, 2
	v_cmp_eq_u32_e64 s[16:17], s70, v28
	v_cmp_eq_u32_e64 s[24:25], 0, v3
	s_and_b64 s[22:23], s[14:15], s[22:23]
	v_and_b32_e32 v30, s13, v5
	v_bfe_u32 v5, v5, s3, 2
	v_cmp_eq_u32_e64 s[18:19], s70, v29
	v_cmp_eq_u32_e64 s[26:27], 0, v4
	;; [unrolled: 1-line block ×5, first 2 shown]
	v_cndmask_b32_e64 v2, 0, 1, s[22:23]
	s_and_b64 s[22:23], s[16:17], s[24:25]
	v_cmp_eq_u32_e64 s[20:21], s70, v30
	v_cmp_eq_u32_e64 s[28:29], 0, v5
	v_cmp_eq_u32_e64 s[34:35], 1, v3
	v_cmp_eq_u32_e64 s[42:43], 2, v3
	v_cmp_eq_u32_e64 s[50:51], 3, v3
	v_cndmask_b32_e64 v3, 0, 1, s[22:23]
	s_and_b64 s[22:23], s[18:19], s[26:27]
	v_cmp_eq_u32_e64 s[36:37], 1, v4
	v_cmp_eq_u32_e64 s[44:45], 2, v4
	;; [unrolled: 1-line block ×3, first 2 shown]
	v_cndmask_b32_e64 v4, 0, 1, s[22:23]
	s_and_b64 s[22:23], s[20:21], s[28:29]
	v_cmp_eq_u32_e64 s[38:39], 1, v5
	v_cmp_eq_u32_e64 s[46:47], 2, v5
	;; [unrolled: 1-line block ×3, first 2 shown]
	v_cndmask_b32_e64 v5, 0, 1, s[22:23]
	s_and_b64 s[22:23], s[14:15], s[30:31]
	v_cndmask_b32_e64 v27, 0, 1, s[22:23]
	s_and_b64 s[22:23], s[16:17], s[34:35]
	;; [unrolled: 2-line block ×5, first 2 shown]
	s_and_b64 s[14:15], s[14:15], s[48:49]
	v_cndmask_b32_e64 v31, 0, 1, s[22:23]
	s_and_b64 s[22:23], s[16:17], s[42:43]
	v_cndmask_b32_e64 v35, 0, 1, s[14:15]
	;; [unrolled: 2-line block ×7, first 2 shown]
	v_cndmask_b32_e64 v38, 0, 1, s[14:15]
	v_cmp_ne_u32_e64 s[14:15], 0, v2
	v_cmp_ne_u32_e64 s[16:17], 0, v3
	v_cmp_ne_u32_e64 s[18:19], 0, v4
	v_cmp_ne_u32_e64 s[20:21], 0, v5
	v_cmp_ne_u32_e64 s[22:23], 0, v27
	v_cmp_ne_u32_e64 s[26:27], 0, v29
	v_cmp_ne_u32_e64 s[30:31], 0, v31
	v_cmp_ne_u32_e64 s[40:41], 0, v35
	v_cmp_ne_u32_e64 s[24:25], 0, v28
	v_cmp_ne_u32_e64 s[34:35], 0, v32
	v_cmp_ne_u32_e64 s[42:43], 0, v36
	s_bcnt1_i32_b64 s14, s[14:15]
	s_bcnt1_i32_b64 s15, s[16:17]
	;; [unrolled: 1-line block ×8, first 2 shown]
	v_cmp_ne_u32_e64 s[28:29], 0, v30
	v_cmp_ne_u32_e64 s[36:37], 0, v33
	;; [unrolled: 1-line block ×3, first 2 shown]
	s_bcnt1_i32_b64 s19, s[24:25]
	s_bcnt1_i32_b64 s23, s[34:35]
	;; [unrolled: 1-line block ×3, first 2 shown]
	s_add_i32 s14, s33, s14
	s_add_i32 s18, s80, s18
	;; [unrolled: 1-line block ×4, first 2 shown]
	v_cmp_ne_u32_e64 s[38:39], 0, v34
	v_cmp_ne_u32_e64 s[46:47], 0, v38
	s_bcnt1_i32_b64 s21, s[28:29]
	s_bcnt1_i32_b64 s24, s[36:37]
	;; [unrolled: 1-line block ×3, first 2 shown]
	s_add_i32 s14, s14, s15
	s_add_i32 s15, s18, s19
	;; [unrolled: 1-line block ×4, first 2 shown]
	s_bcnt1_i32_b64 s25, s[38:39]
	s_bcnt1_i32_b64 s29, s[46:47]
	s_add_i32 s14, s14, s16
	s_add_i32 s15, s15, s20
	;; [unrolled: 1-line block ×8, first 2 shown]
	s_or_b64 s[78:79], vcc, s[78:79]
	v_mov_b32_e32 v2, s33
	v_mov_b32_e32 v3, s80
	v_mov_b32_e32 v4, s1
	v_mov_b32_e32 v5, s0
	s_andn2_b64 exec, exec, s[78:79]
	s_cbranch_execnz .LBB80_48
; %bb.49:                               ;   in Loop: Header=BB80_12 Depth=1
	s_or_b64 exec, exec, s[78:79]
	s_or_b64 exec, exec, s[64:65]
	v_mov_b32_e32 v28, 0
	s_and_saveexec_b64 s[14:15], s[10:11]
	s_cbranch_execz .LBB80_45
.LBB80_50:                              ;   in Loop: Header=BB80_12 Depth=1
	global_load_ubyte v28, v[10:11], off
	s_or_b64 exec, exec, s[14:15]
	s_and_saveexec_b64 s[16:17], s[10:11]
	s_cbranch_execz .LBB80_56
.LBB80_51:                              ;   in Loop: Header=BB80_12 Depth=1
	s_and_b32 s0, s77, 0xfe
	s_mov_b64 s[18:19], 0
	v_mov_b32_e32 v26, v21
	v_mov_b32_e32 v27, v16
	s_branch .LBB80_53
.LBB80_52:                              ;   in Loop: Header=BB80_53 Depth=2
	s_or_b64 exec, exec, s[20:21]
	s_waitcnt vmcnt(0)
	v_add_u32_sdwa v28, sext(v28), s76 dst_sel:DWORD dst_unused:UNUSED_PAD src0_sel:BYTE_0 src1_sel:DWORD
	s_and_b64 s[2:3], exec, vcc
	v_and_b32_e32 v30, s13, v28
	v_bfe_u32 v28, v28, s0, 2
	s_or_b64 s[18:19], s[2:3], s[18:19]
	v_cmp_eq_u32_e32 vcc, s70, v30
	v_cmp_eq_u32_e64 s[14:15], 0, v28
	s_and_b64 s[2:3], vcc, s[14:15]
	v_cndmask_b32_e64 v30, 0, 1, s[2:3]
	v_cmp_ne_u32_e64 s[14:15], 0, v30
	s_bcnt1_i32_b64 s1, s[14:15]
	v_cmp_eq_u32_e64 s[14:15], 1, v28
	s_and_b64 s[2:3], vcc, s[14:15]
	v_cndmask_b32_e64 v30, 0, 1, s[2:3]
	v_cmp_ne_u32_e64 s[14:15], 0, v30
	v_add_u32_e32 v2, s1, v2
	s_bcnt1_i32_b64 s1, s[14:15]
	v_cmp_eq_u32_e64 s[14:15], 2, v28
	s_and_b64 s[2:3], vcc, s[14:15]
	v_cndmask_b32_e64 v30, 0, 1, s[2:3]
	v_cmp_ne_u32_e64 s[14:15], 0, v30
	v_add_u32_e32 v3, s1, v3
	s_bcnt1_i32_b64 s1, s[14:15]
	v_cmp_eq_u32_e64 s[14:15], 3, v28
	s_and_b64 s[2:3], vcc, s[14:15]
	v_cndmask_b32_e64 v28, 0, 1, s[2:3]
	v_cmp_ne_u32_e32 vcc, 0, v28
	v_add_u32_e32 v4, s1, v4
	s_bcnt1_i32_b64 s1, vcc
	v_add_u32_e32 v5, s1, v5
	v_add_u32_e32 v26, s81, v26
	v_mov_b32_e32 v28, v29
	s_andn2_b64 exec, exec, s[18:19]
	s_cbranch_execz .LBB80_55
.LBB80_53:                              ;   Parent Loop BB80_12 Depth=1
                                        ; =>  This Inner Loop Header: Depth=2
	v_add_u32_e32 v27, s59, v27
	v_cmp_gt_u32_e64 s[14:15], s56, v27
	v_cmp_le_u32_e32 vcc, s56, v27
	v_mov_b32_e32 v29, 0
	s_and_saveexec_b64 s[20:21], s[14:15]
	s_cbranch_execz .LBB80_52
; %bb.54:                               ;   in Loop: Header=BB80_53 Depth=2
	global_load_ubyte v29, v26, s[62:63]
	s_branch .LBB80_52
.LBB80_55:                              ;   in Loop: Header=BB80_12 Depth=1
	s_or_b64 exec, exec, s[18:19]
.LBB80_56:                              ;   in Loop: Header=BB80_12 Depth=1
	s_or_b64 exec, exec, s[16:17]
	s_branch .LBB80_66
.LBB80_57:                              ;   in Loop: Header=BB80_12 Depth=1
	s_mul_hi_u32 s0, s67, s82
	s_mul_i32 s0, s0, s57
	s_sub_i32 s0, s67, s0
	s_sub_i32 s1, s0, s57
	s_cmp_ge_u32 s0, s57
	s_cselect_b32 s0, s1, s0
	s_sub_i32 s1, s0, s57
	s_cmp_ge_u32 s0, s57
	s_cselect_b32 s0, s1, s0
	s_sub_i32 s2, s67, s0
	v_cmp_gt_u32_e32 vcc, s2, v13
	s_mov_b32 s0, 0
	s_waitcnt vmcnt(0)
	v_mov_b32_e32 v2, 0
	v_mov_b32_e32 v3, 0
	;; [unrolled: 1-line block ×4, first 2 shown]
	s_and_saveexec_b64 s[64:65], vcc
	s_cbranch_execz .LBB80_61
; %bb.58:                               ;   in Loop: Header=BB80_12 Depth=1
	s_and_b32 s3, s77, 0xfe
	s_mov_b64 s[78:79], 0
	s_mov_b32 s1, 0
	s_mov_b32 s33, 0
	s_mov_b32 s80, 0
	v_mov_b32_e32 v26, v13
.LBB80_59:                              ;   Parent Loop BB80_12 Depth=1
                                        ; =>  This Inner Loop Header: Depth=2
	ds_read_b32 v2, v26
	v_add_u32_e32 v26, s57, v26
	v_cmp_le_u32_e32 vcc, s2, v26
	s_waitcnt lgkmcnt(0)
	v_add_u32_sdwa v3, sext(v2), s76 dst_sel:DWORD dst_unused:UNUSED_PAD src0_sel:BYTE_0 src1_sel:DWORD
	v_add_u32_sdwa v4, sext(v2), s76 dst_sel:DWORD dst_unused:UNUSED_PAD src0_sel:BYTE_1 src1_sel:DWORD
	v_and_b32_e32 v27, s13, v3
	v_bfe_u32 v3, v3, s3, 2
	v_add_u32_sdwa v5, sext(v2), s76 dst_sel:DWORD dst_unused:UNUSED_PAD src0_sel:BYTE_2 src1_sel:DWORD
	v_add_u32_sdwa v2, sext(v2), s76 dst_sel:DWORD dst_unused:UNUSED_PAD src0_sel:BYTE_3 src1_sel:DWORD
	v_and_b32_e32 v28, s13, v4
	v_bfe_u32 v4, v4, s3, 2
	v_cmp_eq_u32_e64 s[14:15], s70, v27
	v_cmp_eq_u32_e64 s[22:23], 0, v3
	v_and_b32_e32 v29, s13, v5
	v_and_b32_e32 v30, s13, v2
	v_bfe_u32 v5, v5, s3, 2
	v_bfe_u32 v2, v2, s3, 2
	v_cmp_eq_u32_e64 s[16:17], s70, v28
	v_cmp_eq_u32_e64 s[24:25], 0, v4
	s_and_b64 s[22:23], s[14:15], s[22:23]
	v_cmp_eq_u32_e64 s[18:19], s70, v29
	v_cmp_eq_u32_e64 s[26:27], 0, v5
	;; [unrolled: 1-line block ×6, first 2 shown]
	v_cndmask_b32_e64 v2, 0, 1, s[22:23]
	s_and_b64 s[22:23], s[16:17], s[24:25]
	v_cmp_eq_u32_e64 s[20:21], s70, v30
	v_cmp_eq_u32_e64 s[30:31], 1, v3
	;; [unrolled: 1-line block ×4, first 2 shown]
	v_cndmask_b32_e64 v3, 0, 1, s[22:23]
	s_and_b64 s[22:23], s[18:19], s[26:27]
	v_cmp_eq_u32_e64 s[34:35], 1, v4
	v_cmp_eq_u32_e64 s[42:43], 2, v4
	;; [unrolled: 1-line block ×3, first 2 shown]
	v_cndmask_b32_e64 v4, 0, 1, s[22:23]
	s_and_b64 s[22:23], s[20:21], s[28:29]
	v_cmp_eq_u32_e64 s[36:37], 1, v5
	v_cmp_eq_u32_e64 s[44:45], 2, v5
	;; [unrolled: 1-line block ×3, first 2 shown]
	v_cndmask_b32_e64 v5, 0, 1, s[22:23]
	s_and_b64 s[22:23], s[14:15], s[30:31]
	v_cndmask_b32_e64 v27, 0, 1, s[22:23]
	s_and_b64 s[22:23], s[16:17], s[34:35]
	;; [unrolled: 2-line block ×5, first 2 shown]
	s_and_b64 s[14:15], s[14:15], s[48:49]
	v_cndmask_b32_e64 v31, 0, 1, s[22:23]
	s_and_b64 s[22:23], s[16:17], s[42:43]
	v_cndmask_b32_e64 v35, 0, 1, s[14:15]
	;; [unrolled: 2-line block ×7, first 2 shown]
	v_cndmask_b32_e64 v38, 0, 1, s[14:15]
	v_cmp_ne_u32_e64 s[14:15], 0, v2
	v_cmp_ne_u32_e64 s[16:17], 0, v3
	;; [unrolled: 1-line block ×11, first 2 shown]
	s_bcnt1_i32_b64 s14, s[14:15]
	s_bcnt1_i32_b64 s15, s[16:17]
	;; [unrolled: 1-line block ×8, first 2 shown]
	v_cmp_ne_u32_e64 s[28:29], 0, v30
	v_cmp_ne_u32_e64 s[36:37], 0, v33
	;; [unrolled: 1-line block ×3, first 2 shown]
	s_bcnt1_i32_b64 s19, s[24:25]
	s_bcnt1_i32_b64 s23, s[34:35]
	;; [unrolled: 1-line block ×3, first 2 shown]
	s_add_i32 s14, s80, s14
	s_add_i32 s18, s33, s18
	;; [unrolled: 1-line block ×4, first 2 shown]
	v_cmp_ne_u32_e64 s[38:39], 0, v34
	v_cmp_ne_u32_e64 s[46:47], 0, v38
	s_bcnt1_i32_b64 s21, s[28:29]
	s_bcnt1_i32_b64 s24, s[36:37]
	;; [unrolled: 1-line block ×3, first 2 shown]
	s_add_i32 s14, s14, s15
	s_add_i32 s15, s18, s19
	;; [unrolled: 1-line block ×4, first 2 shown]
	s_bcnt1_i32_b64 s25, s[38:39]
	s_bcnt1_i32_b64 s29, s[46:47]
	s_add_i32 s14, s14, s16
	s_add_i32 s15, s15, s20
	;; [unrolled: 1-line block ×8, first 2 shown]
	s_or_b64 s[78:79], vcc, s[78:79]
	v_mov_b32_e32 v2, s80
	v_mov_b32_e32 v3, s33
	;; [unrolled: 1-line block ×4, first 2 shown]
	s_andn2_b64 exec, exec, s[78:79]
	s_cbranch_execnz .LBB80_59
; %bb.60:                               ;   in Loop: Header=BB80_12 Depth=1
	s_or_b64 exec, exec, s[78:79]
.LBB80_61:                              ;   in Loop: Header=BB80_12 Depth=1
	s_or_b64 exec, exec, s[64:65]
	v_add_u32_e32 v26, s2, v0
	v_cmp_gt_u32_e32 vcc, s67, v26
	s_and_saveexec_b64 s[24:25], vcc
	s_cbranch_execz .LBB80_65
; %bb.62:                               ;   in Loop: Header=BB80_12 Depth=1
	s_and_b32 s0, s77, 0xfe
	s_mov_b64 s[26:27], 0
.LBB80_63:                              ;   Parent Loop BB80_12 Depth=1
                                        ; =>  This Inner Loop Header: Depth=2
	ds_read_i8 v27, v26
	v_add_u32_e32 v26, s59, v26
	v_cmp_le_u32_e32 vcc, s67, v26
	s_waitcnt lgkmcnt(0)
	v_add_u32_e32 v27, 0x80, v27
	v_and_b32_e32 v28, s13, v27
	v_bfe_u32 v27, v27, s0, 2
	v_cmp_eq_u32_e64 s[14:15], s70, v28
	v_cmp_eq_u32_e64 s[16:17], 0, v27
	;; [unrolled: 1-line block ×3, first 2 shown]
	s_and_b64 s[2:3], s[14:15], s[16:17]
	v_cmp_eq_u32_e64 s[20:21], 2, v27
	v_cmp_eq_u32_e64 s[22:23], 3, v27
	v_cndmask_b32_e64 v27, 0, 1, s[2:3]
	s_and_b64 s[2:3], s[14:15], s[18:19]
	v_cndmask_b32_e64 v28, 0, 1, s[2:3]
	s_and_b64 s[2:3], s[14:15], s[20:21]
	;; [unrolled: 2-line block ×3, first 2 shown]
	v_cndmask_b32_e64 v30, 0, 1, s[2:3]
	v_cmp_ne_u32_e64 s[14:15], 0, v27
	v_cmp_ne_u32_e64 s[16:17], 0, v28
	;; [unrolled: 1-line block ×4, first 2 shown]
	s_bcnt1_i32_b64 s1, s[14:15]
	s_bcnt1_i32_b64 s2, s[16:17]
	;; [unrolled: 1-line block ×4, first 2 shown]
	v_add_u32_e32 v2, s1, v2
	v_add_u32_e32 v3, s2, v3
	;; [unrolled: 1-line block ×3, first 2 shown]
	s_or_b64 s[26:27], vcc, s[26:27]
	v_add_u32_e32 v5, s14, v5
	s_andn2_b64 exec, exec, s[26:27]
	s_cbranch_execnz .LBB80_63
; %bb.64:                               ;   in Loop: Header=BB80_12 Depth=1
	s_or_b64 exec, exec, s[26:27]
.LBB80_65:                              ;   in Loop: Header=BB80_12 Depth=1
	s_or_b64 exec, exec, s[24:25]
.LBB80_66:                              ;   in Loop: Header=BB80_12 Depth=1
	s_lshl_b32 s0, s12, 6
	s_and_saveexec_b64 s[14:15], s[4:5]
	s_cbranch_execz .LBB80_68
; %bb.67:                               ;   in Loop: Header=BB80_12 Depth=1
	v_or_b32_e32 v26, s0, v14
	v_lshlrev_b32_e32 v26, 2, v26
	s_waitcnt vmcnt(0)
	ds_write_b128 v26, v[2:5] offset:3072
.LBB80_68:                              ;   in Loop: Header=BB80_12 Depth=1
	s_or_b64 exec, exec, s[14:15]
	s_waitcnt lgkmcnt(0)
	s_barrier
	s_and_saveexec_b64 s[14:15], s[68:69]
	s_cbranch_execz .LBB80_82
; %bb.69:                               ;   in Loop: Header=BB80_12 Depth=1
	v_add_u32_e32 v4, s0, v12
	s_andn2_b64 vcc, exec, s[72:73]
	s_waitcnt vmcnt(0)
	v_mov_b32_e32 v2, 0
	s_cbranch_vccnz .LBB80_81
; %bb.70:                               ;   in Loop: Header=BB80_12 Depth=1
	v_readlane_b32 s2, v42, 16
	v_readlane_b32 s3, v42, 17
	s_mov_b32 s1, 0
	s_and_b64 vcc, exec, s[2:3]
	v_mov_b32_e32 v2, 0
	s_cbranch_vccz .LBB80_74
; %bb.71:                               ;   in Loop: Header=BB80_12 Depth=1
	v_readlane_b32 s2, v42, 18
	v_readlane_b32 s3, v42, 19
	v_lshl_add_u32 v5, v4, 2, v24
	s_andn2_b64 vcc, exec, s[2:3]
	s_cbranch_vccnz .LBB80_75
; %bb.72:                               ;   in Loop: Header=BB80_12 Depth=1
	s_mov_b32 s17, 1
	s_mov_b32 s16, 0
	v_mov_b32_e32 v2, 0
	v_readlane_b32 s1, v42, 20
	v_mov_b32_e32 v3, 0
.LBB80_73:                              ;   Parent Loop BB80_12 Depth=1
                                        ; =>  This Inner Loop Header: Depth=2
	v_lshl_add_u32 v38, s16, 4, v5
	v_lshl_add_u32 v40, s17, 4, v5
	ds_read2_b32 v[26:27], v38 offset1:8
	ds_read2_b32 v[28:29], v40 offset1:8
	ds_read2_b32 v[30:31], v38 offset0:16 offset1:24
	ds_read2_b32 v[32:33], v40 offset0:16 offset1:24
	;; [unrolled: 1-line block ×6, first 2 shown]
	s_waitcnt lgkmcnt(7)
	v_add3_u32 v2, v26, v2, v27
	s_waitcnt lgkmcnt(6)
	v_add3_u32 v3, v28, v3, v29
	;; [unrolled: 2-line block ×3, first 2 shown]
	v_add3_u32 v2, v30, v2, v31
	s_add_i32 s17, s17, 16
	s_add_i32 s16, s16, 16
	s_add_i32 s1, s1, -8
	s_waitcnt lgkmcnt(3)
	v_add3_u32 v2, v34, v2, v35
	s_waitcnt lgkmcnt(2)
	v_add3_u32 v3, v36, v3, v37
	s_cmp_lg_u32 s1, 0
	s_waitcnt lgkmcnt(0)
	v_add3_u32 v3, v40, v3, v41
	v_add3_u32 v2, v38, v2, v39
	s_cbranch_scc1 .LBB80_73
	s_branch .LBB80_76
.LBB80_74:                              ;   in Loop: Header=BB80_12 Depth=1
	s_cbranch_execnz .LBB80_79
	s_branch .LBB80_81
.LBB80_75:                              ;   in Loop: Header=BB80_12 Depth=1
	s_mov_b32 s67, s66
	v_pk_mov_b32 v[2:3], s[66:67], s[66:67] op_sel:[0,1]
	s_mov_b32 s67, 1
	s_mov_b64 s[16:17], s[66:67]
.LBB80_76:                              ;   in Loop: Header=BB80_12 Depth=1
	v_readlane_b32 s2, v42, 22
	v_readlane_b32 s3, v42, 23
	s_andn2_b64 vcc, exec, s[2:3]
	v_readlane_b32 s1, v42, 21
	s_cbranch_vccnz .LBB80_78
.LBB80_77:                              ;   Parent Loop BB80_12 Depth=1
                                        ; =>  This Inner Loop Header: Depth=2
	v_lshl_add_u32 v26, s16, 4, v5
	v_lshl_add_u32 v27, s17, 4, v5
	ds_read_b32 v27, v27
	ds_read_b32 v26, v26
	s_add_i32 s17, s17, 2
	s_add_i32 s16, s16, 2
	s_add_i32 s1, s1, -1
	s_cmp_lg_u32 s1, 0
	s_waitcnt lgkmcnt(1)
	v_add_u32_e32 v3, v27, v3
	s_waitcnt lgkmcnt(0)
	v_add_u32_e32 v2, v26, v2
	s_cbranch_scc1 .LBB80_77
.LBB80_78:                              ;   in Loop: Header=BB80_12 Depth=1
	v_readlane_b32 s16, v42, 26
	v_add_u32_e32 v2, v2, v3
	v_readlane_b32 s1, v42, 25
	v_readlane_b32 s17, v42, 27
	s_and_b64 vcc, exec, s[16:17]
	s_cbranch_vccz .LBB80_81
.LBB80_79:                              ;   in Loop: Header=BB80_12 Depth=1
	s_lshl_b32 s2, s12, 8
	s_lshl_b32 s3, s1, 4
	s_add_i32 s2, s2, s3
	v_add_u32_e32 v3, s2, v22
	v_readlane_b32 s2, v42, 24
	s_sub_i32 s1, s2, s1
.LBB80_80:                              ;   Parent Loop BB80_12 Depth=1
                                        ; =>  This Inner Loop Header: Depth=2
	ds_read_b32 v5, v3
	s_add_i32 s1, s1, -1
	v_add_u32_e32 v3, 16, v3
	s_cmp_eq_u32 s1, 0
	s_waitcnt lgkmcnt(0)
	v_add_u32_e32 v2, v5, v2
	s_cbranch_scc0 .LBB80_80
.LBB80_81:                              ;   in Loop: Header=BB80_12 Depth=1
	v_lshlrev_b32_e32 v3, 2, v4
	ds_write_b32 v3, v2 offset:3072
.LBB80_82:                              ;   in Loop: Header=BB80_12 Depth=1
	s_or_b64 exec, exec, s[14:15]
	s_lshl_b32 s0, s0, 2
	s_waitcnt vmcnt(0)
	v_mov_b32_e32 v2, s0
	s_waitcnt lgkmcnt(0)
	s_barrier
	ds_read_b128 v[2:5], v2 offset:3072
	s_and_b32 s43, s77, 0xfe
	s_lshl_b32 s51, 3, s43
	s_not_b32 s44, s51
	s_mov_b64 s[16:17], -1
	s_waitcnt lgkmcnt(0)
	v_readfirstlane_b32 s26, v2
	s_cmp_eq_u32 s26, 1
	s_cselect_b64 s[0:1], -1, 0
	s_cmp_eq_u32 s71, 1
	s_cselect_b64 s[2:3], -1, 0
	s_and_b64 s[18:19], s[0:1], s[2:3]
	v_readfirstlane_b32 s34, v3
	v_readfirstlane_b32 s42, v4
	;; [unrolled: 1-line block ×3, first 2 shown]
	s_and_b64 vcc, exec, s[18:19]
	s_cbranch_vccz .LBB80_94
; %bb.83:                               ;   in Loop: Header=BB80_12 Depth=1
	ds_read_b32 v2, v23 offset:4104
	s_waitcnt lgkmcnt(0)
	s_barrier
	v_readfirstlane_b32 s0, v2
	s_and_saveexec_b64 s[14:15], s[6:7]
	s_cbranch_execz .LBB80_85
; %bb.84:                               ;   in Loop: Header=BB80_12 Depth=1
	ds_write_b8 v0, v23 offset:3072
.LBB80_85:                              ;   in Loop: Header=BB80_12 Depth=1
	s_or_b64 exec, exec, s[14:15]
	s_and_b32 s70, s70, s44
	s_or_b32 s13, s13, s51
	s_cmp_eq_u32 s0, 0
	s_waitcnt lgkmcnt(0)
	s_barrier
	s_cbranch_scc1 .LBB80_95
; %bb.86:                               ;   in Loop: Header=BB80_12 Depth=1
	v_readlane_b32 s1, v42, 11
	s_add_i32 s1, s0, s1
	v_readlane_b32 s2, v42, 28
	s_mul_hi_u32 s2, s1, s2
	s_mul_i32 s2, s2, s59
	s_sub_i32 s2, s1, s2
	s_sub_i32 s3, s2, s59
	s_cmp_ge_u32 s2, s59
	s_cselect_b32 s2, s3, s2
	s_sub_i32 s3, s2, s59
	s_cmp_ge_u32 s2, s59
	s_cselect_b32 s2, s3, s2
	s_sub_i32 s1, s1, s2
	v_cmp_gt_u32_e32 vcc, s1, v0
	s_mov_b64 s[20:21], 0
                                        ; implicit-def: $vgpr25
	s_and_saveexec_b64 s[14:15], vcc
	s_cbranch_execz .LBB80_97
; %bb.87:                               ;   in Loop: Header=BB80_12 Depth=1
	v_mov_b32_e32 v2, v0
                                        ; implicit-def: $sgpr22_sgpr23
	s_branch .LBB80_89
.LBB80_88:                              ;   in Loop: Header=BB80_89 Depth=2
	s_or_b64 exec, exec, s[24:25]
	s_waitcnt lgkmcnt(0)
	s_barrier
	ds_read_u16 v3, v23 offset:3072
	v_add_u32_e32 v2, s59, v2
	v_cmp_le_u32_e32 vcc, s1, v2
	s_waitcnt lgkmcnt(0)
	s_barrier
	v_cmp_ne_u16_sdwa s[2:3], v3, v23 src0_sel:BYTE_0 src1_sel:DWORD
	s_or_b64 s[24:25], vcc, s[2:3]
	s_and_b64 s[24:25], exec, s[24:25]
	s_or_b64 s[20:21], s[24:25], s[20:21]
	s_andn2_b64 s[22:23], s[22:23], exec
	s_and_b64 s[2:3], s[2:3], exec
	s_or_b64 s[22:23], s[22:23], s[2:3]
	s_andn2_b64 exec, exec, s[20:21]
	s_cbranch_execz .LBB80_96
.LBB80_89:                              ;   Parent Loop BB80_12 Depth=1
                                        ; =>  This Inner Loop Header: Depth=2
	v_cmp_gt_u32_e32 vcc, s0, v2
	v_mov_b32_e32 v3, 0
	s_and_saveexec_b64 s[24:25], vcc
	s_cbranch_execz .LBB80_91
; %bb.90:                               ;   in Loop: Header=BB80_89 Depth=2
	ds_read_u8 v3, v2
.LBB80_91:                              ;   in Loop: Header=BB80_89 Depth=2
	s_or_b64 exec, exec, s[24:25]
	s_and_saveexec_b64 s[24:25], vcc
	s_cbranch_execz .LBB80_88
; %bb.92:                               ;   in Loop: Header=BB80_89 Depth=2
	s_waitcnt lgkmcnt(0)
	v_add_u32_sdwa v4, sext(v3), s76 dst_sel:DWORD dst_unused:UNUSED_PAD src0_sel:BYTE_0 src1_sel:DWORD
	v_and_b32_e32 v4, s13, v4
	v_cmp_eq_u32_e32 vcc, s70, v4
	s_and_b64 exec, exec, vcc
	s_cbranch_execz .LBB80_88
; %bb.93:                               ;   in Loop: Header=BB80_89 Depth=2
	v_lshlrev_b16_e32 v3, 8, v3
	v_or_b32_e32 v3, 1, v3
	ds_write_b16 v23, v3 offset:3072
	s_branch .LBB80_88
.LBB80_94:                              ;   in Loop: Header=BB80_12 Depth=1
	s_mov_b64 s[20:21], -1
                                        ; implicit-def: $sgpr14_sgpr15
                                        ; implicit-def: $sgpr24_sgpr25
                                        ; implicit-def: $sgpr22_sgpr23
	s_branch .LBB80_108
.LBB80_95:                              ;   in Loop: Header=BB80_12 Depth=1
	s_mov_b64 s[14:15], -1
	s_mov_b64 s[20:21], 0
                                        ; implicit-def: $sgpr22_sgpr23
                                        ; implicit-def: $vgpr25
	s_mov_b64 s[24:25], s[14:15]
	s_cbranch_execnz .LBB80_98
	s_branch .LBB80_108
.LBB80_96:                              ;   in Loop: Header=BB80_12 Depth=1
	s_or_b64 exec, exec, s[20:21]
	v_lshrrev_b16_e32 v25, 8, v3
	s_and_b64 s[20:21], s[22:23], exec
.LBB80_97:                              ;   in Loop: Header=BB80_12 Depth=1
	s_or_b64 exec, exec, s[14:15]
	s_mov_b64 s[22:23], -1
	s_mov_b64 s[14:15], 0
	s_mov_b64 s[24:25], s[14:15]
	s_branch .LBB80_108
.LBB80_98:                              ;   in Loop: Header=BB80_12 Depth=1
	s_mov_b64 s[20:21], 0
                                        ; implicit-def: $vgpr25
	s_mov_b64 s[14:15], exec
	v_readlane_b32 s0, v42, 29
	v_readlane_b32 s1, v42, 30
	s_and_b64 s[0:1], s[14:15], s[0:1]
	s_mov_b64 exec, s[0:1]
	s_cbranch_execz .LBB80_107
; %bb.99:                               ;   in Loop: Header=BB80_12 Depth=1
	v_mov_b32_e32 v2, v9
	v_mov_b32_e32 v3, v0
                                        ; implicit-def: $sgpr22_sgpr23
	s_branch .LBB80_101
.LBB80_100:                             ;   in Loop: Header=BB80_101 Depth=2
	s_or_b64 exec, exec, s[24:25]
	s_waitcnt lgkmcnt(0)
	s_barrier
	s_waitcnt vmcnt(0)
	ds_read_u16 v4, v23 offset:3072
	v_add_u32_e32 v3, s59, v3
	v_cmp_le_u32_e32 vcc, s74, v3
	v_add_u32_e32 v2, s81, v2
	s_waitcnt lgkmcnt(0)
	v_cmp_ne_u16_sdwa s[0:1], v4, v23 src0_sel:BYTE_0 src1_sel:DWORD
	s_or_b64 s[2:3], vcc, s[0:1]
	s_and_b64 s[2:3], exec, s[2:3]
	s_or_b64 s[20:21], s[2:3], s[20:21]
	s_andn2_b64 s[2:3], s[22:23], exec
	s_and_b64 s[0:1], s[0:1], exec
	s_or_b64 s[22:23], s[2:3], s[0:1]
	s_barrier
	s_andn2_b64 exec, exec, s[20:21]
	s_cbranch_execz .LBB80_106
.LBB80_101:                             ;   Parent Loop BB80_12 Depth=1
                                        ; =>  This Inner Loop Header: Depth=2
	v_cmp_gt_u32_e32 vcc, s56, v3
	v_mov_b32_e32 v4, 0
	s_and_saveexec_b64 s[24:25], vcc
	s_cbranch_execz .LBB80_103
; %bb.102:                              ;   in Loop: Header=BB80_101 Depth=2
	global_load_ubyte v4, v2, s[62:63]
.LBB80_103:                             ;   in Loop: Header=BB80_101 Depth=2
	s_or_b64 exec, exec, s[24:25]
	s_and_saveexec_b64 s[24:25], vcc
	s_cbranch_execz .LBB80_100
; %bb.104:                              ;   in Loop: Header=BB80_101 Depth=2
	s_waitcnt vmcnt(0)
	v_add_u32_sdwa v5, sext(v4), s76 dst_sel:DWORD dst_unused:UNUSED_PAD src0_sel:BYTE_0 src1_sel:DWORD
	v_and_b32_e32 v5, s13, v5
	v_cmp_eq_u32_e32 vcc, s70, v5
	s_and_b64 exec, exec, vcc
	s_cbranch_execz .LBB80_100
; %bb.105:                              ;   in Loop: Header=BB80_101 Depth=2
	v_lshlrev_b16_e32 v4, 8, v4
	v_or_b32_e32 v4, 1, v4
	ds_write_b16 v23, v4 offset:3072
	s_branch .LBB80_100
.LBB80_106:                             ;   in Loop: Header=BB80_12 Depth=1
	s_or_b64 exec, exec, s[20:21]
	v_lshrrev_b16_e32 v25, 8, v4
	s_and_b64 s[20:21], s[22:23], exec
.LBB80_107:                             ;   in Loop: Header=BB80_12 Depth=1
	s_or_b64 exec, exec, s[14:15]
	s_mov_b64 s[24:25], -1
	s_mov_b64 s[14:15], 0
	s_mov_b64 s[22:23], 0
.LBB80_108:                             ;   in Loop: Header=BB80_12 Depth=1
	s_andn2_b64 s[0:1], s[60:61], exec
	s_and_b64 s[2:3], s[14:15], exec
	s_or_b64 s[60:61], s[0:1], s[2:3]
	s_andn2_b64 s[0:1], s[94:95], exec
	s_and_b64 s[2:3], s[24:25], exec
	s_or_b64 s[94:95], s[0:1], s[2:3]
	;; [unrolled: 3-line block ×3, first 2 shown]
	s_and_saveexec_b64 s[14:15], s[20:21]
	s_cbranch_execz .LBB80_11
; %bb.109:                              ;   in Loop: Header=BB80_12 Depth=1
	s_xor_b64 s[0:1], s[18:19], -1
	s_mov_b64 s[20:21], 0
	s_andn2_b64 vcc, exec, s[0:1]
	s_mov_b32 s35, 1
	s_cbranch_vccnz .LBB80_120
; %bb.110:                              ;   in Loop: Header=BB80_12 Depth=1
	s_cmp_gt_u32 s71, s26
	s_mov_b64 s[20:21], -1
                                        ; implicit-def: $sgpr53
                                        ; implicit-def: $sgpr0
                                        ; implicit-def: $sgpr1
	s_cbranch_scc1 .LBB80_116
; %bb.111:                              ;   in Loop: Header=BB80_12 Depth=1
	ds_read_b32 v2, v23 offset:4104
	s_waitcnt lgkmcnt(0)
	v_cmp_ne_u32_e32 vcc, 0, v2
	s_cbranch_vccnz .LBB80_115
; %bb.112:                              ;   in Loop: Header=BB80_12 Depth=1
	s_mov_b64 s[16:17], exec
	v_readlane_b32 s0, v42, 0
	v_readlane_b32 s1, v42, 1
	s_and_b64 s[0:1], s[16:17], s[0:1]
	s_mov_b64 exec, s[0:1]
	s_cbranch_execz .LBB80_114
; %bb.113:                              ;   in Loop: Header=BB80_12 Depth=1
	v_mov_b32_e32 v2, s26
	ds_write_b32 v23, v2 offset:4108
.LBB80_114:                             ;   in Loop: Header=BB80_12 Depth=1
	s_or_b64 exec, exec, s[16:17]
	s_waitcnt lgkmcnt(0)
	s_barrier
.LBB80_115:                             ;   in Loop: Header=BB80_12 Depth=1
	s_and_b32 s0, s70, s44
	s_or_b32 s1, s13, s51
	s_mov_b64 s[20:21], 0
	s_mov_b32 s53, 8
.LBB80_116:                             ;   in Loop: Header=BB80_12 Depth=1
	s_andn2_b64 vcc, exec, s[20:21]
	s_cbranch_vccnz .LBB80_118
; %bb.117:                              ;   in Loop: Header=BB80_12 Depth=1
	s_sub_i32 s71, s71, s26
	s_mov_b64 s[20:21], -1
	s_mov_b32 s53, 0
	s_mov_b32 s0, s70
	;; [unrolled: 1-line block ×3, first 2 shown]
.LBB80_118:                             ;   in Loop: Header=BB80_12 Depth=1
	s_mov_b32 s13, s1
	s_mov_b32 s70, s0
	s_mov_b32 s35, s71
	s_mov_b64 s[16:17], -1
	s_and_b64 vcc, exec, s[20:21]
	s_cbranch_vccnz .LBB80_121
.LBB80_119:                             ;   in Loop: Header=BB80_12 Depth=1
	s_mov_b64 s[30:31], -1
                                        ; implicit-def: $sgpr18_sgpr19
                                        ; implicit-def: $sgpr22_sgpr23
                                        ; implicit-def: $sgpr20_sgpr21
                                        ; implicit-def: $sgpr71
	s_and_saveexec_b64 s[0:1], s[30:31]
	s_xor_b64 s[24:25], exec, s[0:1]
	s_cbranch_execz .LBB80_10
	s_branch .LBB80_244
.LBB80_120:                             ;   in Loop: Header=BB80_12 Depth=1
	s_mov_b32 s53, 1
	s_mov_b64 s[16:17], -1
	s_and_b64 vcc, exec, s[20:21]
	s_cbranch_vccz .LBB80_119
.LBB80_121:                             ;   in Loop: Header=BB80_12 Depth=1
	s_cmp_eq_u32 s34, 1
	s_cselect_b64 s[0:1], -1, 0
	s_cmp_eq_u32 s35, 1
	s_cselect_b64 s[2:3], -1, 0
	s_and_b64 s[26:27], s[0:1], s[2:3]
	s_mov_b64 s[28:29], -1
	s_and_b64 vcc, exec, s[26:27]
	s_cbranch_vccz .LBB80_133
; %bb.122:                              ;   in Loop: Header=BB80_12 Depth=1
	ds_read_b32 v2, v23 offset:4104
	s_waitcnt lgkmcnt(0)
	s_barrier
	v_readfirstlane_b32 s0, v2
	s_and_saveexec_b64 s[18:19], s[6:7]
	s_cbranch_execz .LBB80_124
; %bb.123:                              ;   in Loop: Header=BB80_12 Depth=1
	ds_write_b8 v0, v23 offset:3072
.LBB80_124:                             ;   in Loop: Header=BB80_12 Depth=1
	s_or_b64 exec, exec, s[18:19]
	s_lshl_b32 s1, 1, s43
	s_and_b32 s2, s70, s44
	s_or_b32 s70, s2, s1
	s_or_b32 s13, s13, s51
	s_cmp_eq_u32 s0, 0
	s_waitcnt lgkmcnt(0)
	s_barrier
	s_cbranch_scc1 .LBB80_134
; %bb.125:                              ;   in Loop: Header=BB80_12 Depth=1
	v_readlane_b32 s1, v42, 11
	s_add_i32 s1, s0, s1
	v_readlane_b32 s2, v42, 28
	s_mul_hi_u32 s2, s1, s2
	s_mul_i32 s2, s2, s59
	s_sub_i32 s2, s1, s2
	s_sub_i32 s3, s2, s59
	s_cmp_ge_u32 s2, s59
	s_cselect_b32 s2, s3, s2
	s_sub_i32 s3, s2, s59
	s_cmp_ge_u32 s2, s59
	s_cselect_b32 s2, s3, s2
	s_sub_i32 s1, s1, s2
	v_cmp_gt_u32_e32 vcc, s1, v0
	s_mov_b64 s[28:29], 0
                                        ; implicit-def: $vgpr25
	s_and_saveexec_b64 s[18:19], vcc
	s_cbranch_execz .LBB80_136
; %bb.126:                              ;   in Loop: Header=BB80_12 Depth=1
	s_mov_b64 s[20:21], 0
	v_mov_b32_e32 v2, v0
                                        ; implicit-def: $sgpr22_sgpr23
	s_branch .LBB80_128
.LBB80_127:                             ;   in Loop: Header=BB80_128 Depth=2
	s_or_b64 exec, exec, s[24:25]
	s_waitcnt lgkmcnt(0)
	s_barrier
	ds_read_u16 v3, v23 offset:3072
	v_add_u32_e32 v2, s59, v2
	v_cmp_le_u32_e32 vcc, s1, v2
	s_waitcnt lgkmcnt(0)
	s_barrier
	v_cmp_ne_u16_sdwa s[2:3], v3, v23 src0_sel:BYTE_0 src1_sel:DWORD
	s_or_b64 s[24:25], vcc, s[2:3]
	s_and_b64 s[24:25], exec, s[24:25]
	s_or_b64 s[20:21], s[24:25], s[20:21]
	s_andn2_b64 s[22:23], s[22:23], exec
	s_and_b64 s[2:3], s[2:3], exec
	s_or_b64 s[22:23], s[22:23], s[2:3]
	s_andn2_b64 exec, exec, s[20:21]
	s_cbranch_execz .LBB80_135
.LBB80_128:                             ;   Parent Loop BB80_12 Depth=1
                                        ; =>  This Inner Loop Header: Depth=2
	v_cmp_gt_u32_e32 vcc, s0, v2
	v_mov_b32_e32 v3, 0
	s_and_saveexec_b64 s[24:25], vcc
	s_cbranch_execz .LBB80_130
; %bb.129:                              ;   in Loop: Header=BB80_128 Depth=2
	ds_read_u8 v3, v2
.LBB80_130:                             ;   in Loop: Header=BB80_128 Depth=2
	s_or_b64 exec, exec, s[24:25]
	s_and_saveexec_b64 s[24:25], vcc
	s_cbranch_execz .LBB80_127
; %bb.131:                              ;   in Loop: Header=BB80_128 Depth=2
	s_waitcnt lgkmcnt(0)
	v_add_u32_sdwa v4, sext(v3), s76 dst_sel:DWORD dst_unused:UNUSED_PAD src0_sel:BYTE_0 src1_sel:DWORD
	v_and_b32_e32 v4, s13, v4
	v_cmp_eq_u32_e32 vcc, s70, v4
	s_and_b64 exec, exec, vcc
	s_cbranch_execz .LBB80_127
; %bb.132:                              ;   in Loop: Header=BB80_128 Depth=2
	v_lshlrev_b16_e32 v3, 8, v3
	v_or_b32_e32 v3, 1, v3
	ds_write_b16 v23, v3 offset:3072
	s_branch .LBB80_127
.LBB80_133:                             ;   in Loop: Header=BB80_12 Depth=1
                                        ; implicit-def: $sgpr20_sgpr21
                                        ; implicit-def: $sgpr22_sgpr23
                                        ; implicit-def: $sgpr18_sgpr19
	s_branch .LBB80_147
.LBB80_134:                             ;   in Loop: Header=BB80_12 Depth=1
	s_mov_b64 s[20:21], -1
	s_mov_b64 s[28:29], 0
                                        ; implicit-def: $sgpr18_sgpr19
                                        ; implicit-def: $vgpr25
	s_mov_b64 s[22:23], s[20:21]
	s_cbranch_execnz .LBB80_137
	s_branch .LBB80_147
.LBB80_135:                             ;   in Loop: Header=BB80_12 Depth=1
	s_or_b64 exec, exec, s[20:21]
	v_lshrrev_b16_e32 v25, 8, v3
	s_and_b64 s[28:29], s[22:23], exec
.LBB80_136:                             ;   in Loop: Header=BB80_12 Depth=1
	s_or_b64 exec, exec, s[18:19]
	s_mov_b64 s[18:19], -1
	s_mov_b64 s[20:21], 0
	s_mov_b64 s[22:23], s[20:21]
	s_branch .LBB80_147
.LBB80_137:                             ;   in Loop: Header=BB80_12 Depth=1
	s_mov_b64 s[28:29], 0
                                        ; implicit-def: $vgpr25
	s_mov_b64 s[18:19], exec
	v_readlane_b32 s0, v42, 29
	v_readlane_b32 s1, v42, 30
	s_and_b64 s[0:1], s[18:19], s[0:1]
	s_mov_b64 exec, s[0:1]
	s_cbranch_execz .LBB80_146
; %bb.138:                              ;   in Loop: Header=BB80_12 Depth=1
	s_mov_b64 s[20:21], 0
	v_mov_b32_e32 v2, v9
	v_mov_b32_e32 v3, v0
                                        ; implicit-def: $sgpr22_sgpr23
	s_branch .LBB80_140
.LBB80_139:                             ;   in Loop: Header=BB80_140 Depth=2
	s_or_b64 exec, exec, s[24:25]
	s_waitcnt lgkmcnt(0)
	s_barrier
	s_waitcnt vmcnt(0)
	ds_read_u16 v4, v23 offset:3072
	v_add_u32_e32 v3, s59, v3
	v_cmp_le_u32_e32 vcc, s74, v3
	v_add_u32_e32 v2, s81, v2
	s_waitcnt lgkmcnt(0)
	v_cmp_ne_u16_sdwa s[0:1], v4, v23 src0_sel:BYTE_0 src1_sel:DWORD
	s_or_b64 s[2:3], vcc, s[0:1]
	s_and_b64 s[2:3], exec, s[2:3]
	s_or_b64 s[20:21], s[2:3], s[20:21]
	s_andn2_b64 s[2:3], s[22:23], exec
	s_and_b64 s[0:1], s[0:1], exec
	s_or_b64 s[22:23], s[2:3], s[0:1]
	s_barrier
	s_andn2_b64 exec, exec, s[20:21]
	s_cbranch_execz .LBB80_145
.LBB80_140:                             ;   Parent Loop BB80_12 Depth=1
                                        ; =>  This Inner Loop Header: Depth=2
	v_cmp_gt_u32_e32 vcc, s56, v3
	v_mov_b32_e32 v4, 0
	s_and_saveexec_b64 s[24:25], vcc
	s_cbranch_execz .LBB80_142
; %bb.141:                              ;   in Loop: Header=BB80_140 Depth=2
	global_load_ubyte v4, v2, s[62:63]
.LBB80_142:                             ;   in Loop: Header=BB80_140 Depth=2
	s_or_b64 exec, exec, s[24:25]
	s_and_saveexec_b64 s[24:25], vcc
	s_cbranch_execz .LBB80_139
; %bb.143:                              ;   in Loop: Header=BB80_140 Depth=2
	s_waitcnt vmcnt(0)
	v_add_u32_sdwa v5, sext(v4), s76 dst_sel:DWORD dst_unused:UNUSED_PAD src0_sel:BYTE_0 src1_sel:DWORD
	v_and_b32_e32 v5, s13, v5
	v_cmp_eq_u32_e32 vcc, s70, v5
	s_and_b64 exec, exec, vcc
	s_cbranch_execz .LBB80_139
; %bb.144:                              ;   in Loop: Header=BB80_140 Depth=2
	v_lshlrev_b16_e32 v4, 8, v4
	v_or_b32_e32 v4, 1, v4
	ds_write_b16 v23, v4 offset:3072
	s_branch .LBB80_139
.LBB80_145:                             ;   in Loop: Header=BB80_12 Depth=1
	s_or_b64 exec, exec, s[20:21]
	v_lshrrev_b16_e32 v25, 8, v4
	s_and_b64 s[28:29], s[22:23], exec
.LBB80_146:                             ;   in Loop: Header=BB80_12 Depth=1
	s_or_b64 exec, exec, s[18:19]
	s_mov_b64 s[22:23], -1
	s_mov_b64 s[20:21], 0
	s_mov_b64 s[18:19], 0
.LBB80_147:                             ;   in Loop: Header=BB80_12 Depth=1
	s_mov_b64 s[30:31], 0
                                        ; implicit-def: $sgpr53
	s_and_saveexec_b64 s[24:25], s[28:29]
	s_cbranch_execz .LBB80_243
; %bb.148:                              ;   in Loop: Header=BB80_12 Depth=1
	s_xor_b64 s[0:1], s[26:27], -1
	s_mov_b64 s[28:29], 0
	s_andn2_b64 vcc, exec, s[0:1]
	s_mov_b32 s45, 1
	s_cbranch_vccnz .LBB80_159
; %bb.149:                              ;   in Loop: Header=BB80_12 Depth=1
	s_cmp_gt_u32 s35, s34
	s_mov_b64 s[28:29], -1
                                        ; implicit-def: $sgpr53
                                        ; implicit-def: $sgpr0
                                        ; implicit-def: $sgpr1
	s_cbranch_scc1 .LBB80_155
; %bb.150:                              ;   in Loop: Header=BB80_12 Depth=1
	ds_read_b32 v2, v23 offset:4104
	s_waitcnt lgkmcnt(0)
	v_cmp_ne_u32_e32 vcc, 0, v2
	s_cbranch_vccnz .LBB80_154
; %bb.151:                              ;   in Loop: Header=BB80_12 Depth=1
	s_mov_b64 s[26:27], exec
	v_readlane_b32 s0, v42, 0
	v_readlane_b32 s1, v42, 1
	s_and_b64 s[0:1], s[26:27], s[0:1]
	s_mov_b64 exec, s[0:1]
	s_cbranch_execz .LBB80_153
; %bb.152:                              ;   in Loop: Header=BB80_12 Depth=1
	v_mov_b32_e32 v2, s34
	ds_write_b32 v23, v2 offset:4108
.LBB80_153:                             ;   in Loop: Header=BB80_12 Depth=1
	s_or_b64 exec, exec, s[26:27]
	s_waitcnt lgkmcnt(0)
	s_barrier
.LBB80_154:                             ;   in Loop: Header=BB80_12 Depth=1
	s_lshl_b32 s0, 1, s43
	s_and_b32 s1, s70, s44
	s_or_b32 s0, s1, s0
	s_or_b32 s1, s13, s51
	s_mov_b64 s[28:29], 0
	s_mov_b32 s53, 8
.LBB80_155:                             ;   in Loop: Header=BB80_12 Depth=1
	s_andn2_b64 vcc, exec, s[28:29]
	s_cbranch_vccnz .LBB80_157
; %bb.156:                              ;   in Loop: Header=BB80_12 Depth=1
	s_sub_i32 s35, s35, s34
	s_mov_b64 s[28:29], -1
	s_mov_b32 s53, 0
	s_mov_b32 s0, s70
	;; [unrolled: 1-line block ×3, first 2 shown]
.LBB80_157:                             ;   in Loop: Header=BB80_12 Depth=1
	s_mov_b32 s13, s1
	s_mov_b32 s70, s0
	;; [unrolled: 1-line block ×3, first 2 shown]
	s_andn2_b64 vcc, exec, s[28:29]
	s_mov_b64 s[40:41], -1
	s_cbranch_vccz .LBB80_160
.LBB80_158:                             ;   in Loop: Header=BB80_12 Depth=1
                                        ; implicit-def: $sgpr28_sgpr29
                                        ; implicit-def: $sgpr30_sgpr31
                                        ; implicit-def: $sgpr26_sgpr27
	s_branch .LBB80_242
.LBB80_159:                             ;   in Loop: Header=BB80_12 Depth=1
	s_mov_b32 s53, 1
	s_andn2_b64 vcc, exec, s[28:29]
	s_mov_b64 s[40:41], -1
	s_cbranch_vccnz .LBB80_158
.LBB80_160:                             ;   in Loop: Header=BB80_12 Depth=1
	s_cmp_eq_u32 s42, 1
	s_cselect_b64 s[0:1], -1, 0
	s_cmp_eq_u32 s45, 1
	s_cselect_b64 s[2:3], -1, 0
	s_and_b64 s[36:37], s[0:1], s[2:3]
	s_mov_b64 s[38:39], -1
	s_and_b64 vcc, exec, s[36:37]
	s_cbranch_vccz .LBB80_172
; %bb.161:                              ;   in Loop: Header=BB80_12 Depth=1
	ds_read_b32 v2, v23 offset:4104
	s_waitcnt lgkmcnt(0)
	s_barrier
	v_readfirstlane_b32 s0, v2
	s_and_saveexec_b64 s[26:27], s[6:7]
	s_cbranch_execz .LBB80_163
; %bb.162:                              ;   in Loop: Header=BB80_12 Depth=1
	ds_write_b8 v0, v23 offset:3072
.LBB80_163:                             ;   in Loop: Header=BB80_12 Depth=1
	s_or_b64 exec, exec, s[26:27]
	s_lshl_b32 s1, 2, s43
	s_and_b32 s2, s70, s44
	s_or_b32 s70, s2, s1
	s_or_b32 s13, s13, s51
	s_cmp_eq_u32 s0, 0
	s_waitcnt lgkmcnt(0)
	s_barrier
	s_cbranch_scc1 .LBB80_173
; %bb.164:                              ;   in Loop: Header=BB80_12 Depth=1
	v_readlane_b32 s1, v42, 11
	s_add_i32 s1, s0, s1
	v_readlane_b32 s2, v42, 28
	s_mul_hi_u32 s2, s1, s2
	s_mul_i32 s2, s2, s59
	s_sub_i32 s2, s1, s2
	s_sub_i32 s3, s2, s59
	s_cmp_ge_u32 s2, s59
	s_cselect_b32 s2, s3, s2
	s_sub_i32 s3, s2, s59
	s_cmp_ge_u32 s2, s59
	s_cselect_b32 s2, s3, s2
	s_sub_i32 s1, s1, s2
	v_cmp_gt_u32_e32 vcc, s1, v0
	s_mov_b64 s[38:39], 0
                                        ; implicit-def: $vgpr25
	s_and_saveexec_b64 s[26:27], vcc
	s_cbranch_execz .LBB80_175
; %bb.165:                              ;   in Loop: Header=BB80_12 Depth=1
	s_mov_b64 s[28:29], 0
	v_mov_b32_e32 v2, v0
                                        ; implicit-def: $sgpr30_sgpr31
	s_branch .LBB80_167
.LBB80_166:                             ;   in Loop: Header=BB80_167 Depth=2
	s_or_b64 exec, exec, s[34:35]
	s_waitcnt lgkmcnt(0)
	s_barrier
	ds_read_u16 v3, v23 offset:3072
	v_add_u32_e32 v2, s59, v2
	v_cmp_le_u32_e32 vcc, s1, v2
	s_waitcnt lgkmcnt(0)
	s_barrier
	v_cmp_ne_u16_sdwa s[2:3], v3, v23 src0_sel:BYTE_0 src1_sel:DWORD
	s_or_b64 s[34:35], vcc, s[2:3]
	s_and_b64 s[34:35], exec, s[34:35]
	s_or_b64 s[28:29], s[34:35], s[28:29]
	s_andn2_b64 s[30:31], s[30:31], exec
	s_and_b64 s[2:3], s[2:3], exec
	s_or_b64 s[30:31], s[30:31], s[2:3]
	s_andn2_b64 exec, exec, s[28:29]
	s_cbranch_execz .LBB80_174
.LBB80_167:                             ;   Parent Loop BB80_12 Depth=1
                                        ; =>  This Inner Loop Header: Depth=2
	v_cmp_gt_u32_e32 vcc, s0, v2
	v_mov_b32_e32 v3, 0
	s_and_saveexec_b64 s[34:35], vcc
	s_cbranch_execz .LBB80_169
; %bb.168:                              ;   in Loop: Header=BB80_167 Depth=2
	ds_read_u8 v3, v2
.LBB80_169:                             ;   in Loop: Header=BB80_167 Depth=2
	s_or_b64 exec, exec, s[34:35]
	s_and_saveexec_b64 s[34:35], vcc
	s_cbranch_execz .LBB80_166
; %bb.170:                              ;   in Loop: Header=BB80_167 Depth=2
	s_waitcnt lgkmcnt(0)
	v_add_u32_sdwa v4, sext(v3), s76 dst_sel:DWORD dst_unused:UNUSED_PAD src0_sel:BYTE_0 src1_sel:DWORD
	v_and_b32_e32 v4, s13, v4
	v_cmp_eq_u32_e32 vcc, s70, v4
	s_and_b64 exec, exec, vcc
	s_cbranch_execz .LBB80_166
; %bb.171:                              ;   in Loop: Header=BB80_167 Depth=2
	v_lshlrev_b16_e32 v3, 8, v3
	v_or_b32_e32 v3, 1, v3
	ds_write_b16 v23, v3 offset:3072
	s_branch .LBB80_166
.LBB80_172:                             ;   in Loop: Header=BB80_12 Depth=1
                                        ; implicit-def: $sgpr26_sgpr27
                                        ; implicit-def: $sgpr30_sgpr31
                                        ; implicit-def: $sgpr28_sgpr29
	s_branch .LBB80_186
.LBB80_173:                             ;   in Loop: Header=BB80_12 Depth=1
	s_mov_b64 s[26:27], -1
	s_mov_b64 s[38:39], 0
                                        ; implicit-def: $sgpr28_sgpr29
                                        ; implicit-def: $vgpr25
	s_mov_b64 s[30:31], s[26:27]
	s_cbranch_execnz .LBB80_176
	s_branch .LBB80_186
.LBB80_174:                             ;   in Loop: Header=BB80_12 Depth=1
	s_or_b64 exec, exec, s[28:29]
	v_lshrrev_b16_e32 v25, 8, v3
	s_and_b64 s[38:39], s[30:31], exec
.LBB80_175:                             ;   in Loop: Header=BB80_12 Depth=1
	s_or_b64 exec, exec, s[26:27]
	s_mov_b64 s[28:29], -1
	s_mov_b64 s[26:27], 0
	s_mov_b64 s[30:31], s[26:27]
	s_branch .LBB80_186
.LBB80_176:                             ;   in Loop: Header=BB80_12 Depth=1
	s_mov_b64 s[38:39], 0
                                        ; implicit-def: $vgpr25
	s_mov_b64 s[26:27], exec
	v_readlane_b32 s0, v42, 29
	v_readlane_b32 s1, v42, 30
	s_and_b64 s[0:1], s[26:27], s[0:1]
	s_mov_b64 exec, s[0:1]
	s_cbranch_execz .LBB80_185
; %bb.177:                              ;   in Loop: Header=BB80_12 Depth=1
	s_mov_b64 s[28:29], 0
	v_mov_b32_e32 v2, v9
	v_mov_b32_e32 v3, v0
                                        ; implicit-def: $sgpr30_sgpr31
	s_branch .LBB80_179
.LBB80_178:                             ;   in Loop: Header=BB80_179 Depth=2
	s_or_b64 exec, exec, s[34:35]
	s_waitcnt lgkmcnt(0)
	s_barrier
	s_waitcnt vmcnt(0)
	ds_read_u16 v4, v23 offset:3072
	v_add_u32_e32 v3, s59, v3
	v_cmp_le_u32_e32 vcc, s74, v3
	v_add_u32_e32 v2, s81, v2
	s_waitcnt lgkmcnt(0)
	v_cmp_ne_u16_sdwa s[0:1], v4, v23 src0_sel:BYTE_0 src1_sel:DWORD
	s_or_b64 s[2:3], vcc, s[0:1]
	s_and_b64 s[2:3], exec, s[2:3]
	s_or_b64 s[28:29], s[2:3], s[28:29]
	s_andn2_b64 s[2:3], s[30:31], exec
	s_and_b64 s[0:1], s[0:1], exec
	s_or_b64 s[30:31], s[2:3], s[0:1]
	s_barrier
	s_andn2_b64 exec, exec, s[28:29]
	s_cbranch_execz .LBB80_184
.LBB80_179:                             ;   Parent Loop BB80_12 Depth=1
                                        ; =>  This Inner Loop Header: Depth=2
	v_cmp_gt_u32_e32 vcc, s56, v3
	v_mov_b32_e32 v4, 0
	s_and_saveexec_b64 s[34:35], vcc
	s_cbranch_execz .LBB80_181
; %bb.180:                              ;   in Loop: Header=BB80_179 Depth=2
	global_load_ubyte v4, v2, s[62:63]
.LBB80_181:                             ;   in Loop: Header=BB80_179 Depth=2
	s_or_b64 exec, exec, s[34:35]
	s_and_saveexec_b64 s[34:35], vcc
	s_cbranch_execz .LBB80_178
; %bb.182:                              ;   in Loop: Header=BB80_179 Depth=2
	s_waitcnt vmcnt(0)
	v_add_u32_sdwa v5, sext(v4), s76 dst_sel:DWORD dst_unused:UNUSED_PAD src0_sel:BYTE_0 src1_sel:DWORD
	v_and_b32_e32 v5, s13, v5
	v_cmp_eq_u32_e32 vcc, s70, v5
	s_and_b64 exec, exec, vcc
	s_cbranch_execz .LBB80_178
; %bb.183:                              ;   in Loop: Header=BB80_179 Depth=2
	v_lshlrev_b16_e32 v4, 8, v4
	v_or_b32_e32 v4, 1, v4
	ds_write_b16 v23, v4 offset:3072
	s_branch .LBB80_178
.LBB80_184:                             ;   in Loop: Header=BB80_12 Depth=1
	s_or_b64 exec, exec, s[28:29]
	v_lshrrev_b16_e32 v25, 8, v4
	s_and_b64 s[38:39], s[30:31], exec
.LBB80_185:                             ;   in Loop: Header=BB80_12 Depth=1
	s_or_b64 exec, exec, s[26:27]
	s_mov_b64 s[30:31], -1
	s_mov_b64 s[26:27], 0
	s_mov_b64 s[28:29], 0
.LBB80_186:                             ;   in Loop: Header=BB80_12 Depth=1
	s_mov_b64 s[40:41], 0
                                        ; implicit-def: $sgpr53
	s_and_saveexec_b64 s[34:35], s[38:39]
	s_cbranch_execz .LBB80_241
; %bb.187:                              ;   in Loop: Header=BB80_12 Depth=1
	s_xor_b64 s[0:1], s[36:37], -1
	s_mov_b64 s[38:39], 0
	s_andn2_b64 vcc, exec, s[0:1]
	s_mov_b32 s52, 1
	s_cbranch_vccnz .LBB80_198
; %bb.188:                              ;   in Loop: Header=BB80_12 Depth=1
	s_cmp_gt_u32 s45, s42
	s_mov_b64 s[38:39], -1
                                        ; implicit-def: $sgpr53
                                        ; implicit-def: $sgpr0
                                        ; implicit-def: $sgpr1
	s_cbranch_scc1 .LBB80_194
; %bb.189:                              ;   in Loop: Header=BB80_12 Depth=1
	ds_read_b32 v2, v23 offset:4104
	s_waitcnt lgkmcnt(0)
	v_cmp_ne_u32_e32 vcc, 0, v2
	s_cbranch_vccnz .LBB80_193
; %bb.190:                              ;   in Loop: Header=BB80_12 Depth=1
	s_mov_b64 s[36:37], exec
	v_readlane_b32 s0, v42, 0
	v_readlane_b32 s1, v42, 1
	s_and_b64 s[0:1], s[36:37], s[0:1]
	s_mov_b64 exec, s[0:1]
	s_cbranch_execz .LBB80_192
; %bb.191:                              ;   in Loop: Header=BB80_12 Depth=1
	v_mov_b32_e32 v2, s42
	ds_write_b32 v23, v2 offset:4108
.LBB80_192:                             ;   in Loop: Header=BB80_12 Depth=1
	s_or_b64 exec, exec, s[36:37]
	s_waitcnt lgkmcnt(0)
	s_barrier
.LBB80_193:                             ;   in Loop: Header=BB80_12 Depth=1
	s_lshl_b32 s0, 2, s43
	s_and_b32 s1, s70, s44
	s_or_b32 s0, s1, s0
	s_or_b32 s1, s13, s51
	s_mov_b64 s[38:39], 0
	s_mov_b32 s53, 8
.LBB80_194:                             ;   in Loop: Header=BB80_12 Depth=1
	s_andn2_b64 vcc, exec, s[38:39]
	s_cbranch_vccnz .LBB80_196
; %bb.195:                              ;   in Loop: Header=BB80_12 Depth=1
	s_sub_i32 s45, s45, s42
	s_mov_b64 s[38:39], -1
	s_mov_b32 s53, 0
	s_mov_b32 s0, s70
	;; [unrolled: 1-line block ×3, first 2 shown]
.LBB80_196:                             ;   in Loop: Header=BB80_12 Depth=1
	s_mov_b32 s13, s1
	s_mov_b32 s70, s0
	;; [unrolled: 1-line block ×3, first 2 shown]
	s_andn2_b64 vcc, exec, s[38:39]
	s_mov_b64 s[48:49], -1
	s_cbranch_vccz .LBB80_199
.LBB80_197:                             ;   in Loop: Header=BB80_12 Depth=1
                                        ; implicit-def: $sgpr38_sgpr39
                                        ; implicit-def: $sgpr42_sgpr43
                                        ; implicit-def: $sgpr40_sgpr41
	s_branch .LBB80_240
.LBB80_198:                             ;   in Loop: Header=BB80_12 Depth=1
	s_mov_b32 s53, 1
	s_andn2_b64 vcc, exec, s[38:39]
	s_mov_b64 s[48:49], -1
	s_cbranch_vccnz .LBB80_197
.LBB80_199:                             ;   in Loop: Header=BB80_12 Depth=1
	s_cmp_eq_u32 s50, 1
	s_cselect_b64 s[0:1], -1, 0
	s_cmp_eq_u32 s52, 1
	s_cselect_b64 s[2:3], -1, 0
	s_and_b64 s[36:37], s[0:1], s[2:3]
	s_mov_b64 s[44:45], -1
	s_and_b64 vcc, exec, s[36:37]
	s_cbranch_vccz .LBB80_211
; %bb.200:                              ;   in Loop: Header=BB80_12 Depth=1
	ds_read_b32 v2, v23 offset:4104
	s_waitcnt lgkmcnt(0)
	s_barrier
	v_readfirstlane_b32 s0, v2
	s_and_saveexec_b64 s[38:39], s[6:7]
	s_cbranch_execz .LBB80_202
; %bb.201:                              ;   in Loop: Header=BB80_12 Depth=1
	ds_write_b8 v0, v23 offset:3072
.LBB80_202:                             ;   in Loop: Header=BB80_12 Depth=1
	s_or_b64 exec, exec, s[38:39]
	s_or_b32 s70, s70, s51
	s_or_b32 s13, s13, s51
	s_cmp_eq_u32 s0, 0
	s_waitcnt lgkmcnt(0)
	s_barrier
	s_cbranch_scc1 .LBB80_212
; %bb.203:                              ;   in Loop: Header=BB80_12 Depth=1
	v_readlane_b32 s1, v42, 11
	s_add_i32 s1, s0, s1
	v_readlane_b32 s2, v42, 28
	s_mul_hi_u32 s2, s1, s2
	s_mul_i32 s2, s2, s59
	s_sub_i32 s2, s1, s2
	s_sub_i32 s3, s2, s59
	s_cmp_ge_u32 s2, s59
	s_cselect_b32 s2, s3, s2
	s_sub_i32 s3, s2, s59
	s_cmp_ge_u32 s2, s59
	s_cselect_b32 s2, s3, s2
	s_sub_i32 s1, s1, s2
	v_cmp_gt_u32_e32 vcc, s1, v0
	s_mov_b64 s[44:45], 0
                                        ; implicit-def: $vgpr25
	s_and_saveexec_b64 s[38:39], vcc
	s_cbranch_execz .LBB80_214
; %bb.204:                              ;   in Loop: Header=BB80_12 Depth=1
	v_mov_b32_e32 v2, v0
                                        ; implicit-def: $sgpr42_sgpr43
	s_branch .LBB80_206
.LBB80_205:                             ;   in Loop: Header=BB80_206 Depth=2
	s_or_b64 exec, exec, s[44:45]
	s_waitcnt lgkmcnt(0)
	s_barrier
	ds_read_u16 v3, v23 offset:3072
	v_add_u32_e32 v2, s59, v2
	v_cmp_le_u32_e32 vcc, s1, v2
	s_waitcnt lgkmcnt(0)
	s_barrier
	v_cmp_ne_u16_sdwa s[2:3], v3, v23 src0_sel:BYTE_0 src1_sel:DWORD
	s_or_b64 s[44:45], vcc, s[2:3]
	s_and_b64 s[44:45], exec, s[44:45]
	s_or_b64 s[40:41], s[44:45], s[40:41]
	s_andn2_b64 s[42:43], s[42:43], exec
	s_and_b64 s[2:3], s[2:3], exec
	s_or_b64 s[42:43], s[42:43], s[2:3]
	s_andn2_b64 exec, exec, s[40:41]
	s_cbranch_execz .LBB80_213
.LBB80_206:                             ;   Parent Loop BB80_12 Depth=1
                                        ; =>  This Inner Loop Header: Depth=2
	v_cmp_gt_u32_e32 vcc, s0, v2
	v_mov_b32_e32 v3, 0
	s_and_saveexec_b64 s[44:45], vcc
	s_cbranch_execz .LBB80_208
; %bb.207:                              ;   in Loop: Header=BB80_206 Depth=2
	ds_read_u8 v3, v2
.LBB80_208:                             ;   in Loop: Header=BB80_206 Depth=2
	s_or_b64 exec, exec, s[44:45]
	s_and_saveexec_b64 s[44:45], vcc
	s_cbranch_execz .LBB80_205
; %bb.209:                              ;   in Loop: Header=BB80_206 Depth=2
	s_waitcnt lgkmcnt(0)
	v_add_u32_sdwa v4, sext(v3), s76 dst_sel:DWORD dst_unused:UNUSED_PAD src0_sel:BYTE_0 src1_sel:DWORD
	v_and_b32_e32 v4, s13, v4
	v_cmp_eq_u32_e32 vcc, s70, v4
	s_and_b64 exec, exec, vcc
	s_cbranch_execz .LBB80_205
; %bb.210:                              ;   in Loop: Header=BB80_206 Depth=2
	v_lshlrev_b16_e32 v3, 8, v3
	v_or_b32_e32 v3, 1, v3
	ds_write_b16 v23, v3 offset:3072
	s_branch .LBB80_205
.LBB80_211:                             ;   in Loop: Header=BB80_12 Depth=1
                                        ; implicit-def: $sgpr38_sgpr39
                                        ; implicit-def: $sgpr42_sgpr43
                                        ; implicit-def: $sgpr40_sgpr41
	s_branch .LBB80_225
.LBB80_212:                             ;   in Loop: Header=BB80_12 Depth=1
	s_mov_b64 s[38:39], -1
	s_mov_b64 s[44:45], 0
                                        ; implicit-def: $sgpr40_sgpr41
                                        ; implicit-def: $vgpr25
	s_mov_b64 s[42:43], s[38:39]
	s_cbranch_execnz .LBB80_215
	s_branch .LBB80_225
.LBB80_213:                             ;   in Loop: Header=BB80_12 Depth=1
	s_or_b64 exec, exec, s[40:41]
	v_lshrrev_b16_e32 v25, 8, v3
	s_and_b64 s[44:45], s[42:43], exec
.LBB80_214:                             ;   in Loop: Header=BB80_12 Depth=1
	s_or_b64 exec, exec, s[38:39]
	s_mov_b64 s[40:41], -1
	s_mov_b64 s[38:39], 0
	s_mov_b64 s[42:43], s[38:39]
	s_branch .LBB80_225
.LBB80_215:                             ;   in Loop: Header=BB80_12 Depth=1
	s_mov_b64 s[44:45], 0
                                        ; implicit-def: $vgpr25
	s_mov_b64 s[38:39], exec
	v_readlane_b32 s0, v42, 29
	v_readlane_b32 s1, v42, 30
	s_and_b64 s[0:1], s[38:39], s[0:1]
	s_mov_b64 exec, s[0:1]
	s_cbranch_execz .LBB80_224
; %bb.216:                              ;   in Loop: Header=BB80_12 Depth=1
	s_mov_b64 s[40:41], 0
	v_mov_b32_e32 v2, v9
	v_mov_b32_e32 v3, v0
                                        ; implicit-def: $sgpr42_sgpr43
	s_branch .LBB80_218
.LBB80_217:                             ;   in Loop: Header=BB80_218 Depth=2
	s_or_b64 exec, exec, s[44:45]
	s_waitcnt lgkmcnt(0)
	s_barrier
	s_waitcnt vmcnt(0)
	ds_read_u16 v4, v23 offset:3072
	v_add_u32_e32 v3, s59, v3
	v_cmp_le_u32_e32 vcc, s74, v3
	v_add_u32_e32 v2, s81, v2
	s_waitcnt lgkmcnt(0)
	v_cmp_ne_u16_sdwa s[0:1], v4, v23 src0_sel:BYTE_0 src1_sel:DWORD
	s_or_b64 s[2:3], vcc, s[0:1]
	s_and_b64 s[2:3], exec, s[2:3]
	s_or_b64 s[40:41], s[2:3], s[40:41]
	s_andn2_b64 s[2:3], s[42:43], exec
	s_and_b64 s[0:1], s[0:1], exec
	s_or_b64 s[42:43], s[2:3], s[0:1]
	s_barrier
	s_andn2_b64 exec, exec, s[40:41]
	s_cbranch_execz .LBB80_223
.LBB80_218:                             ;   Parent Loop BB80_12 Depth=1
                                        ; =>  This Inner Loop Header: Depth=2
	v_cmp_gt_u32_e32 vcc, s56, v3
	v_mov_b32_e32 v4, 0
	s_and_saveexec_b64 s[44:45], vcc
	s_cbranch_execz .LBB80_220
; %bb.219:                              ;   in Loop: Header=BB80_218 Depth=2
	global_load_ubyte v4, v2, s[62:63]
.LBB80_220:                             ;   in Loop: Header=BB80_218 Depth=2
	s_or_b64 exec, exec, s[44:45]
	s_and_saveexec_b64 s[44:45], vcc
	s_cbranch_execz .LBB80_217
; %bb.221:                              ;   in Loop: Header=BB80_218 Depth=2
	s_waitcnt vmcnt(0)
	v_add_u32_sdwa v5, sext(v4), s76 dst_sel:DWORD dst_unused:UNUSED_PAD src0_sel:BYTE_0 src1_sel:DWORD
	v_and_b32_e32 v5, s13, v5
	v_cmp_eq_u32_e32 vcc, s70, v5
	s_and_b64 exec, exec, vcc
	s_cbranch_execz .LBB80_217
; %bb.222:                              ;   in Loop: Header=BB80_218 Depth=2
	v_lshlrev_b16_e32 v4, 8, v4
	v_or_b32_e32 v4, 1, v4
	ds_write_b16 v23, v4 offset:3072
	s_branch .LBB80_217
.LBB80_223:                             ;   in Loop: Header=BB80_12 Depth=1
	s_or_b64 exec, exec, s[40:41]
	v_lshrrev_b16_e32 v25, 8, v4
	s_and_b64 s[44:45], s[42:43], exec
.LBB80_224:                             ;   in Loop: Header=BB80_12 Depth=1
	s_or_b64 exec, exec, s[38:39]
	s_mov_b64 s[42:43], -1
	s_mov_b64 s[38:39], 0
	s_mov_b64 s[40:41], 0
.LBB80_225:                             ;   in Loop: Header=BB80_12 Depth=1
	s_mov_b64 s[48:49], 0
                                        ; implicit-def: $sgpr53
	s_and_saveexec_b64 s[46:47], s[44:45]
	s_cbranch_execz .LBB80_239
; %bb.226:                              ;   in Loop: Header=BB80_12 Depth=1
	s_xor_b64 s[0:1], s[36:37], -1
	s_andn2_b64 vcc, exec, s[0:1]
	s_mov_b32 s53, 1
	s_cbranch_vccnz .LBB80_233
; %bb.227:                              ;   in Loop: Header=BB80_12 Depth=1
	s_cmp_gt_u32 s52, s50
	s_cbranch_scc1 .LBB80_234
; %bb.228:                              ;   in Loop: Header=BB80_12 Depth=1
	ds_read_b32 v2, v23 offset:4104
	s_waitcnt lgkmcnt(0)
	v_cmp_ne_u32_e32 vcc, 0, v2
	s_cbranch_vccnz .LBB80_232
; %bb.229:                              ;   in Loop: Header=BB80_12 Depth=1
	s_mov_b64 s[36:37], exec
	v_readlane_b32 s0, v42, 0
	v_readlane_b32 s1, v42, 1
	s_and_b64 s[0:1], s[36:37], s[0:1]
	s_mov_b64 exec, s[0:1]
	s_cbranch_execz .LBB80_231
; %bb.230:                              ;   in Loop: Header=BB80_12 Depth=1
	v_mov_b32_e32 v2, s50
	ds_write_b32 v23, v2 offset:4108
.LBB80_231:                             ;   in Loop: Header=BB80_12 Depth=1
	s_or_b64 exec, exec, s[36:37]
	s_waitcnt lgkmcnt(0)
	s_barrier
.LBB80_232:                             ;   in Loop: Header=BB80_12 Depth=1
	s_or_b32 s0, s70, s51
	s_or_b32 s1, s13, s51
	s_mov_b64 s[36:37], 0
	s_mov_b32 s53, 8
	s_branch .LBB80_235
.LBB80_233:                             ;   in Loop: Header=BB80_12 Depth=1
	s_mov_b32 s52, 1
	s_branch .LBB80_238
.LBB80_234:                             ;   in Loop: Header=BB80_12 Depth=1
	s_mov_b64 s[36:37], -1
                                        ; implicit-def: $sgpr53
                                        ; implicit-def: $sgpr0
                                        ; implicit-def: $sgpr1
.LBB80_235:                             ;   in Loop: Header=BB80_12 Depth=1
	s_andn2_b64 vcc, exec, s[36:37]
	s_cbranch_vccnz .LBB80_237
; %bb.236:                              ;   in Loop: Header=BB80_12 Depth=1
	s_sub_i32 s52, s52, s50
	s_mov_b32 s53, 8
	s_mov_b32 s0, s70
	;; [unrolled: 1-line block ×3, first 2 shown]
.LBB80_237:                             ;   in Loop: Header=BB80_12 Depth=1
	s_mov_b32 s70, s0
	s_mov_b32 s13, s1
.LBB80_238:                             ;   in Loop: Header=BB80_12 Depth=1
	s_mov_b64 s[48:49], exec
.LBB80_239:                             ;   in Loop: Header=BB80_12 Depth=1
	s_or_b64 exec, exec, s[46:47]
.LBB80_240:                             ;   in Loop: Header=BB80_12 Depth=1
	s_andn2_b64 s[0:1], s[26:27], exec
	s_and_b64 s[2:3], s[38:39], exec
	s_or_b64 s[26:27], s[0:1], s[2:3]
	s_andn2_b64 s[0:1], s[30:31], exec
	s_and_b64 s[2:3], s[42:43], exec
	s_or_b64 s[30:31], s[0:1], s[2:3]
	;; [unrolled: 3-line block ×3, first 2 shown]
	s_and_b64 s[40:41], s[48:49], exec
	s_mov_b32 s45, s52
.LBB80_241:                             ;   in Loop: Header=BB80_12 Depth=1
	s_or_b64 exec, exec, s[34:35]
.LBB80_242:                             ;   in Loop: Header=BB80_12 Depth=1
	s_andn2_b64 s[0:1], s[20:21], exec
	s_and_b64 s[2:3], s[26:27], exec
	s_or_b64 s[20:21], s[0:1], s[2:3]
	s_andn2_b64 s[0:1], s[22:23], exec
	s_and_b64 s[2:3], s[30:31], exec
	s_or_b64 s[22:23], s[0:1], s[2:3]
	;; [unrolled: 3-line block ×3, first 2 shown]
	s_and_b64 s[30:31], s[40:41], exec
	s_mov_b32 s35, s45
.LBB80_243:                             ;   in Loop: Header=BB80_12 Depth=1
	s_or_b64 exec, exec, s[24:25]
                                        ; implicit-def: $sgpr71
	s_and_saveexec_b64 s[0:1], s[30:31]
	s_xor_b64 s[24:25], exec, s[0:1]
	s_cbranch_execz .LBB80_10
.LBB80_244:                             ;   in Loop: Header=BB80_12 Depth=1
	s_and_b32 s0, s53, -9
	s_cmp_eq_u32 s0, 0
	s_cbranch_scc1 .LBB80_8
; %bb.245:                              ;   in Loop: Header=BB80_12 Depth=1
	s_mov_b64 s[16:17], -1
                                        ; implicit-def: $sgpr13
                                        ; implicit-def: $sgpr35
                                        ; implicit-def: $sgpr77
                                        ; implicit-def: $sgpr12
	s_mov_b64 s[26:27], -1
	s_branch .LBB80_9
.LBB80_246:
	s_or_b64 exec, exec, s[84:85]
	s_xor_b64 s[8:9], s[90:91], -1
	s_xor_b64 s[0:1], s[86:87], -1
	s_xor_b64 s[6:7], s[88:89], -1
	s_mov_b64 s[4:5], 0
	s_and_saveexec_b64 s[2:3], s[0:1]
	s_xor_b64 s[0:1], exec, s[2:3]
	s_cbranch_execnz .LBB80_251
; %bb.247:
	s_andn2_saveexec_b64 s[0:1], s[0:1]
	s_cbranch_execnz .LBB80_264
.LBB80_248:
	s_or_b64 exec, exec, s[0:1]
	s_and_saveexec_b64 s[0:1], s[4:5]
.LBB80_249:
	; divergent unreachable
.LBB80_250:
	s_endpgm
.LBB80_251:
	s_and_saveexec_b64 s[2:3], s[8:9]
	s_xor_b64 s[4:5], exec, s[2:3]
	s_cbranch_execz .LBB80_262
; %bb.252:
	s_and_saveexec_b64 s[2:3], s[6:7]
	s_xor_b64 s[6:7], exec, s[2:3]
; %bb.253:
	v_xor_b32_e32 v25, 0xffffff80, v2
; %bb.254:
	s_or_b64 exec, exec, s[6:7]
	v_readlane_b32 s18, v42, 8
	v_readlane_b32 s2, v42, 7
	s_mul_i32 s2, s2, s18
	v_mov_b32_e32 v1, s2
	v_readlane_b32 s2, v42, 4
	v_readlane_b32 s3, v42, 5
	s_nop 4
	global_store_byte v1, v25, s[2:3]
	s_mov_b64 s[6:7], exec
	v_readlane_b32 s2, v42, 9
	v_readlane_b32 s3, v42, 10
	s_and_b64 s[2:3], s[6:7], s[2:3]
	s_mov_b64 exec, s[2:3]
	s_cbranch_execz .LBB80_261
; %bb.255:
	s_mov_b64 s[2:3], 0
                                        ; implicit-def: $sgpr8_sgpr9
                                        ; implicit-def: $sgpr12_sgpr13
                                        ; implicit-def: $sgpr10_sgpr11
	s_branch .LBB80_257
.LBB80_256:                             ;   in Loop: Header=BB80_257 Depth=1
	s_or_b64 exec, exec, s[14:15]
	s_and_b64 s[14:15], exec, s[12:13]
	s_or_b64 s[2:3], s[14:15], s[2:3]
	s_andn2_b64 s[8:9], s[8:9], exec
	s_and_b64 s[14:15], s[10:11], exec
	s_or_b64 s[8:9], s[8:9], s[14:15]
	s_andn2_b64 exec, exec, s[2:3]
	s_cbranch_execz .LBB80_259
.LBB80_257:                             ; =>This Inner Loop Header: Depth=1
	global_load_ubyte v1, v9, s[62:63]
	v_mov_b32_e32 v2, v0
	s_or_b64 s[10:11], s[10:11], exec
	s_or_b64 s[12:13], s[12:13], exec
                                        ; implicit-def: $vgpr0
	s_waitcnt vmcnt(0)
	v_cmp_ne_u16_sdwa s[16:17], v1, v25 src0_sel:DWORD src1_sel:BYTE_0
	s_and_saveexec_b64 s[14:15], s[16:17]
	s_cbranch_execz .LBB80_256
; %bb.258:                              ;   in Loop: Header=BB80_257 Depth=1
	v_add_u32_e32 v0, s59, v2
	v_cmp_le_u32_e32 vcc, s56, v0
	s_andn2_b64 s[12:13], s[12:13], exec
	s_and_b64 s[16:17], vcc, exec
	v_add_u32_e32 v9, s81, v9
	s_andn2_b64 s[10:11], s[10:11], exec
	s_or_b64 s[12:13], s[12:13], s[16:17]
	s_branch .LBB80_256
.LBB80_259:
	s_or_b64 exec, exec, s[2:3]
	s_and_saveexec_b64 s[2:3], s[8:9]
	s_xor_b64 s[2:3], exec, s[2:3]
	s_cbranch_execz .LBB80_261
; %bb.260:
	v_readlane_b32 s2, v42, 6
	s_mul_i32 s2, s2, s18
	s_mov_b32 s3, 0
	s_lshl_b64 s[2:3], s[2:3], 3
	v_readlane_b32 s8, v42, 2
	v_readlane_b32 s9, v42, 3
	s_add_u32 s2, s8, s2
	s_addc_u32 s3, s9, s3
	v_mov_b32_e32 v3, 0
	global_store_dwordx2 v3, v[2:3], s[2:3]
.LBB80_261:
	s_or_b64 exec, exec, s[6:7]
.LBB80_262:
	s_or_saveexec_b64 s[2:3], s[4:5]
	s_mov_b64 s[4:5], 0
	s_xor_b64 exec, exec, s[2:3]
	s_cbranch_execnz .LBB80_265
.LBB80_263:
	s_or_b64 exec, exec, s[2:3]
	s_and_b64 s[4:5], s[4:5], exec
	s_andn2_saveexec_b64 s[0:1], s[0:1]
	s_cbranch_execz .LBB80_248
.LBB80_264:
	s_or_b64 s[4:5], s[4:5], exec
	s_trap 2
	s_or_b64 exec, exec, s[0:1]
	s_and_saveexec_b64 s[0:1], s[4:5]
	s_cbranch_execnz .LBB80_249
	s_branch .LBB80_250
.LBB80_265:
	s_mov_b64 s[4:5], exec
	s_trap 2
	s_branch .LBB80_263
	.section	.rodata,"a",@progbits
	.p2align	6, 0x0
	.amdhsa_kernel _ZN2at6native12_GLOBAL__N_112gatherMedianIajLi1EEEvNS_4cuda6detail10TensorInfoIT_T0_EENS5_IlS7_EENS5_IKS6_S7_EES7_S7_S7_b
		.amdhsa_group_segment_fixed_size 4120
		.amdhsa_private_segment_fixed_size 0
		.amdhsa_kernarg_size 920
		.amdhsa_user_sgpr_count 6
		.amdhsa_user_sgpr_private_segment_buffer 1
		.amdhsa_user_sgpr_dispatch_ptr 0
		.amdhsa_user_sgpr_queue_ptr 0
		.amdhsa_user_sgpr_kernarg_segment_ptr 1
		.amdhsa_user_sgpr_dispatch_id 0
		.amdhsa_user_sgpr_flat_scratch_init 0
		.amdhsa_user_sgpr_kernarg_preload_length 0
		.amdhsa_user_sgpr_kernarg_preload_offset 0
		.amdhsa_user_sgpr_private_segment_size 0
		.amdhsa_uses_dynamic_stack 0
		.amdhsa_system_sgpr_private_segment_wavefront_offset 0
		.amdhsa_system_sgpr_workgroup_id_x 1
		.amdhsa_system_sgpr_workgroup_id_y 1
		.amdhsa_system_sgpr_workgroup_id_z 1
		.amdhsa_system_sgpr_workgroup_info 0
		.amdhsa_system_vgpr_workitem_id 0
		.amdhsa_next_free_vgpr 43
		.amdhsa_next_free_sgpr 96
		.amdhsa_accum_offset 44
		.amdhsa_reserve_vcc 1
		.amdhsa_reserve_flat_scratch 0
		.amdhsa_float_round_mode_32 0
		.amdhsa_float_round_mode_16_64 0
		.amdhsa_float_denorm_mode_32 3
		.amdhsa_float_denorm_mode_16_64 3
		.amdhsa_dx10_clamp 1
		.amdhsa_ieee_mode 1
		.amdhsa_fp16_overflow 0
		.amdhsa_tg_split 0
		.amdhsa_exception_fp_ieee_invalid_op 0
		.amdhsa_exception_fp_denorm_src 0
		.amdhsa_exception_fp_ieee_div_zero 0
		.amdhsa_exception_fp_ieee_overflow 0
		.amdhsa_exception_fp_ieee_underflow 0
		.amdhsa_exception_fp_ieee_inexact 0
		.amdhsa_exception_int_div_zero 0
	.end_amdhsa_kernel
	.section	.text._ZN2at6native12_GLOBAL__N_112gatherMedianIajLi1EEEvNS_4cuda6detail10TensorInfoIT_T0_EENS5_IlS7_EENS5_IKS6_S7_EES7_S7_S7_b,"axG",@progbits,_ZN2at6native12_GLOBAL__N_112gatherMedianIajLi1EEEvNS_4cuda6detail10TensorInfoIT_T0_EENS5_IlS7_EENS5_IKS6_S7_EES7_S7_S7_b,comdat
.Lfunc_end80:
	.size	_ZN2at6native12_GLOBAL__N_112gatherMedianIajLi1EEEvNS_4cuda6detail10TensorInfoIT_T0_EENS5_IlS7_EENS5_IKS6_S7_EES7_S7_S7_b, .Lfunc_end80-_ZN2at6native12_GLOBAL__N_112gatherMedianIajLi1EEEvNS_4cuda6detail10TensorInfoIT_T0_EENS5_IlS7_EENS5_IKS6_S7_EES7_S7_S7_b
                                        ; -- End function
	.section	.AMDGPU.csdata,"",@progbits
; Kernel info:
; codeLenInByte = 9184
; NumSgprs: 100
; NumVgprs: 43
; NumAgprs: 0
; TotalNumVgprs: 43
; ScratchSize: 0
; MemoryBound: 0
; FloatMode: 240
; IeeeMode: 1
; LDSByteSize: 4120 bytes/workgroup (compile time only)
; SGPRBlocks: 12
; VGPRBlocks: 5
; NumSGPRsForWavesPerEU: 100
; NumVGPRsForWavesPerEU: 43
; AccumOffset: 44
; Occupancy: 8
; WaveLimiterHint : 1
; COMPUTE_PGM_RSRC2:SCRATCH_EN: 0
; COMPUTE_PGM_RSRC2:USER_SGPR: 6
; COMPUTE_PGM_RSRC2:TRAP_HANDLER: 0
; COMPUTE_PGM_RSRC2:TGID_X_EN: 1
; COMPUTE_PGM_RSRC2:TGID_Y_EN: 1
; COMPUTE_PGM_RSRC2:TGID_Z_EN: 1
; COMPUTE_PGM_RSRC2:TIDIG_COMP_CNT: 0
; COMPUTE_PGM_RSRC3_GFX90A:ACCUM_OFFSET: 10
; COMPUTE_PGM_RSRC3_GFX90A:TG_SPLIT: 0
	.section	.text._ZN2at6native12_GLOBAL__N_112gatherMedianIajLi2EEEvNS_4cuda6detail10TensorInfoIT_T0_EENS5_IlS7_EENS5_IKS6_S7_EES7_S7_S7_b,"axG",@progbits,_ZN2at6native12_GLOBAL__N_112gatherMedianIajLi2EEEvNS_4cuda6detail10TensorInfoIT_T0_EENS5_IlS7_EENS5_IKS6_S7_EES7_S7_S7_b,comdat
	.globl	_ZN2at6native12_GLOBAL__N_112gatherMedianIajLi2EEEvNS_4cuda6detail10TensorInfoIT_T0_EENS5_IlS7_EENS5_IKS6_S7_EES7_S7_S7_b ; -- Begin function _ZN2at6native12_GLOBAL__N_112gatherMedianIajLi2EEEvNS_4cuda6detail10TensorInfoIT_T0_EENS5_IlS7_EENS5_IKS6_S7_EES7_S7_S7_b
	.p2align	8
	.type	_ZN2at6native12_GLOBAL__N_112gatherMedianIajLi2EEEvNS_4cuda6detail10TensorInfoIT_T0_EENS5_IlS7_EENS5_IKS6_S7_EES7_S7_S7_b,@function
_ZN2at6native12_GLOBAL__N_112gatherMedianIajLi2EEEvNS_4cuda6detail10TensorInfoIT_T0_EENS5_IlS7_EENS5_IKS6_S7_EES7_S7_S7_b: ; @_ZN2at6native12_GLOBAL__N_112gatherMedianIajLi2EEEvNS_4cuda6detail10TensorInfoIT_T0_EENS5_IlS7_EENS5_IKS6_S7_EES7_S7_S7_b
; %bb.0:
	s_load_dwordx2 s[12:13], s[4:5], 0x298
	s_load_dwordx4 s[56:59], s[4:5], 0x288
	s_add_u32 s10, s4, 0x298
	s_addc_u32 s11, s5, 0
	s_waitcnt lgkmcnt(0)
	s_mul_i32 s0, s13, s8
	s_add_i32 s0, s0, s7
	s_mul_i32 s0, s0, s12
	s_add_i32 s16, s0, s6
	s_cmp_ge_u32 s16, s57
	s_cbranch_scc1 .LBB81_250
; %bb.1:
	s_load_dword s1, s[4:5], 0xc
	s_load_dword s2, s[4:5], 0xe4
	;; [unrolled: 1-line block ×3, first 2 shown]
                                        ; implicit-def: $vgpr42 : SGPR spill to VGPR lane
	v_cmp_eq_u32_e64 s[14:15], 0, v0
	s_waitcnt lgkmcnt(0)
	v_cvt_f32_u32_e32 v1, s1
	v_cvt_f32_u32_e32 v2, s2
	;; [unrolled: 1-line block ×3, first 2 shown]
	v_writelane_b32 v42, s1, 0
	v_rcp_iflag_f32_e32 v1, v1
	v_rcp_iflag_f32_e32 v2, v2
	;; [unrolled: 1-line block ×3, first 2 shown]
	s_sub_i32 s1, 0, s1
	v_mul_f32_e32 v1, 0x4f7ffffe, v1
	v_mul_f32_e32 v2, 0x4f7ffffe, v2
	v_cvt_u32_f32_e32 v1, v1
	v_cvt_u32_f32_e32 v2, v2
	v_mul_f32_e32 v3, 0x4f7ffffe, v3
	v_cvt_u32_f32_e32 v3, v3
	v_writelane_b32 v42, s2, 1
	s_sub_i32 s2, 0, s2
	v_readfirstlane_b32 s7, v1
	v_readfirstlane_b32 s13, v2
	s_mul_i32 s1, s1, s7
	s_mul_i32 s2, s2, s13
	s_mul_hi_u32 s8, s7, s1
	s_mul_hi_u32 s9, s13, s2
	s_sub_i32 s1, 0, s0
	v_readfirstlane_b32 s2, v3
	s_mul_i32 s1, s1, s2
	s_mul_hi_u32 s1, s2, s1
	s_add_i32 s1, s2, s1
	s_mov_b64 s[2:3], exec
	v_writelane_b32 v42, s14, 2
	v_writelane_b32 v42, s15, 3
	s_and_b64 s[14:15], s[2:3], s[14:15]
	s_mov_b64 exec, s[14:15]
	s_cbranch_execz .LBB81_3
; %bb.2:
	v_mov_b32_e32 v2, 0
	v_mov_b32_e32 v3, v2
	ds_write_b64 v2, v[2:3] offset:4096
.LBB81_3:
	s_or_b64 exec, exec, s[2:3]
	v_mov_b32_e32 v1, 0
	s_waitcnt lgkmcnt(0)
	s_barrier
	s_barrier
	ds_read_b64 v[2:3], v1 offset:4096
	s_add_i32 s7, s7, s8
	s_add_i32 s13, s13, s9
	s_load_dwordx2 s[8:9], s[4:5], 0x21c
	s_load_dwordx2 s[2:3], s[4:5], 0x1b0
	s_bitcmp1_b32 s59, 0
	s_cselect_b64 s[14:15], -1, 0
	s_waitcnt lgkmcnt(0)
	v_cmp_gt_i64_e32 vcc, 1, v[2:3]
	s_or_b64 s[14:15], s[14:15], vcc
	s_mul_hi_u32 s1, s16, s1
	s_andn2_b64 vcc, exec, s[14:15]
	s_mov_b32 s75, s56
	s_cbranch_vccnz .LBB81_5
; %bb.4:
	v_not_b32_e32 v1, v2
	v_not_b32_e32 v2, v3
	v_add_co_u32_e32 v1, vcc, s56, v1
	v_addc_co_u32_e32 v2, vcc, 0, v2, vcc
	v_lshrrev_b32_e32 v3, 31, v2
	v_add_co_u32_e32 v1, vcc, v1, v3
	v_addc_co_u32_e32 v2, vcc, 0, v2, vcc
	v_alignbit_b32 v1, v2, v1, 1
	v_readfirstlane_b32 s14, v1
	s_add_i32 s75, s14, 1
.LBB81_5:
	s_load_dwordx2 s[14:15], s[4:5], 0x144
                                        ; kill: killed $sgpr4 killed $sgpr5
	s_waitcnt lgkmcnt(0)
	v_writelane_b32 v42, s14, 4
	v_writelane_b32 v42, s15, 5
	s_load_dwordx2 s[14:15], s[4:5], 0xd8
	s_waitcnt lgkmcnt(0)
	v_writelane_b32 v42, s14, 6
	v_writelane_b32 v42, s15, 7
	s_load_dwordx2 s[14:15], s[4:5], 0x6c
	;; [unrolled: 4-line block ×3, first 2 shown]
	s_mul_hi_u32 s4, s16, s7
	s_waitcnt lgkmcnt(0)
	v_writelane_b32 v42, s14, 10
	v_writelane_b32 v42, s15, 11
	;; [unrolled: 1-line block ×3, first 2 shown]
	s_mul_hi_u32 s4, s16, s13
	v_writelane_b32 v42, s4, 13
	s_mov_b64 s[4:5], exec
	v_readlane_b32 s14, v42, 2
	v_readlane_b32 s15, v42, 3
	s_and_b64 s[14:15], s[4:5], s[14:15]
	s_mov_b64 exec, s[14:15]
	s_cbranch_execz .LBB81_7
; %bb.6:
	v_mov_b32_e32 v2, 0
	v_mov_b32_e32 v3, s56
	ds_write_b32 v2, v2 offset:4112
	ds_write_b64 v2, v[2:3] offset:4104
.LBB81_7:
	s_or_b64 exec, exec, s[4:5]
	s_mul_i32 s4, s1, s0
	s_sub_i32 s4, s16, s4
	s_add_i32 s5, s1, 1
	s_sub_i32 s7, s4, s0
	s_cmp_ge_u32 s4, s0
	s_cselect_b32 s1, s5, s1
	s_cselect_b32 s4, s7, s4
	s_add_i32 s5, s1, 1
	s_cmp_ge_u32 s4, s0
	s_cselect_b32 s1, s5, s1
	s_mul_i32 s0, s1, s0
	s_sub_i32 s0, s16, s0
	s_mul_i32 s0, s0, s9
	s_mul_i32 s1, s1, s8
	s_add_i32 s1, s1, s0
	s_waitcnt lgkmcnt(0)
	s_barrier
	s_load_dword s0, s[10:11], 0xc
	s_add_u32 s64, s2, s1
	v_writelane_b32 v42, s16, 14
	s_addc_u32 s65, s3, 0
	v_cmp_gt_u32_e64 s[2:3], s56, v0
	v_mbcnt_lo_u32_b32 v1, -1, 0
	v_writelane_b32 v42, s2, 15
	s_waitcnt lgkmcnt(0)
	s_and_b32 s59, s0, 0xffff
	v_mbcnt_hi_u32_b32 v12, -1, v1
	v_writelane_b32 v42, s3, 16
	s_bfe_u32 s3, s0, 0xa0006
	v_cmp_gt_u32_e32 vcc, 64, v0
	v_cmp_gt_i32_e64 s[4:5], 4, v12
	s_add_i32 s0, s59, -1
	s_lshl_b32 s84, s59, 2
	s_and_b64 s[72:73], vcc, s[4:5]
	v_writelane_b32 v42, s0, 17
	s_add_i32 s0, s0, s56
	s_cmpk_gt_u32 s56, 0xc00
	s_cselect_b64 s[4:5], -1, 0
	s_cmp_gt_u32 s59, 63
	s_cselect_b64 s[76:77], -1, 0
	s_cmp_lt_u32 s6, s12
	v_writelane_b32 v42, s4, 18
	s_cselect_b32 s1, 12, 18
	v_writelane_b32 v42, s5, 19
	s_add_u32 s4, s10, s1
	s_addc_u32 s5, s11, 0
	s_add_i32 s1, s3, -2
	s_lshr_b32 s2, s1, 1
	s_add_i32 s2, s2, 1
	v_lshlrev_b64 v[2:3], v12, -1
	v_writelane_b32 v42, s4, 20
	s_cmpk_gt_u32 s59, 0x7f
	v_not_b32_e32 v8, v2
	v_cvt_f32_u32_e32 v2, s84
	v_writelane_b32 v42, s5, 21
	s_cselect_b64 s[4:5], -1, 0
	s_and_b32 s8, s3, 0x3fe
	s_and_b32 s9, s2, 7
	v_writelane_b32 v42, s4, 22
	s_cmp_gt_u32 s1, 13
	v_writelane_b32 v42, s5, 23
	s_cselect_b64 s[10:11], -1, 0
	v_writelane_b32 v42, s10, 24
	v_rcp_iflag_f32_e32 v2, v2
	v_writelane_b32 v42, s11, 25
	s_and_b32 s1, s2, -8
	v_writelane_b32 v42, s1, 26
	s_cmp_lg_u32 s9, 0
	v_writelane_b32 v42, s9, 27
	s_cselect_b64 s[10:11], -1, 0
	v_writelane_b32 v42, s10, 28
	v_mul_f32_e32 v2, 0x4f7ffffe, v2
	v_writelane_b32 v42, s11, 29
	v_cvt_u32_f32_e32 v2, v2
	v_writelane_b32 v42, s3, 30
	s_cmp_lg_u32 s8, s3
	v_writelane_b32 v42, s8, 31
	s_cselect_b64 s[2:3], -1, 0
	v_writelane_b32 v42, s2, 32
	v_writelane_b32 v42, s3, 33
	v_readfirstlane_b32 s2, v2
	v_cvt_f32_u32_e32 v2, s59
	s_sub_i32 s1, 0, s84
	s_mul_i32 s1, s1, s2
	s_mul_hi_u32 s1, s2, s1
	s_add_i32 s87, s2, s1
	v_rcp_iflag_f32_e32 v2, v2
	s_mul_hi_u32 s1, s56, s87
	s_mul_i32 s1, s1, s84
	s_sub_i32 s1, s56, s1
	s_sub_i32 s2, s1, s84
	v_mul_f32_e32 v2, 0x4f7ffffe, v2
	s_cmp_ge_u32 s1, s84
	v_cvt_u32_f32_e32 v2, v2
	s_cselect_b32 s1, s2, s1
	s_sub_i32 s2, s1, s84
	s_cmp_ge_u32 s1, s84
	s_cselect_b32 s1, s2, s1
	s_sub_i32 s2, 0, s59
	v_readfirstlane_b32 s3, v2
	s_mul_i32 s2, s2, s3
	s_mul_hi_u32 s2, s3, s2
	s_add_i32 s2, s3, s2
	v_writelane_b32 v42, s2, 34
	s_mul_hi_u32 s2, s0, s2
	s_mul_i32 s2, s2, s59
	s_sub_i32 s2, s0, s2
	s_sub_i32 s85, s56, s1
	;; [unrolled: 1-line block ×3, first 2 shown]
	s_cmp_ge_u32 s2, s59
	s_cselect_b32 s2, s3, s2
	v_lshlrev_b32_e32 v13, 2, v0
	s_sub_i32 s3, s2, s59
	v_mul_lo_u32 v9, v0, s58
	s_cmp_ge_u32 s2, s59
	v_mul_lo_u32 v2, s58, v13
	v_mov_b32_e32 v1, s65
	v_add_co_u32_e32 v6, vcc, s64, v9
	s_cselect_b32 s2, s3, s2
	v_add_u32_e32 v17, s58, v2
	v_or_b32_e32 v2, 2, v13
	v_addc_co_u32_e32 v7, vcc, 0, v1, vcc
	v_lshrrev_b32_e32 v1, 4, v0
	v_add_u32_e32 v16, s85, v0
	s_sub_i32 s78, s0, s2
	v_mul_lo_u32 v18, s58, v2
	v_or_b32_e32 v2, 3, v13
	s_add_i32 s0, s59, s56
	v_and_b32_e32 v14, 60, v1
	v_not_b32_e32 v1, v3
	v_mul_lo_u32 v3, v16, s58
	v_mul_lo_u32 v19, s58, v2
	v_add_u32_e32 v2, s0, v0
	v_lshlrev_b32_e32 v4, 2, v12
	v_mov_b32_e32 v5, s65
	v_add_co_u32_e32 v10, vcc, s64, v3
	v_cmp_gt_u32_e64 s[2:3], s78, v0
	s_mul_i32 s57, s58, s59
	v_subrev_u32_e32 v2, s1, v2
	s_mov_b32 s70, 0
	v_cmp_eq_u32_e64 s[4:5], 0, v12
	v_cmp_gt_u32_e64 s[6:7], 2, v0
	v_and_b32_e32 v15, 0x100, v4
	v_cmp_gt_u32_e64 s[8:9], s85, v13
	v_cmp_gt_u32_e64 s[10:11], s56, v16
	v_addc_co_u32_e32 v11, vcc, 0, v5, vcc
	v_writelane_b32 v42, s2, 35
	s_lshl_b32 s79, s57, 2
	v_lshlrev_b32_e32 v20, 2, v9
	v_mul_lo_u32 v21, s58, v2
	v_or_b32_e32 v22, 0xc00, v4
	s_mov_b32 s81, 6
	s_mov_b64 s[88:89], 0
	v_mov_b32_e32 v23, 0
	s_movk_i32 s80, 0x80
	v_mov_b32_e32 v24, 0xc00
	v_mov_b32_e32 v25, 0
	s_mov_b32 s12, 0
	s_mov_b32 s74, 0
	;; [unrolled: 1-line block ×3, first 2 shown]
	v_writelane_b32 v42, s3, 36
                                        ; implicit-def: $sgpr90_sgpr91
                                        ; implicit-def: $sgpr94_sgpr95
                                        ; implicit-def: $sgpr92_sgpr93
                                        ; implicit-def: $sgpr60_sgpr61
                                        ; implicit-def: $sgpr62_sgpr63
                                        ; implicit-def: $sgpr66_sgpr67
	s_branch .LBB81_12
.LBB81_8:                               ;   in Loop: Header=BB81_12 Depth=1
	s_xor_b32 s12, s12, 1
	s_add_i32 s0, s81, -2
	s_cmp_eq_u32 s81, 0
	s_mov_b64 s[16:17], 0
	s_cselect_b64 s[26:27], -1, 0
	s_mov_b32 s81, s0
.LBB81_9:                               ;   in Loop: Header=BB81_12 Depth=1
	s_andn2_b64 s[0:1], s[20:21], exec
	s_and_b64 s[2:3], s[16:17], exec
	s_or_b64 s[20:21], s[0:1], s[2:3]
	s_andn2_b64 s[22:23], s[22:23], exec
	s_andn2_b64 s[18:19], s[18:19], exec
	s_orn2_b64 s[16:17], s[26:27], exec
	s_mov_b32 s75, s35
.LBB81_10:                              ;   in Loop: Header=BB81_12 Depth=1
	s_or_b64 exec, exec, s[24:25]
	s_andn2_b64 s[0:1], s[66:67], exec
	s_and_b64 s[2:3], s[20:21], exec
	s_or_b64 s[66:67], s[0:1], s[2:3]
	s_andn2_b64 s[0:1], s[62:63], exec
	s_and_b64 s[2:3], s[22:23], exec
	s_or_b64 s[62:63], s[0:1], s[2:3]
	;; [unrolled: 3-line block ×3, first 2 shown]
	s_orn2_b64 s[16:17], s[16:17], exec
.LBB81_11:                              ;   in Loop: Header=BB81_12 Depth=1
	s_or_b64 exec, exec, s[14:15]
	s_and_b64 s[0:1], exec, s[16:17]
	s_or_b64 s[88:89], s[0:1], s[88:89]
	s_andn2_b64 s[0:1], s[92:93], exec
	s_and_b64 s[2:3], s[66:67], exec
	s_or_b64 s[92:93], s[0:1], s[2:3]
	s_andn2_b64 s[0:1], s[94:95], exec
	s_and_b64 s[2:3], s[62:63], exec
	;; [unrolled: 3-line block ×3, first 2 shown]
	v_mov_b32_e32 v2, s74
	s_or_b64 s[90:91], s[0:1], s[2:3]
	s_andn2_b64 exec, exec, s[88:89]
	s_cbranch_execz .LBB81_246
.LBB81_12:                              ; =>This Loop Header: Depth=1
                                        ;     Child Loop BB81_17 Depth 2
                                        ;     Child Loop BB81_35 Depth 2
	;; [unrolled: 1-line block ×17, first 2 shown]
	ds_read_b64 v[2:3], v23 offset:4104
	s_waitcnt lgkmcnt(0)
	v_readfirstlane_b32 s71, v2
	s_cmp_lg_u32 s71, 0
	s_cbranch_scc1 .LBB81_42
; %bb.13:                               ;   in Loop: Header=BB81_12 Depth=1
	v_readlane_b32 s0, v42, 18
	v_readlane_b32 s1, v42, 19
	s_and_b64 vcc, exec, s[0:1]
	s_cbranch_vccz .LBB81_25
; %bb.14:                               ;   in Loop: Header=BB81_12 Depth=1
	s_movk_i32 s0, 0xc01
	v_cmp_gt_u32_e32 vcc, s0, v3
	s_mov_b64 s[18:19], 0
	s_mov_b64 s[14:15], 0
	s_cbranch_vccz .LBB81_26
; %bb.15:                               ;   in Loop: Header=BB81_12 Depth=1
	v_readlane_b32 s0, v42, 20
	v_readlane_b32 s1, v42, 21
	s_nop 4
	global_load_ushort v2, v23, s[0:1]
	global_load_ubyte v4, v[6:7], off
	s_mov_b64 s[20:21], 0
	v_mov_b32_e32 v26, v0
	s_waitcnt vmcnt(1)
	v_add_u32_e32 v5, v0, v2
	v_mul_lo_u32 v3, s58, v2
	v_mul_lo_u32 v5, s58, v5
	s_branch .LBB81_17
.LBB81_16:                              ;   in Loop: Header=BB81_17 Depth=2
	s_or_b64 exec, exec, s[16:17]
	v_add_u32_e32 v5, v5, v3
	v_mov_b32_e32 v4, v27
	s_andn2_b64 exec, exec, s[20:21]
	s_cbranch_execz .LBB81_27
.LBB81_17:                              ;   Parent Loop BB81_12 Depth=1
                                        ; =>  This Inner Loop Header: Depth=2
	v_add_u32_e32 v26, v26, v2
	v_cmp_gt_u32_e64 s[14:15], s56, v26
	v_cmp_le_u32_e32 vcc, s56, v26
	s_waitcnt lgkmcnt(0)
	v_mov_b32_e32 v28, 0
	v_mov_b32_e32 v27, 0
	s_and_saveexec_b64 s[16:17], s[14:15]
	s_cbranch_execz .LBB81_19
; %bb.18:                               ;   in Loop: Header=BB81_17 Depth=2
	global_load_ubyte v27, v5, s[64:65]
.LBB81_19:                              ;   in Loop: Header=BB81_17 Depth=2
	s_or_b64 exec, exec, s[16:17]
	s_waitcnt vmcnt(0)
	v_add_u32_sdwa v29, sext(v4), s80 dst_sel:DWORD dst_unused:UNUSED_PAD src0_sel:BYTE_0 src1_sel:DWORD
	v_and_b32_e32 v29, s13, v29
	v_cmp_eq_u32_e64 s[14:15], s74, v29
	s_cmp_lg_u64 s[14:15], 0
	s_cselect_b64 s[0:1], -1, 0
	s_and_b64 s[0:1], s[4:5], s[0:1]
	s_and_saveexec_b64 s[22:23], s[0:1]
	s_cbranch_execz .LBB81_23
; %bb.20:                               ;   in Loop: Header=BB81_17 Depth=2
	s_mov_b64 s[26:27], exec
	v_mbcnt_lo_u32_b32 v28, s26, 0
	v_mbcnt_hi_u32_b32 v28, s27, v28
	s_bcnt1_i32_b64 s0, s[14:15]
	v_cmp_eq_u32_e64 s[16:17], 0, v28
                                        ; implicit-def: $vgpr29
	s_and_saveexec_b64 s[24:25], s[16:17]
	s_cbranch_execz .LBB81_22
; %bb.21:                               ;   in Loop: Header=BB81_17 Depth=2
	s_bcnt1_i32_b64 s1, s[26:27]
	s_mul_i32 s1, s0, s1
	v_mov_b32_e32 v29, s1
	ds_add_rtn_u32 v29, v23, v29 offset:4112
.LBB81_22:                              ;   in Loop: Header=BB81_17 Depth=2
	s_or_b64 exec, exec, s[24:25]
	s_waitcnt lgkmcnt(0)
	v_readfirstlane_b32 s1, v29
	v_mov_b32_e32 v29, s1
	v_mad_u32_u24 v28, s0, v28, v29
.LBB81_23:                              ;   in Loop: Header=BB81_17 Depth=2
	s_or_b64 exec, exec, s[22:23]
	ds_bpermute_b32 v28, v15, v28
	s_and_b64 s[0:1], exec, vcc
	s_or_b64 s[20:21], s[0:1], s[20:21]
	s_and_saveexec_b64 s[16:17], s[14:15]
	s_cbranch_execz .LBB81_16
; %bb.24:                               ;   in Loop: Header=BB81_17 Depth=2
	v_and_b32_e32 v30, s14, v8
	v_and_b32_e32 v29, s15, v1
	v_bcnt_u32_b32 v30, v30, 0
	v_bcnt_u32_b32 v29, v29, v30
	s_waitcnt lgkmcnt(0)
	v_add_u32_e32 v28, v28, v29
	ds_write_b8 v28, v4
	s_branch .LBB81_16
.LBB81_25:                              ;   in Loop: Header=BB81_12 Depth=1
	s_mov_b64 s[14:15], 0
                                        ; implicit-def: $sgpr71
	s_cbranch_execnz .LBB81_30
	s_branch .LBB81_40
.LBB81_26:                              ;   in Loop: Header=BB81_12 Depth=1
	s_mov_b32 s71, 0
	s_and_b64 vcc, exec, s[18:19]
	s_cbranch_vccnz .LBB81_30
	s_branch .LBB81_40
.LBB81_27:                              ;   in Loop: Header=BB81_12 Depth=1
	s_or_b64 exec, exec, s[20:21]
	s_waitcnt lgkmcnt(0)
	s_barrier
	s_mov_b64 s[14:15], exec
	v_readlane_b32 s0, v42, 2
	v_readlane_b32 s1, v42, 3
	s_and_b64 s[0:1], s[14:15], s[0:1]
	s_mov_b64 exec, s[0:1]
	s_cbranch_execz .LBB81_29
; %bb.28:                               ;   in Loop: Header=BB81_12 Depth=1
	ds_read_b32 v2, v23 offset:4112
	s_waitcnt lgkmcnt(0)
	ds_write_b32 v23, v2 offset:4104
.LBB81_29:                              ;   in Loop: Header=BB81_12 Depth=1
	s_or_b64 exec, exec, s[14:15]
	s_waitcnt lgkmcnt(0)
	s_barrier
	s_mov_b64 s[14:15], -1
	s_mov_b32 s71, 0
	s_and_b64 vcc, exec, s[18:19]
	s_cbranch_vccz .LBB81_40
.LBB81_30:                              ;   in Loop: Header=BB81_12 Depth=1
	v_mov_b32_e32 v2, 0
	s_mov_b64 s[14:15], exec
	v_readlane_b32 s0, v42, 15
	v_readlane_b32 s1, v42, 16
	s_and_b64 s[0:1], s[14:15], s[0:1]
	s_mov_b64 exec, s[0:1]
	s_cbranch_execz .LBB81_32
; %bb.31:                               ;   in Loop: Header=BB81_12 Depth=1
	global_load_ubyte v2, v[6:7], off
.LBB81_32:                              ;   in Loop: Header=BB81_12 Depth=1
	s_or_b64 exec, exec, s[14:15]
	s_mov_b64 s[16:17], exec
	v_readlane_b32 s0, v42, 15
	v_readlane_b32 s1, v42, 16
	s_and_b64 s[0:1], s[16:17], s[0:1]
	s_mov_b64 exec, s[0:1]
	s_cbranch_execz .LBB81_37
; %bb.33:                               ;   in Loop: Header=BB81_12 Depth=1
	v_readlane_b32 s0, v42, 20
	v_readlane_b32 s1, v42, 21
	s_mov_b64 s[18:19], 0
	v_mov_b32_e32 v26, v0
	s_nop 2
	global_load_ushort v3, v23, s[0:1]
	s_waitcnt vmcnt(0)
	v_add_u32_e32 v5, v0, v3
	v_mul_lo_u32 v4, s58, v3
	v_mul_lo_u32 v5, s58, v5
	s_branch .LBB81_35
.LBB81_34:                              ;   in Loop: Header=BB81_35 Depth=2
	s_or_b64 exec, exec, s[20:21]
	s_and_b64 s[0:1], exec, vcc
	s_or_b64 s[18:19], s[0:1], s[18:19]
	ds_write_b8 v26, v2
	v_add_u32_e32 v5, v5, v4
	s_waitcnt vmcnt(0)
	v_mov_b32_e32 v2, v28
	v_mov_b32_e32 v26, v27
	s_andn2_b64 exec, exec, s[18:19]
	s_cbranch_execz .LBB81_37
.LBB81_35:                              ;   Parent Loop BB81_12 Depth=1
                                        ; =>  This Inner Loop Header: Depth=2
	v_add_u32_e32 v27, v26, v3
	v_cmp_gt_u32_e64 s[14:15], s56, v27
	v_cmp_le_u32_e32 vcc, s56, v27
	v_mov_b32_e32 v28, 0
	s_and_saveexec_b64 s[20:21], s[14:15]
	s_cbranch_execz .LBB81_34
; %bb.36:                               ;   in Loop: Header=BB81_35 Depth=2
	global_load_ubyte v28, v5, s[64:65]
	s_branch .LBB81_34
.LBB81_37:                              ;   in Loop: Header=BB81_12 Depth=1
	s_or_b64 exec, exec, s[16:17]
	s_waitcnt lgkmcnt(0)
	s_barrier
	s_mov_b64 s[14:15], exec
	v_readlane_b32 s0, v42, 2
	v_readlane_b32 s1, v42, 3
	s_and_b64 s[0:1], s[14:15], s[0:1]
	s_mov_b64 exec, s[0:1]
	s_cbranch_execz .LBB81_39
; %bb.38:                               ;   in Loop: Header=BB81_12 Depth=1
	s_waitcnt vmcnt(0)
	v_mov_b32_e32 v2, s56
	ds_write_b32 v23, v2 offset:4104
.LBB81_39:                              ;   in Loop: Header=BB81_12 Depth=1
	s_or_b64 exec, exec, s[14:15]
	s_mov_b64 s[14:15], -1
	s_waitcnt lgkmcnt(0)
	s_barrier
                                        ; implicit-def: $sgpr71
.LBB81_40:                              ;   in Loop: Header=BB81_12 Depth=1
	s_and_b64 vcc, exec, s[14:15]
	s_cbranch_vccz .LBB81_42
; %bb.41:                               ;   in Loop: Header=BB81_12 Depth=1
	s_waitcnt vmcnt(0)
	ds_read_b32 v2, v23 offset:4104
	s_waitcnt lgkmcnt(0)
	v_readfirstlane_b32 s71, v2
.LBB81_42:                              ;   in Loop: Header=BB81_12 Depth=1
	s_cmp_lt_i32 s71, 1
	s_cbranch_scc0 .LBB81_46
; %bb.43:                               ;   in Loop: Header=BB81_12 Depth=1
	s_waitcnt vmcnt(0)
	v_mov_b32_e32 v2, 0
	s_mov_b32 s2, 0
	v_mov_b32_e32 v3, 0
	v_mov_b32_e32 v4, v2
	;; [unrolled: 1-line block ×3, first 2 shown]
	s_and_saveexec_b64 s[68:69], s[8:9]
	s_cbranch_execnz .LBB81_47
; %bb.44:                               ;   in Loop: Header=BB81_12 Depth=1
	s_or_b64 exec, exec, s[68:69]
	v_mov_b32_e32 v28, 0
	s_and_saveexec_b64 s[14:15], s[10:11]
	s_cbranch_execnz .LBB81_50
.LBB81_45:                              ;   in Loop: Header=BB81_12 Depth=1
	s_or_b64 exec, exec, s[14:15]
	s_and_saveexec_b64 s[16:17], s[10:11]
	s_cbranch_execnz .LBB81_51
	s_branch .LBB81_56
.LBB81_46:                              ;   in Loop: Header=BB81_12 Depth=1
                                        ; implicit-def: $vgpr5
	s_cbranch_execnz .LBB81_57
	s_branch .LBB81_66
.LBB81_47:                              ;   in Loop: Header=BB81_12 Depth=1
	s_and_b32 s3, s81, 0xfe
	s_mov_b64 s[82:83], 0
	s_mov_b32 s0, 0
	s_mov_b32 s1, 0
	;; [unrolled: 1-line block ×4, first 2 shown]
	v_mov_b32_e32 v26, v13
.LBB81_48:                              ;   Parent Loop BB81_12 Depth=1
                                        ; =>  This Inner Loop Header: Depth=2
	v_add_u32_e32 v2, s2, v20
	v_add_u32_e32 v3, s2, v17
	;; [unrolled: 1-line block ×4, first 2 shown]
	global_load_sbyte v2, v2, s[64:65]
	s_nop 0
	global_load_sbyte v3, v3, s[64:65]
	s_nop 0
	;; [unrolled: 2-line block ×3, first 2 shown]
	global_load_sbyte v5, v5, s[64:65]
	v_add_u32_e32 v26, s84, v26
	s_add_i32 s2, s2, s79
	v_cmp_le_u32_e32 vcc, s85, v26
	s_waitcnt vmcnt(3)
	v_add_u32_e32 v2, 0x80, v2
	s_waitcnt vmcnt(2)
	v_add_u32_e32 v3, 0x80, v3
	v_and_b32_e32 v27, s13, v2
	v_bfe_u32 v2, v2, s3, 2
	s_waitcnt vmcnt(1)
	v_add_u32_e32 v4, 0x80, v4
	v_and_b32_e32 v28, s13, v3
	v_bfe_u32 v3, v3, s3, 2
	v_cmp_eq_u32_e64 s[14:15], s74, v27
	v_cmp_eq_u32_e64 s[22:23], 0, v2
	s_waitcnt vmcnt(0)
	v_add_u32_e32 v5, 0x80, v5
	v_and_b32_e32 v29, s13, v4
	v_bfe_u32 v4, v4, s3, 2
	v_cmp_eq_u32_e64 s[16:17], s74, v28
	v_cmp_eq_u32_e64 s[24:25], 0, v3
	s_and_b64 s[22:23], s[14:15], s[22:23]
	v_and_b32_e32 v30, s13, v5
	v_bfe_u32 v5, v5, s3, 2
	v_cmp_eq_u32_e64 s[18:19], s74, v29
	v_cmp_eq_u32_e64 s[26:27], 0, v4
	;; [unrolled: 1-line block ×5, first 2 shown]
	v_cndmask_b32_e64 v2, 0, 1, s[22:23]
	s_and_b64 s[22:23], s[16:17], s[24:25]
	v_cmp_eq_u32_e64 s[20:21], s74, v30
	v_cmp_eq_u32_e64 s[28:29], 0, v5
	;; [unrolled: 1-line block ×5, first 2 shown]
	v_cndmask_b32_e64 v3, 0, 1, s[22:23]
	s_and_b64 s[22:23], s[18:19], s[26:27]
	v_cmp_eq_u32_e64 s[36:37], 1, v4
	v_cmp_eq_u32_e64 s[44:45], 2, v4
	;; [unrolled: 1-line block ×3, first 2 shown]
	v_cndmask_b32_e64 v4, 0, 1, s[22:23]
	s_and_b64 s[22:23], s[20:21], s[28:29]
	v_cmp_eq_u32_e64 s[38:39], 1, v5
	v_cmp_eq_u32_e64 s[46:47], 2, v5
	v_cmp_eq_u32_e64 s[54:55], 3, v5
	v_cndmask_b32_e64 v5, 0, 1, s[22:23]
	s_and_b64 s[22:23], s[14:15], s[30:31]
	v_cndmask_b32_e64 v27, 0, 1, s[22:23]
	s_and_b64 s[22:23], s[16:17], s[34:35]
	;; [unrolled: 2-line block ×5, first 2 shown]
	s_and_b64 s[14:15], s[14:15], s[48:49]
	v_cndmask_b32_e64 v31, 0, 1, s[22:23]
	s_and_b64 s[22:23], s[16:17], s[42:43]
	v_cndmask_b32_e64 v35, 0, 1, s[14:15]
	;; [unrolled: 2-line block ×7, first 2 shown]
	v_cndmask_b32_e64 v38, 0, 1, s[14:15]
	v_cmp_ne_u32_e64 s[14:15], 0, v2
	v_cmp_ne_u32_e64 s[16:17], 0, v3
	;; [unrolled: 1-line block ×11, first 2 shown]
	s_bcnt1_i32_b64 s14, s[14:15]
	s_bcnt1_i32_b64 s15, s[16:17]
	;; [unrolled: 1-line block ×8, first 2 shown]
	v_cmp_ne_u32_e64 s[28:29], 0, v30
	v_cmp_ne_u32_e64 s[36:37], 0, v33
	;; [unrolled: 1-line block ×3, first 2 shown]
	s_bcnt1_i32_b64 s19, s[24:25]
	s_bcnt1_i32_b64 s23, s[34:35]
	;; [unrolled: 1-line block ×3, first 2 shown]
	s_add_i32 s14, s33, s14
	s_add_i32 s18, s86, s18
	;; [unrolled: 1-line block ×4, first 2 shown]
	v_cmp_ne_u32_e64 s[38:39], 0, v34
	v_cmp_ne_u32_e64 s[46:47], 0, v38
	s_bcnt1_i32_b64 s21, s[28:29]
	s_bcnt1_i32_b64 s24, s[36:37]
	;; [unrolled: 1-line block ×3, first 2 shown]
	s_add_i32 s14, s14, s15
	s_add_i32 s15, s18, s19
	;; [unrolled: 1-line block ×4, first 2 shown]
	s_bcnt1_i32_b64 s25, s[38:39]
	s_bcnt1_i32_b64 s29, s[46:47]
	s_add_i32 s14, s14, s16
	s_add_i32 s15, s15, s20
	;; [unrolled: 1-line block ×8, first 2 shown]
	s_or_b64 s[82:83], vcc, s[82:83]
	v_mov_b32_e32 v2, s33
	v_mov_b32_e32 v3, s86
	;; [unrolled: 1-line block ×4, first 2 shown]
	s_andn2_b64 exec, exec, s[82:83]
	s_cbranch_execnz .LBB81_48
; %bb.49:                               ;   in Loop: Header=BB81_12 Depth=1
	s_or_b64 exec, exec, s[82:83]
	s_or_b64 exec, exec, s[68:69]
	v_mov_b32_e32 v28, 0
	s_and_saveexec_b64 s[14:15], s[10:11]
	s_cbranch_execz .LBB81_45
.LBB81_50:                              ;   in Loop: Header=BB81_12 Depth=1
	global_load_ubyte v28, v[10:11], off
	s_or_b64 exec, exec, s[14:15]
	s_and_saveexec_b64 s[16:17], s[10:11]
	s_cbranch_execz .LBB81_56
.LBB81_51:                              ;   in Loop: Header=BB81_12 Depth=1
	s_and_b32 s0, s81, 0xfe
	s_mov_b64 s[18:19], 0
	v_mov_b32_e32 v26, v21
	v_mov_b32_e32 v27, v16
	s_branch .LBB81_53
.LBB81_52:                              ;   in Loop: Header=BB81_53 Depth=2
	s_or_b64 exec, exec, s[20:21]
	s_waitcnt vmcnt(0)
	v_add_u32_sdwa v28, sext(v28), s80 dst_sel:DWORD dst_unused:UNUSED_PAD src0_sel:BYTE_0 src1_sel:DWORD
	s_and_b64 s[2:3], exec, vcc
	v_and_b32_e32 v30, s13, v28
	v_bfe_u32 v28, v28, s0, 2
	s_or_b64 s[18:19], s[2:3], s[18:19]
	v_cmp_eq_u32_e32 vcc, s74, v30
	v_cmp_eq_u32_e64 s[14:15], 0, v28
	s_and_b64 s[2:3], vcc, s[14:15]
	v_cndmask_b32_e64 v30, 0, 1, s[2:3]
	v_cmp_ne_u32_e64 s[14:15], 0, v30
	s_bcnt1_i32_b64 s1, s[14:15]
	v_cmp_eq_u32_e64 s[14:15], 1, v28
	s_and_b64 s[2:3], vcc, s[14:15]
	v_cndmask_b32_e64 v30, 0, 1, s[2:3]
	v_cmp_ne_u32_e64 s[14:15], 0, v30
	v_add_u32_e32 v2, s1, v2
	s_bcnt1_i32_b64 s1, s[14:15]
	v_cmp_eq_u32_e64 s[14:15], 2, v28
	s_and_b64 s[2:3], vcc, s[14:15]
	v_cndmask_b32_e64 v30, 0, 1, s[2:3]
	v_cmp_ne_u32_e64 s[14:15], 0, v30
	v_add_u32_e32 v3, s1, v3
	s_bcnt1_i32_b64 s1, s[14:15]
	v_cmp_eq_u32_e64 s[14:15], 3, v28
	s_and_b64 s[2:3], vcc, s[14:15]
	v_cndmask_b32_e64 v28, 0, 1, s[2:3]
	v_cmp_ne_u32_e32 vcc, 0, v28
	v_add_u32_e32 v4, s1, v4
	s_bcnt1_i32_b64 s1, vcc
	v_add_u32_e32 v5, s1, v5
	v_add_u32_e32 v26, s57, v26
	v_mov_b32_e32 v28, v29
	s_andn2_b64 exec, exec, s[18:19]
	s_cbranch_execz .LBB81_55
.LBB81_53:                              ;   Parent Loop BB81_12 Depth=1
                                        ; =>  This Inner Loop Header: Depth=2
	v_add_u32_e32 v27, s59, v27
	v_cmp_gt_u32_e64 s[14:15], s56, v27
	v_cmp_le_u32_e32 vcc, s56, v27
	v_mov_b32_e32 v29, 0
	s_and_saveexec_b64 s[20:21], s[14:15]
	s_cbranch_execz .LBB81_52
; %bb.54:                               ;   in Loop: Header=BB81_53 Depth=2
	global_load_ubyte v29, v26, s[64:65]
	s_branch .LBB81_52
.LBB81_55:                              ;   in Loop: Header=BB81_12 Depth=1
	s_or_b64 exec, exec, s[18:19]
.LBB81_56:                              ;   in Loop: Header=BB81_12 Depth=1
	s_or_b64 exec, exec, s[16:17]
	s_branch .LBB81_66
.LBB81_57:                              ;   in Loop: Header=BB81_12 Depth=1
	s_mul_hi_u32 s0, s71, s87
	s_mul_i32 s0, s0, s84
	s_sub_i32 s0, s71, s0
	s_sub_i32 s1, s0, s84
	s_cmp_ge_u32 s0, s84
	s_cselect_b32 s0, s1, s0
	s_sub_i32 s1, s0, s84
	s_cmp_ge_u32 s0, s84
	s_cselect_b32 s0, s1, s0
	s_sub_i32 s2, s71, s0
	v_cmp_gt_u32_e32 vcc, s2, v13
	s_mov_b32 s0, 0
	s_waitcnt vmcnt(0)
	v_mov_b32_e32 v2, 0
	v_mov_b32_e32 v3, 0
	;; [unrolled: 1-line block ×4, first 2 shown]
	s_and_saveexec_b64 s[68:69], vcc
	s_cbranch_execz .LBB81_61
; %bb.58:                               ;   in Loop: Header=BB81_12 Depth=1
	s_and_b32 s3, s81, 0xfe
	s_mov_b64 s[82:83], 0
	s_mov_b32 s1, 0
	s_mov_b32 s33, 0
	;; [unrolled: 1-line block ×3, first 2 shown]
	v_mov_b32_e32 v26, v13
.LBB81_59:                              ;   Parent Loop BB81_12 Depth=1
                                        ; =>  This Inner Loop Header: Depth=2
	ds_read_b32 v2, v26
	v_add_u32_e32 v26, s84, v26
	v_cmp_le_u32_e32 vcc, s2, v26
	s_waitcnt lgkmcnt(0)
	v_add_u32_sdwa v3, sext(v2), s80 dst_sel:DWORD dst_unused:UNUSED_PAD src0_sel:BYTE_0 src1_sel:DWORD
	v_add_u32_sdwa v4, sext(v2), s80 dst_sel:DWORD dst_unused:UNUSED_PAD src0_sel:BYTE_1 src1_sel:DWORD
	v_and_b32_e32 v27, s13, v3
	v_bfe_u32 v3, v3, s3, 2
	v_add_u32_sdwa v5, sext(v2), s80 dst_sel:DWORD dst_unused:UNUSED_PAD src0_sel:BYTE_2 src1_sel:DWORD
	v_add_u32_sdwa v2, sext(v2), s80 dst_sel:DWORD dst_unused:UNUSED_PAD src0_sel:BYTE_3 src1_sel:DWORD
	v_and_b32_e32 v28, s13, v4
	v_bfe_u32 v4, v4, s3, 2
	v_cmp_eq_u32_e64 s[14:15], s74, v27
	v_cmp_eq_u32_e64 s[22:23], 0, v3
	v_and_b32_e32 v29, s13, v5
	v_and_b32_e32 v30, s13, v2
	v_bfe_u32 v5, v5, s3, 2
	v_bfe_u32 v2, v2, s3, 2
	v_cmp_eq_u32_e64 s[16:17], s74, v28
	v_cmp_eq_u32_e64 s[24:25], 0, v4
	s_and_b64 s[22:23], s[14:15], s[22:23]
	v_cmp_eq_u32_e64 s[18:19], s74, v29
	v_cmp_eq_u32_e64 s[26:27], 0, v5
	;; [unrolled: 1-line block ×6, first 2 shown]
	v_cndmask_b32_e64 v2, 0, 1, s[22:23]
	s_and_b64 s[22:23], s[16:17], s[24:25]
	v_cmp_eq_u32_e64 s[20:21], s74, v30
	v_cmp_eq_u32_e64 s[30:31], 1, v3
	;; [unrolled: 1-line block ×4, first 2 shown]
	v_cndmask_b32_e64 v3, 0, 1, s[22:23]
	s_and_b64 s[22:23], s[18:19], s[26:27]
	v_cmp_eq_u32_e64 s[34:35], 1, v4
	v_cmp_eq_u32_e64 s[42:43], 2, v4
	;; [unrolled: 1-line block ×3, first 2 shown]
	v_cndmask_b32_e64 v4, 0, 1, s[22:23]
	s_and_b64 s[22:23], s[20:21], s[28:29]
	v_cmp_eq_u32_e64 s[36:37], 1, v5
	v_cmp_eq_u32_e64 s[44:45], 2, v5
	;; [unrolled: 1-line block ×3, first 2 shown]
	v_cndmask_b32_e64 v5, 0, 1, s[22:23]
	s_and_b64 s[22:23], s[14:15], s[30:31]
	v_cndmask_b32_e64 v27, 0, 1, s[22:23]
	s_and_b64 s[22:23], s[16:17], s[34:35]
	;; [unrolled: 2-line block ×5, first 2 shown]
	s_and_b64 s[14:15], s[14:15], s[48:49]
	v_cndmask_b32_e64 v31, 0, 1, s[22:23]
	s_and_b64 s[22:23], s[16:17], s[42:43]
	v_cndmask_b32_e64 v35, 0, 1, s[14:15]
	;; [unrolled: 2-line block ×7, first 2 shown]
	v_cndmask_b32_e64 v38, 0, 1, s[14:15]
	v_cmp_ne_u32_e64 s[14:15], 0, v2
	v_cmp_ne_u32_e64 s[16:17], 0, v3
	;; [unrolled: 1-line block ×11, first 2 shown]
	s_bcnt1_i32_b64 s14, s[14:15]
	s_bcnt1_i32_b64 s15, s[16:17]
	s_bcnt1_i32_b64 s16, s[18:19]
	s_bcnt1_i32_b64 s17, s[20:21]
	s_bcnt1_i32_b64 s18, s[22:23]
	s_bcnt1_i32_b64 s20, s[26:27]
	s_bcnt1_i32_b64 s22, s[30:31]
	s_bcnt1_i32_b64 s26, s[40:41]
	v_cmp_ne_u32_e64 s[28:29], 0, v30
	v_cmp_ne_u32_e64 s[36:37], 0, v33
	;; [unrolled: 1-line block ×3, first 2 shown]
	s_bcnt1_i32_b64 s19, s[24:25]
	s_bcnt1_i32_b64 s23, s[34:35]
	;; [unrolled: 1-line block ×3, first 2 shown]
	s_add_i32 s14, s86, s14
	s_add_i32 s18, s33, s18
	;; [unrolled: 1-line block ×4, first 2 shown]
	v_cmp_ne_u32_e64 s[38:39], 0, v34
	v_cmp_ne_u32_e64 s[46:47], 0, v38
	s_bcnt1_i32_b64 s21, s[28:29]
	s_bcnt1_i32_b64 s24, s[36:37]
	;; [unrolled: 1-line block ×3, first 2 shown]
	s_add_i32 s14, s14, s15
	s_add_i32 s15, s18, s19
	;; [unrolled: 1-line block ×4, first 2 shown]
	s_bcnt1_i32_b64 s25, s[38:39]
	s_bcnt1_i32_b64 s29, s[46:47]
	s_add_i32 s14, s14, s16
	s_add_i32 s15, s15, s20
	;; [unrolled: 1-line block ×8, first 2 shown]
	s_or_b64 s[82:83], vcc, s[82:83]
	v_mov_b32_e32 v2, s86
	v_mov_b32_e32 v3, s33
	;; [unrolled: 1-line block ×4, first 2 shown]
	s_andn2_b64 exec, exec, s[82:83]
	s_cbranch_execnz .LBB81_59
; %bb.60:                               ;   in Loop: Header=BB81_12 Depth=1
	s_or_b64 exec, exec, s[82:83]
.LBB81_61:                              ;   in Loop: Header=BB81_12 Depth=1
	s_or_b64 exec, exec, s[68:69]
	v_add_u32_e32 v26, s2, v0
	v_cmp_gt_u32_e32 vcc, s71, v26
	s_and_saveexec_b64 s[24:25], vcc
	s_cbranch_execz .LBB81_65
; %bb.62:                               ;   in Loop: Header=BB81_12 Depth=1
	s_and_b32 s0, s81, 0xfe
	s_mov_b64 s[26:27], 0
.LBB81_63:                              ;   Parent Loop BB81_12 Depth=1
                                        ; =>  This Inner Loop Header: Depth=2
	ds_read_i8 v27, v26
	v_add_u32_e32 v26, s59, v26
	v_cmp_le_u32_e32 vcc, s71, v26
	s_waitcnt lgkmcnt(0)
	v_add_u32_e32 v27, 0x80, v27
	v_and_b32_e32 v28, s13, v27
	v_bfe_u32 v27, v27, s0, 2
	v_cmp_eq_u32_e64 s[14:15], s74, v28
	v_cmp_eq_u32_e64 s[16:17], 0, v27
	;; [unrolled: 1-line block ×3, first 2 shown]
	s_and_b64 s[2:3], s[14:15], s[16:17]
	v_cmp_eq_u32_e64 s[20:21], 2, v27
	v_cmp_eq_u32_e64 s[22:23], 3, v27
	v_cndmask_b32_e64 v27, 0, 1, s[2:3]
	s_and_b64 s[2:3], s[14:15], s[18:19]
	v_cndmask_b32_e64 v28, 0, 1, s[2:3]
	s_and_b64 s[2:3], s[14:15], s[20:21]
	v_cndmask_b32_e64 v29, 0, 1, s[2:3]
	s_and_b64 s[2:3], s[14:15], s[22:23]
	v_cndmask_b32_e64 v30, 0, 1, s[2:3]
	v_cmp_ne_u32_e64 s[14:15], 0, v27
	v_cmp_ne_u32_e64 s[16:17], 0, v28
	;; [unrolled: 1-line block ×4, first 2 shown]
	s_bcnt1_i32_b64 s1, s[14:15]
	s_bcnt1_i32_b64 s2, s[16:17]
	;; [unrolled: 1-line block ×4, first 2 shown]
	v_add_u32_e32 v2, s1, v2
	v_add_u32_e32 v3, s2, v3
	;; [unrolled: 1-line block ×3, first 2 shown]
	s_or_b64 s[26:27], vcc, s[26:27]
	v_add_u32_e32 v5, s14, v5
	s_andn2_b64 exec, exec, s[26:27]
	s_cbranch_execnz .LBB81_63
; %bb.64:                               ;   in Loop: Header=BB81_12 Depth=1
	s_or_b64 exec, exec, s[26:27]
.LBB81_65:                              ;   in Loop: Header=BB81_12 Depth=1
	s_or_b64 exec, exec, s[24:25]
.LBB81_66:                              ;   in Loop: Header=BB81_12 Depth=1
	s_lshl_b32 s0, s12, 6
	s_and_saveexec_b64 s[14:15], s[4:5]
	s_cbranch_execz .LBB81_68
; %bb.67:                               ;   in Loop: Header=BB81_12 Depth=1
	v_or_b32_e32 v26, s0, v14
	v_lshlrev_b32_e32 v26, 2, v26
	s_waitcnt vmcnt(0)
	ds_write_b128 v26, v[2:5] offset:3072
.LBB81_68:                              ;   in Loop: Header=BB81_12 Depth=1
	s_or_b64 exec, exec, s[14:15]
	s_waitcnt lgkmcnt(0)
	s_barrier
	s_and_saveexec_b64 s[14:15], s[72:73]
	s_cbranch_execz .LBB81_82
; %bb.69:                               ;   in Loop: Header=BB81_12 Depth=1
	v_add_u32_e32 v4, s0, v12
	s_andn2_b64 vcc, exec, s[76:77]
	s_waitcnt vmcnt(0)
	v_mov_b32_e32 v2, 0
	s_cbranch_vccnz .LBB81_81
; %bb.70:                               ;   in Loop: Header=BB81_12 Depth=1
	v_readlane_b32 s2, v42, 22
	v_readlane_b32 s3, v42, 23
	s_mov_b32 s1, 0
	s_and_b64 vcc, exec, s[2:3]
	v_mov_b32_e32 v2, 0
	s_cbranch_vccz .LBB81_74
; %bb.71:                               ;   in Loop: Header=BB81_12 Depth=1
	v_readlane_b32 s2, v42, 24
	v_readlane_b32 s3, v42, 25
	v_lshl_add_u32 v5, v4, 2, v24
	s_andn2_b64 vcc, exec, s[2:3]
	s_cbranch_vccnz .LBB81_75
; %bb.72:                               ;   in Loop: Header=BB81_12 Depth=1
	s_mov_b32 s17, 1
	s_mov_b32 s16, 0
	v_mov_b32_e32 v2, 0
	v_readlane_b32 s1, v42, 26
	v_mov_b32_e32 v3, 0
.LBB81_73:                              ;   Parent Loop BB81_12 Depth=1
                                        ; =>  This Inner Loop Header: Depth=2
	v_lshl_add_u32 v38, s16, 4, v5
	v_lshl_add_u32 v40, s17, 4, v5
	ds_read2_b32 v[26:27], v38 offset1:8
	ds_read2_b32 v[28:29], v40 offset1:8
	ds_read2_b32 v[30:31], v38 offset0:16 offset1:24
	ds_read2_b32 v[32:33], v40 offset0:16 offset1:24
	;; [unrolled: 1-line block ×6, first 2 shown]
	s_waitcnt lgkmcnt(7)
	v_add3_u32 v2, v26, v2, v27
	s_waitcnt lgkmcnt(6)
	v_add3_u32 v3, v28, v3, v29
	;; [unrolled: 2-line block ×3, first 2 shown]
	v_add3_u32 v2, v30, v2, v31
	s_add_i32 s17, s17, 16
	s_add_i32 s16, s16, 16
	s_add_i32 s1, s1, -8
	s_waitcnt lgkmcnt(3)
	v_add3_u32 v2, v34, v2, v35
	s_waitcnt lgkmcnt(2)
	v_add3_u32 v3, v36, v3, v37
	s_cmp_lg_u32 s1, 0
	s_waitcnt lgkmcnt(0)
	v_add3_u32 v3, v40, v3, v41
	v_add3_u32 v2, v38, v2, v39
	s_cbranch_scc1 .LBB81_73
	s_branch .LBB81_76
.LBB81_74:                              ;   in Loop: Header=BB81_12 Depth=1
	s_cbranch_execnz .LBB81_79
	s_branch .LBB81_81
.LBB81_75:                              ;   in Loop: Header=BB81_12 Depth=1
	s_mov_b32 s71, s70
	v_pk_mov_b32 v[2:3], s[70:71], s[70:71] op_sel:[0,1]
	s_mov_b32 s71, 1
	s_mov_b64 s[16:17], s[70:71]
.LBB81_76:                              ;   in Loop: Header=BB81_12 Depth=1
	v_readlane_b32 s2, v42, 28
	v_readlane_b32 s3, v42, 29
	s_andn2_b64 vcc, exec, s[2:3]
	v_readlane_b32 s1, v42, 27
	s_cbranch_vccnz .LBB81_78
.LBB81_77:                              ;   Parent Loop BB81_12 Depth=1
                                        ; =>  This Inner Loop Header: Depth=2
	v_lshl_add_u32 v26, s16, 4, v5
	v_lshl_add_u32 v27, s17, 4, v5
	ds_read_b32 v27, v27
	ds_read_b32 v26, v26
	s_add_i32 s17, s17, 2
	s_add_i32 s16, s16, 2
	s_add_i32 s1, s1, -1
	s_cmp_lg_u32 s1, 0
	s_waitcnt lgkmcnt(1)
	v_add_u32_e32 v3, v27, v3
	s_waitcnt lgkmcnt(0)
	v_add_u32_e32 v2, v26, v2
	s_cbranch_scc1 .LBB81_77
.LBB81_78:                              ;   in Loop: Header=BB81_12 Depth=1
	v_readlane_b32 s16, v42, 32
	v_add_u32_e32 v2, v2, v3
	v_readlane_b32 s1, v42, 31
	v_readlane_b32 s17, v42, 33
	s_and_b64 vcc, exec, s[16:17]
	s_cbranch_vccz .LBB81_81
.LBB81_79:                              ;   in Loop: Header=BB81_12 Depth=1
	s_lshl_b32 s2, s12, 8
	s_lshl_b32 s3, s1, 4
	s_add_i32 s2, s2, s3
	v_add_u32_e32 v3, s2, v22
	v_readlane_b32 s2, v42, 30
	s_sub_i32 s1, s2, s1
.LBB81_80:                              ;   Parent Loop BB81_12 Depth=1
                                        ; =>  This Inner Loop Header: Depth=2
	ds_read_b32 v5, v3
	s_add_i32 s1, s1, -1
	v_add_u32_e32 v3, 16, v3
	s_cmp_eq_u32 s1, 0
	s_waitcnt lgkmcnt(0)
	v_add_u32_e32 v2, v5, v2
	s_cbranch_scc0 .LBB81_80
.LBB81_81:                              ;   in Loop: Header=BB81_12 Depth=1
	v_lshlrev_b32_e32 v3, 2, v4
	ds_write_b32 v3, v2 offset:3072
.LBB81_82:                              ;   in Loop: Header=BB81_12 Depth=1
	s_or_b64 exec, exec, s[14:15]
	s_lshl_b32 s0, s0, 2
	s_waitcnt vmcnt(0)
	v_mov_b32_e32 v2, s0
	s_waitcnt lgkmcnt(0)
	s_barrier
	ds_read_b128 v[2:5], v2 offset:3072
	s_and_b32 s43, s81, 0xfe
	s_lshl_b32 s51, 3, s43
	s_not_b32 s44, s51
	s_mov_b64 s[16:17], -1
	s_waitcnt lgkmcnt(0)
	v_readfirstlane_b32 s26, v2
	s_cmp_eq_u32 s26, 1
	s_cselect_b64 s[0:1], -1, 0
	s_cmp_eq_u32 s75, 1
	s_cselect_b64 s[2:3], -1, 0
	s_and_b64 s[18:19], s[0:1], s[2:3]
	v_readfirstlane_b32 s34, v3
	v_readfirstlane_b32 s42, v4
	;; [unrolled: 1-line block ×3, first 2 shown]
	s_and_b64 vcc, exec, s[18:19]
	s_cbranch_vccz .LBB81_94
; %bb.83:                               ;   in Loop: Header=BB81_12 Depth=1
	ds_read_b32 v2, v23 offset:4104
	s_waitcnt lgkmcnt(0)
	s_barrier
	v_readfirstlane_b32 s0, v2
	s_and_saveexec_b64 s[14:15], s[6:7]
	s_cbranch_execz .LBB81_85
; %bb.84:                               ;   in Loop: Header=BB81_12 Depth=1
	ds_write_b8 v0, v23 offset:3072
.LBB81_85:                              ;   in Loop: Header=BB81_12 Depth=1
	s_or_b64 exec, exec, s[14:15]
	s_and_b32 s74, s74, s44
	s_or_b32 s13, s13, s51
	s_cmp_eq_u32 s0, 0
	s_waitcnt lgkmcnt(0)
	s_barrier
	s_cbranch_scc1 .LBB81_95
; %bb.86:                               ;   in Loop: Header=BB81_12 Depth=1
	v_readlane_b32 s1, v42, 17
	s_add_i32 s1, s0, s1
	v_readlane_b32 s2, v42, 34
	s_mul_hi_u32 s2, s1, s2
	s_mul_i32 s2, s2, s59
	s_sub_i32 s2, s1, s2
	s_sub_i32 s3, s2, s59
	s_cmp_ge_u32 s2, s59
	s_cselect_b32 s2, s3, s2
	s_sub_i32 s3, s2, s59
	s_cmp_ge_u32 s2, s59
	s_cselect_b32 s2, s3, s2
	s_sub_i32 s1, s1, s2
	v_cmp_gt_u32_e32 vcc, s1, v0
	s_mov_b64 s[20:21], 0
                                        ; implicit-def: $vgpr25
	s_and_saveexec_b64 s[14:15], vcc
	s_cbranch_execz .LBB81_97
; %bb.87:                               ;   in Loop: Header=BB81_12 Depth=1
	v_mov_b32_e32 v2, v0
                                        ; implicit-def: $sgpr22_sgpr23
	s_branch .LBB81_89
.LBB81_88:                              ;   in Loop: Header=BB81_89 Depth=2
	s_or_b64 exec, exec, s[24:25]
	s_waitcnt lgkmcnt(0)
	s_barrier
	ds_read_u16 v3, v23 offset:3072
	v_add_u32_e32 v2, s59, v2
	v_cmp_le_u32_e32 vcc, s1, v2
	s_waitcnt lgkmcnt(0)
	s_barrier
	v_cmp_ne_u16_sdwa s[2:3], v3, v23 src0_sel:BYTE_0 src1_sel:DWORD
	s_or_b64 s[24:25], vcc, s[2:3]
	s_and_b64 s[24:25], exec, s[24:25]
	s_or_b64 s[20:21], s[24:25], s[20:21]
	s_andn2_b64 s[22:23], s[22:23], exec
	s_and_b64 s[2:3], s[2:3], exec
	s_or_b64 s[22:23], s[22:23], s[2:3]
	s_andn2_b64 exec, exec, s[20:21]
	s_cbranch_execz .LBB81_96
.LBB81_89:                              ;   Parent Loop BB81_12 Depth=1
                                        ; =>  This Inner Loop Header: Depth=2
	v_cmp_gt_u32_e32 vcc, s0, v2
	v_mov_b32_e32 v3, 0
	s_and_saveexec_b64 s[24:25], vcc
	s_cbranch_execz .LBB81_91
; %bb.90:                               ;   in Loop: Header=BB81_89 Depth=2
	ds_read_u8 v3, v2
.LBB81_91:                              ;   in Loop: Header=BB81_89 Depth=2
	s_or_b64 exec, exec, s[24:25]
	s_and_saveexec_b64 s[24:25], vcc
	s_cbranch_execz .LBB81_88
; %bb.92:                               ;   in Loop: Header=BB81_89 Depth=2
	s_waitcnt lgkmcnt(0)
	v_add_u32_sdwa v4, sext(v3), s80 dst_sel:DWORD dst_unused:UNUSED_PAD src0_sel:BYTE_0 src1_sel:DWORD
	v_and_b32_e32 v4, s13, v4
	v_cmp_eq_u32_e32 vcc, s74, v4
	s_and_b64 exec, exec, vcc
	s_cbranch_execz .LBB81_88
; %bb.93:                               ;   in Loop: Header=BB81_89 Depth=2
	v_lshlrev_b16_e32 v3, 8, v3
	v_or_b32_e32 v3, 1, v3
	ds_write_b16 v23, v3 offset:3072
	s_branch .LBB81_88
.LBB81_94:                              ;   in Loop: Header=BB81_12 Depth=1
	s_mov_b64 s[20:21], -1
                                        ; implicit-def: $sgpr14_sgpr15
                                        ; implicit-def: $sgpr24_sgpr25
                                        ; implicit-def: $sgpr22_sgpr23
	s_branch .LBB81_108
.LBB81_95:                              ;   in Loop: Header=BB81_12 Depth=1
	s_mov_b64 s[14:15], -1
	s_mov_b64 s[20:21], 0
                                        ; implicit-def: $sgpr22_sgpr23
                                        ; implicit-def: $vgpr25
	s_mov_b64 s[24:25], s[14:15]
	s_cbranch_execnz .LBB81_98
	s_branch .LBB81_108
.LBB81_96:                              ;   in Loop: Header=BB81_12 Depth=1
	s_or_b64 exec, exec, s[20:21]
	v_lshrrev_b16_e32 v25, 8, v3
	s_and_b64 s[20:21], s[22:23], exec
.LBB81_97:                              ;   in Loop: Header=BB81_12 Depth=1
	s_or_b64 exec, exec, s[14:15]
	s_mov_b64 s[22:23], -1
	s_mov_b64 s[14:15], 0
	s_mov_b64 s[24:25], s[14:15]
	s_branch .LBB81_108
.LBB81_98:                              ;   in Loop: Header=BB81_12 Depth=1
	s_mov_b64 s[20:21], 0
                                        ; implicit-def: $vgpr25
	s_mov_b64 s[14:15], exec
	v_readlane_b32 s0, v42, 35
	v_readlane_b32 s1, v42, 36
	s_and_b64 s[0:1], s[14:15], s[0:1]
	s_mov_b64 exec, s[0:1]
	s_cbranch_execz .LBB81_107
; %bb.99:                               ;   in Loop: Header=BB81_12 Depth=1
	v_mov_b32_e32 v2, v9
	v_mov_b32_e32 v3, v0
                                        ; implicit-def: $sgpr22_sgpr23
	s_branch .LBB81_101
.LBB81_100:                             ;   in Loop: Header=BB81_101 Depth=2
	s_or_b64 exec, exec, s[24:25]
	s_waitcnt lgkmcnt(0)
	s_barrier
	s_waitcnt vmcnt(0)
	ds_read_u16 v4, v23 offset:3072
	v_add_u32_e32 v3, s59, v3
	v_cmp_le_u32_e32 vcc, s78, v3
	v_add_u32_e32 v2, s57, v2
	s_waitcnt lgkmcnt(0)
	v_cmp_ne_u16_sdwa s[0:1], v4, v23 src0_sel:BYTE_0 src1_sel:DWORD
	s_or_b64 s[2:3], vcc, s[0:1]
	s_and_b64 s[2:3], exec, s[2:3]
	s_or_b64 s[20:21], s[2:3], s[20:21]
	s_andn2_b64 s[2:3], s[22:23], exec
	s_and_b64 s[0:1], s[0:1], exec
	s_or_b64 s[22:23], s[2:3], s[0:1]
	s_barrier
	s_andn2_b64 exec, exec, s[20:21]
	s_cbranch_execz .LBB81_106
.LBB81_101:                             ;   Parent Loop BB81_12 Depth=1
                                        ; =>  This Inner Loop Header: Depth=2
	v_cmp_gt_u32_e32 vcc, s56, v3
	v_mov_b32_e32 v4, 0
	s_and_saveexec_b64 s[24:25], vcc
	s_cbranch_execz .LBB81_103
; %bb.102:                              ;   in Loop: Header=BB81_101 Depth=2
	global_load_ubyte v4, v2, s[64:65]
.LBB81_103:                             ;   in Loop: Header=BB81_101 Depth=2
	s_or_b64 exec, exec, s[24:25]
	s_and_saveexec_b64 s[24:25], vcc
	s_cbranch_execz .LBB81_100
; %bb.104:                              ;   in Loop: Header=BB81_101 Depth=2
	s_waitcnt vmcnt(0)
	v_add_u32_sdwa v5, sext(v4), s80 dst_sel:DWORD dst_unused:UNUSED_PAD src0_sel:BYTE_0 src1_sel:DWORD
	v_and_b32_e32 v5, s13, v5
	v_cmp_eq_u32_e32 vcc, s74, v5
	s_and_b64 exec, exec, vcc
	s_cbranch_execz .LBB81_100
; %bb.105:                              ;   in Loop: Header=BB81_101 Depth=2
	v_lshlrev_b16_e32 v4, 8, v4
	v_or_b32_e32 v4, 1, v4
	ds_write_b16 v23, v4 offset:3072
	s_branch .LBB81_100
.LBB81_106:                             ;   in Loop: Header=BB81_12 Depth=1
	s_or_b64 exec, exec, s[20:21]
	v_lshrrev_b16_e32 v25, 8, v4
	s_and_b64 s[20:21], s[22:23], exec
.LBB81_107:                             ;   in Loop: Header=BB81_12 Depth=1
	s_or_b64 exec, exec, s[14:15]
	s_mov_b64 s[24:25], -1
	s_mov_b64 s[14:15], 0
	s_mov_b64 s[22:23], 0
.LBB81_108:                             ;   in Loop: Header=BB81_12 Depth=1
	s_andn2_b64 s[0:1], s[66:67], exec
	s_and_b64 s[2:3], s[14:15], exec
	s_or_b64 s[66:67], s[0:1], s[2:3]
	s_andn2_b64 s[0:1], s[62:63], exec
	s_and_b64 s[2:3], s[24:25], exec
	s_or_b64 s[62:63], s[0:1], s[2:3]
	;; [unrolled: 3-line block ×3, first 2 shown]
	s_and_saveexec_b64 s[14:15], s[20:21]
	s_cbranch_execz .LBB81_11
; %bb.109:                              ;   in Loop: Header=BB81_12 Depth=1
	s_xor_b64 s[0:1], s[18:19], -1
	s_mov_b64 s[20:21], 0
	s_andn2_b64 vcc, exec, s[0:1]
	s_mov_b32 s35, 1
	s_cbranch_vccnz .LBB81_120
; %bb.110:                              ;   in Loop: Header=BB81_12 Depth=1
	s_cmp_gt_u32 s75, s26
	s_mov_b64 s[20:21], -1
                                        ; implicit-def: $sgpr53
                                        ; implicit-def: $sgpr0
                                        ; implicit-def: $sgpr1
	s_cbranch_scc1 .LBB81_116
; %bb.111:                              ;   in Loop: Header=BB81_12 Depth=1
	ds_read_b32 v2, v23 offset:4104
	s_waitcnt lgkmcnt(0)
	v_cmp_ne_u32_e32 vcc, 0, v2
	s_cbranch_vccnz .LBB81_115
; %bb.112:                              ;   in Loop: Header=BB81_12 Depth=1
	s_mov_b64 s[16:17], exec
	v_readlane_b32 s0, v42, 2
	v_readlane_b32 s1, v42, 3
	s_and_b64 s[0:1], s[16:17], s[0:1]
	s_mov_b64 exec, s[0:1]
	s_cbranch_execz .LBB81_114
; %bb.113:                              ;   in Loop: Header=BB81_12 Depth=1
	v_mov_b32_e32 v2, s26
	ds_write_b32 v23, v2 offset:4108
.LBB81_114:                             ;   in Loop: Header=BB81_12 Depth=1
	s_or_b64 exec, exec, s[16:17]
	s_waitcnt lgkmcnt(0)
	s_barrier
.LBB81_115:                             ;   in Loop: Header=BB81_12 Depth=1
	s_and_b32 s0, s74, s44
	s_or_b32 s1, s13, s51
	s_mov_b64 s[20:21], 0
	s_mov_b32 s53, 8
.LBB81_116:                             ;   in Loop: Header=BB81_12 Depth=1
	s_andn2_b64 vcc, exec, s[20:21]
	s_cbranch_vccnz .LBB81_118
; %bb.117:                              ;   in Loop: Header=BB81_12 Depth=1
	s_sub_i32 s75, s75, s26
	s_mov_b64 s[20:21], -1
	s_mov_b32 s53, 0
	s_mov_b32 s0, s74
	;; [unrolled: 1-line block ×3, first 2 shown]
.LBB81_118:                             ;   in Loop: Header=BB81_12 Depth=1
	s_mov_b32 s13, s1
	s_mov_b32 s74, s0
	;; [unrolled: 1-line block ×3, first 2 shown]
	s_mov_b64 s[16:17], -1
	s_and_b64 vcc, exec, s[20:21]
	s_cbranch_vccnz .LBB81_121
.LBB81_119:                             ;   in Loop: Header=BB81_12 Depth=1
	s_mov_b64 s[30:31], -1
                                        ; implicit-def: $sgpr18_sgpr19
                                        ; implicit-def: $sgpr22_sgpr23
                                        ; implicit-def: $sgpr20_sgpr21
                                        ; implicit-def: $sgpr75
	s_and_saveexec_b64 s[0:1], s[30:31]
	s_xor_b64 s[24:25], exec, s[0:1]
	s_cbranch_execz .LBB81_10
	s_branch .LBB81_244
.LBB81_120:                             ;   in Loop: Header=BB81_12 Depth=1
	s_mov_b32 s53, 1
	s_mov_b64 s[16:17], -1
	s_and_b64 vcc, exec, s[20:21]
	s_cbranch_vccz .LBB81_119
.LBB81_121:                             ;   in Loop: Header=BB81_12 Depth=1
	s_cmp_eq_u32 s34, 1
	s_cselect_b64 s[0:1], -1, 0
	s_cmp_eq_u32 s35, 1
	s_cselect_b64 s[2:3], -1, 0
	s_and_b64 s[26:27], s[0:1], s[2:3]
	s_mov_b64 s[28:29], -1
	s_and_b64 vcc, exec, s[26:27]
	s_cbranch_vccz .LBB81_133
; %bb.122:                              ;   in Loop: Header=BB81_12 Depth=1
	ds_read_b32 v2, v23 offset:4104
	s_waitcnt lgkmcnt(0)
	s_barrier
	v_readfirstlane_b32 s0, v2
	s_and_saveexec_b64 s[18:19], s[6:7]
	s_cbranch_execz .LBB81_124
; %bb.123:                              ;   in Loop: Header=BB81_12 Depth=1
	ds_write_b8 v0, v23 offset:3072
.LBB81_124:                             ;   in Loop: Header=BB81_12 Depth=1
	s_or_b64 exec, exec, s[18:19]
	s_lshl_b32 s1, 1, s43
	s_and_b32 s2, s74, s44
	s_or_b32 s74, s2, s1
	s_or_b32 s13, s13, s51
	s_cmp_eq_u32 s0, 0
	s_waitcnt lgkmcnt(0)
	s_barrier
	s_cbranch_scc1 .LBB81_134
; %bb.125:                              ;   in Loop: Header=BB81_12 Depth=1
	v_readlane_b32 s1, v42, 17
	s_add_i32 s1, s0, s1
	v_readlane_b32 s2, v42, 34
	s_mul_hi_u32 s2, s1, s2
	s_mul_i32 s2, s2, s59
	s_sub_i32 s2, s1, s2
	s_sub_i32 s3, s2, s59
	s_cmp_ge_u32 s2, s59
	s_cselect_b32 s2, s3, s2
	s_sub_i32 s3, s2, s59
	s_cmp_ge_u32 s2, s59
	s_cselect_b32 s2, s3, s2
	s_sub_i32 s1, s1, s2
	v_cmp_gt_u32_e32 vcc, s1, v0
	s_mov_b64 s[28:29], 0
                                        ; implicit-def: $vgpr25
	s_and_saveexec_b64 s[18:19], vcc
	s_cbranch_execz .LBB81_136
; %bb.126:                              ;   in Loop: Header=BB81_12 Depth=1
	s_mov_b64 s[20:21], 0
	v_mov_b32_e32 v2, v0
                                        ; implicit-def: $sgpr22_sgpr23
	s_branch .LBB81_128
.LBB81_127:                             ;   in Loop: Header=BB81_128 Depth=2
	s_or_b64 exec, exec, s[24:25]
	s_waitcnt lgkmcnt(0)
	s_barrier
	ds_read_u16 v3, v23 offset:3072
	v_add_u32_e32 v2, s59, v2
	v_cmp_le_u32_e32 vcc, s1, v2
	s_waitcnt lgkmcnt(0)
	s_barrier
	v_cmp_ne_u16_sdwa s[2:3], v3, v23 src0_sel:BYTE_0 src1_sel:DWORD
	s_or_b64 s[24:25], vcc, s[2:3]
	s_and_b64 s[24:25], exec, s[24:25]
	s_or_b64 s[20:21], s[24:25], s[20:21]
	s_andn2_b64 s[22:23], s[22:23], exec
	s_and_b64 s[2:3], s[2:3], exec
	s_or_b64 s[22:23], s[22:23], s[2:3]
	s_andn2_b64 exec, exec, s[20:21]
	s_cbranch_execz .LBB81_135
.LBB81_128:                             ;   Parent Loop BB81_12 Depth=1
                                        ; =>  This Inner Loop Header: Depth=2
	v_cmp_gt_u32_e32 vcc, s0, v2
	v_mov_b32_e32 v3, 0
	s_and_saveexec_b64 s[24:25], vcc
	s_cbranch_execz .LBB81_130
; %bb.129:                              ;   in Loop: Header=BB81_128 Depth=2
	ds_read_u8 v3, v2
.LBB81_130:                             ;   in Loop: Header=BB81_128 Depth=2
	s_or_b64 exec, exec, s[24:25]
	s_and_saveexec_b64 s[24:25], vcc
	s_cbranch_execz .LBB81_127
; %bb.131:                              ;   in Loop: Header=BB81_128 Depth=2
	s_waitcnt lgkmcnt(0)
	v_add_u32_sdwa v4, sext(v3), s80 dst_sel:DWORD dst_unused:UNUSED_PAD src0_sel:BYTE_0 src1_sel:DWORD
	v_and_b32_e32 v4, s13, v4
	v_cmp_eq_u32_e32 vcc, s74, v4
	s_and_b64 exec, exec, vcc
	s_cbranch_execz .LBB81_127
; %bb.132:                              ;   in Loop: Header=BB81_128 Depth=2
	v_lshlrev_b16_e32 v3, 8, v3
	v_or_b32_e32 v3, 1, v3
	ds_write_b16 v23, v3 offset:3072
	s_branch .LBB81_127
.LBB81_133:                             ;   in Loop: Header=BB81_12 Depth=1
                                        ; implicit-def: $sgpr20_sgpr21
                                        ; implicit-def: $sgpr22_sgpr23
                                        ; implicit-def: $sgpr18_sgpr19
	s_branch .LBB81_147
.LBB81_134:                             ;   in Loop: Header=BB81_12 Depth=1
	s_mov_b64 s[20:21], -1
	s_mov_b64 s[28:29], 0
                                        ; implicit-def: $sgpr18_sgpr19
                                        ; implicit-def: $vgpr25
	s_mov_b64 s[22:23], s[20:21]
	s_cbranch_execnz .LBB81_137
	s_branch .LBB81_147
.LBB81_135:                             ;   in Loop: Header=BB81_12 Depth=1
	s_or_b64 exec, exec, s[20:21]
	v_lshrrev_b16_e32 v25, 8, v3
	s_and_b64 s[28:29], s[22:23], exec
.LBB81_136:                             ;   in Loop: Header=BB81_12 Depth=1
	s_or_b64 exec, exec, s[18:19]
	s_mov_b64 s[18:19], -1
	s_mov_b64 s[20:21], 0
	s_mov_b64 s[22:23], s[20:21]
	s_branch .LBB81_147
.LBB81_137:                             ;   in Loop: Header=BB81_12 Depth=1
	s_mov_b64 s[28:29], 0
                                        ; implicit-def: $vgpr25
	s_mov_b64 s[18:19], exec
	v_readlane_b32 s0, v42, 35
	v_readlane_b32 s1, v42, 36
	s_and_b64 s[0:1], s[18:19], s[0:1]
	s_mov_b64 exec, s[0:1]
	s_cbranch_execz .LBB81_146
; %bb.138:                              ;   in Loop: Header=BB81_12 Depth=1
	s_mov_b64 s[20:21], 0
	v_mov_b32_e32 v2, v9
	v_mov_b32_e32 v3, v0
                                        ; implicit-def: $sgpr22_sgpr23
	s_branch .LBB81_140
.LBB81_139:                             ;   in Loop: Header=BB81_140 Depth=2
	s_or_b64 exec, exec, s[24:25]
	s_waitcnt lgkmcnt(0)
	s_barrier
	s_waitcnt vmcnt(0)
	ds_read_u16 v4, v23 offset:3072
	v_add_u32_e32 v3, s59, v3
	v_cmp_le_u32_e32 vcc, s78, v3
	v_add_u32_e32 v2, s57, v2
	s_waitcnt lgkmcnt(0)
	v_cmp_ne_u16_sdwa s[0:1], v4, v23 src0_sel:BYTE_0 src1_sel:DWORD
	s_or_b64 s[2:3], vcc, s[0:1]
	s_and_b64 s[2:3], exec, s[2:3]
	s_or_b64 s[20:21], s[2:3], s[20:21]
	s_andn2_b64 s[2:3], s[22:23], exec
	s_and_b64 s[0:1], s[0:1], exec
	s_or_b64 s[22:23], s[2:3], s[0:1]
	s_barrier
	s_andn2_b64 exec, exec, s[20:21]
	s_cbranch_execz .LBB81_145
.LBB81_140:                             ;   Parent Loop BB81_12 Depth=1
                                        ; =>  This Inner Loop Header: Depth=2
	v_cmp_gt_u32_e32 vcc, s56, v3
	v_mov_b32_e32 v4, 0
	s_and_saveexec_b64 s[24:25], vcc
	s_cbranch_execz .LBB81_142
; %bb.141:                              ;   in Loop: Header=BB81_140 Depth=2
	global_load_ubyte v4, v2, s[64:65]
.LBB81_142:                             ;   in Loop: Header=BB81_140 Depth=2
	s_or_b64 exec, exec, s[24:25]
	s_and_saveexec_b64 s[24:25], vcc
	s_cbranch_execz .LBB81_139
; %bb.143:                              ;   in Loop: Header=BB81_140 Depth=2
	s_waitcnt vmcnt(0)
	v_add_u32_sdwa v5, sext(v4), s80 dst_sel:DWORD dst_unused:UNUSED_PAD src0_sel:BYTE_0 src1_sel:DWORD
	v_and_b32_e32 v5, s13, v5
	v_cmp_eq_u32_e32 vcc, s74, v5
	s_and_b64 exec, exec, vcc
	s_cbranch_execz .LBB81_139
; %bb.144:                              ;   in Loop: Header=BB81_140 Depth=2
	v_lshlrev_b16_e32 v4, 8, v4
	v_or_b32_e32 v4, 1, v4
	ds_write_b16 v23, v4 offset:3072
	s_branch .LBB81_139
.LBB81_145:                             ;   in Loop: Header=BB81_12 Depth=1
	s_or_b64 exec, exec, s[20:21]
	v_lshrrev_b16_e32 v25, 8, v4
	s_and_b64 s[28:29], s[22:23], exec
.LBB81_146:                             ;   in Loop: Header=BB81_12 Depth=1
	s_or_b64 exec, exec, s[18:19]
	s_mov_b64 s[22:23], -1
	s_mov_b64 s[20:21], 0
	s_mov_b64 s[18:19], 0
.LBB81_147:                             ;   in Loop: Header=BB81_12 Depth=1
	s_mov_b64 s[30:31], 0
                                        ; implicit-def: $sgpr53
	s_and_saveexec_b64 s[24:25], s[28:29]
	s_cbranch_execz .LBB81_243
; %bb.148:                              ;   in Loop: Header=BB81_12 Depth=1
	s_xor_b64 s[0:1], s[26:27], -1
	s_mov_b64 s[28:29], 0
	s_andn2_b64 vcc, exec, s[0:1]
	s_mov_b32 s45, 1
	s_cbranch_vccnz .LBB81_159
; %bb.149:                              ;   in Loop: Header=BB81_12 Depth=1
	s_cmp_gt_u32 s35, s34
	s_mov_b64 s[28:29], -1
                                        ; implicit-def: $sgpr53
                                        ; implicit-def: $sgpr0
                                        ; implicit-def: $sgpr1
	s_cbranch_scc1 .LBB81_155
; %bb.150:                              ;   in Loop: Header=BB81_12 Depth=1
	ds_read_b32 v2, v23 offset:4104
	s_waitcnt lgkmcnt(0)
	v_cmp_ne_u32_e32 vcc, 0, v2
	s_cbranch_vccnz .LBB81_154
; %bb.151:                              ;   in Loop: Header=BB81_12 Depth=1
	s_mov_b64 s[26:27], exec
	v_readlane_b32 s0, v42, 2
	v_readlane_b32 s1, v42, 3
	s_and_b64 s[0:1], s[26:27], s[0:1]
	s_mov_b64 exec, s[0:1]
	s_cbranch_execz .LBB81_153
; %bb.152:                              ;   in Loop: Header=BB81_12 Depth=1
	v_mov_b32_e32 v2, s34
	ds_write_b32 v23, v2 offset:4108
.LBB81_153:                             ;   in Loop: Header=BB81_12 Depth=1
	s_or_b64 exec, exec, s[26:27]
	s_waitcnt lgkmcnt(0)
	s_barrier
.LBB81_154:                             ;   in Loop: Header=BB81_12 Depth=1
	s_lshl_b32 s0, 1, s43
	s_and_b32 s1, s74, s44
	s_or_b32 s0, s1, s0
	s_or_b32 s1, s13, s51
	s_mov_b64 s[28:29], 0
	s_mov_b32 s53, 8
.LBB81_155:                             ;   in Loop: Header=BB81_12 Depth=1
	s_andn2_b64 vcc, exec, s[28:29]
	s_cbranch_vccnz .LBB81_157
; %bb.156:                              ;   in Loop: Header=BB81_12 Depth=1
	s_sub_i32 s35, s35, s34
	s_mov_b64 s[28:29], -1
	s_mov_b32 s53, 0
	s_mov_b32 s0, s74
	;; [unrolled: 1-line block ×3, first 2 shown]
.LBB81_157:                             ;   in Loop: Header=BB81_12 Depth=1
	s_mov_b32 s13, s1
	s_mov_b32 s74, s0
	;; [unrolled: 1-line block ×3, first 2 shown]
	s_andn2_b64 vcc, exec, s[28:29]
	s_mov_b64 s[40:41], -1
	s_cbranch_vccz .LBB81_160
.LBB81_158:                             ;   in Loop: Header=BB81_12 Depth=1
                                        ; implicit-def: $sgpr28_sgpr29
                                        ; implicit-def: $sgpr30_sgpr31
                                        ; implicit-def: $sgpr26_sgpr27
	s_branch .LBB81_242
.LBB81_159:                             ;   in Loop: Header=BB81_12 Depth=1
	s_mov_b32 s53, 1
	s_andn2_b64 vcc, exec, s[28:29]
	s_mov_b64 s[40:41], -1
	s_cbranch_vccnz .LBB81_158
.LBB81_160:                             ;   in Loop: Header=BB81_12 Depth=1
	s_cmp_eq_u32 s42, 1
	s_cselect_b64 s[0:1], -1, 0
	s_cmp_eq_u32 s45, 1
	s_cselect_b64 s[2:3], -1, 0
	s_and_b64 s[36:37], s[0:1], s[2:3]
	s_mov_b64 s[38:39], -1
	s_and_b64 vcc, exec, s[36:37]
	s_cbranch_vccz .LBB81_172
; %bb.161:                              ;   in Loop: Header=BB81_12 Depth=1
	ds_read_b32 v2, v23 offset:4104
	s_waitcnt lgkmcnt(0)
	s_barrier
	v_readfirstlane_b32 s0, v2
	s_and_saveexec_b64 s[26:27], s[6:7]
	s_cbranch_execz .LBB81_163
; %bb.162:                              ;   in Loop: Header=BB81_12 Depth=1
	ds_write_b8 v0, v23 offset:3072
.LBB81_163:                             ;   in Loop: Header=BB81_12 Depth=1
	s_or_b64 exec, exec, s[26:27]
	s_lshl_b32 s1, 2, s43
	s_and_b32 s2, s74, s44
	s_or_b32 s74, s2, s1
	s_or_b32 s13, s13, s51
	s_cmp_eq_u32 s0, 0
	s_waitcnt lgkmcnt(0)
	s_barrier
	s_cbranch_scc1 .LBB81_173
; %bb.164:                              ;   in Loop: Header=BB81_12 Depth=1
	v_readlane_b32 s1, v42, 17
	s_add_i32 s1, s0, s1
	v_readlane_b32 s2, v42, 34
	s_mul_hi_u32 s2, s1, s2
	s_mul_i32 s2, s2, s59
	s_sub_i32 s2, s1, s2
	s_sub_i32 s3, s2, s59
	s_cmp_ge_u32 s2, s59
	s_cselect_b32 s2, s3, s2
	s_sub_i32 s3, s2, s59
	s_cmp_ge_u32 s2, s59
	s_cselect_b32 s2, s3, s2
	s_sub_i32 s1, s1, s2
	v_cmp_gt_u32_e32 vcc, s1, v0
	s_mov_b64 s[38:39], 0
                                        ; implicit-def: $vgpr25
	s_and_saveexec_b64 s[26:27], vcc
	s_cbranch_execz .LBB81_175
; %bb.165:                              ;   in Loop: Header=BB81_12 Depth=1
	s_mov_b64 s[28:29], 0
	v_mov_b32_e32 v2, v0
                                        ; implicit-def: $sgpr30_sgpr31
	s_branch .LBB81_167
.LBB81_166:                             ;   in Loop: Header=BB81_167 Depth=2
	s_or_b64 exec, exec, s[34:35]
	s_waitcnt lgkmcnt(0)
	s_barrier
	ds_read_u16 v3, v23 offset:3072
	v_add_u32_e32 v2, s59, v2
	v_cmp_le_u32_e32 vcc, s1, v2
	s_waitcnt lgkmcnt(0)
	s_barrier
	v_cmp_ne_u16_sdwa s[2:3], v3, v23 src0_sel:BYTE_0 src1_sel:DWORD
	s_or_b64 s[34:35], vcc, s[2:3]
	s_and_b64 s[34:35], exec, s[34:35]
	s_or_b64 s[28:29], s[34:35], s[28:29]
	s_andn2_b64 s[30:31], s[30:31], exec
	s_and_b64 s[2:3], s[2:3], exec
	s_or_b64 s[30:31], s[30:31], s[2:3]
	s_andn2_b64 exec, exec, s[28:29]
	s_cbranch_execz .LBB81_174
.LBB81_167:                             ;   Parent Loop BB81_12 Depth=1
                                        ; =>  This Inner Loop Header: Depth=2
	v_cmp_gt_u32_e32 vcc, s0, v2
	v_mov_b32_e32 v3, 0
	s_and_saveexec_b64 s[34:35], vcc
	s_cbranch_execz .LBB81_169
; %bb.168:                              ;   in Loop: Header=BB81_167 Depth=2
	ds_read_u8 v3, v2
.LBB81_169:                             ;   in Loop: Header=BB81_167 Depth=2
	s_or_b64 exec, exec, s[34:35]
	s_and_saveexec_b64 s[34:35], vcc
	s_cbranch_execz .LBB81_166
; %bb.170:                              ;   in Loop: Header=BB81_167 Depth=2
	s_waitcnt lgkmcnt(0)
	v_add_u32_sdwa v4, sext(v3), s80 dst_sel:DWORD dst_unused:UNUSED_PAD src0_sel:BYTE_0 src1_sel:DWORD
	v_and_b32_e32 v4, s13, v4
	v_cmp_eq_u32_e32 vcc, s74, v4
	s_and_b64 exec, exec, vcc
	s_cbranch_execz .LBB81_166
; %bb.171:                              ;   in Loop: Header=BB81_167 Depth=2
	v_lshlrev_b16_e32 v3, 8, v3
	v_or_b32_e32 v3, 1, v3
	ds_write_b16 v23, v3 offset:3072
	s_branch .LBB81_166
.LBB81_172:                             ;   in Loop: Header=BB81_12 Depth=1
                                        ; implicit-def: $sgpr26_sgpr27
                                        ; implicit-def: $sgpr30_sgpr31
                                        ; implicit-def: $sgpr28_sgpr29
	s_branch .LBB81_186
.LBB81_173:                             ;   in Loop: Header=BB81_12 Depth=1
	s_mov_b64 s[26:27], -1
	s_mov_b64 s[38:39], 0
                                        ; implicit-def: $sgpr28_sgpr29
                                        ; implicit-def: $vgpr25
	s_mov_b64 s[30:31], s[26:27]
	s_cbranch_execnz .LBB81_176
	s_branch .LBB81_186
.LBB81_174:                             ;   in Loop: Header=BB81_12 Depth=1
	s_or_b64 exec, exec, s[28:29]
	v_lshrrev_b16_e32 v25, 8, v3
	s_and_b64 s[38:39], s[30:31], exec
.LBB81_175:                             ;   in Loop: Header=BB81_12 Depth=1
	s_or_b64 exec, exec, s[26:27]
	s_mov_b64 s[28:29], -1
	s_mov_b64 s[26:27], 0
	s_mov_b64 s[30:31], s[26:27]
	s_branch .LBB81_186
.LBB81_176:                             ;   in Loop: Header=BB81_12 Depth=1
	s_mov_b64 s[38:39], 0
                                        ; implicit-def: $vgpr25
	s_mov_b64 s[26:27], exec
	v_readlane_b32 s0, v42, 35
	v_readlane_b32 s1, v42, 36
	s_and_b64 s[0:1], s[26:27], s[0:1]
	s_mov_b64 exec, s[0:1]
	s_cbranch_execz .LBB81_185
; %bb.177:                              ;   in Loop: Header=BB81_12 Depth=1
	s_mov_b64 s[28:29], 0
	v_mov_b32_e32 v2, v9
	v_mov_b32_e32 v3, v0
                                        ; implicit-def: $sgpr30_sgpr31
	s_branch .LBB81_179
.LBB81_178:                             ;   in Loop: Header=BB81_179 Depth=2
	s_or_b64 exec, exec, s[34:35]
	s_waitcnt lgkmcnt(0)
	s_barrier
	s_waitcnt vmcnt(0)
	ds_read_u16 v4, v23 offset:3072
	v_add_u32_e32 v3, s59, v3
	v_cmp_le_u32_e32 vcc, s78, v3
	v_add_u32_e32 v2, s57, v2
	s_waitcnt lgkmcnt(0)
	v_cmp_ne_u16_sdwa s[0:1], v4, v23 src0_sel:BYTE_0 src1_sel:DWORD
	s_or_b64 s[2:3], vcc, s[0:1]
	s_and_b64 s[2:3], exec, s[2:3]
	s_or_b64 s[28:29], s[2:3], s[28:29]
	s_andn2_b64 s[2:3], s[30:31], exec
	s_and_b64 s[0:1], s[0:1], exec
	s_or_b64 s[30:31], s[2:3], s[0:1]
	s_barrier
	s_andn2_b64 exec, exec, s[28:29]
	s_cbranch_execz .LBB81_184
.LBB81_179:                             ;   Parent Loop BB81_12 Depth=1
                                        ; =>  This Inner Loop Header: Depth=2
	v_cmp_gt_u32_e32 vcc, s56, v3
	v_mov_b32_e32 v4, 0
	s_and_saveexec_b64 s[34:35], vcc
	s_cbranch_execz .LBB81_181
; %bb.180:                              ;   in Loop: Header=BB81_179 Depth=2
	global_load_ubyte v4, v2, s[64:65]
.LBB81_181:                             ;   in Loop: Header=BB81_179 Depth=2
	s_or_b64 exec, exec, s[34:35]
	s_and_saveexec_b64 s[34:35], vcc
	s_cbranch_execz .LBB81_178
; %bb.182:                              ;   in Loop: Header=BB81_179 Depth=2
	s_waitcnt vmcnt(0)
	v_add_u32_sdwa v5, sext(v4), s80 dst_sel:DWORD dst_unused:UNUSED_PAD src0_sel:BYTE_0 src1_sel:DWORD
	v_and_b32_e32 v5, s13, v5
	v_cmp_eq_u32_e32 vcc, s74, v5
	s_and_b64 exec, exec, vcc
	s_cbranch_execz .LBB81_178
; %bb.183:                              ;   in Loop: Header=BB81_179 Depth=2
	v_lshlrev_b16_e32 v4, 8, v4
	v_or_b32_e32 v4, 1, v4
	ds_write_b16 v23, v4 offset:3072
	s_branch .LBB81_178
.LBB81_184:                             ;   in Loop: Header=BB81_12 Depth=1
	s_or_b64 exec, exec, s[28:29]
	v_lshrrev_b16_e32 v25, 8, v4
	s_and_b64 s[38:39], s[30:31], exec
.LBB81_185:                             ;   in Loop: Header=BB81_12 Depth=1
	s_or_b64 exec, exec, s[26:27]
	s_mov_b64 s[30:31], -1
	s_mov_b64 s[26:27], 0
	s_mov_b64 s[28:29], 0
.LBB81_186:                             ;   in Loop: Header=BB81_12 Depth=1
	s_mov_b64 s[40:41], 0
                                        ; implicit-def: $sgpr53
	s_and_saveexec_b64 s[34:35], s[38:39]
	s_cbranch_execz .LBB81_241
; %bb.187:                              ;   in Loop: Header=BB81_12 Depth=1
	s_xor_b64 s[0:1], s[36:37], -1
	s_mov_b64 s[38:39], 0
	s_andn2_b64 vcc, exec, s[0:1]
	s_mov_b32 s52, 1
	s_cbranch_vccnz .LBB81_198
; %bb.188:                              ;   in Loop: Header=BB81_12 Depth=1
	s_cmp_gt_u32 s45, s42
	s_mov_b64 s[38:39], -1
                                        ; implicit-def: $sgpr53
                                        ; implicit-def: $sgpr0
                                        ; implicit-def: $sgpr1
	s_cbranch_scc1 .LBB81_194
; %bb.189:                              ;   in Loop: Header=BB81_12 Depth=1
	ds_read_b32 v2, v23 offset:4104
	s_waitcnt lgkmcnt(0)
	v_cmp_ne_u32_e32 vcc, 0, v2
	s_cbranch_vccnz .LBB81_193
; %bb.190:                              ;   in Loop: Header=BB81_12 Depth=1
	s_mov_b64 s[36:37], exec
	v_readlane_b32 s0, v42, 2
	v_readlane_b32 s1, v42, 3
	s_and_b64 s[0:1], s[36:37], s[0:1]
	s_mov_b64 exec, s[0:1]
	s_cbranch_execz .LBB81_192
; %bb.191:                              ;   in Loop: Header=BB81_12 Depth=1
	v_mov_b32_e32 v2, s42
	ds_write_b32 v23, v2 offset:4108
.LBB81_192:                             ;   in Loop: Header=BB81_12 Depth=1
	s_or_b64 exec, exec, s[36:37]
	s_waitcnt lgkmcnt(0)
	s_barrier
.LBB81_193:                             ;   in Loop: Header=BB81_12 Depth=1
	s_lshl_b32 s0, 2, s43
	s_and_b32 s1, s74, s44
	s_or_b32 s0, s1, s0
	s_or_b32 s1, s13, s51
	s_mov_b64 s[38:39], 0
	s_mov_b32 s53, 8
.LBB81_194:                             ;   in Loop: Header=BB81_12 Depth=1
	s_andn2_b64 vcc, exec, s[38:39]
	s_cbranch_vccnz .LBB81_196
; %bb.195:                              ;   in Loop: Header=BB81_12 Depth=1
	s_sub_i32 s45, s45, s42
	s_mov_b64 s[38:39], -1
	s_mov_b32 s53, 0
	s_mov_b32 s0, s74
	;; [unrolled: 1-line block ×3, first 2 shown]
.LBB81_196:                             ;   in Loop: Header=BB81_12 Depth=1
	s_mov_b32 s13, s1
	s_mov_b32 s74, s0
	;; [unrolled: 1-line block ×3, first 2 shown]
	s_andn2_b64 vcc, exec, s[38:39]
	s_mov_b64 s[48:49], -1
	s_cbranch_vccz .LBB81_199
.LBB81_197:                             ;   in Loop: Header=BB81_12 Depth=1
                                        ; implicit-def: $sgpr38_sgpr39
                                        ; implicit-def: $sgpr42_sgpr43
                                        ; implicit-def: $sgpr40_sgpr41
	s_branch .LBB81_240
.LBB81_198:                             ;   in Loop: Header=BB81_12 Depth=1
	s_mov_b32 s53, 1
	s_andn2_b64 vcc, exec, s[38:39]
	s_mov_b64 s[48:49], -1
	s_cbranch_vccnz .LBB81_197
.LBB81_199:                             ;   in Loop: Header=BB81_12 Depth=1
	s_cmp_eq_u32 s50, 1
	s_cselect_b64 s[0:1], -1, 0
	s_cmp_eq_u32 s52, 1
	s_cselect_b64 s[2:3], -1, 0
	s_and_b64 s[36:37], s[0:1], s[2:3]
	s_mov_b64 s[44:45], -1
	s_and_b64 vcc, exec, s[36:37]
	s_cbranch_vccz .LBB81_211
; %bb.200:                              ;   in Loop: Header=BB81_12 Depth=1
	ds_read_b32 v2, v23 offset:4104
	s_waitcnt lgkmcnt(0)
	s_barrier
	v_readfirstlane_b32 s0, v2
	s_and_saveexec_b64 s[38:39], s[6:7]
	s_cbranch_execz .LBB81_202
; %bb.201:                              ;   in Loop: Header=BB81_12 Depth=1
	ds_write_b8 v0, v23 offset:3072
.LBB81_202:                             ;   in Loop: Header=BB81_12 Depth=1
	s_or_b64 exec, exec, s[38:39]
	s_or_b32 s74, s74, s51
	s_or_b32 s13, s13, s51
	s_cmp_eq_u32 s0, 0
	s_waitcnt lgkmcnt(0)
	s_barrier
	s_cbranch_scc1 .LBB81_212
; %bb.203:                              ;   in Loop: Header=BB81_12 Depth=1
	v_readlane_b32 s1, v42, 17
	s_add_i32 s1, s0, s1
	v_readlane_b32 s2, v42, 34
	s_mul_hi_u32 s2, s1, s2
	s_mul_i32 s2, s2, s59
	s_sub_i32 s2, s1, s2
	s_sub_i32 s3, s2, s59
	s_cmp_ge_u32 s2, s59
	s_cselect_b32 s2, s3, s2
	s_sub_i32 s3, s2, s59
	s_cmp_ge_u32 s2, s59
	s_cselect_b32 s2, s3, s2
	s_sub_i32 s1, s1, s2
	v_cmp_gt_u32_e32 vcc, s1, v0
	s_mov_b64 s[44:45], 0
                                        ; implicit-def: $vgpr25
	s_and_saveexec_b64 s[38:39], vcc
	s_cbranch_execz .LBB81_214
; %bb.204:                              ;   in Loop: Header=BB81_12 Depth=1
	v_mov_b32_e32 v2, v0
                                        ; implicit-def: $sgpr42_sgpr43
	s_branch .LBB81_206
.LBB81_205:                             ;   in Loop: Header=BB81_206 Depth=2
	s_or_b64 exec, exec, s[44:45]
	s_waitcnt lgkmcnt(0)
	s_barrier
	ds_read_u16 v3, v23 offset:3072
	v_add_u32_e32 v2, s59, v2
	v_cmp_le_u32_e32 vcc, s1, v2
	s_waitcnt lgkmcnt(0)
	s_barrier
	v_cmp_ne_u16_sdwa s[2:3], v3, v23 src0_sel:BYTE_0 src1_sel:DWORD
	s_or_b64 s[44:45], vcc, s[2:3]
	s_and_b64 s[44:45], exec, s[44:45]
	s_or_b64 s[40:41], s[44:45], s[40:41]
	s_andn2_b64 s[42:43], s[42:43], exec
	s_and_b64 s[2:3], s[2:3], exec
	s_or_b64 s[42:43], s[42:43], s[2:3]
	s_andn2_b64 exec, exec, s[40:41]
	s_cbranch_execz .LBB81_213
.LBB81_206:                             ;   Parent Loop BB81_12 Depth=1
                                        ; =>  This Inner Loop Header: Depth=2
	v_cmp_gt_u32_e32 vcc, s0, v2
	v_mov_b32_e32 v3, 0
	s_and_saveexec_b64 s[44:45], vcc
	s_cbranch_execz .LBB81_208
; %bb.207:                              ;   in Loop: Header=BB81_206 Depth=2
	ds_read_u8 v3, v2
.LBB81_208:                             ;   in Loop: Header=BB81_206 Depth=2
	s_or_b64 exec, exec, s[44:45]
	s_and_saveexec_b64 s[44:45], vcc
	s_cbranch_execz .LBB81_205
; %bb.209:                              ;   in Loop: Header=BB81_206 Depth=2
	s_waitcnt lgkmcnt(0)
	v_add_u32_sdwa v4, sext(v3), s80 dst_sel:DWORD dst_unused:UNUSED_PAD src0_sel:BYTE_0 src1_sel:DWORD
	v_and_b32_e32 v4, s13, v4
	v_cmp_eq_u32_e32 vcc, s74, v4
	s_and_b64 exec, exec, vcc
	s_cbranch_execz .LBB81_205
; %bb.210:                              ;   in Loop: Header=BB81_206 Depth=2
	v_lshlrev_b16_e32 v3, 8, v3
	v_or_b32_e32 v3, 1, v3
	ds_write_b16 v23, v3 offset:3072
	s_branch .LBB81_205
.LBB81_211:                             ;   in Loop: Header=BB81_12 Depth=1
                                        ; implicit-def: $sgpr38_sgpr39
                                        ; implicit-def: $sgpr42_sgpr43
                                        ; implicit-def: $sgpr40_sgpr41
	s_branch .LBB81_225
.LBB81_212:                             ;   in Loop: Header=BB81_12 Depth=1
	s_mov_b64 s[38:39], -1
	s_mov_b64 s[44:45], 0
                                        ; implicit-def: $sgpr40_sgpr41
                                        ; implicit-def: $vgpr25
	s_mov_b64 s[42:43], s[38:39]
	s_cbranch_execnz .LBB81_215
	s_branch .LBB81_225
.LBB81_213:                             ;   in Loop: Header=BB81_12 Depth=1
	s_or_b64 exec, exec, s[40:41]
	v_lshrrev_b16_e32 v25, 8, v3
	s_and_b64 s[44:45], s[42:43], exec
.LBB81_214:                             ;   in Loop: Header=BB81_12 Depth=1
	s_or_b64 exec, exec, s[38:39]
	s_mov_b64 s[40:41], -1
	s_mov_b64 s[38:39], 0
	s_mov_b64 s[42:43], s[38:39]
	s_branch .LBB81_225
.LBB81_215:                             ;   in Loop: Header=BB81_12 Depth=1
	s_mov_b64 s[44:45], 0
                                        ; implicit-def: $vgpr25
	s_mov_b64 s[38:39], exec
	v_readlane_b32 s0, v42, 35
	v_readlane_b32 s1, v42, 36
	s_and_b64 s[0:1], s[38:39], s[0:1]
	s_mov_b64 exec, s[0:1]
	s_cbranch_execz .LBB81_224
; %bb.216:                              ;   in Loop: Header=BB81_12 Depth=1
	s_mov_b64 s[40:41], 0
	v_mov_b32_e32 v2, v9
	v_mov_b32_e32 v3, v0
                                        ; implicit-def: $sgpr42_sgpr43
	s_branch .LBB81_218
.LBB81_217:                             ;   in Loop: Header=BB81_218 Depth=2
	s_or_b64 exec, exec, s[44:45]
	s_waitcnt lgkmcnt(0)
	s_barrier
	s_waitcnt vmcnt(0)
	ds_read_u16 v4, v23 offset:3072
	v_add_u32_e32 v3, s59, v3
	v_cmp_le_u32_e32 vcc, s78, v3
	v_add_u32_e32 v2, s57, v2
	s_waitcnt lgkmcnt(0)
	v_cmp_ne_u16_sdwa s[0:1], v4, v23 src0_sel:BYTE_0 src1_sel:DWORD
	s_or_b64 s[2:3], vcc, s[0:1]
	s_and_b64 s[2:3], exec, s[2:3]
	s_or_b64 s[40:41], s[2:3], s[40:41]
	s_andn2_b64 s[2:3], s[42:43], exec
	s_and_b64 s[0:1], s[0:1], exec
	s_or_b64 s[42:43], s[2:3], s[0:1]
	s_barrier
	s_andn2_b64 exec, exec, s[40:41]
	s_cbranch_execz .LBB81_223
.LBB81_218:                             ;   Parent Loop BB81_12 Depth=1
                                        ; =>  This Inner Loop Header: Depth=2
	v_cmp_gt_u32_e32 vcc, s56, v3
	v_mov_b32_e32 v4, 0
	s_and_saveexec_b64 s[44:45], vcc
	s_cbranch_execz .LBB81_220
; %bb.219:                              ;   in Loop: Header=BB81_218 Depth=2
	global_load_ubyte v4, v2, s[64:65]
.LBB81_220:                             ;   in Loop: Header=BB81_218 Depth=2
	s_or_b64 exec, exec, s[44:45]
	s_and_saveexec_b64 s[44:45], vcc
	s_cbranch_execz .LBB81_217
; %bb.221:                              ;   in Loop: Header=BB81_218 Depth=2
	s_waitcnt vmcnt(0)
	v_add_u32_sdwa v5, sext(v4), s80 dst_sel:DWORD dst_unused:UNUSED_PAD src0_sel:BYTE_0 src1_sel:DWORD
	v_and_b32_e32 v5, s13, v5
	v_cmp_eq_u32_e32 vcc, s74, v5
	s_and_b64 exec, exec, vcc
	s_cbranch_execz .LBB81_217
; %bb.222:                              ;   in Loop: Header=BB81_218 Depth=2
	v_lshlrev_b16_e32 v4, 8, v4
	v_or_b32_e32 v4, 1, v4
	ds_write_b16 v23, v4 offset:3072
	s_branch .LBB81_217
.LBB81_223:                             ;   in Loop: Header=BB81_12 Depth=1
	s_or_b64 exec, exec, s[40:41]
	v_lshrrev_b16_e32 v25, 8, v4
	s_and_b64 s[44:45], s[42:43], exec
.LBB81_224:                             ;   in Loop: Header=BB81_12 Depth=1
	s_or_b64 exec, exec, s[38:39]
	s_mov_b64 s[42:43], -1
	s_mov_b64 s[38:39], 0
	s_mov_b64 s[40:41], 0
.LBB81_225:                             ;   in Loop: Header=BB81_12 Depth=1
	s_mov_b64 s[48:49], 0
                                        ; implicit-def: $sgpr53
	s_and_saveexec_b64 s[46:47], s[44:45]
	s_cbranch_execz .LBB81_239
; %bb.226:                              ;   in Loop: Header=BB81_12 Depth=1
	s_xor_b64 s[0:1], s[36:37], -1
	s_andn2_b64 vcc, exec, s[0:1]
	s_mov_b32 s53, 1
	s_cbranch_vccnz .LBB81_233
; %bb.227:                              ;   in Loop: Header=BB81_12 Depth=1
	s_cmp_gt_u32 s52, s50
	s_cbranch_scc1 .LBB81_234
; %bb.228:                              ;   in Loop: Header=BB81_12 Depth=1
	ds_read_b32 v2, v23 offset:4104
	s_waitcnt lgkmcnt(0)
	v_cmp_ne_u32_e32 vcc, 0, v2
	s_cbranch_vccnz .LBB81_232
; %bb.229:                              ;   in Loop: Header=BB81_12 Depth=1
	s_mov_b64 s[36:37], exec
	v_readlane_b32 s0, v42, 2
	v_readlane_b32 s1, v42, 3
	s_and_b64 s[0:1], s[36:37], s[0:1]
	s_mov_b64 exec, s[0:1]
	s_cbranch_execz .LBB81_231
; %bb.230:                              ;   in Loop: Header=BB81_12 Depth=1
	v_mov_b32_e32 v2, s50
	ds_write_b32 v23, v2 offset:4108
.LBB81_231:                             ;   in Loop: Header=BB81_12 Depth=1
	s_or_b64 exec, exec, s[36:37]
	s_waitcnt lgkmcnt(0)
	s_barrier
.LBB81_232:                             ;   in Loop: Header=BB81_12 Depth=1
	s_or_b32 s0, s74, s51
	s_or_b32 s1, s13, s51
	s_mov_b64 s[36:37], 0
	s_mov_b32 s53, 8
	s_branch .LBB81_235
.LBB81_233:                             ;   in Loop: Header=BB81_12 Depth=1
	s_mov_b32 s52, 1
	s_branch .LBB81_238
.LBB81_234:                             ;   in Loop: Header=BB81_12 Depth=1
	s_mov_b64 s[36:37], -1
                                        ; implicit-def: $sgpr53
                                        ; implicit-def: $sgpr0
                                        ; implicit-def: $sgpr1
.LBB81_235:                             ;   in Loop: Header=BB81_12 Depth=1
	s_andn2_b64 vcc, exec, s[36:37]
	s_cbranch_vccnz .LBB81_237
; %bb.236:                              ;   in Loop: Header=BB81_12 Depth=1
	s_sub_i32 s52, s52, s50
	s_mov_b32 s53, 8
	s_mov_b32 s0, s74
	;; [unrolled: 1-line block ×3, first 2 shown]
.LBB81_237:                             ;   in Loop: Header=BB81_12 Depth=1
	s_mov_b32 s74, s0
	s_mov_b32 s13, s1
.LBB81_238:                             ;   in Loop: Header=BB81_12 Depth=1
	s_mov_b64 s[48:49], exec
.LBB81_239:                             ;   in Loop: Header=BB81_12 Depth=1
	s_or_b64 exec, exec, s[46:47]
.LBB81_240:                             ;   in Loop: Header=BB81_12 Depth=1
	s_andn2_b64 s[0:1], s[26:27], exec
	s_and_b64 s[2:3], s[38:39], exec
	s_or_b64 s[26:27], s[0:1], s[2:3]
	s_andn2_b64 s[0:1], s[30:31], exec
	s_and_b64 s[2:3], s[42:43], exec
	s_or_b64 s[30:31], s[0:1], s[2:3]
	;; [unrolled: 3-line block ×3, first 2 shown]
	s_and_b64 s[40:41], s[48:49], exec
	s_mov_b32 s45, s52
.LBB81_241:                             ;   in Loop: Header=BB81_12 Depth=1
	s_or_b64 exec, exec, s[34:35]
.LBB81_242:                             ;   in Loop: Header=BB81_12 Depth=1
	s_andn2_b64 s[0:1], s[20:21], exec
	s_and_b64 s[2:3], s[26:27], exec
	s_or_b64 s[20:21], s[0:1], s[2:3]
	s_andn2_b64 s[0:1], s[22:23], exec
	s_and_b64 s[2:3], s[30:31], exec
	s_or_b64 s[22:23], s[0:1], s[2:3]
	;; [unrolled: 3-line block ×3, first 2 shown]
	s_and_b64 s[30:31], s[40:41], exec
	s_mov_b32 s35, s45
.LBB81_243:                             ;   in Loop: Header=BB81_12 Depth=1
	s_or_b64 exec, exec, s[24:25]
                                        ; implicit-def: $sgpr75
	s_and_saveexec_b64 s[0:1], s[30:31]
	s_xor_b64 s[24:25], exec, s[0:1]
	s_cbranch_execz .LBB81_10
.LBB81_244:                             ;   in Loop: Header=BB81_12 Depth=1
	s_and_b32 s0, s53, -9
	s_cmp_eq_u32 s0, 0
	s_cbranch_scc1 .LBB81_8
; %bb.245:                              ;   in Loop: Header=BB81_12 Depth=1
	s_mov_b64 s[16:17], -1
                                        ; implicit-def: $sgpr13
                                        ; implicit-def: $sgpr35
                                        ; implicit-def: $sgpr81
                                        ; implicit-def: $sgpr12
	s_mov_b64 s[26:27], -1
	s_branch .LBB81_9
.LBB81_246:
	s_or_b64 exec, exec, s[88:89]
	s_xor_b64 s[8:9], s[94:95], -1
	s_xor_b64 s[0:1], s[90:91], -1
	;; [unrolled: 1-line block ×3, first 2 shown]
	s_mov_b64 s[4:5], 0
	s_and_saveexec_b64 s[2:3], s[0:1]
	s_xor_b64 s[0:1], exec, s[2:3]
	s_cbranch_execnz .LBB81_251
; %bb.247:
	s_andn2_saveexec_b64 s[0:1], s[0:1]
	s_cbranch_execnz .LBB81_264
.LBB81_248:
	s_or_b64 exec, exec, s[0:1]
	s_and_saveexec_b64 s[0:1], s[4:5]
.LBB81_249:
	; divergent unreachable
.LBB81_250:
	s_endpgm
.LBB81_251:
	s_and_saveexec_b64 s[2:3], s[8:9]
	s_xor_b64 s[4:5], exec, s[2:3]
	s_cbranch_execz .LBB81_262
; %bb.252:
	s_and_saveexec_b64 s[2:3], s[6:7]
	s_xor_b64 s[6:7], exec, s[2:3]
; %bb.253:
	v_xor_b32_e32 v25, 0xffffff80, v2
; %bb.254:
	s_or_b64 exec, exec, s[6:7]
	v_readlane_b32 s7, v42, 0
	v_readlane_b32 s8, v42, 12
	s_mul_i32 s2, s8, s7
	v_readlane_b32 s18, v42, 14
	s_sub_i32 s2, s18, s2
	s_add_i32 s3, s8, 1
	s_sub_i32 s6, s2, s7
	s_cmp_ge_u32 s2, s7
	s_cselect_b32 s3, s3, s8
	s_cselect_b32 s2, s6, s2
	s_add_i32 s6, s3, 1
	s_cmp_ge_u32 s2, s7
	s_cselect_b32 s2, s6, s3
	s_mul_i32 s3, s2, s7
	v_readlane_b32 s6, v42, 8
	s_sub_i32 s3, s18, s3
	v_readlane_b32 s7, v42, 9
	s_mul_i32 s3, s3, s7
	s_mul_i32 s2, s2, s6
	s_add_i32 s2, s2, s3
	v_mov_b32_e32 v1, s2
	v_readlane_b32 s2, v42, 10
	v_readlane_b32 s3, v42, 11
	s_nop 4
	global_store_byte v1, v25, s[2:3]
	s_mov_b64 s[6:7], exec
	v_readlane_b32 s2, v42, 15
	v_readlane_b32 s3, v42, 16
	s_and_b64 s[2:3], s[6:7], s[2:3]
	s_mov_b64 exec, s[2:3]
	s_cbranch_execz .LBB81_261
; %bb.255:
	s_mov_b64 s[2:3], 0
                                        ; implicit-def: $sgpr8_sgpr9
                                        ; implicit-def: $sgpr12_sgpr13
                                        ; implicit-def: $sgpr10_sgpr11
	s_branch .LBB81_257
.LBB81_256:                             ;   in Loop: Header=BB81_257 Depth=1
	s_or_b64 exec, exec, s[14:15]
	s_and_b64 s[14:15], exec, s[12:13]
	s_or_b64 s[2:3], s[14:15], s[2:3]
	s_andn2_b64 s[8:9], s[8:9], exec
	s_and_b64 s[14:15], s[10:11], exec
	s_or_b64 s[8:9], s[8:9], s[14:15]
	s_andn2_b64 exec, exec, s[2:3]
	s_cbranch_execz .LBB81_259
.LBB81_257:                             ; =>This Inner Loop Header: Depth=1
	global_load_ubyte v1, v9, s[64:65]
	v_mov_b32_e32 v2, v0
	s_or_b64 s[10:11], s[10:11], exec
	s_or_b64 s[12:13], s[12:13], exec
                                        ; implicit-def: $vgpr0
	s_waitcnt vmcnt(0)
	v_cmp_ne_u16_sdwa s[16:17], v1, v25 src0_sel:DWORD src1_sel:BYTE_0
	s_and_saveexec_b64 s[14:15], s[16:17]
	s_cbranch_execz .LBB81_256
; %bb.258:                              ;   in Loop: Header=BB81_257 Depth=1
	v_add_u32_e32 v0, s59, v2
	v_cmp_le_u32_e32 vcc, s56, v0
	s_andn2_b64 s[12:13], s[12:13], exec
	s_and_b64 s[16:17], vcc, exec
	v_add_u32_e32 v9, s57, v9
	s_andn2_b64 s[10:11], s[10:11], exec
	s_or_b64 s[12:13], s[12:13], s[16:17]
	s_branch .LBB81_256
.LBB81_259:
	s_or_b64 exec, exec, s[2:3]
	s_and_saveexec_b64 s[2:3], s[8:9]
	s_xor_b64 s[2:3], exec, s[2:3]
	s_cbranch_execz .LBB81_261
; %bb.260:
	v_readlane_b32 s9, v42, 1
	v_readlane_b32 s10, v42, 13
	s_mul_i32 s2, s10, s9
	s_sub_i32 s2, s18, s2
	s_add_i32 s3, s10, 1
	s_sub_i32 s8, s2, s9
	s_cmp_ge_u32 s2, s9
	s_cselect_b32 s3, s3, s10
	s_cselect_b32 s2, s8, s2
	s_add_i32 s8, s3, 1
	s_cmp_ge_u32 s2, s9
	s_cselect_b32 s2, s8, s3
	s_mul_i32 s3, s2, s9
	v_readlane_b32 s8, v42, 4
	s_sub_i32 s3, s18, s3
	v_readlane_b32 s9, v42, 5
	s_mul_i32 s3, s3, s9
	s_mul_i32 s2, s2, s8
	s_add_i32 s2, s2, s3
	s_mov_b32 s3, 0
	s_lshl_b64 s[2:3], s[2:3], 3
	v_readlane_b32 s8, v42, 6
	v_readlane_b32 s9, v42, 7
	s_add_u32 s2, s8, s2
	s_addc_u32 s3, s9, s3
	v_mov_b32_e32 v3, 0
	global_store_dwordx2 v3, v[2:3], s[2:3]
.LBB81_261:
	s_or_b64 exec, exec, s[6:7]
.LBB81_262:
	s_or_saveexec_b64 s[2:3], s[4:5]
	s_mov_b64 s[4:5], 0
	s_xor_b64 exec, exec, s[2:3]
	s_cbranch_execnz .LBB81_265
.LBB81_263:
	s_or_b64 exec, exec, s[2:3]
	s_and_b64 s[4:5], s[4:5], exec
	s_andn2_saveexec_b64 s[0:1], s[0:1]
	s_cbranch_execz .LBB81_248
.LBB81_264:
	s_or_b64 s[4:5], s[4:5], exec
	s_trap 2
	s_or_b64 exec, exec, s[0:1]
	s_and_saveexec_b64 s[0:1], s[4:5]
	s_cbranch_execnz .LBB81_249
	s_branch .LBB81_250
.LBB81_265:
	s_mov_b64 s[4:5], exec
	s_trap 2
	s_branch .LBB81_263
	.section	.rodata,"a",@progbits
	.p2align	6, 0x0
	.amdhsa_kernel _ZN2at6native12_GLOBAL__N_112gatherMedianIajLi2EEEvNS_4cuda6detail10TensorInfoIT_T0_EENS5_IlS7_EENS5_IKS6_S7_EES7_S7_S7_b
		.amdhsa_group_segment_fixed_size 4120
		.amdhsa_private_segment_fixed_size 0
		.amdhsa_kernarg_size 920
		.amdhsa_user_sgpr_count 6
		.amdhsa_user_sgpr_private_segment_buffer 1
		.amdhsa_user_sgpr_dispatch_ptr 0
		.amdhsa_user_sgpr_queue_ptr 0
		.amdhsa_user_sgpr_kernarg_segment_ptr 1
		.amdhsa_user_sgpr_dispatch_id 0
		.amdhsa_user_sgpr_flat_scratch_init 0
		.amdhsa_user_sgpr_kernarg_preload_length 0
		.amdhsa_user_sgpr_kernarg_preload_offset 0
		.amdhsa_user_sgpr_private_segment_size 0
		.amdhsa_uses_dynamic_stack 0
		.amdhsa_system_sgpr_private_segment_wavefront_offset 0
		.amdhsa_system_sgpr_workgroup_id_x 1
		.amdhsa_system_sgpr_workgroup_id_y 1
		.amdhsa_system_sgpr_workgroup_id_z 1
		.amdhsa_system_sgpr_workgroup_info 0
		.amdhsa_system_vgpr_workitem_id 0
		.amdhsa_next_free_vgpr 43
		.amdhsa_next_free_sgpr 96
		.amdhsa_accum_offset 44
		.amdhsa_reserve_vcc 1
		.amdhsa_reserve_flat_scratch 0
		.amdhsa_float_round_mode_32 0
		.amdhsa_float_round_mode_16_64 0
		.amdhsa_float_denorm_mode_32 3
		.amdhsa_float_denorm_mode_16_64 3
		.amdhsa_dx10_clamp 1
		.amdhsa_ieee_mode 1
		.amdhsa_fp16_overflow 0
		.amdhsa_tg_split 0
		.amdhsa_exception_fp_ieee_invalid_op 0
		.amdhsa_exception_fp_denorm_src 0
		.amdhsa_exception_fp_ieee_div_zero 0
		.amdhsa_exception_fp_ieee_overflow 0
		.amdhsa_exception_fp_ieee_underflow 0
		.amdhsa_exception_fp_ieee_inexact 0
		.amdhsa_exception_int_div_zero 0
	.end_amdhsa_kernel
	.section	.text._ZN2at6native12_GLOBAL__N_112gatherMedianIajLi2EEEvNS_4cuda6detail10TensorInfoIT_T0_EENS5_IlS7_EENS5_IKS6_S7_EES7_S7_S7_b,"axG",@progbits,_ZN2at6native12_GLOBAL__N_112gatherMedianIajLi2EEEvNS_4cuda6detail10TensorInfoIT_T0_EENS5_IlS7_EENS5_IKS6_S7_EES7_S7_S7_b,comdat
.Lfunc_end81:
	.size	_ZN2at6native12_GLOBAL__N_112gatherMedianIajLi2EEEvNS_4cuda6detail10TensorInfoIT_T0_EENS5_IlS7_EENS5_IKS6_S7_EES7_S7_S7_b, .Lfunc_end81-_ZN2at6native12_GLOBAL__N_112gatherMedianIajLi2EEEvNS_4cuda6detail10TensorInfoIT_T0_EENS5_IlS7_EENS5_IKS6_S7_EES7_S7_S7_b
                                        ; -- End function
	.section	.AMDGPU.csdata,"",@progbits
; Kernel info:
; codeLenInByte = 9612
; NumSgprs: 100
; NumVgprs: 43
; NumAgprs: 0
; TotalNumVgprs: 43
; ScratchSize: 0
; MemoryBound: 0
; FloatMode: 240
; IeeeMode: 1
; LDSByteSize: 4120 bytes/workgroup (compile time only)
; SGPRBlocks: 12
; VGPRBlocks: 5
; NumSGPRsForWavesPerEU: 100
; NumVGPRsForWavesPerEU: 43
; AccumOffset: 44
; Occupancy: 8
; WaveLimiterHint : 1
; COMPUTE_PGM_RSRC2:SCRATCH_EN: 0
; COMPUTE_PGM_RSRC2:USER_SGPR: 6
; COMPUTE_PGM_RSRC2:TRAP_HANDLER: 0
; COMPUTE_PGM_RSRC2:TGID_X_EN: 1
; COMPUTE_PGM_RSRC2:TGID_Y_EN: 1
; COMPUTE_PGM_RSRC2:TGID_Z_EN: 1
; COMPUTE_PGM_RSRC2:TIDIG_COMP_CNT: 0
; COMPUTE_PGM_RSRC3_GFX90A:ACCUM_OFFSET: 10
; COMPUTE_PGM_RSRC3_GFX90A:TG_SPLIT: 0
	.section	.text._ZN2at6native12_GLOBAL__N_112gatherMedianIajLi3EEEvNS_4cuda6detail10TensorInfoIT_T0_EENS5_IlS7_EENS5_IKS6_S7_EES7_S7_S7_b,"axG",@progbits,_ZN2at6native12_GLOBAL__N_112gatherMedianIajLi3EEEvNS_4cuda6detail10TensorInfoIT_T0_EENS5_IlS7_EENS5_IKS6_S7_EES7_S7_S7_b,comdat
	.globl	_ZN2at6native12_GLOBAL__N_112gatherMedianIajLi3EEEvNS_4cuda6detail10TensorInfoIT_T0_EENS5_IlS7_EENS5_IKS6_S7_EES7_S7_S7_b ; -- Begin function _ZN2at6native12_GLOBAL__N_112gatherMedianIajLi3EEEvNS_4cuda6detail10TensorInfoIT_T0_EENS5_IlS7_EENS5_IKS6_S7_EES7_S7_S7_b
	.p2align	8
	.type	_ZN2at6native12_GLOBAL__N_112gatherMedianIajLi3EEEvNS_4cuda6detail10TensorInfoIT_T0_EENS5_IlS7_EENS5_IKS6_S7_EES7_S7_S7_b,@function
_ZN2at6native12_GLOBAL__N_112gatherMedianIajLi3EEEvNS_4cuda6detail10TensorInfoIT_T0_EENS5_IlS7_EENS5_IKS6_S7_EES7_S7_S7_b: ; @_ZN2at6native12_GLOBAL__N_112gatherMedianIajLi3EEEvNS_4cuda6detail10TensorInfoIT_T0_EENS5_IlS7_EENS5_IKS6_S7_EES7_S7_S7_b
; %bb.0:
	s_load_dwordx2 s[14:15], s[4:5], 0x298
	s_load_dwordx4 s[56:59], s[4:5], 0x288
	s_add_u32 s12, s4, 0x298
	s_addc_u32 s13, s5, 0
	s_waitcnt lgkmcnt(0)
	s_mul_i32 s0, s15, s8
	s_add_i32 s0, s0, s7
	s_mul_i32 s0, s0, s14
	s_add_i32 s22, s0, s6
	s_cmp_ge_u32 s22, s57
	s_cbranch_scc1 .LBB82_250
; %bb.1:
	s_load_dwordx2 s[16:17], s[4:5], 0xc
	s_load_dwordx2 s[2:3], s[4:5], 0x1bc
	;; [unrolled: 1-line block ×3, first 2 shown]
	s_load_dwordx4 s[8:11], s[4:5], 0x21c
                                        ; implicit-def: $vgpr42 : SGPR spill to VGPR lane
	v_cmp_eq_u32_e64 s[20:21], 0, v0
	s_waitcnt lgkmcnt(0)
	v_cvt_f32_u32_e32 v3, s19
	v_cvt_f32_u32_e32 v1, s17
	s_sub_i32 s0, 0, s17
	v_cvt_f32_u32_e32 v2, s16
	v_rcp_iflag_f32_e32 v3, v3
	v_rcp_iflag_f32_e32 v1, v1
	v_rcp_iflag_f32_e32 v2, v2
	v_mul_f32_e32 v1, 0x4f7ffffe, v1
	v_cvt_u32_f32_e32 v1, v1
	v_mul_f32_e32 v2, 0x4f7ffffe, v2
	v_cvt_u32_f32_e32 v2, v2
	v_readfirstlane_b32 s1, v1
	s_mul_i32 s0, s0, s1
	s_mul_hi_u32 s0, s1, s0
	s_add_i32 s1, s1, s0
	s_mul_hi_u32 s0, s22, s1
	s_mul_i32 s1, s0, s17
	s_sub_i32 s1, s22, s1
	s_add_i32 s7, s0, 1
	s_sub_i32 s11, s1, s17
	s_cmp_ge_u32 s1, s17
	s_cselect_b32 s0, s7, s0
	v_mul_f32_e32 v1, 0x4f7ffffe, v3
	s_cselect_b32 s1, s11, s1
	s_add_i32 s7, s0, 1
	v_cvt_u32_f32_e32 v1, v1
	s_cmp_ge_u32 s1, s17
	s_cselect_b32 s0, s7, s0
	v_writelane_b32 v42, s0, 0
	v_writelane_b32 v42, s16, 1
	s_sub_i32 s0, 0, s16
	v_readfirstlane_b32 s1, v2
	v_readfirstlane_b32 s11, v1
	v_cvt_f32_u32_e32 v1, s18
	s_mul_i32 s0, s0, s1
	s_mul_hi_u32 s7, s1, s0
	s_sub_i32 s0, 0, s19
	s_mul_i32 s0, s0, s11
	s_mul_hi_u32 s0, s11, s0
	v_rcp_iflag_f32_e32 v1, v1
	s_add_i32 s11, s11, s0
	v_cvt_f32_u32_e32 v2, s3
	s_mul_hi_u32 s0, s22, s11
	s_mul_i32 s11, s0, s19
	s_sub_i32 s11, s22, s11
	v_mul_f32_e32 v1, 0x4f7ffffe, v1
	v_writelane_b32 v42, s17, 2
	s_add_i32 s15, s0, 1
	s_sub_i32 s16, s11, s19
	v_cvt_u32_f32_e32 v1, v1
	v_rcp_iflag_f32_e32 v2, v2
	s_cmp_ge_u32 s11, s19
	s_cselect_b32 s0, s15, s0
	s_cselect_b32 s11, s16, s11
	s_add_i32 s15, s0, 1
	s_cmp_ge_u32 s11, s19
	v_readfirstlane_b32 s11, v1
	v_mul_f32_e32 v1, 0x4f7ffffe, v2
	v_cvt_u32_f32_e32 v1, v1
	s_cselect_b32 s0, s15, s0
	v_writelane_b32 v42, s0, 3
	v_writelane_b32 v42, s18, 4
	s_sub_i32 s0, 0, s18
	s_mul_i32 s0, s0, s11
	v_readfirstlane_b32 s16, v1
	v_cvt_f32_u32_e32 v1, s2
	s_mul_hi_u32 s15, s11, s0
	s_sub_i32 s0, 0, s3
	s_mul_i32 s0, s0, s16
	s_mul_hi_u32 s0, s16, s0
	s_add_i32 s16, s16, s0
	v_rcp_iflag_f32_e32 v1, v1
	s_mul_hi_u32 s0, s22, s16
	s_mul_i32 s16, s0, s3
	s_sub_i32 s16, s22, s16
	v_writelane_b32 v42, s19, 5
	s_add_i32 s17, s0, 1
	s_sub_i32 s18, s16, s3
	v_mul_f32_e32 v1, 0x4f7ffffe, v1
	s_cmp_ge_u32 s16, s3
	v_cvt_u32_f32_e32 v1, v1
	s_cselect_b32 s0, s17, s0
	s_cselect_b32 s16, s18, s16
	s_add_i32 s17, s0, 1
	s_cmp_ge_u32 s16, s3
	s_cselect_b32 s0, s17, s0
	s_sub_i32 s16, 0, s2
	v_readfirstlane_b32 s18, v1
	s_mul_i32 s16, s16, s18
	s_mul_hi_u32 s16, s18, s16
	s_add_i32 s18, s18, s16
	s_mov_b64 s[16:17], exec
	v_writelane_b32 v42, s20, 6
	v_writelane_b32 v42, s21, 7
	s_and_b64 s[20:21], s[16:17], s[20:21]
	s_mov_b64 exec, s[20:21]
	s_cbranch_execz .LBB82_3
; %bb.2:
	v_mov_b32_e32 v2, 0
	v_mov_b32_e32 v3, v2
	ds_write_b64 v2, v[2:3] offset:4096
.LBB82_3:
	s_or_b64 exec, exec, s[16:17]
	s_load_dwordx4 s[24:27], s[4:5], 0x144
	v_mov_b32_e32 v1, 0
	s_waitcnt lgkmcnt(0)
	s_barrier
	v_writelane_b32 v42, s24, 8
	v_writelane_b32 v42, s25, 9
	;; [unrolled: 1-line block ×4, first 2 shown]
	s_load_dwordx4 s[24:27], s[4:5], 0x6c
	s_load_dwordx2 s[16:17], s[4:5], 0x1b0
	s_waitcnt lgkmcnt(0)
	s_barrier
	ds_read_b64 v[2:3], v1 offset:4096
	s_add_i32 s7, s1, s7
	s_add_i32 s11, s11, s15
	s_bitcmp1_b32 s59, 0
	v_writelane_b32 v42, s24, 12
	s_mul_hi_u32 s1, s0, s18
	s_cselect_b64 s[18:19], -1, 0
	s_waitcnt lgkmcnt(0)
	v_cmp_gt_i64_e32 vcc, 1, v[2:3]
	v_writelane_b32 v42, s25, 13
	s_or_b64 s[18:19], s[18:19], vcc
	v_writelane_b32 v42, s26, 14
	s_andn2_b64 vcc, exec, s[18:19]
	s_mov_b32 s83, s56
	v_writelane_b32 v42, s27, 15
	s_cbranch_vccnz .LBB82_5
; %bb.4:
	v_not_b32_e32 v1, v2
	v_not_b32_e32 v2, v3
	v_add_co_u32_e32 v1, vcc, s56, v1
	v_addc_co_u32_e32 v2, vcc, 0, v2, vcc
	v_lshrrev_b32_e32 v3, 31, v2
	v_add_co_u32_e32 v1, vcc, v1, v3
	v_addc_co_u32_e32 v2, vcc, 0, v2, vcc
	v_alignbit_b32 v1, v2, v1, 1
	v_readfirstlane_b32 s15, v1
	s_add_i32 s83, s15, 1
.LBB82_5:
	s_load_dwordx2 s[18:19], s[4:5], 0xd8
                                        ; kill: killed $sgpr4 killed $sgpr5
	s_waitcnt lgkmcnt(0)
	v_writelane_b32 v42, s18, 16
	v_writelane_b32 v42, s19, 17
	s_load_dwordx2 s[18:19], s[4:5], 0x0
	s_waitcnt lgkmcnt(0)
	v_writelane_b32 v42, s18, 18
	v_writelane_b32 v42, s19, 19
	v_readlane_b32 s4, v42, 0
	s_mul_hi_u32 s4, s4, s7
	v_writelane_b32 v42, s4, 20
	v_readlane_b32 s4, v42, 3
	s_mul_hi_u32 s4, s4, s11
	v_writelane_b32 v42, s4, 21
	s_mov_b64 s[4:5], exec
	v_readlane_b32 s18, v42, 6
	v_readlane_b32 s19, v42, 7
	s_and_b64 s[18:19], s[4:5], s[18:19]
	s_mov_b64 exec, s[18:19]
	s_cbranch_execz .LBB82_7
; %bb.6:
	v_mov_b32_e32 v2, 0
	v_mov_b32_e32 v3, s56
	ds_write_b32 v2, v2 offset:4112
	ds_write_b64 v2, v[2:3] offset:4104
.LBB82_7:
	s_or_b64 exec, exec, s[4:5]
	s_mul_i32 s4, s1, s2
	s_mul_i32 s3, s0, s3
	s_sub_i32 s4, s0, s4
	s_sub_i32 s3, s22, s3
	s_add_i32 s5, s1, 1
	s_sub_i32 s7, s4, s2
	s_cmp_ge_u32 s4, s2
	s_cselect_b32 s1, s5, s1
	s_cselect_b32 s4, s7, s4
	s_add_i32 s5, s1, 1
	s_cmp_ge_u32 s4, s2
	s_cselect_b32 s1, s5, s1
	s_mul_i32 s2, s1, s2
	s_sub_i32 s0, s0, s2
	s_mul_i32 s3, s3, s10
	s_mul_i32 s0, s0, s9
	s_add_i32 s0, s0, s3
	s_mul_i32 s1, s1, s8
	s_add_i32 s0, s0, s1
	s_waitcnt lgkmcnt(0)
	s_barrier
	s_load_dword s1, s[12:13], 0xc
	v_writelane_b32 v42, s22, 22
	s_add_u32 s74, s16, s0
	v_cmp_gt_u32_e64 s[2:3], s56, v0
	v_mbcnt_lo_u32_b32 v1, -1, 0
	s_addc_u32 s75, s17, 0
	v_writelane_b32 v42, s2, 23
	s_waitcnt lgkmcnt(0)
	s_and_b32 s59, s1, 0xffff
	v_mbcnt_hi_u32_b32 v12, -1, v1
	v_writelane_b32 v42, s3, 24
	v_cmp_gt_u32_e32 vcc, 64, v0
	v_cmp_gt_i32_e64 s[4:5], 4, v12
	s_add_i32 s0, s59, -1
	s_lshl_b32 s92, s59, 2
	s_bfe_u32 s3, s1, 0xa0006
	s_and_b64 s[80:81], vcc, s[4:5]
	v_writelane_b32 v42, s0, 25
	s_add_i32 s0, s0, s56
	s_cmpk_gt_u32 s56, 0xc00
	s_cselect_b64 s[4:5], -1, 0
	s_cmp_gt_u32 s59, 63
	s_cselect_b64 s[84:85], -1, 0
	s_cmp_lt_u32 s6, s14
	v_writelane_b32 v42, s4, 26
	s_cselect_b32 s1, 12, 18
	v_writelane_b32 v42, s5, 27
	s_add_u32 s4, s12, s1
	s_addc_u32 s5, s13, 0
	s_add_i32 s1, s3, -2
	s_lshr_b32 s2, s1, 1
	s_add_i32 s2, s2, 1
	v_lshlrev_b64 v[2:3], v12, -1
	v_writelane_b32 v42, s4, 28
	s_cmpk_gt_u32 s59, 0x7f
	v_not_b32_e32 v8, v2
	v_cvt_f32_u32_e32 v2, s92
	v_writelane_b32 v42, s5, 29
	s_cselect_b64 s[4:5], -1, 0
	s_and_b32 s8, s3, 0x3fe
	s_and_b32 s9, s2, 7
	v_writelane_b32 v42, s4, 30
	s_cmp_gt_u32 s1, 13
	v_writelane_b32 v42, s5, 31
	s_cselect_b64 s[10:11], -1, 0
	v_writelane_b32 v42, s10, 32
	v_rcp_iflag_f32_e32 v2, v2
	v_writelane_b32 v42, s11, 33
	s_and_b32 s1, s2, -8
	v_writelane_b32 v42, s1, 34
	s_cmp_lg_u32 s9, 0
	v_writelane_b32 v42, s9, 35
	s_cselect_b64 s[10:11], -1, 0
	v_writelane_b32 v42, s10, 36
	v_mul_f32_e32 v2, 0x4f7ffffe, v2
	v_writelane_b32 v42, s11, 37
	v_cvt_u32_f32_e32 v2, v2
	v_writelane_b32 v42, s3, 38
	s_cmp_lg_u32 s8, s3
	v_writelane_b32 v42, s8, 39
	s_cselect_b64 s[2:3], -1, 0
	v_writelane_b32 v42, s2, 40
	v_writelane_b32 v42, s3, 41
	v_readfirstlane_b32 s2, v2
	v_cvt_f32_u32_e32 v2, s59
	s_sub_i32 s1, 0, s92
	s_mul_i32 s1, s1, s2
	s_mul_hi_u32 s1, s2, s1
	s_add_i32 s95, s2, s1
	v_rcp_iflag_f32_e32 v2, v2
	s_mul_hi_u32 s1, s56, s95
	s_mul_i32 s1, s1, s92
	s_sub_i32 s1, s56, s1
	s_sub_i32 s2, s1, s92
	v_mul_f32_e32 v2, 0x4f7ffffe, v2
	s_cmp_ge_u32 s1, s92
	v_cvt_u32_f32_e32 v2, v2
	s_cselect_b32 s1, s2, s1
	s_sub_i32 s2, s1, s92
	s_cmp_ge_u32 s1, s92
	s_cselect_b32 s1, s2, s1
	s_sub_i32 s2, 0, s59
	v_readfirstlane_b32 s3, v2
	s_mul_i32 s2, s2, s3
	s_mul_hi_u32 s2, s3, s2
	s_add_i32 s2, s3, s2
	v_writelane_b32 v42, s2, 42
	s_mul_hi_u32 s2, s0, s2
	s_mul_i32 s2, s2, s59
	s_sub_i32 s2, s0, s2
	s_sub_i32 s93, s56, s1
	;; [unrolled: 1-line block ×3, first 2 shown]
	s_cmp_ge_u32 s2, s59
	s_cselect_b32 s2, s3, s2
	v_lshlrev_b32_e32 v13, 2, v0
	s_sub_i32 s3, s2, s59
	v_mul_lo_u32 v9, v0, s58
	s_cmp_ge_u32 s2, s59
	v_mul_lo_u32 v2, s58, v13
	v_mov_b32_e32 v1, s75
	v_add_co_u32_e32 v6, vcc, s74, v9
	s_cselect_b32 s2, s3, s2
	v_add_u32_e32 v17, s58, v2
	v_or_b32_e32 v2, 2, v13
	v_addc_co_u32_e32 v7, vcc, 0, v1, vcc
	v_lshrrev_b32_e32 v1, 4, v0
	v_add_u32_e32 v16, s93, v0
	s_sub_i32 s87, s0, s2
	v_mul_lo_u32 v18, s58, v2
	v_or_b32_e32 v2, 3, v13
	s_add_i32 s0, s59, s56
	v_and_b32_e32 v14, 60, v1
	v_not_b32_e32 v1, v3
	v_mul_lo_u32 v3, v16, s58
	v_mul_lo_u32 v19, s58, v2
	v_add_u32_e32 v2, s0, v0
	v_lshlrev_b32_e32 v4, 2, v12
	v_mov_b32_e32 v5, s75
	v_add_co_u32_e32 v10, vcc, s74, v3
	v_cmp_gt_u32_e64 s[2:3], s87, v0
	s_mul_i32 s57, s58, s59
	v_subrev_u32_e32 v2, s1, v2
	s_mov_b32 s78, 0
	v_cmp_eq_u32_e64 s[4:5], 0, v12
	v_cmp_gt_u32_e64 s[6:7], 2, v0
	v_and_b32_e32 v15, 0x100, v4
	v_cmp_gt_u32_e64 s[8:9], s93, v13
	v_cmp_gt_u32_e64 s[10:11], s56, v16
	v_addc_co_u32_e32 v11, vcc, 0, v5, vcc
	v_writelane_b32 v42, s2, 43
	s_lshl_b32 s88, s57, 2
	v_lshlrev_b32_e32 v20, 2, v9
	v_mul_lo_u32 v21, s58, v2
	v_or_b32_e32 v22, 0xc00, v4
	s_mov_b32 s33, 6
	s_mov_b64 s[72:73], 0
	v_mov_b32_e32 v23, 0
	s_movk_i32 s89, 0x80
	v_mov_b32_e32 v24, 0xc00
	v_mov_b32_e32 v25, 0
	s_mov_b32 s12, 0
	s_mov_b32 s82, 0
	;; [unrolled: 1-line block ×3, first 2 shown]
	v_writelane_b32 v42, s3, 44
                                        ; implicit-def: $sgpr60_sgpr61
                                        ; implicit-def: $sgpr76_sgpr77
                                        ; implicit-def: $sgpr62_sgpr63
                                        ; implicit-def: $sgpr64_sgpr65
                                        ; implicit-def: $sgpr66_sgpr67
                                        ; implicit-def: $sgpr68_sgpr69
	s_branch .LBB82_12
.LBB82_8:                               ;   in Loop: Header=BB82_12 Depth=1
	s_xor_b32 s12, s12, 1
	s_add_i32 s0, s33, -2
	s_cmp_eq_u32 s33, 0
	s_mov_b64 s[16:17], 0
	s_cselect_b64 s[26:27], -1, 0
	s_mov_b32 s33, s0
.LBB82_9:                               ;   in Loop: Header=BB82_12 Depth=1
	s_andn2_b64 s[0:1], s[20:21], exec
	s_and_b64 s[2:3], s[16:17], exec
	s_or_b64 s[20:21], s[0:1], s[2:3]
	s_andn2_b64 s[22:23], s[22:23], exec
	s_andn2_b64 s[18:19], s[18:19], exec
	s_orn2_b64 s[16:17], s[26:27], exec
	s_mov_b32 s83, s35
.LBB82_10:                              ;   in Loop: Header=BB82_12 Depth=1
	s_or_b64 exec, exec, s[24:25]
	s_andn2_b64 s[0:1], s[68:69], exec
	s_and_b64 s[2:3], s[20:21], exec
	s_or_b64 s[68:69], s[0:1], s[2:3]
	s_andn2_b64 s[0:1], s[66:67], exec
	s_and_b64 s[2:3], s[22:23], exec
	s_or_b64 s[66:67], s[0:1], s[2:3]
	;; [unrolled: 3-line block ×3, first 2 shown]
	s_orn2_b64 s[16:17], s[16:17], exec
.LBB82_11:                              ;   in Loop: Header=BB82_12 Depth=1
	s_or_b64 exec, exec, s[14:15]
	s_and_b64 s[0:1], exec, s[16:17]
	s_or_b64 s[72:73], s[0:1], s[72:73]
	s_andn2_b64 s[0:1], s[62:63], exec
	s_and_b64 s[2:3], s[68:69], exec
	s_or_b64 s[62:63], s[0:1], s[2:3]
	s_andn2_b64 s[0:1], s[76:77], exec
	s_and_b64 s[2:3], s[66:67], exec
	;; [unrolled: 3-line block ×3, first 2 shown]
	v_mov_b32_e32 v2, s82
	s_or_b64 s[60:61], s[0:1], s[2:3]
	s_andn2_b64 exec, exec, s[72:73]
	s_cbranch_execz .LBB82_246
.LBB82_12:                              ; =>This Loop Header: Depth=1
                                        ;     Child Loop BB82_17 Depth 2
                                        ;     Child Loop BB82_35 Depth 2
	;; [unrolled: 1-line block ×17, first 2 shown]
	ds_read_b64 v[2:3], v23 offset:4104
	s_waitcnt lgkmcnt(0)
	v_readfirstlane_b32 s79, v2
	s_cmp_lg_u32 s79, 0
	s_cbranch_scc1 .LBB82_42
; %bb.13:                               ;   in Loop: Header=BB82_12 Depth=1
	v_readlane_b32 s0, v42, 26
	v_readlane_b32 s1, v42, 27
	s_and_b64 vcc, exec, s[0:1]
	s_cbranch_vccz .LBB82_25
; %bb.14:                               ;   in Loop: Header=BB82_12 Depth=1
	s_movk_i32 s0, 0xc01
	v_cmp_gt_u32_e32 vcc, s0, v3
	s_mov_b64 s[18:19], 0
	s_mov_b64 s[14:15], 0
	s_cbranch_vccz .LBB82_26
; %bb.15:                               ;   in Loop: Header=BB82_12 Depth=1
	v_readlane_b32 s0, v42, 28
	v_readlane_b32 s1, v42, 29
	s_nop 4
	global_load_ushort v2, v23, s[0:1]
	global_load_ubyte v4, v[6:7], off
	s_mov_b64 s[20:21], 0
	v_mov_b32_e32 v26, v0
	s_waitcnt vmcnt(1)
	v_add_u32_e32 v5, v0, v2
	v_mul_lo_u32 v3, s58, v2
	v_mul_lo_u32 v5, s58, v5
	s_branch .LBB82_17
.LBB82_16:                              ;   in Loop: Header=BB82_17 Depth=2
	s_or_b64 exec, exec, s[16:17]
	v_add_u32_e32 v5, v5, v3
	v_mov_b32_e32 v4, v27
	s_andn2_b64 exec, exec, s[20:21]
	s_cbranch_execz .LBB82_27
.LBB82_17:                              ;   Parent Loop BB82_12 Depth=1
                                        ; =>  This Inner Loop Header: Depth=2
	v_add_u32_e32 v26, v26, v2
	v_cmp_gt_u32_e64 s[14:15], s56, v26
	v_cmp_le_u32_e32 vcc, s56, v26
	s_waitcnt lgkmcnt(0)
	v_mov_b32_e32 v28, 0
	v_mov_b32_e32 v27, 0
	s_and_saveexec_b64 s[16:17], s[14:15]
	s_cbranch_execz .LBB82_19
; %bb.18:                               ;   in Loop: Header=BB82_17 Depth=2
	global_load_ubyte v27, v5, s[74:75]
.LBB82_19:                              ;   in Loop: Header=BB82_17 Depth=2
	s_or_b64 exec, exec, s[16:17]
	s_waitcnt vmcnt(0)
	v_add_u32_sdwa v29, sext(v4), s89 dst_sel:DWORD dst_unused:UNUSED_PAD src0_sel:BYTE_0 src1_sel:DWORD
	v_and_b32_e32 v29, s13, v29
	v_cmp_eq_u32_e64 s[14:15], s82, v29
	s_cmp_lg_u64 s[14:15], 0
	s_cselect_b64 s[0:1], -1, 0
	s_and_b64 s[0:1], s[4:5], s[0:1]
	s_and_saveexec_b64 s[22:23], s[0:1]
	s_cbranch_execz .LBB82_23
; %bb.20:                               ;   in Loop: Header=BB82_17 Depth=2
	s_mov_b64 s[26:27], exec
	v_mbcnt_lo_u32_b32 v28, s26, 0
	v_mbcnt_hi_u32_b32 v28, s27, v28
	s_bcnt1_i32_b64 s0, s[14:15]
	v_cmp_eq_u32_e64 s[16:17], 0, v28
                                        ; implicit-def: $vgpr29
	s_and_saveexec_b64 s[24:25], s[16:17]
	s_cbranch_execz .LBB82_22
; %bb.21:                               ;   in Loop: Header=BB82_17 Depth=2
	s_bcnt1_i32_b64 s1, s[26:27]
	s_mul_i32 s1, s0, s1
	v_mov_b32_e32 v29, s1
	ds_add_rtn_u32 v29, v23, v29 offset:4112
.LBB82_22:                              ;   in Loop: Header=BB82_17 Depth=2
	s_or_b64 exec, exec, s[24:25]
	s_waitcnt lgkmcnt(0)
	v_readfirstlane_b32 s1, v29
	v_mov_b32_e32 v29, s1
	v_mad_u32_u24 v28, s0, v28, v29
.LBB82_23:                              ;   in Loop: Header=BB82_17 Depth=2
	s_or_b64 exec, exec, s[22:23]
	ds_bpermute_b32 v28, v15, v28
	s_and_b64 s[0:1], exec, vcc
	s_or_b64 s[20:21], s[0:1], s[20:21]
	s_and_saveexec_b64 s[16:17], s[14:15]
	s_cbranch_execz .LBB82_16
; %bb.24:                               ;   in Loop: Header=BB82_17 Depth=2
	v_and_b32_e32 v30, s14, v8
	v_and_b32_e32 v29, s15, v1
	v_bcnt_u32_b32 v30, v30, 0
	v_bcnt_u32_b32 v29, v29, v30
	s_waitcnt lgkmcnt(0)
	v_add_u32_e32 v28, v28, v29
	ds_write_b8 v28, v4
	s_branch .LBB82_16
.LBB82_25:                              ;   in Loop: Header=BB82_12 Depth=1
	s_mov_b64 s[14:15], 0
                                        ; implicit-def: $sgpr79
	s_cbranch_execnz .LBB82_30
	s_branch .LBB82_40
.LBB82_26:                              ;   in Loop: Header=BB82_12 Depth=1
	s_mov_b32 s79, 0
	s_and_b64 vcc, exec, s[18:19]
	s_cbranch_vccnz .LBB82_30
	s_branch .LBB82_40
.LBB82_27:                              ;   in Loop: Header=BB82_12 Depth=1
	s_or_b64 exec, exec, s[20:21]
	s_waitcnt lgkmcnt(0)
	s_barrier
	s_mov_b64 s[14:15], exec
	v_readlane_b32 s0, v42, 6
	v_readlane_b32 s1, v42, 7
	s_and_b64 s[0:1], s[14:15], s[0:1]
	s_mov_b64 exec, s[0:1]
	s_cbranch_execz .LBB82_29
; %bb.28:                               ;   in Loop: Header=BB82_12 Depth=1
	ds_read_b32 v2, v23 offset:4112
	s_waitcnt lgkmcnt(0)
	ds_write_b32 v23, v2 offset:4104
.LBB82_29:                              ;   in Loop: Header=BB82_12 Depth=1
	s_or_b64 exec, exec, s[14:15]
	s_waitcnt lgkmcnt(0)
	s_barrier
	s_mov_b64 s[14:15], -1
	s_mov_b32 s79, 0
	s_and_b64 vcc, exec, s[18:19]
	s_cbranch_vccz .LBB82_40
.LBB82_30:                              ;   in Loop: Header=BB82_12 Depth=1
	v_mov_b32_e32 v2, 0
	s_mov_b64 s[14:15], exec
	v_readlane_b32 s0, v42, 23
	v_readlane_b32 s1, v42, 24
	s_and_b64 s[0:1], s[14:15], s[0:1]
	s_mov_b64 exec, s[0:1]
	s_cbranch_execz .LBB82_32
; %bb.31:                               ;   in Loop: Header=BB82_12 Depth=1
	global_load_ubyte v2, v[6:7], off
.LBB82_32:                              ;   in Loop: Header=BB82_12 Depth=1
	s_or_b64 exec, exec, s[14:15]
	s_mov_b64 s[16:17], exec
	v_readlane_b32 s0, v42, 23
	v_readlane_b32 s1, v42, 24
	s_and_b64 s[0:1], s[16:17], s[0:1]
	s_mov_b64 exec, s[0:1]
	s_cbranch_execz .LBB82_37
; %bb.33:                               ;   in Loop: Header=BB82_12 Depth=1
	v_readlane_b32 s0, v42, 28
	v_readlane_b32 s1, v42, 29
	s_mov_b64 s[18:19], 0
	v_mov_b32_e32 v26, v0
	s_nop 2
	global_load_ushort v3, v23, s[0:1]
	s_waitcnt vmcnt(0)
	v_add_u32_e32 v5, v0, v3
	v_mul_lo_u32 v4, s58, v3
	v_mul_lo_u32 v5, s58, v5
	s_branch .LBB82_35
.LBB82_34:                              ;   in Loop: Header=BB82_35 Depth=2
	s_or_b64 exec, exec, s[20:21]
	s_and_b64 s[0:1], exec, vcc
	s_or_b64 s[18:19], s[0:1], s[18:19]
	ds_write_b8 v26, v2
	v_add_u32_e32 v5, v5, v4
	s_waitcnt vmcnt(0)
	v_mov_b32_e32 v2, v28
	v_mov_b32_e32 v26, v27
	s_andn2_b64 exec, exec, s[18:19]
	s_cbranch_execz .LBB82_37
.LBB82_35:                              ;   Parent Loop BB82_12 Depth=1
                                        ; =>  This Inner Loop Header: Depth=2
	v_add_u32_e32 v27, v26, v3
	v_cmp_gt_u32_e64 s[14:15], s56, v27
	v_cmp_le_u32_e32 vcc, s56, v27
	v_mov_b32_e32 v28, 0
	s_and_saveexec_b64 s[20:21], s[14:15]
	s_cbranch_execz .LBB82_34
; %bb.36:                               ;   in Loop: Header=BB82_35 Depth=2
	global_load_ubyte v28, v5, s[74:75]
	s_branch .LBB82_34
.LBB82_37:                              ;   in Loop: Header=BB82_12 Depth=1
	s_or_b64 exec, exec, s[16:17]
	s_waitcnt lgkmcnt(0)
	s_barrier
	s_mov_b64 s[14:15], exec
	v_readlane_b32 s0, v42, 6
	v_readlane_b32 s1, v42, 7
	s_and_b64 s[0:1], s[14:15], s[0:1]
	s_mov_b64 exec, s[0:1]
	s_cbranch_execz .LBB82_39
; %bb.38:                               ;   in Loop: Header=BB82_12 Depth=1
	s_waitcnt vmcnt(0)
	v_mov_b32_e32 v2, s56
	ds_write_b32 v23, v2 offset:4104
.LBB82_39:                              ;   in Loop: Header=BB82_12 Depth=1
	s_or_b64 exec, exec, s[14:15]
	s_mov_b64 s[14:15], -1
	s_waitcnt lgkmcnt(0)
	s_barrier
                                        ; implicit-def: $sgpr79
.LBB82_40:                              ;   in Loop: Header=BB82_12 Depth=1
	s_and_b64 vcc, exec, s[14:15]
	s_cbranch_vccz .LBB82_42
; %bb.41:                               ;   in Loop: Header=BB82_12 Depth=1
	s_waitcnt vmcnt(0)
	ds_read_b32 v2, v23 offset:4104
	s_waitcnt lgkmcnt(0)
	v_readfirstlane_b32 s79, v2
.LBB82_42:                              ;   in Loop: Header=BB82_12 Depth=1
	s_cmp_lt_i32 s79, 1
	s_cbranch_scc0 .LBB82_46
; %bb.43:                               ;   in Loop: Header=BB82_12 Depth=1
	s_waitcnt vmcnt(0)
	v_mov_b32_e32 v2, 0
	s_mov_b32 s2, 0
	v_mov_b32_e32 v3, 0
	v_mov_b32_e32 v4, v2
	v_mov_b32_e32 v5, 0
	s_and_saveexec_b64 s[70:71], s[8:9]
	s_cbranch_execnz .LBB82_47
; %bb.44:                               ;   in Loop: Header=BB82_12 Depth=1
	s_or_b64 exec, exec, s[70:71]
	v_mov_b32_e32 v28, 0
	s_and_saveexec_b64 s[14:15], s[10:11]
	s_cbranch_execnz .LBB82_50
.LBB82_45:                              ;   in Loop: Header=BB82_12 Depth=1
	s_or_b64 exec, exec, s[14:15]
	s_and_saveexec_b64 s[16:17], s[10:11]
	s_cbranch_execnz .LBB82_51
	s_branch .LBB82_56
.LBB82_46:                              ;   in Loop: Header=BB82_12 Depth=1
                                        ; implicit-def: $vgpr5
	s_cbranch_execnz .LBB82_57
	s_branch .LBB82_66
.LBB82_47:                              ;   in Loop: Header=BB82_12 Depth=1
	s_and_b32 s3, s33, 0xfe
	s_mov_b64 s[90:91], 0
	s_mov_b32 s0, 0
	s_mov_b32 s1, 0
	;; [unrolled: 1-line block ×4, first 2 shown]
	v_mov_b32_e32 v26, v13
.LBB82_48:                              ;   Parent Loop BB82_12 Depth=1
                                        ; =>  This Inner Loop Header: Depth=2
	v_add_u32_e32 v2, s2, v20
	v_add_u32_e32 v3, s2, v17
	;; [unrolled: 1-line block ×4, first 2 shown]
	global_load_sbyte v2, v2, s[74:75]
	s_nop 0
	global_load_sbyte v3, v3, s[74:75]
	s_nop 0
	;; [unrolled: 2-line block ×3, first 2 shown]
	global_load_sbyte v5, v5, s[74:75]
	v_add_u32_e32 v26, s92, v26
	s_add_i32 s2, s2, s88
	v_cmp_le_u32_e32 vcc, s93, v26
	s_waitcnt vmcnt(3)
	v_add_u32_e32 v2, 0x80, v2
	s_waitcnt vmcnt(2)
	v_add_u32_e32 v3, 0x80, v3
	v_and_b32_e32 v27, s13, v2
	v_bfe_u32 v2, v2, s3, 2
	s_waitcnt vmcnt(1)
	v_add_u32_e32 v4, 0x80, v4
	v_and_b32_e32 v28, s13, v3
	v_bfe_u32 v3, v3, s3, 2
	v_cmp_eq_u32_e64 s[14:15], s82, v27
	v_cmp_eq_u32_e64 s[22:23], 0, v2
	s_waitcnt vmcnt(0)
	v_add_u32_e32 v5, 0x80, v5
	v_and_b32_e32 v29, s13, v4
	v_bfe_u32 v4, v4, s3, 2
	v_cmp_eq_u32_e64 s[16:17], s82, v28
	v_cmp_eq_u32_e64 s[24:25], 0, v3
	s_and_b64 s[22:23], s[14:15], s[22:23]
	v_and_b32_e32 v30, s13, v5
	v_bfe_u32 v5, v5, s3, 2
	v_cmp_eq_u32_e64 s[18:19], s82, v29
	v_cmp_eq_u32_e64 s[26:27], 0, v4
	;; [unrolled: 1-line block ×5, first 2 shown]
	v_cndmask_b32_e64 v2, 0, 1, s[22:23]
	s_and_b64 s[22:23], s[16:17], s[24:25]
	v_cmp_eq_u32_e64 s[20:21], s82, v30
	v_cmp_eq_u32_e64 s[28:29], 0, v5
	;; [unrolled: 1-line block ×5, first 2 shown]
	v_cndmask_b32_e64 v3, 0, 1, s[22:23]
	s_and_b64 s[22:23], s[18:19], s[26:27]
	v_cmp_eq_u32_e64 s[36:37], 1, v4
	v_cmp_eq_u32_e64 s[44:45], 2, v4
	;; [unrolled: 1-line block ×3, first 2 shown]
	v_cndmask_b32_e64 v4, 0, 1, s[22:23]
	s_and_b64 s[22:23], s[20:21], s[28:29]
	v_cmp_eq_u32_e64 s[38:39], 1, v5
	v_cmp_eq_u32_e64 s[46:47], 2, v5
	;; [unrolled: 1-line block ×3, first 2 shown]
	v_cndmask_b32_e64 v5, 0, 1, s[22:23]
	s_and_b64 s[22:23], s[14:15], s[30:31]
	v_cndmask_b32_e64 v27, 0, 1, s[22:23]
	s_and_b64 s[22:23], s[16:17], s[34:35]
	;; [unrolled: 2-line block ×5, first 2 shown]
	s_and_b64 s[14:15], s[14:15], s[48:49]
	v_cndmask_b32_e64 v31, 0, 1, s[22:23]
	s_and_b64 s[22:23], s[16:17], s[42:43]
	v_cndmask_b32_e64 v35, 0, 1, s[14:15]
	;; [unrolled: 2-line block ×7, first 2 shown]
	v_cndmask_b32_e64 v38, 0, 1, s[14:15]
	v_cmp_ne_u32_e64 s[14:15], 0, v2
	v_cmp_ne_u32_e64 s[16:17], 0, v3
	;; [unrolled: 1-line block ×11, first 2 shown]
	s_bcnt1_i32_b64 s14, s[14:15]
	s_bcnt1_i32_b64 s15, s[16:17]
	;; [unrolled: 1-line block ×8, first 2 shown]
	v_cmp_ne_u32_e64 s[28:29], 0, v30
	v_cmp_ne_u32_e64 s[36:37], 0, v33
	;; [unrolled: 1-line block ×3, first 2 shown]
	s_bcnt1_i32_b64 s19, s[24:25]
	s_bcnt1_i32_b64 s23, s[34:35]
	;; [unrolled: 1-line block ×3, first 2 shown]
	s_add_i32 s14, s86, s14
	s_add_i32 s18, s94, s18
	;; [unrolled: 1-line block ×4, first 2 shown]
	v_cmp_ne_u32_e64 s[38:39], 0, v34
	v_cmp_ne_u32_e64 s[46:47], 0, v38
	s_bcnt1_i32_b64 s21, s[28:29]
	s_bcnt1_i32_b64 s24, s[36:37]
	s_bcnt1_i32_b64 s28, s[44:45]
	s_add_i32 s14, s14, s15
	s_add_i32 s15, s18, s19
	;; [unrolled: 1-line block ×4, first 2 shown]
	s_bcnt1_i32_b64 s25, s[38:39]
	s_bcnt1_i32_b64 s29, s[46:47]
	s_add_i32 s14, s14, s16
	s_add_i32 s15, s15, s20
	;; [unrolled: 1-line block ×8, first 2 shown]
	s_or_b64 s[90:91], vcc, s[90:91]
	v_mov_b32_e32 v2, s86
	v_mov_b32_e32 v3, s94
	;; [unrolled: 1-line block ×4, first 2 shown]
	s_andn2_b64 exec, exec, s[90:91]
	s_cbranch_execnz .LBB82_48
; %bb.49:                               ;   in Loop: Header=BB82_12 Depth=1
	s_or_b64 exec, exec, s[90:91]
	s_or_b64 exec, exec, s[70:71]
	v_mov_b32_e32 v28, 0
	s_and_saveexec_b64 s[14:15], s[10:11]
	s_cbranch_execz .LBB82_45
.LBB82_50:                              ;   in Loop: Header=BB82_12 Depth=1
	global_load_ubyte v28, v[10:11], off
	s_or_b64 exec, exec, s[14:15]
	s_and_saveexec_b64 s[16:17], s[10:11]
	s_cbranch_execz .LBB82_56
.LBB82_51:                              ;   in Loop: Header=BB82_12 Depth=1
	s_and_b32 s0, s33, 0xfe
	s_mov_b64 s[18:19], 0
	v_mov_b32_e32 v26, v21
	v_mov_b32_e32 v27, v16
	s_branch .LBB82_53
.LBB82_52:                              ;   in Loop: Header=BB82_53 Depth=2
	s_or_b64 exec, exec, s[20:21]
	s_waitcnt vmcnt(0)
	v_add_u32_sdwa v28, sext(v28), s89 dst_sel:DWORD dst_unused:UNUSED_PAD src0_sel:BYTE_0 src1_sel:DWORD
	s_and_b64 s[2:3], exec, vcc
	v_and_b32_e32 v30, s13, v28
	v_bfe_u32 v28, v28, s0, 2
	s_or_b64 s[18:19], s[2:3], s[18:19]
	v_cmp_eq_u32_e32 vcc, s82, v30
	v_cmp_eq_u32_e64 s[14:15], 0, v28
	s_and_b64 s[2:3], vcc, s[14:15]
	v_cndmask_b32_e64 v30, 0, 1, s[2:3]
	v_cmp_ne_u32_e64 s[14:15], 0, v30
	s_bcnt1_i32_b64 s1, s[14:15]
	v_cmp_eq_u32_e64 s[14:15], 1, v28
	s_and_b64 s[2:3], vcc, s[14:15]
	v_cndmask_b32_e64 v30, 0, 1, s[2:3]
	v_cmp_ne_u32_e64 s[14:15], 0, v30
	v_add_u32_e32 v2, s1, v2
	s_bcnt1_i32_b64 s1, s[14:15]
	v_cmp_eq_u32_e64 s[14:15], 2, v28
	s_and_b64 s[2:3], vcc, s[14:15]
	v_cndmask_b32_e64 v30, 0, 1, s[2:3]
	v_cmp_ne_u32_e64 s[14:15], 0, v30
	v_add_u32_e32 v3, s1, v3
	s_bcnt1_i32_b64 s1, s[14:15]
	v_cmp_eq_u32_e64 s[14:15], 3, v28
	s_and_b64 s[2:3], vcc, s[14:15]
	v_cndmask_b32_e64 v28, 0, 1, s[2:3]
	v_cmp_ne_u32_e32 vcc, 0, v28
	v_add_u32_e32 v4, s1, v4
	s_bcnt1_i32_b64 s1, vcc
	v_add_u32_e32 v5, s1, v5
	v_add_u32_e32 v26, s57, v26
	v_mov_b32_e32 v28, v29
	s_andn2_b64 exec, exec, s[18:19]
	s_cbranch_execz .LBB82_55
.LBB82_53:                              ;   Parent Loop BB82_12 Depth=1
                                        ; =>  This Inner Loop Header: Depth=2
	v_add_u32_e32 v27, s59, v27
	v_cmp_gt_u32_e64 s[14:15], s56, v27
	v_cmp_le_u32_e32 vcc, s56, v27
	v_mov_b32_e32 v29, 0
	s_and_saveexec_b64 s[20:21], s[14:15]
	s_cbranch_execz .LBB82_52
; %bb.54:                               ;   in Loop: Header=BB82_53 Depth=2
	global_load_ubyte v29, v26, s[74:75]
	s_branch .LBB82_52
.LBB82_55:                              ;   in Loop: Header=BB82_12 Depth=1
	s_or_b64 exec, exec, s[18:19]
.LBB82_56:                              ;   in Loop: Header=BB82_12 Depth=1
	s_or_b64 exec, exec, s[16:17]
	s_branch .LBB82_66
.LBB82_57:                              ;   in Loop: Header=BB82_12 Depth=1
	s_mul_hi_u32 s0, s79, s95
	s_mul_i32 s0, s0, s92
	s_sub_i32 s0, s79, s0
	s_sub_i32 s1, s0, s92
	s_cmp_ge_u32 s0, s92
	s_cselect_b32 s0, s1, s0
	s_sub_i32 s1, s0, s92
	s_cmp_ge_u32 s0, s92
	s_cselect_b32 s0, s1, s0
	s_sub_i32 s2, s79, s0
	v_cmp_gt_u32_e32 vcc, s2, v13
	s_mov_b32 s0, 0
	s_waitcnt vmcnt(0)
	v_mov_b32_e32 v2, 0
	v_mov_b32_e32 v3, 0
	;; [unrolled: 1-line block ×4, first 2 shown]
	s_and_saveexec_b64 s[70:71], vcc
	s_cbranch_execz .LBB82_61
; %bb.58:                               ;   in Loop: Header=BB82_12 Depth=1
	s_and_b32 s3, s33, 0xfe
	s_mov_b64 s[90:91], 0
	s_mov_b32 s1, 0
	s_mov_b32 s86, 0
	;; [unrolled: 1-line block ×3, first 2 shown]
	v_mov_b32_e32 v26, v13
.LBB82_59:                              ;   Parent Loop BB82_12 Depth=1
                                        ; =>  This Inner Loop Header: Depth=2
	ds_read_b32 v2, v26
	v_add_u32_e32 v26, s92, v26
	v_cmp_le_u32_e32 vcc, s2, v26
	s_waitcnt lgkmcnt(0)
	v_add_u32_sdwa v3, sext(v2), s89 dst_sel:DWORD dst_unused:UNUSED_PAD src0_sel:BYTE_0 src1_sel:DWORD
	v_add_u32_sdwa v4, sext(v2), s89 dst_sel:DWORD dst_unused:UNUSED_PAD src0_sel:BYTE_1 src1_sel:DWORD
	v_and_b32_e32 v27, s13, v3
	v_bfe_u32 v3, v3, s3, 2
	v_add_u32_sdwa v5, sext(v2), s89 dst_sel:DWORD dst_unused:UNUSED_PAD src0_sel:BYTE_2 src1_sel:DWORD
	v_add_u32_sdwa v2, sext(v2), s89 dst_sel:DWORD dst_unused:UNUSED_PAD src0_sel:BYTE_3 src1_sel:DWORD
	v_and_b32_e32 v28, s13, v4
	v_bfe_u32 v4, v4, s3, 2
	v_cmp_eq_u32_e64 s[14:15], s82, v27
	v_cmp_eq_u32_e64 s[22:23], 0, v3
	v_and_b32_e32 v29, s13, v5
	v_and_b32_e32 v30, s13, v2
	v_bfe_u32 v5, v5, s3, 2
	v_bfe_u32 v2, v2, s3, 2
	v_cmp_eq_u32_e64 s[16:17], s82, v28
	v_cmp_eq_u32_e64 s[24:25], 0, v4
	s_and_b64 s[22:23], s[14:15], s[22:23]
	v_cmp_eq_u32_e64 s[18:19], s82, v29
	v_cmp_eq_u32_e64 s[26:27], 0, v5
	v_cmp_eq_u32_e64 s[28:29], 0, v2
	v_cmp_eq_u32_e64 s[38:39], 1, v2
	v_cmp_eq_u32_e64 s[46:47], 2, v2
	v_cmp_eq_u32_e64 s[54:55], 3, v2
	v_cndmask_b32_e64 v2, 0, 1, s[22:23]
	s_and_b64 s[22:23], s[16:17], s[24:25]
	v_cmp_eq_u32_e64 s[20:21], s82, v30
	v_cmp_eq_u32_e64 s[30:31], 1, v3
	;; [unrolled: 1-line block ×4, first 2 shown]
	v_cndmask_b32_e64 v3, 0, 1, s[22:23]
	s_and_b64 s[22:23], s[18:19], s[26:27]
	v_cmp_eq_u32_e64 s[34:35], 1, v4
	v_cmp_eq_u32_e64 s[42:43], 2, v4
	;; [unrolled: 1-line block ×3, first 2 shown]
	v_cndmask_b32_e64 v4, 0, 1, s[22:23]
	s_and_b64 s[22:23], s[20:21], s[28:29]
	v_cmp_eq_u32_e64 s[36:37], 1, v5
	v_cmp_eq_u32_e64 s[44:45], 2, v5
	;; [unrolled: 1-line block ×3, first 2 shown]
	v_cndmask_b32_e64 v5, 0, 1, s[22:23]
	s_and_b64 s[22:23], s[14:15], s[30:31]
	v_cndmask_b32_e64 v27, 0, 1, s[22:23]
	s_and_b64 s[22:23], s[16:17], s[34:35]
	;; [unrolled: 2-line block ×5, first 2 shown]
	s_and_b64 s[14:15], s[14:15], s[48:49]
	v_cndmask_b32_e64 v31, 0, 1, s[22:23]
	s_and_b64 s[22:23], s[16:17], s[42:43]
	v_cndmask_b32_e64 v35, 0, 1, s[14:15]
	;; [unrolled: 2-line block ×7, first 2 shown]
	v_cndmask_b32_e64 v38, 0, 1, s[14:15]
	v_cmp_ne_u32_e64 s[14:15], 0, v2
	v_cmp_ne_u32_e64 s[16:17], 0, v3
	v_cmp_ne_u32_e64 s[18:19], 0, v4
	v_cmp_ne_u32_e64 s[20:21], 0, v5
	v_cmp_ne_u32_e64 s[22:23], 0, v27
	v_cmp_ne_u32_e64 s[26:27], 0, v29
	v_cmp_ne_u32_e64 s[30:31], 0, v31
	v_cmp_ne_u32_e64 s[40:41], 0, v35
	v_cmp_ne_u32_e64 s[24:25], 0, v28
	v_cmp_ne_u32_e64 s[34:35], 0, v32
	v_cmp_ne_u32_e64 s[42:43], 0, v36
	s_bcnt1_i32_b64 s14, s[14:15]
	s_bcnt1_i32_b64 s15, s[16:17]
	;; [unrolled: 1-line block ×8, first 2 shown]
	v_cmp_ne_u32_e64 s[28:29], 0, v30
	v_cmp_ne_u32_e64 s[36:37], 0, v33
	;; [unrolled: 1-line block ×3, first 2 shown]
	s_bcnt1_i32_b64 s19, s[24:25]
	s_bcnt1_i32_b64 s23, s[34:35]
	;; [unrolled: 1-line block ×3, first 2 shown]
	s_add_i32 s14, s94, s14
	s_add_i32 s18, s86, s18
	s_add_i32 s1, s1, s22
	s_add_i32 s0, s0, s26
	v_cmp_ne_u32_e64 s[38:39], 0, v34
	v_cmp_ne_u32_e64 s[46:47], 0, v38
	s_bcnt1_i32_b64 s21, s[28:29]
	s_bcnt1_i32_b64 s24, s[36:37]
	;; [unrolled: 1-line block ×3, first 2 shown]
	s_add_i32 s14, s14, s15
	s_add_i32 s15, s18, s19
	;; [unrolled: 1-line block ×4, first 2 shown]
	s_bcnt1_i32_b64 s25, s[38:39]
	s_bcnt1_i32_b64 s29, s[46:47]
	s_add_i32 s14, s14, s16
	s_add_i32 s15, s15, s20
	;; [unrolled: 1-line block ×8, first 2 shown]
	s_or_b64 s[90:91], vcc, s[90:91]
	v_mov_b32_e32 v2, s94
	v_mov_b32_e32 v3, s86
	;; [unrolled: 1-line block ×4, first 2 shown]
	s_andn2_b64 exec, exec, s[90:91]
	s_cbranch_execnz .LBB82_59
; %bb.60:                               ;   in Loop: Header=BB82_12 Depth=1
	s_or_b64 exec, exec, s[90:91]
.LBB82_61:                              ;   in Loop: Header=BB82_12 Depth=1
	s_or_b64 exec, exec, s[70:71]
	v_add_u32_e32 v26, s2, v0
	v_cmp_gt_u32_e32 vcc, s79, v26
	s_and_saveexec_b64 s[24:25], vcc
	s_cbranch_execz .LBB82_65
; %bb.62:                               ;   in Loop: Header=BB82_12 Depth=1
	s_and_b32 s0, s33, 0xfe
	s_mov_b64 s[26:27], 0
.LBB82_63:                              ;   Parent Loop BB82_12 Depth=1
                                        ; =>  This Inner Loop Header: Depth=2
	ds_read_i8 v27, v26
	v_add_u32_e32 v26, s59, v26
	v_cmp_le_u32_e32 vcc, s79, v26
	s_waitcnt lgkmcnt(0)
	v_add_u32_e32 v27, 0x80, v27
	v_and_b32_e32 v28, s13, v27
	v_bfe_u32 v27, v27, s0, 2
	v_cmp_eq_u32_e64 s[14:15], s82, v28
	v_cmp_eq_u32_e64 s[16:17], 0, v27
	;; [unrolled: 1-line block ×3, first 2 shown]
	s_and_b64 s[2:3], s[14:15], s[16:17]
	v_cmp_eq_u32_e64 s[20:21], 2, v27
	v_cmp_eq_u32_e64 s[22:23], 3, v27
	v_cndmask_b32_e64 v27, 0, 1, s[2:3]
	s_and_b64 s[2:3], s[14:15], s[18:19]
	v_cndmask_b32_e64 v28, 0, 1, s[2:3]
	s_and_b64 s[2:3], s[14:15], s[20:21]
	;; [unrolled: 2-line block ×3, first 2 shown]
	v_cndmask_b32_e64 v30, 0, 1, s[2:3]
	v_cmp_ne_u32_e64 s[14:15], 0, v27
	v_cmp_ne_u32_e64 s[16:17], 0, v28
	;; [unrolled: 1-line block ×4, first 2 shown]
	s_bcnt1_i32_b64 s1, s[14:15]
	s_bcnt1_i32_b64 s2, s[16:17]
	;; [unrolled: 1-line block ×4, first 2 shown]
	v_add_u32_e32 v2, s1, v2
	v_add_u32_e32 v3, s2, v3
	;; [unrolled: 1-line block ×3, first 2 shown]
	s_or_b64 s[26:27], vcc, s[26:27]
	v_add_u32_e32 v5, s14, v5
	s_andn2_b64 exec, exec, s[26:27]
	s_cbranch_execnz .LBB82_63
; %bb.64:                               ;   in Loop: Header=BB82_12 Depth=1
	s_or_b64 exec, exec, s[26:27]
.LBB82_65:                              ;   in Loop: Header=BB82_12 Depth=1
	s_or_b64 exec, exec, s[24:25]
.LBB82_66:                              ;   in Loop: Header=BB82_12 Depth=1
	s_lshl_b32 s0, s12, 6
	s_and_saveexec_b64 s[14:15], s[4:5]
	s_cbranch_execz .LBB82_68
; %bb.67:                               ;   in Loop: Header=BB82_12 Depth=1
	v_or_b32_e32 v26, s0, v14
	v_lshlrev_b32_e32 v26, 2, v26
	s_waitcnt vmcnt(0)
	ds_write_b128 v26, v[2:5] offset:3072
.LBB82_68:                              ;   in Loop: Header=BB82_12 Depth=1
	s_or_b64 exec, exec, s[14:15]
	s_waitcnt lgkmcnt(0)
	s_barrier
	s_and_saveexec_b64 s[14:15], s[80:81]
	s_cbranch_execz .LBB82_82
; %bb.69:                               ;   in Loop: Header=BB82_12 Depth=1
	v_add_u32_e32 v4, s0, v12
	s_andn2_b64 vcc, exec, s[84:85]
	s_waitcnt vmcnt(0)
	v_mov_b32_e32 v2, 0
	s_cbranch_vccnz .LBB82_81
; %bb.70:                               ;   in Loop: Header=BB82_12 Depth=1
	v_readlane_b32 s2, v42, 30
	v_readlane_b32 s3, v42, 31
	s_mov_b32 s1, 0
	s_and_b64 vcc, exec, s[2:3]
	v_mov_b32_e32 v2, 0
	s_cbranch_vccz .LBB82_74
; %bb.71:                               ;   in Loop: Header=BB82_12 Depth=1
	v_readlane_b32 s2, v42, 32
	v_readlane_b32 s3, v42, 33
	v_lshl_add_u32 v5, v4, 2, v24
	s_andn2_b64 vcc, exec, s[2:3]
	s_cbranch_vccnz .LBB82_75
; %bb.72:                               ;   in Loop: Header=BB82_12 Depth=1
	s_mov_b32 s17, 1
	s_mov_b32 s16, 0
	v_mov_b32_e32 v2, 0
	v_readlane_b32 s1, v42, 34
	v_mov_b32_e32 v3, 0
.LBB82_73:                              ;   Parent Loop BB82_12 Depth=1
                                        ; =>  This Inner Loop Header: Depth=2
	v_lshl_add_u32 v38, s16, 4, v5
	v_lshl_add_u32 v40, s17, 4, v5
	ds_read2_b32 v[26:27], v38 offset1:8
	ds_read2_b32 v[28:29], v40 offset1:8
	ds_read2_b32 v[30:31], v38 offset0:16 offset1:24
	ds_read2_b32 v[32:33], v40 offset0:16 offset1:24
	;; [unrolled: 1-line block ×6, first 2 shown]
	s_waitcnt lgkmcnt(7)
	v_add3_u32 v2, v26, v2, v27
	s_waitcnt lgkmcnt(6)
	v_add3_u32 v3, v28, v3, v29
	;; [unrolled: 2-line block ×3, first 2 shown]
	v_add3_u32 v2, v30, v2, v31
	s_add_i32 s17, s17, 16
	s_add_i32 s16, s16, 16
	s_add_i32 s1, s1, -8
	s_waitcnt lgkmcnt(3)
	v_add3_u32 v2, v34, v2, v35
	s_waitcnt lgkmcnt(2)
	v_add3_u32 v3, v36, v3, v37
	s_cmp_lg_u32 s1, 0
	s_waitcnt lgkmcnt(0)
	v_add3_u32 v3, v40, v3, v41
	v_add3_u32 v2, v38, v2, v39
	s_cbranch_scc1 .LBB82_73
	s_branch .LBB82_76
.LBB82_74:                              ;   in Loop: Header=BB82_12 Depth=1
	s_cbranch_execnz .LBB82_79
	s_branch .LBB82_81
.LBB82_75:                              ;   in Loop: Header=BB82_12 Depth=1
	s_mov_b32 s79, s78
	v_pk_mov_b32 v[2:3], s[78:79], s[78:79] op_sel:[0,1]
	s_mov_b32 s79, 1
	s_mov_b64 s[16:17], s[78:79]
.LBB82_76:                              ;   in Loop: Header=BB82_12 Depth=1
	v_readlane_b32 s2, v42, 36
	v_readlane_b32 s3, v42, 37
	s_andn2_b64 vcc, exec, s[2:3]
	v_readlane_b32 s1, v42, 35
	s_cbranch_vccnz .LBB82_78
.LBB82_77:                              ;   Parent Loop BB82_12 Depth=1
                                        ; =>  This Inner Loop Header: Depth=2
	v_lshl_add_u32 v26, s16, 4, v5
	v_lshl_add_u32 v27, s17, 4, v5
	ds_read_b32 v27, v27
	ds_read_b32 v26, v26
	s_add_i32 s17, s17, 2
	s_add_i32 s16, s16, 2
	s_add_i32 s1, s1, -1
	s_cmp_lg_u32 s1, 0
	s_waitcnt lgkmcnt(1)
	v_add_u32_e32 v3, v27, v3
	s_waitcnt lgkmcnt(0)
	v_add_u32_e32 v2, v26, v2
	s_cbranch_scc1 .LBB82_77
.LBB82_78:                              ;   in Loop: Header=BB82_12 Depth=1
	v_readlane_b32 s16, v42, 40
	v_add_u32_e32 v2, v2, v3
	v_readlane_b32 s1, v42, 39
	v_readlane_b32 s17, v42, 41
	s_and_b64 vcc, exec, s[16:17]
	s_cbranch_vccz .LBB82_81
.LBB82_79:                              ;   in Loop: Header=BB82_12 Depth=1
	s_lshl_b32 s2, s12, 8
	s_lshl_b32 s3, s1, 4
	s_add_i32 s2, s2, s3
	v_add_u32_e32 v3, s2, v22
	v_readlane_b32 s2, v42, 38
	s_sub_i32 s1, s2, s1
.LBB82_80:                              ;   Parent Loop BB82_12 Depth=1
                                        ; =>  This Inner Loop Header: Depth=2
	ds_read_b32 v5, v3
	s_add_i32 s1, s1, -1
	v_add_u32_e32 v3, 16, v3
	s_cmp_eq_u32 s1, 0
	s_waitcnt lgkmcnt(0)
	v_add_u32_e32 v2, v5, v2
	s_cbranch_scc0 .LBB82_80
.LBB82_81:                              ;   in Loop: Header=BB82_12 Depth=1
	v_lshlrev_b32_e32 v3, 2, v4
	ds_write_b32 v3, v2 offset:3072
.LBB82_82:                              ;   in Loop: Header=BB82_12 Depth=1
	s_or_b64 exec, exec, s[14:15]
	s_lshl_b32 s0, s0, 2
	s_waitcnt vmcnt(0)
	v_mov_b32_e32 v2, s0
	s_waitcnt lgkmcnt(0)
	s_barrier
	ds_read_b128 v[2:5], v2 offset:3072
	s_and_b32 s43, s33, 0xfe
	s_lshl_b32 s51, 3, s43
	s_not_b32 s44, s51
	s_mov_b64 s[16:17], -1
	s_waitcnt lgkmcnt(0)
	v_readfirstlane_b32 s26, v2
	s_cmp_eq_u32 s26, 1
	s_cselect_b64 s[0:1], -1, 0
	s_cmp_eq_u32 s83, 1
	s_cselect_b64 s[2:3], -1, 0
	s_and_b64 s[18:19], s[0:1], s[2:3]
	v_readfirstlane_b32 s34, v3
	v_readfirstlane_b32 s42, v4
	;; [unrolled: 1-line block ×3, first 2 shown]
	s_and_b64 vcc, exec, s[18:19]
	s_cbranch_vccz .LBB82_94
; %bb.83:                               ;   in Loop: Header=BB82_12 Depth=1
	ds_read_b32 v2, v23 offset:4104
	s_waitcnt lgkmcnt(0)
	s_barrier
	v_readfirstlane_b32 s0, v2
	s_and_saveexec_b64 s[14:15], s[6:7]
	s_cbranch_execz .LBB82_85
; %bb.84:                               ;   in Loop: Header=BB82_12 Depth=1
	ds_write_b8 v0, v23 offset:3072
.LBB82_85:                              ;   in Loop: Header=BB82_12 Depth=1
	s_or_b64 exec, exec, s[14:15]
	s_and_b32 s82, s82, s44
	s_or_b32 s13, s13, s51
	s_cmp_eq_u32 s0, 0
	s_waitcnt lgkmcnt(0)
	s_barrier
	s_cbranch_scc1 .LBB82_95
; %bb.86:                               ;   in Loop: Header=BB82_12 Depth=1
	v_readlane_b32 s1, v42, 25
	s_add_i32 s1, s0, s1
	v_readlane_b32 s2, v42, 42
	s_mul_hi_u32 s2, s1, s2
	s_mul_i32 s2, s2, s59
	s_sub_i32 s2, s1, s2
	s_sub_i32 s3, s2, s59
	s_cmp_ge_u32 s2, s59
	s_cselect_b32 s2, s3, s2
	s_sub_i32 s3, s2, s59
	s_cmp_ge_u32 s2, s59
	s_cselect_b32 s2, s3, s2
	s_sub_i32 s1, s1, s2
	v_cmp_gt_u32_e32 vcc, s1, v0
	s_mov_b64 s[20:21], 0
                                        ; implicit-def: $vgpr25
	s_and_saveexec_b64 s[14:15], vcc
	s_cbranch_execz .LBB82_97
; %bb.87:                               ;   in Loop: Header=BB82_12 Depth=1
	v_mov_b32_e32 v2, v0
                                        ; implicit-def: $sgpr22_sgpr23
	s_branch .LBB82_89
.LBB82_88:                              ;   in Loop: Header=BB82_89 Depth=2
	s_or_b64 exec, exec, s[24:25]
	s_waitcnt lgkmcnt(0)
	s_barrier
	ds_read_u16 v3, v23 offset:3072
	v_add_u32_e32 v2, s59, v2
	v_cmp_le_u32_e32 vcc, s1, v2
	s_waitcnt lgkmcnt(0)
	s_barrier
	v_cmp_ne_u16_sdwa s[2:3], v3, v23 src0_sel:BYTE_0 src1_sel:DWORD
	s_or_b64 s[24:25], vcc, s[2:3]
	s_and_b64 s[24:25], exec, s[24:25]
	s_or_b64 s[20:21], s[24:25], s[20:21]
	s_andn2_b64 s[22:23], s[22:23], exec
	s_and_b64 s[2:3], s[2:3], exec
	s_or_b64 s[22:23], s[22:23], s[2:3]
	s_andn2_b64 exec, exec, s[20:21]
	s_cbranch_execz .LBB82_96
.LBB82_89:                              ;   Parent Loop BB82_12 Depth=1
                                        ; =>  This Inner Loop Header: Depth=2
	v_cmp_gt_u32_e32 vcc, s0, v2
	v_mov_b32_e32 v3, 0
	s_and_saveexec_b64 s[24:25], vcc
	s_cbranch_execz .LBB82_91
; %bb.90:                               ;   in Loop: Header=BB82_89 Depth=2
	ds_read_u8 v3, v2
.LBB82_91:                              ;   in Loop: Header=BB82_89 Depth=2
	s_or_b64 exec, exec, s[24:25]
	s_and_saveexec_b64 s[24:25], vcc
	s_cbranch_execz .LBB82_88
; %bb.92:                               ;   in Loop: Header=BB82_89 Depth=2
	s_waitcnt lgkmcnt(0)
	v_add_u32_sdwa v4, sext(v3), s89 dst_sel:DWORD dst_unused:UNUSED_PAD src0_sel:BYTE_0 src1_sel:DWORD
	v_and_b32_e32 v4, s13, v4
	v_cmp_eq_u32_e32 vcc, s82, v4
	s_and_b64 exec, exec, vcc
	s_cbranch_execz .LBB82_88
; %bb.93:                               ;   in Loop: Header=BB82_89 Depth=2
	v_lshlrev_b16_e32 v3, 8, v3
	v_or_b32_e32 v3, 1, v3
	ds_write_b16 v23, v3 offset:3072
	s_branch .LBB82_88
.LBB82_94:                              ;   in Loop: Header=BB82_12 Depth=1
	s_mov_b64 s[20:21], -1
                                        ; implicit-def: $sgpr14_sgpr15
                                        ; implicit-def: $sgpr24_sgpr25
                                        ; implicit-def: $sgpr22_sgpr23
	s_branch .LBB82_108
.LBB82_95:                              ;   in Loop: Header=BB82_12 Depth=1
	s_mov_b64 s[14:15], -1
	s_mov_b64 s[20:21], 0
                                        ; implicit-def: $sgpr22_sgpr23
                                        ; implicit-def: $vgpr25
	s_mov_b64 s[24:25], s[14:15]
	s_cbranch_execnz .LBB82_98
	s_branch .LBB82_108
.LBB82_96:                              ;   in Loop: Header=BB82_12 Depth=1
	s_or_b64 exec, exec, s[20:21]
	v_lshrrev_b16_e32 v25, 8, v3
	s_and_b64 s[20:21], s[22:23], exec
.LBB82_97:                              ;   in Loop: Header=BB82_12 Depth=1
	s_or_b64 exec, exec, s[14:15]
	s_mov_b64 s[22:23], -1
	s_mov_b64 s[14:15], 0
	s_mov_b64 s[24:25], s[14:15]
	s_branch .LBB82_108
.LBB82_98:                              ;   in Loop: Header=BB82_12 Depth=1
	s_mov_b64 s[20:21], 0
                                        ; implicit-def: $vgpr25
	s_mov_b64 s[14:15], exec
	v_readlane_b32 s0, v42, 43
	v_readlane_b32 s1, v42, 44
	s_and_b64 s[0:1], s[14:15], s[0:1]
	s_mov_b64 exec, s[0:1]
	s_cbranch_execz .LBB82_107
; %bb.99:                               ;   in Loop: Header=BB82_12 Depth=1
	v_mov_b32_e32 v2, v9
	v_mov_b32_e32 v3, v0
                                        ; implicit-def: $sgpr22_sgpr23
	s_branch .LBB82_101
.LBB82_100:                             ;   in Loop: Header=BB82_101 Depth=2
	s_or_b64 exec, exec, s[24:25]
	s_waitcnt lgkmcnt(0)
	s_barrier
	s_waitcnt vmcnt(0)
	ds_read_u16 v4, v23 offset:3072
	v_add_u32_e32 v3, s59, v3
	v_cmp_le_u32_e32 vcc, s87, v3
	v_add_u32_e32 v2, s57, v2
	s_waitcnt lgkmcnt(0)
	v_cmp_ne_u16_sdwa s[0:1], v4, v23 src0_sel:BYTE_0 src1_sel:DWORD
	s_or_b64 s[2:3], vcc, s[0:1]
	s_and_b64 s[2:3], exec, s[2:3]
	s_or_b64 s[20:21], s[2:3], s[20:21]
	s_andn2_b64 s[2:3], s[22:23], exec
	s_and_b64 s[0:1], s[0:1], exec
	s_or_b64 s[22:23], s[2:3], s[0:1]
	s_barrier
	s_andn2_b64 exec, exec, s[20:21]
	s_cbranch_execz .LBB82_106
.LBB82_101:                             ;   Parent Loop BB82_12 Depth=1
                                        ; =>  This Inner Loop Header: Depth=2
	v_cmp_gt_u32_e32 vcc, s56, v3
	v_mov_b32_e32 v4, 0
	s_and_saveexec_b64 s[24:25], vcc
	s_cbranch_execz .LBB82_103
; %bb.102:                              ;   in Loop: Header=BB82_101 Depth=2
	global_load_ubyte v4, v2, s[74:75]
.LBB82_103:                             ;   in Loop: Header=BB82_101 Depth=2
	s_or_b64 exec, exec, s[24:25]
	s_and_saveexec_b64 s[24:25], vcc
	s_cbranch_execz .LBB82_100
; %bb.104:                              ;   in Loop: Header=BB82_101 Depth=2
	s_waitcnt vmcnt(0)
	v_add_u32_sdwa v5, sext(v4), s89 dst_sel:DWORD dst_unused:UNUSED_PAD src0_sel:BYTE_0 src1_sel:DWORD
	v_and_b32_e32 v5, s13, v5
	v_cmp_eq_u32_e32 vcc, s82, v5
	s_and_b64 exec, exec, vcc
	s_cbranch_execz .LBB82_100
; %bb.105:                              ;   in Loop: Header=BB82_101 Depth=2
	v_lshlrev_b16_e32 v4, 8, v4
	v_or_b32_e32 v4, 1, v4
	ds_write_b16 v23, v4 offset:3072
	s_branch .LBB82_100
.LBB82_106:                             ;   in Loop: Header=BB82_12 Depth=1
	s_or_b64 exec, exec, s[20:21]
	v_lshrrev_b16_e32 v25, 8, v4
	s_and_b64 s[20:21], s[22:23], exec
.LBB82_107:                             ;   in Loop: Header=BB82_12 Depth=1
	s_or_b64 exec, exec, s[14:15]
	s_mov_b64 s[24:25], -1
	s_mov_b64 s[14:15], 0
	s_mov_b64 s[22:23], 0
.LBB82_108:                             ;   in Loop: Header=BB82_12 Depth=1
	s_andn2_b64 s[0:1], s[68:69], exec
	s_and_b64 s[2:3], s[14:15], exec
	s_or_b64 s[68:69], s[0:1], s[2:3]
	s_andn2_b64 s[0:1], s[66:67], exec
	s_and_b64 s[2:3], s[24:25], exec
	s_or_b64 s[66:67], s[0:1], s[2:3]
	;; [unrolled: 3-line block ×3, first 2 shown]
	s_and_saveexec_b64 s[14:15], s[20:21]
	s_cbranch_execz .LBB82_11
; %bb.109:                              ;   in Loop: Header=BB82_12 Depth=1
	s_xor_b64 s[0:1], s[18:19], -1
	s_mov_b64 s[20:21], 0
	s_andn2_b64 vcc, exec, s[0:1]
	s_mov_b32 s35, 1
	s_cbranch_vccnz .LBB82_120
; %bb.110:                              ;   in Loop: Header=BB82_12 Depth=1
	s_cmp_gt_u32 s83, s26
	s_mov_b64 s[20:21], -1
                                        ; implicit-def: $sgpr53
                                        ; implicit-def: $sgpr0
                                        ; implicit-def: $sgpr1
	s_cbranch_scc1 .LBB82_116
; %bb.111:                              ;   in Loop: Header=BB82_12 Depth=1
	ds_read_b32 v2, v23 offset:4104
	s_waitcnt lgkmcnt(0)
	v_cmp_ne_u32_e32 vcc, 0, v2
	s_cbranch_vccnz .LBB82_115
; %bb.112:                              ;   in Loop: Header=BB82_12 Depth=1
	s_mov_b64 s[16:17], exec
	v_readlane_b32 s0, v42, 6
	v_readlane_b32 s1, v42, 7
	s_and_b64 s[0:1], s[16:17], s[0:1]
	s_mov_b64 exec, s[0:1]
	s_cbranch_execz .LBB82_114
; %bb.113:                              ;   in Loop: Header=BB82_12 Depth=1
	v_mov_b32_e32 v2, s26
	ds_write_b32 v23, v2 offset:4108
.LBB82_114:                             ;   in Loop: Header=BB82_12 Depth=1
	s_or_b64 exec, exec, s[16:17]
	s_waitcnt lgkmcnt(0)
	s_barrier
.LBB82_115:                             ;   in Loop: Header=BB82_12 Depth=1
	s_and_b32 s0, s82, s44
	s_or_b32 s1, s13, s51
	s_mov_b64 s[20:21], 0
	s_mov_b32 s53, 8
.LBB82_116:                             ;   in Loop: Header=BB82_12 Depth=1
	s_andn2_b64 vcc, exec, s[20:21]
	s_cbranch_vccnz .LBB82_118
; %bb.117:                              ;   in Loop: Header=BB82_12 Depth=1
	s_sub_i32 s83, s83, s26
	s_mov_b64 s[20:21], -1
	s_mov_b32 s53, 0
	s_mov_b32 s0, s82
	;; [unrolled: 1-line block ×3, first 2 shown]
.LBB82_118:                             ;   in Loop: Header=BB82_12 Depth=1
	s_mov_b32 s13, s1
	s_mov_b32 s82, s0
	;; [unrolled: 1-line block ×3, first 2 shown]
	s_mov_b64 s[16:17], -1
	s_and_b64 vcc, exec, s[20:21]
	s_cbranch_vccnz .LBB82_121
.LBB82_119:                             ;   in Loop: Header=BB82_12 Depth=1
	s_mov_b64 s[30:31], -1
                                        ; implicit-def: $sgpr18_sgpr19
                                        ; implicit-def: $sgpr22_sgpr23
                                        ; implicit-def: $sgpr20_sgpr21
                                        ; implicit-def: $sgpr83
	s_and_saveexec_b64 s[0:1], s[30:31]
	s_xor_b64 s[24:25], exec, s[0:1]
	s_cbranch_execz .LBB82_10
	s_branch .LBB82_244
.LBB82_120:                             ;   in Loop: Header=BB82_12 Depth=1
	s_mov_b32 s53, 1
	s_mov_b64 s[16:17], -1
	s_and_b64 vcc, exec, s[20:21]
	s_cbranch_vccz .LBB82_119
.LBB82_121:                             ;   in Loop: Header=BB82_12 Depth=1
	s_cmp_eq_u32 s34, 1
	s_cselect_b64 s[0:1], -1, 0
	s_cmp_eq_u32 s35, 1
	s_cselect_b64 s[2:3], -1, 0
	s_and_b64 s[26:27], s[0:1], s[2:3]
	s_mov_b64 s[28:29], -1
	s_and_b64 vcc, exec, s[26:27]
	s_cbranch_vccz .LBB82_133
; %bb.122:                              ;   in Loop: Header=BB82_12 Depth=1
	ds_read_b32 v2, v23 offset:4104
	s_waitcnt lgkmcnt(0)
	s_barrier
	v_readfirstlane_b32 s0, v2
	s_and_saveexec_b64 s[18:19], s[6:7]
	s_cbranch_execz .LBB82_124
; %bb.123:                              ;   in Loop: Header=BB82_12 Depth=1
	ds_write_b8 v0, v23 offset:3072
.LBB82_124:                             ;   in Loop: Header=BB82_12 Depth=1
	s_or_b64 exec, exec, s[18:19]
	s_lshl_b32 s1, 1, s43
	s_and_b32 s2, s82, s44
	s_or_b32 s82, s2, s1
	s_or_b32 s13, s13, s51
	s_cmp_eq_u32 s0, 0
	s_waitcnt lgkmcnt(0)
	s_barrier
	s_cbranch_scc1 .LBB82_134
; %bb.125:                              ;   in Loop: Header=BB82_12 Depth=1
	v_readlane_b32 s1, v42, 25
	s_add_i32 s1, s0, s1
	v_readlane_b32 s2, v42, 42
	s_mul_hi_u32 s2, s1, s2
	s_mul_i32 s2, s2, s59
	s_sub_i32 s2, s1, s2
	s_sub_i32 s3, s2, s59
	s_cmp_ge_u32 s2, s59
	s_cselect_b32 s2, s3, s2
	s_sub_i32 s3, s2, s59
	s_cmp_ge_u32 s2, s59
	s_cselect_b32 s2, s3, s2
	s_sub_i32 s1, s1, s2
	v_cmp_gt_u32_e32 vcc, s1, v0
	s_mov_b64 s[28:29], 0
                                        ; implicit-def: $vgpr25
	s_and_saveexec_b64 s[18:19], vcc
	s_cbranch_execz .LBB82_136
; %bb.126:                              ;   in Loop: Header=BB82_12 Depth=1
	s_mov_b64 s[20:21], 0
	v_mov_b32_e32 v2, v0
                                        ; implicit-def: $sgpr22_sgpr23
	s_branch .LBB82_128
.LBB82_127:                             ;   in Loop: Header=BB82_128 Depth=2
	s_or_b64 exec, exec, s[24:25]
	s_waitcnt lgkmcnt(0)
	s_barrier
	ds_read_u16 v3, v23 offset:3072
	v_add_u32_e32 v2, s59, v2
	v_cmp_le_u32_e32 vcc, s1, v2
	s_waitcnt lgkmcnt(0)
	s_barrier
	v_cmp_ne_u16_sdwa s[2:3], v3, v23 src0_sel:BYTE_0 src1_sel:DWORD
	s_or_b64 s[24:25], vcc, s[2:3]
	s_and_b64 s[24:25], exec, s[24:25]
	s_or_b64 s[20:21], s[24:25], s[20:21]
	s_andn2_b64 s[22:23], s[22:23], exec
	s_and_b64 s[2:3], s[2:3], exec
	s_or_b64 s[22:23], s[22:23], s[2:3]
	s_andn2_b64 exec, exec, s[20:21]
	s_cbranch_execz .LBB82_135
.LBB82_128:                             ;   Parent Loop BB82_12 Depth=1
                                        ; =>  This Inner Loop Header: Depth=2
	v_cmp_gt_u32_e32 vcc, s0, v2
	v_mov_b32_e32 v3, 0
	s_and_saveexec_b64 s[24:25], vcc
	s_cbranch_execz .LBB82_130
; %bb.129:                              ;   in Loop: Header=BB82_128 Depth=2
	ds_read_u8 v3, v2
.LBB82_130:                             ;   in Loop: Header=BB82_128 Depth=2
	s_or_b64 exec, exec, s[24:25]
	s_and_saveexec_b64 s[24:25], vcc
	s_cbranch_execz .LBB82_127
; %bb.131:                              ;   in Loop: Header=BB82_128 Depth=2
	s_waitcnt lgkmcnt(0)
	v_add_u32_sdwa v4, sext(v3), s89 dst_sel:DWORD dst_unused:UNUSED_PAD src0_sel:BYTE_0 src1_sel:DWORD
	v_and_b32_e32 v4, s13, v4
	v_cmp_eq_u32_e32 vcc, s82, v4
	s_and_b64 exec, exec, vcc
	s_cbranch_execz .LBB82_127
; %bb.132:                              ;   in Loop: Header=BB82_128 Depth=2
	v_lshlrev_b16_e32 v3, 8, v3
	v_or_b32_e32 v3, 1, v3
	ds_write_b16 v23, v3 offset:3072
	s_branch .LBB82_127
.LBB82_133:                             ;   in Loop: Header=BB82_12 Depth=1
                                        ; implicit-def: $sgpr20_sgpr21
                                        ; implicit-def: $sgpr22_sgpr23
                                        ; implicit-def: $sgpr18_sgpr19
	s_branch .LBB82_147
.LBB82_134:                             ;   in Loop: Header=BB82_12 Depth=1
	s_mov_b64 s[20:21], -1
	s_mov_b64 s[28:29], 0
                                        ; implicit-def: $sgpr18_sgpr19
                                        ; implicit-def: $vgpr25
	s_mov_b64 s[22:23], s[20:21]
	s_cbranch_execnz .LBB82_137
	s_branch .LBB82_147
.LBB82_135:                             ;   in Loop: Header=BB82_12 Depth=1
	s_or_b64 exec, exec, s[20:21]
	v_lshrrev_b16_e32 v25, 8, v3
	s_and_b64 s[28:29], s[22:23], exec
.LBB82_136:                             ;   in Loop: Header=BB82_12 Depth=1
	s_or_b64 exec, exec, s[18:19]
	s_mov_b64 s[18:19], -1
	s_mov_b64 s[20:21], 0
	s_mov_b64 s[22:23], s[20:21]
	s_branch .LBB82_147
.LBB82_137:                             ;   in Loop: Header=BB82_12 Depth=1
	s_mov_b64 s[28:29], 0
                                        ; implicit-def: $vgpr25
	s_mov_b64 s[18:19], exec
	v_readlane_b32 s0, v42, 43
	v_readlane_b32 s1, v42, 44
	s_and_b64 s[0:1], s[18:19], s[0:1]
	s_mov_b64 exec, s[0:1]
	s_cbranch_execz .LBB82_146
; %bb.138:                              ;   in Loop: Header=BB82_12 Depth=1
	s_mov_b64 s[20:21], 0
	v_mov_b32_e32 v2, v9
	v_mov_b32_e32 v3, v0
                                        ; implicit-def: $sgpr22_sgpr23
	s_branch .LBB82_140
.LBB82_139:                             ;   in Loop: Header=BB82_140 Depth=2
	s_or_b64 exec, exec, s[24:25]
	s_waitcnt lgkmcnt(0)
	s_barrier
	s_waitcnt vmcnt(0)
	ds_read_u16 v4, v23 offset:3072
	v_add_u32_e32 v3, s59, v3
	v_cmp_le_u32_e32 vcc, s87, v3
	v_add_u32_e32 v2, s57, v2
	s_waitcnt lgkmcnt(0)
	v_cmp_ne_u16_sdwa s[0:1], v4, v23 src0_sel:BYTE_0 src1_sel:DWORD
	s_or_b64 s[2:3], vcc, s[0:1]
	s_and_b64 s[2:3], exec, s[2:3]
	s_or_b64 s[20:21], s[2:3], s[20:21]
	s_andn2_b64 s[2:3], s[22:23], exec
	s_and_b64 s[0:1], s[0:1], exec
	s_or_b64 s[22:23], s[2:3], s[0:1]
	s_barrier
	s_andn2_b64 exec, exec, s[20:21]
	s_cbranch_execz .LBB82_145
.LBB82_140:                             ;   Parent Loop BB82_12 Depth=1
                                        ; =>  This Inner Loop Header: Depth=2
	v_cmp_gt_u32_e32 vcc, s56, v3
	v_mov_b32_e32 v4, 0
	s_and_saveexec_b64 s[24:25], vcc
	s_cbranch_execz .LBB82_142
; %bb.141:                              ;   in Loop: Header=BB82_140 Depth=2
	global_load_ubyte v4, v2, s[74:75]
.LBB82_142:                             ;   in Loop: Header=BB82_140 Depth=2
	s_or_b64 exec, exec, s[24:25]
	s_and_saveexec_b64 s[24:25], vcc
	s_cbranch_execz .LBB82_139
; %bb.143:                              ;   in Loop: Header=BB82_140 Depth=2
	s_waitcnt vmcnt(0)
	v_add_u32_sdwa v5, sext(v4), s89 dst_sel:DWORD dst_unused:UNUSED_PAD src0_sel:BYTE_0 src1_sel:DWORD
	v_and_b32_e32 v5, s13, v5
	v_cmp_eq_u32_e32 vcc, s82, v5
	s_and_b64 exec, exec, vcc
	s_cbranch_execz .LBB82_139
; %bb.144:                              ;   in Loop: Header=BB82_140 Depth=2
	v_lshlrev_b16_e32 v4, 8, v4
	v_or_b32_e32 v4, 1, v4
	ds_write_b16 v23, v4 offset:3072
	s_branch .LBB82_139
.LBB82_145:                             ;   in Loop: Header=BB82_12 Depth=1
	s_or_b64 exec, exec, s[20:21]
	v_lshrrev_b16_e32 v25, 8, v4
	s_and_b64 s[28:29], s[22:23], exec
.LBB82_146:                             ;   in Loop: Header=BB82_12 Depth=1
	s_or_b64 exec, exec, s[18:19]
	s_mov_b64 s[22:23], -1
	s_mov_b64 s[20:21], 0
	s_mov_b64 s[18:19], 0
.LBB82_147:                             ;   in Loop: Header=BB82_12 Depth=1
	s_mov_b64 s[30:31], 0
                                        ; implicit-def: $sgpr53
	s_and_saveexec_b64 s[24:25], s[28:29]
	s_cbranch_execz .LBB82_243
; %bb.148:                              ;   in Loop: Header=BB82_12 Depth=1
	s_xor_b64 s[0:1], s[26:27], -1
	s_mov_b64 s[28:29], 0
	s_andn2_b64 vcc, exec, s[0:1]
	s_mov_b32 s45, 1
	s_cbranch_vccnz .LBB82_159
; %bb.149:                              ;   in Loop: Header=BB82_12 Depth=1
	s_cmp_gt_u32 s35, s34
	s_mov_b64 s[28:29], -1
                                        ; implicit-def: $sgpr53
                                        ; implicit-def: $sgpr0
                                        ; implicit-def: $sgpr1
	s_cbranch_scc1 .LBB82_155
; %bb.150:                              ;   in Loop: Header=BB82_12 Depth=1
	ds_read_b32 v2, v23 offset:4104
	s_waitcnt lgkmcnt(0)
	v_cmp_ne_u32_e32 vcc, 0, v2
	s_cbranch_vccnz .LBB82_154
; %bb.151:                              ;   in Loop: Header=BB82_12 Depth=1
	s_mov_b64 s[26:27], exec
	v_readlane_b32 s0, v42, 6
	v_readlane_b32 s1, v42, 7
	s_and_b64 s[0:1], s[26:27], s[0:1]
	s_mov_b64 exec, s[0:1]
	s_cbranch_execz .LBB82_153
; %bb.152:                              ;   in Loop: Header=BB82_12 Depth=1
	v_mov_b32_e32 v2, s34
	ds_write_b32 v23, v2 offset:4108
.LBB82_153:                             ;   in Loop: Header=BB82_12 Depth=1
	s_or_b64 exec, exec, s[26:27]
	s_waitcnt lgkmcnt(0)
	s_barrier
.LBB82_154:                             ;   in Loop: Header=BB82_12 Depth=1
	s_lshl_b32 s0, 1, s43
	s_and_b32 s1, s82, s44
	s_or_b32 s0, s1, s0
	s_or_b32 s1, s13, s51
	s_mov_b64 s[28:29], 0
	s_mov_b32 s53, 8
.LBB82_155:                             ;   in Loop: Header=BB82_12 Depth=1
	s_andn2_b64 vcc, exec, s[28:29]
	s_cbranch_vccnz .LBB82_157
; %bb.156:                              ;   in Loop: Header=BB82_12 Depth=1
	s_sub_i32 s35, s35, s34
	s_mov_b64 s[28:29], -1
	s_mov_b32 s53, 0
	s_mov_b32 s0, s82
	;; [unrolled: 1-line block ×3, first 2 shown]
.LBB82_157:                             ;   in Loop: Header=BB82_12 Depth=1
	s_mov_b32 s13, s1
	s_mov_b32 s82, s0
	;; [unrolled: 1-line block ×3, first 2 shown]
	s_andn2_b64 vcc, exec, s[28:29]
	s_mov_b64 s[40:41], -1
	s_cbranch_vccz .LBB82_160
.LBB82_158:                             ;   in Loop: Header=BB82_12 Depth=1
                                        ; implicit-def: $sgpr28_sgpr29
                                        ; implicit-def: $sgpr30_sgpr31
                                        ; implicit-def: $sgpr26_sgpr27
	s_branch .LBB82_242
.LBB82_159:                             ;   in Loop: Header=BB82_12 Depth=1
	s_mov_b32 s53, 1
	s_andn2_b64 vcc, exec, s[28:29]
	s_mov_b64 s[40:41], -1
	s_cbranch_vccnz .LBB82_158
.LBB82_160:                             ;   in Loop: Header=BB82_12 Depth=1
	s_cmp_eq_u32 s42, 1
	s_cselect_b64 s[0:1], -1, 0
	s_cmp_eq_u32 s45, 1
	s_cselect_b64 s[2:3], -1, 0
	s_and_b64 s[36:37], s[0:1], s[2:3]
	s_mov_b64 s[38:39], -1
	s_and_b64 vcc, exec, s[36:37]
	s_cbranch_vccz .LBB82_172
; %bb.161:                              ;   in Loop: Header=BB82_12 Depth=1
	ds_read_b32 v2, v23 offset:4104
	s_waitcnt lgkmcnt(0)
	s_barrier
	v_readfirstlane_b32 s0, v2
	s_and_saveexec_b64 s[26:27], s[6:7]
	s_cbranch_execz .LBB82_163
; %bb.162:                              ;   in Loop: Header=BB82_12 Depth=1
	ds_write_b8 v0, v23 offset:3072
.LBB82_163:                             ;   in Loop: Header=BB82_12 Depth=1
	s_or_b64 exec, exec, s[26:27]
	s_lshl_b32 s1, 2, s43
	s_and_b32 s2, s82, s44
	s_or_b32 s82, s2, s1
	s_or_b32 s13, s13, s51
	s_cmp_eq_u32 s0, 0
	s_waitcnt lgkmcnt(0)
	s_barrier
	s_cbranch_scc1 .LBB82_173
; %bb.164:                              ;   in Loop: Header=BB82_12 Depth=1
	v_readlane_b32 s1, v42, 25
	s_add_i32 s1, s0, s1
	v_readlane_b32 s2, v42, 42
	s_mul_hi_u32 s2, s1, s2
	s_mul_i32 s2, s2, s59
	s_sub_i32 s2, s1, s2
	s_sub_i32 s3, s2, s59
	s_cmp_ge_u32 s2, s59
	s_cselect_b32 s2, s3, s2
	s_sub_i32 s3, s2, s59
	s_cmp_ge_u32 s2, s59
	s_cselect_b32 s2, s3, s2
	s_sub_i32 s1, s1, s2
	v_cmp_gt_u32_e32 vcc, s1, v0
	s_mov_b64 s[38:39], 0
                                        ; implicit-def: $vgpr25
	s_and_saveexec_b64 s[26:27], vcc
	s_cbranch_execz .LBB82_175
; %bb.165:                              ;   in Loop: Header=BB82_12 Depth=1
	s_mov_b64 s[28:29], 0
	v_mov_b32_e32 v2, v0
                                        ; implicit-def: $sgpr30_sgpr31
	s_branch .LBB82_167
.LBB82_166:                             ;   in Loop: Header=BB82_167 Depth=2
	s_or_b64 exec, exec, s[34:35]
	s_waitcnt lgkmcnt(0)
	s_barrier
	ds_read_u16 v3, v23 offset:3072
	v_add_u32_e32 v2, s59, v2
	v_cmp_le_u32_e32 vcc, s1, v2
	s_waitcnt lgkmcnt(0)
	s_barrier
	v_cmp_ne_u16_sdwa s[2:3], v3, v23 src0_sel:BYTE_0 src1_sel:DWORD
	s_or_b64 s[34:35], vcc, s[2:3]
	s_and_b64 s[34:35], exec, s[34:35]
	s_or_b64 s[28:29], s[34:35], s[28:29]
	s_andn2_b64 s[30:31], s[30:31], exec
	s_and_b64 s[2:3], s[2:3], exec
	s_or_b64 s[30:31], s[30:31], s[2:3]
	s_andn2_b64 exec, exec, s[28:29]
	s_cbranch_execz .LBB82_174
.LBB82_167:                             ;   Parent Loop BB82_12 Depth=1
                                        ; =>  This Inner Loop Header: Depth=2
	v_cmp_gt_u32_e32 vcc, s0, v2
	v_mov_b32_e32 v3, 0
	s_and_saveexec_b64 s[34:35], vcc
	s_cbranch_execz .LBB82_169
; %bb.168:                              ;   in Loop: Header=BB82_167 Depth=2
	ds_read_u8 v3, v2
.LBB82_169:                             ;   in Loop: Header=BB82_167 Depth=2
	s_or_b64 exec, exec, s[34:35]
	s_and_saveexec_b64 s[34:35], vcc
	s_cbranch_execz .LBB82_166
; %bb.170:                              ;   in Loop: Header=BB82_167 Depth=2
	s_waitcnt lgkmcnt(0)
	v_add_u32_sdwa v4, sext(v3), s89 dst_sel:DWORD dst_unused:UNUSED_PAD src0_sel:BYTE_0 src1_sel:DWORD
	v_and_b32_e32 v4, s13, v4
	v_cmp_eq_u32_e32 vcc, s82, v4
	s_and_b64 exec, exec, vcc
	s_cbranch_execz .LBB82_166
; %bb.171:                              ;   in Loop: Header=BB82_167 Depth=2
	v_lshlrev_b16_e32 v3, 8, v3
	v_or_b32_e32 v3, 1, v3
	ds_write_b16 v23, v3 offset:3072
	s_branch .LBB82_166
.LBB82_172:                             ;   in Loop: Header=BB82_12 Depth=1
                                        ; implicit-def: $sgpr26_sgpr27
                                        ; implicit-def: $sgpr30_sgpr31
                                        ; implicit-def: $sgpr28_sgpr29
	s_branch .LBB82_186
.LBB82_173:                             ;   in Loop: Header=BB82_12 Depth=1
	s_mov_b64 s[26:27], -1
	s_mov_b64 s[38:39], 0
                                        ; implicit-def: $sgpr28_sgpr29
                                        ; implicit-def: $vgpr25
	s_mov_b64 s[30:31], s[26:27]
	s_cbranch_execnz .LBB82_176
	s_branch .LBB82_186
.LBB82_174:                             ;   in Loop: Header=BB82_12 Depth=1
	s_or_b64 exec, exec, s[28:29]
	v_lshrrev_b16_e32 v25, 8, v3
	s_and_b64 s[38:39], s[30:31], exec
.LBB82_175:                             ;   in Loop: Header=BB82_12 Depth=1
	s_or_b64 exec, exec, s[26:27]
	s_mov_b64 s[28:29], -1
	s_mov_b64 s[26:27], 0
	s_mov_b64 s[30:31], s[26:27]
	s_branch .LBB82_186
.LBB82_176:                             ;   in Loop: Header=BB82_12 Depth=1
	s_mov_b64 s[38:39], 0
                                        ; implicit-def: $vgpr25
	s_mov_b64 s[26:27], exec
	v_readlane_b32 s0, v42, 43
	v_readlane_b32 s1, v42, 44
	s_and_b64 s[0:1], s[26:27], s[0:1]
	s_mov_b64 exec, s[0:1]
	s_cbranch_execz .LBB82_185
; %bb.177:                              ;   in Loop: Header=BB82_12 Depth=1
	s_mov_b64 s[28:29], 0
	v_mov_b32_e32 v2, v9
	v_mov_b32_e32 v3, v0
                                        ; implicit-def: $sgpr30_sgpr31
	s_branch .LBB82_179
.LBB82_178:                             ;   in Loop: Header=BB82_179 Depth=2
	s_or_b64 exec, exec, s[34:35]
	s_waitcnt lgkmcnt(0)
	s_barrier
	s_waitcnt vmcnt(0)
	ds_read_u16 v4, v23 offset:3072
	v_add_u32_e32 v3, s59, v3
	v_cmp_le_u32_e32 vcc, s87, v3
	v_add_u32_e32 v2, s57, v2
	s_waitcnt lgkmcnt(0)
	v_cmp_ne_u16_sdwa s[0:1], v4, v23 src0_sel:BYTE_0 src1_sel:DWORD
	s_or_b64 s[2:3], vcc, s[0:1]
	s_and_b64 s[2:3], exec, s[2:3]
	s_or_b64 s[28:29], s[2:3], s[28:29]
	s_andn2_b64 s[2:3], s[30:31], exec
	s_and_b64 s[0:1], s[0:1], exec
	s_or_b64 s[30:31], s[2:3], s[0:1]
	s_barrier
	s_andn2_b64 exec, exec, s[28:29]
	s_cbranch_execz .LBB82_184
.LBB82_179:                             ;   Parent Loop BB82_12 Depth=1
                                        ; =>  This Inner Loop Header: Depth=2
	v_cmp_gt_u32_e32 vcc, s56, v3
	v_mov_b32_e32 v4, 0
	s_and_saveexec_b64 s[34:35], vcc
	s_cbranch_execz .LBB82_181
; %bb.180:                              ;   in Loop: Header=BB82_179 Depth=2
	global_load_ubyte v4, v2, s[74:75]
.LBB82_181:                             ;   in Loop: Header=BB82_179 Depth=2
	s_or_b64 exec, exec, s[34:35]
	s_and_saveexec_b64 s[34:35], vcc
	s_cbranch_execz .LBB82_178
; %bb.182:                              ;   in Loop: Header=BB82_179 Depth=2
	s_waitcnt vmcnt(0)
	v_add_u32_sdwa v5, sext(v4), s89 dst_sel:DWORD dst_unused:UNUSED_PAD src0_sel:BYTE_0 src1_sel:DWORD
	v_and_b32_e32 v5, s13, v5
	v_cmp_eq_u32_e32 vcc, s82, v5
	s_and_b64 exec, exec, vcc
	s_cbranch_execz .LBB82_178
; %bb.183:                              ;   in Loop: Header=BB82_179 Depth=2
	v_lshlrev_b16_e32 v4, 8, v4
	v_or_b32_e32 v4, 1, v4
	ds_write_b16 v23, v4 offset:3072
	s_branch .LBB82_178
.LBB82_184:                             ;   in Loop: Header=BB82_12 Depth=1
	s_or_b64 exec, exec, s[28:29]
	v_lshrrev_b16_e32 v25, 8, v4
	s_and_b64 s[38:39], s[30:31], exec
.LBB82_185:                             ;   in Loop: Header=BB82_12 Depth=1
	s_or_b64 exec, exec, s[26:27]
	s_mov_b64 s[30:31], -1
	s_mov_b64 s[26:27], 0
	s_mov_b64 s[28:29], 0
.LBB82_186:                             ;   in Loop: Header=BB82_12 Depth=1
	s_mov_b64 s[40:41], 0
                                        ; implicit-def: $sgpr53
	s_and_saveexec_b64 s[34:35], s[38:39]
	s_cbranch_execz .LBB82_241
; %bb.187:                              ;   in Loop: Header=BB82_12 Depth=1
	s_xor_b64 s[0:1], s[36:37], -1
	s_mov_b64 s[38:39], 0
	s_andn2_b64 vcc, exec, s[0:1]
	s_mov_b32 s52, 1
	s_cbranch_vccnz .LBB82_198
; %bb.188:                              ;   in Loop: Header=BB82_12 Depth=1
	s_cmp_gt_u32 s45, s42
	s_mov_b64 s[38:39], -1
                                        ; implicit-def: $sgpr53
                                        ; implicit-def: $sgpr0
                                        ; implicit-def: $sgpr1
	s_cbranch_scc1 .LBB82_194
; %bb.189:                              ;   in Loop: Header=BB82_12 Depth=1
	ds_read_b32 v2, v23 offset:4104
	s_waitcnt lgkmcnt(0)
	v_cmp_ne_u32_e32 vcc, 0, v2
	s_cbranch_vccnz .LBB82_193
; %bb.190:                              ;   in Loop: Header=BB82_12 Depth=1
	s_mov_b64 s[36:37], exec
	v_readlane_b32 s0, v42, 6
	v_readlane_b32 s1, v42, 7
	s_and_b64 s[0:1], s[36:37], s[0:1]
	s_mov_b64 exec, s[0:1]
	s_cbranch_execz .LBB82_192
; %bb.191:                              ;   in Loop: Header=BB82_12 Depth=1
	v_mov_b32_e32 v2, s42
	ds_write_b32 v23, v2 offset:4108
.LBB82_192:                             ;   in Loop: Header=BB82_12 Depth=1
	s_or_b64 exec, exec, s[36:37]
	s_waitcnt lgkmcnt(0)
	s_barrier
.LBB82_193:                             ;   in Loop: Header=BB82_12 Depth=1
	s_lshl_b32 s0, 2, s43
	s_and_b32 s1, s82, s44
	s_or_b32 s0, s1, s0
	s_or_b32 s1, s13, s51
	s_mov_b64 s[38:39], 0
	s_mov_b32 s53, 8
.LBB82_194:                             ;   in Loop: Header=BB82_12 Depth=1
	s_andn2_b64 vcc, exec, s[38:39]
	s_cbranch_vccnz .LBB82_196
; %bb.195:                              ;   in Loop: Header=BB82_12 Depth=1
	s_sub_i32 s45, s45, s42
	s_mov_b64 s[38:39], -1
	s_mov_b32 s53, 0
	s_mov_b32 s0, s82
	;; [unrolled: 1-line block ×3, first 2 shown]
.LBB82_196:                             ;   in Loop: Header=BB82_12 Depth=1
	s_mov_b32 s13, s1
	s_mov_b32 s82, s0
	;; [unrolled: 1-line block ×3, first 2 shown]
	s_andn2_b64 vcc, exec, s[38:39]
	s_mov_b64 s[48:49], -1
	s_cbranch_vccz .LBB82_199
.LBB82_197:                             ;   in Loop: Header=BB82_12 Depth=1
                                        ; implicit-def: $sgpr38_sgpr39
                                        ; implicit-def: $sgpr42_sgpr43
                                        ; implicit-def: $sgpr40_sgpr41
	s_branch .LBB82_240
.LBB82_198:                             ;   in Loop: Header=BB82_12 Depth=1
	s_mov_b32 s53, 1
	s_andn2_b64 vcc, exec, s[38:39]
	s_mov_b64 s[48:49], -1
	s_cbranch_vccnz .LBB82_197
.LBB82_199:                             ;   in Loop: Header=BB82_12 Depth=1
	s_cmp_eq_u32 s50, 1
	s_cselect_b64 s[0:1], -1, 0
	s_cmp_eq_u32 s52, 1
	s_cselect_b64 s[2:3], -1, 0
	s_and_b64 s[36:37], s[0:1], s[2:3]
	s_mov_b64 s[44:45], -1
	s_and_b64 vcc, exec, s[36:37]
	s_cbranch_vccz .LBB82_211
; %bb.200:                              ;   in Loop: Header=BB82_12 Depth=1
	ds_read_b32 v2, v23 offset:4104
	s_waitcnt lgkmcnt(0)
	s_barrier
	v_readfirstlane_b32 s0, v2
	s_and_saveexec_b64 s[38:39], s[6:7]
	s_cbranch_execz .LBB82_202
; %bb.201:                              ;   in Loop: Header=BB82_12 Depth=1
	ds_write_b8 v0, v23 offset:3072
.LBB82_202:                             ;   in Loop: Header=BB82_12 Depth=1
	s_or_b64 exec, exec, s[38:39]
	s_or_b32 s82, s82, s51
	s_or_b32 s13, s13, s51
	s_cmp_eq_u32 s0, 0
	s_waitcnt lgkmcnt(0)
	s_barrier
	s_cbranch_scc1 .LBB82_212
; %bb.203:                              ;   in Loop: Header=BB82_12 Depth=1
	v_readlane_b32 s1, v42, 25
	s_add_i32 s1, s0, s1
	v_readlane_b32 s2, v42, 42
	s_mul_hi_u32 s2, s1, s2
	s_mul_i32 s2, s2, s59
	s_sub_i32 s2, s1, s2
	s_sub_i32 s3, s2, s59
	s_cmp_ge_u32 s2, s59
	s_cselect_b32 s2, s3, s2
	s_sub_i32 s3, s2, s59
	s_cmp_ge_u32 s2, s59
	s_cselect_b32 s2, s3, s2
	s_sub_i32 s1, s1, s2
	v_cmp_gt_u32_e32 vcc, s1, v0
	s_mov_b64 s[44:45], 0
                                        ; implicit-def: $vgpr25
	s_and_saveexec_b64 s[38:39], vcc
	s_cbranch_execz .LBB82_214
; %bb.204:                              ;   in Loop: Header=BB82_12 Depth=1
	v_mov_b32_e32 v2, v0
                                        ; implicit-def: $sgpr42_sgpr43
	s_branch .LBB82_206
.LBB82_205:                             ;   in Loop: Header=BB82_206 Depth=2
	s_or_b64 exec, exec, s[44:45]
	s_waitcnt lgkmcnt(0)
	s_barrier
	ds_read_u16 v3, v23 offset:3072
	v_add_u32_e32 v2, s59, v2
	v_cmp_le_u32_e32 vcc, s1, v2
	s_waitcnt lgkmcnt(0)
	s_barrier
	v_cmp_ne_u16_sdwa s[2:3], v3, v23 src0_sel:BYTE_0 src1_sel:DWORD
	s_or_b64 s[44:45], vcc, s[2:3]
	s_and_b64 s[44:45], exec, s[44:45]
	s_or_b64 s[40:41], s[44:45], s[40:41]
	s_andn2_b64 s[42:43], s[42:43], exec
	s_and_b64 s[2:3], s[2:3], exec
	s_or_b64 s[42:43], s[42:43], s[2:3]
	s_andn2_b64 exec, exec, s[40:41]
	s_cbranch_execz .LBB82_213
.LBB82_206:                             ;   Parent Loop BB82_12 Depth=1
                                        ; =>  This Inner Loop Header: Depth=2
	v_cmp_gt_u32_e32 vcc, s0, v2
	v_mov_b32_e32 v3, 0
	s_and_saveexec_b64 s[44:45], vcc
	s_cbranch_execz .LBB82_208
; %bb.207:                              ;   in Loop: Header=BB82_206 Depth=2
	ds_read_u8 v3, v2
.LBB82_208:                             ;   in Loop: Header=BB82_206 Depth=2
	s_or_b64 exec, exec, s[44:45]
	s_and_saveexec_b64 s[44:45], vcc
	s_cbranch_execz .LBB82_205
; %bb.209:                              ;   in Loop: Header=BB82_206 Depth=2
	s_waitcnt lgkmcnt(0)
	v_add_u32_sdwa v4, sext(v3), s89 dst_sel:DWORD dst_unused:UNUSED_PAD src0_sel:BYTE_0 src1_sel:DWORD
	v_and_b32_e32 v4, s13, v4
	v_cmp_eq_u32_e32 vcc, s82, v4
	s_and_b64 exec, exec, vcc
	s_cbranch_execz .LBB82_205
; %bb.210:                              ;   in Loop: Header=BB82_206 Depth=2
	v_lshlrev_b16_e32 v3, 8, v3
	v_or_b32_e32 v3, 1, v3
	ds_write_b16 v23, v3 offset:3072
	s_branch .LBB82_205
.LBB82_211:                             ;   in Loop: Header=BB82_12 Depth=1
                                        ; implicit-def: $sgpr38_sgpr39
                                        ; implicit-def: $sgpr42_sgpr43
                                        ; implicit-def: $sgpr40_sgpr41
	s_branch .LBB82_225
.LBB82_212:                             ;   in Loop: Header=BB82_12 Depth=1
	s_mov_b64 s[38:39], -1
	s_mov_b64 s[44:45], 0
                                        ; implicit-def: $sgpr40_sgpr41
                                        ; implicit-def: $vgpr25
	s_mov_b64 s[42:43], s[38:39]
	s_cbranch_execnz .LBB82_215
	s_branch .LBB82_225
.LBB82_213:                             ;   in Loop: Header=BB82_12 Depth=1
	s_or_b64 exec, exec, s[40:41]
	v_lshrrev_b16_e32 v25, 8, v3
	s_and_b64 s[44:45], s[42:43], exec
.LBB82_214:                             ;   in Loop: Header=BB82_12 Depth=1
	s_or_b64 exec, exec, s[38:39]
	s_mov_b64 s[40:41], -1
	s_mov_b64 s[38:39], 0
	s_mov_b64 s[42:43], s[38:39]
	s_branch .LBB82_225
.LBB82_215:                             ;   in Loop: Header=BB82_12 Depth=1
	s_mov_b64 s[44:45], 0
                                        ; implicit-def: $vgpr25
	s_mov_b64 s[38:39], exec
	v_readlane_b32 s0, v42, 43
	v_readlane_b32 s1, v42, 44
	s_and_b64 s[0:1], s[38:39], s[0:1]
	s_mov_b64 exec, s[0:1]
	s_cbranch_execz .LBB82_224
; %bb.216:                              ;   in Loop: Header=BB82_12 Depth=1
	s_mov_b64 s[40:41], 0
	v_mov_b32_e32 v2, v9
	v_mov_b32_e32 v3, v0
                                        ; implicit-def: $sgpr42_sgpr43
	s_branch .LBB82_218
.LBB82_217:                             ;   in Loop: Header=BB82_218 Depth=2
	s_or_b64 exec, exec, s[44:45]
	s_waitcnt lgkmcnt(0)
	s_barrier
	s_waitcnt vmcnt(0)
	ds_read_u16 v4, v23 offset:3072
	v_add_u32_e32 v3, s59, v3
	v_cmp_le_u32_e32 vcc, s87, v3
	v_add_u32_e32 v2, s57, v2
	s_waitcnt lgkmcnt(0)
	v_cmp_ne_u16_sdwa s[0:1], v4, v23 src0_sel:BYTE_0 src1_sel:DWORD
	s_or_b64 s[2:3], vcc, s[0:1]
	s_and_b64 s[2:3], exec, s[2:3]
	s_or_b64 s[40:41], s[2:3], s[40:41]
	s_andn2_b64 s[2:3], s[42:43], exec
	s_and_b64 s[0:1], s[0:1], exec
	s_or_b64 s[42:43], s[2:3], s[0:1]
	s_barrier
	s_andn2_b64 exec, exec, s[40:41]
	s_cbranch_execz .LBB82_223
.LBB82_218:                             ;   Parent Loop BB82_12 Depth=1
                                        ; =>  This Inner Loop Header: Depth=2
	v_cmp_gt_u32_e32 vcc, s56, v3
	v_mov_b32_e32 v4, 0
	s_and_saveexec_b64 s[44:45], vcc
	s_cbranch_execz .LBB82_220
; %bb.219:                              ;   in Loop: Header=BB82_218 Depth=2
	global_load_ubyte v4, v2, s[74:75]
.LBB82_220:                             ;   in Loop: Header=BB82_218 Depth=2
	s_or_b64 exec, exec, s[44:45]
	s_and_saveexec_b64 s[44:45], vcc
	s_cbranch_execz .LBB82_217
; %bb.221:                              ;   in Loop: Header=BB82_218 Depth=2
	s_waitcnt vmcnt(0)
	v_add_u32_sdwa v5, sext(v4), s89 dst_sel:DWORD dst_unused:UNUSED_PAD src0_sel:BYTE_0 src1_sel:DWORD
	v_and_b32_e32 v5, s13, v5
	v_cmp_eq_u32_e32 vcc, s82, v5
	s_and_b64 exec, exec, vcc
	s_cbranch_execz .LBB82_217
; %bb.222:                              ;   in Loop: Header=BB82_218 Depth=2
	v_lshlrev_b16_e32 v4, 8, v4
	v_or_b32_e32 v4, 1, v4
	ds_write_b16 v23, v4 offset:3072
	s_branch .LBB82_217
.LBB82_223:                             ;   in Loop: Header=BB82_12 Depth=1
	s_or_b64 exec, exec, s[40:41]
	v_lshrrev_b16_e32 v25, 8, v4
	s_and_b64 s[44:45], s[42:43], exec
.LBB82_224:                             ;   in Loop: Header=BB82_12 Depth=1
	s_or_b64 exec, exec, s[38:39]
	s_mov_b64 s[42:43], -1
	s_mov_b64 s[38:39], 0
	s_mov_b64 s[40:41], 0
.LBB82_225:                             ;   in Loop: Header=BB82_12 Depth=1
	s_mov_b64 s[48:49], 0
                                        ; implicit-def: $sgpr53
	s_and_saveexec_b64 s[46:47], s[44:45]
	s_cbranch_execz .LBB82_239
; %bb.226:                              ;   in Loop: Header=BB82_12 Depth=1
	s_xor_b64 s[0:1], s[36:37], -1
	s_andn2_b64 vcc, exec, s[0:1]
	s_mov_b32 s53, 1
	s_cbranch_vccnz .LBB82_233
; %bb.227:                              ;   in Loop: Header=BB82_12 Depth=1
	s_cmp_gt_u32 s52, s50
	s_cbranch_scc1 .LBB82_234
; %bb.228:                              ;   in Loop: Header=BB82_12 Depth=1
	ds_read_b32 v2, v23 offset:4104
	s_waitcnt lgkmcnt(0)
	v_cmp_ne_u32_e32 vcc, 0, v2
	s_cbranch_vccnz .LBB82_232
; %bb.229:                              ;   in Loop: Header=BB82_12 Depth=1
	s_mov_b64 s[36:37], exec
	v_readlane_b32 s0, v42, 6
	v_readlane_b32 s1, v42, 7
	s_and_b64 s[0:1], s[36:37], s[0:1]
	s_mov_b64 exec, s[0:1]
	s_cbranch_execz .LBB82_231
; %bb.230:                              ;   in Loop: Header=BB82_12 Depth=1
	v_mov_b32_e32 v2, s50
	ds_write_b32 v23, v2 offset:4108
.LBB82_231:                             ;   in Loop: Header=BB82_12 Depth=1
	s_or_b64 exec, exec, s[36:37]
	s_waitcnt lgkmcnt(0)
	s_barrier
.LBB82_232:                             ;   in Loop: Header=BB82_12 Depth=1
	s_or_b32 s0, s82, s51
	s_or_b32 s1, s13, s51
	s_mov_b64 s[36:37], 0
	s_mov_b32 s53, 8
	s_branch .LBB82_235
.LBB82_233:                             ;   in Loop: Header=BB82_12 Depth=1
	s_mov_b32 s52, 1
	s_branch .LBB82_238
.LBB82_234:                             ;   in Loop: Header=BB82_12 Depth=1
	s_mov_b64 s[36:37], -1
                                        ; implicit-def: $sgpr53
                                        ; implicit-def: $sgpr0
                                        ; implicit-def: $sgpr1
.LBB82_235:                             ;   in Loop: Header=BB82_12 Depth=1
	s_andn2_b64 vcc, exec, s[36:37]
	s_cbranch_vccnz .LBB82_237
; %bb.236:                              ;   in Loop: Header=BB82_12 Depth=1
	s_sub_i32 s52, s52, s50
	s_mov_b32 s53, 8
	s_mov_b32 s0, s82
	;; [unrolled: 1-line block ×3, first 2 shown]
.LBB82_237:                             ;   in Loop: Header=BB82_12 Depth=1
	s_mov_b32 s82, s0
	s_mov_b32 s13, s1
.LBB82_238:                             ;   in Loop: Header=BB82_12 Depth=1
	s_mov_b64 s[48:49], exec
.LBB82_239:                             ;   in Loop: Header=BB82_12 Depth=1
	s_or_b64 exec, exec, s[46:47]
.LBB82_240:                             ;   in Loop: Header=BB82_12 Depth=1
	s_andn2_b64 s[0:1], s[26:27], exec
	s_and_b64 s[2:3], s[38:39], exec
	s_or_b64 s[26:27], s[0:1], s[2:3]
	s_andn2_b64 s[0:1], s[30:31], exec
	s_and_b64 s[2:3], s[42:43], exec
	s_or_b64 s[30:31], s[0:1], s[2:3]
	;; [unrolled: 3-line block ×3, first 2 shown]
	s_and_b64 s[40:41], s[48:49], exec
	s_mov_b32 s45, s52
.LBB82_241:                             ;   in Loop: Header=BB82_12 Depth=1
	s_or_b64 exec, exec, s[34:35]
.LBB82_242:                             ;   in Loop: Header=BB82_12 Depth=1
	s_andn2_b64 s[0:1], s[20:21], exec
	s_and_b64 s[2:3], s[26:27], exec
	s_or_b64 s[20:21], s[0:1], s[2:3]
	s_andn2_b64 s[0:1], s[22:23], exec
	s_and_b64 s[2:3], s[30:31], exec
	s_or_b64 s[22:23], s[0:1], s[2:3]
	s_andn2_b64 s[0:1], s[18:19], exec
	s_and_b64 s[2:3], s[28:29], exec
	s_or_b64 s[18:19], s[0:1], s[2:3]
	s_and_b64 s[30:31], s[40:41], exec
	s_mov_b32 s35, s45
.LBB82_243:                             ;   in Loop: Header=BB82_12 Depth=1
	s_or_b64 exec, exec, s[24:25]
                                        ; implicit-def: $sgpr83
	s_and_saveexec_b64 s[0:1], s[30:31]
	s_xor_b64 s[24:25], exec, s[0:1]
	s_cbranch_execz .LBB82_10
.LBB82_244:                             ;   in Loop: Header=BB82_12 Depth=1
	s_and_b32 s0, s53, -9
	s_cmp_eq_u32 s0, 0
	s_cbranch_scc1 .LBB82_8
; %bb.245:                              ;   in Loop: Header=BB82_12 Depth=1
	s_mov_b64 s[16:17], -1
                                        ; implicit-def: $sgpr13
                                        ; implicit-def: $sgpr35
                                        ; implicit-def: $sgpr33
                                        ; implicit-def: $sgpr12
	s_mov_b64 s[26:27], -1
	s_branch .LBB82_9
.LBB82_246:
	s_or_b64 exec, exec, s[72:73]
	s_xor_b64 s[8:9], s[76:77], -1
	s_xor_b64 s[0:1], s[60:61], -1
	;; [unrolled: 1-line block ×3, first 2 shown]
	s_mov_b64 s[4:5], 0
	s_and_saveexec_b64 s[2:3], s[0:1]
	s_xor_b64 s[0:1], exec, s[2:3]
	s_cbranch_execnz .LBB82_251
; %bb.247:
	s_andn2_saveexec_b64 s[0:1], s[0:1]
	s_cbranch_execnz .LBB82_264
.LBB82_248:
	s_or_b64 exec, exec, s[0:1]
	s_and_saveexec_b64 s[0:1], s[4:5]
.LBB82_249:
	; divergent unreachable
.LBB82_250:
	s_endpgm
.LBB82_251:
	s_and_saveexec_b64 s[2:3], s[8:9]
	s_xor_b64 s[4:5], exec, s[2:3]
	s_cbranch_execz .LBB82_262
; %bb.252:
	s_and_saveexec_b64 s[2:3], s[6:7]
	s_xor_b64 s[6:7], exec, s[2:3]
; %bb.253:
	v_xor_b32_e32 v25, 0xffffff80, v2
; %bb.254:
	s_or_b64 exec, exec, s[6:7]
	v_readlane_b32 s8, v42, 1
	v_readlane_b32 s9, v42, 2
	;; [unrolled: 1-line block ×3, first 2 shown]
	s_mul_i32 s2, s10, s9
	v_readlane_b32 s9, v42, 20
	s_mul_i32 s3, s9, s8
	v_readlane_b32 s18, v42, 22
	s_sub_i32 s3, s10, s3
	s_sub_i32 s2, s18, s2
	s_add_i32 s6, s9, 1
	s_sub_i32 s7, s3, s8
	s_cmp_ge_u32 s3, s8
	s_cselect_b32 s6, s6, s9
	s_cselect_b32 s3, s7, s3
	s_add_i32 s7, s6, 1
	s_cmp_ge_u32 s3, s8
	s_cselect_b32 s3, s7, s6
	v_readlane_b32 s12, v42, 12
	s_mul_i32 s6, s3, s8
	v_readlane_b32 s13, v42, 13
	v_readlane_b32 s14, v42, 14
	s_sub_i32 s6, s10, s6
	s_mul_i32 s2, s2, s14
	s_mul_i32 s6, s6, s13
	s_add_i32 s2, s6, s2
	s_mul_i32 s3, s3, s12
	s_add_i32 s2, s2, s3
	v_mov_b32_e32 v1, s2
	v_readlane_b32 s2, v42, 18
	v_readlane_b32 s3, v42, 19
	;; [unrolled: 1-line block ×3, first 2 shown]
	s_nop 3
	global_store_byte v1, v25, s[2:3]
	s_mov_b64 s[6:7], exec
	v_readlane_b32 s2, v42, 23
	v_readlane_b32 s3, v42, 24
	s_and_b64 s[2:3], s[6:7], s[2:3]
	s_mov_b64 exec, s[2:3]
	s_cbranch_execz .LBB82_261
; %bb.255:
	s_mov_b64 s[2:3], 0
                                        ; implicit-def: $sgpr8_sgpr9
                                        ; implicit-def: $sgpr12_sgpr13
                                        ; implicit-def: $sgpr10_sgpr11
	s_branch .LBB82_257
.LBB82_256:                             ;   in Loop: Header=BB82_257 Depth=1
	s_or_b64 exec, exec, s[14:15]
	s_and_b64 s[14:15], exec, s[12:13]
	s_or_b64 s[2:3], s[14:15], s[2:3]
	s_andn2_b64 s[8:9], s[8:9], exec
	s_and_b64 s[14:15], s[10:11], exec
	s_or_b64 s[8:9], s[8:9], s[14:15]
	s_andn2_b64 exec, exec, s[2:3]
	s_cbranch_execz .LBB82_259
.LBB82_257:                             ; =>This Inner Loop Header: Depth=1
	global_load_ubyte v1, v9, s[74:75]
	v_mov_b32_e32 v2, v0
	s_or_b64 s[10:11], s[10:11], exec
	s_or_b64 s[12:13], s[12:13], exec
                                        ; implicit-def: $vgpr0
	s_waitcnt vmcnt(0)
	v_cmp_ne_u16_sdwa s[16:17], v1, v25 src0_sel:DWORD src1_sel:BYTE_0
	s_and_saveexec_b64 s[14:15], s[16:17]
	s_cbranch_execz .LBB82_256
; %bb.258:                              ;   in Loop: Header=BB82_257 Depth=1
	v_add_u32_e32 v0, s59, v2
	v_cmp_le_u32_e32 vcc, s56, v0
	s_andn2_b64 s[12:13], s[12:13], exec
	s_and_b64 s[16:17], vcc, exec
	v_add_u32_e32 v9, s57, v9
	s_andn2_b64 s[10:11], s[10:11], exec
	s_or_b64 s[12:13], s[12:13], s[16:17]
	s_branch .LBB82_256
.LBB82_259:
	s_or_b64 exec, exec, s[2:3]
	s_and_saveexec_b64 s[2:3], s[8:9]
	s_xor_b64 s[2:3], exec, s[2:3]
	s_cbranch_execz .LBB82_261
; %bb.260:
	v_readlane_b32 s10, v42, 4
	v_readlane_b32 s11, v42, 5
	;; [unrolled: 1-line block ×3, first 2 shown]
	s_mul_i32 s2, s12, s11
	v_readlane_b32 s11, v42, 21
	s_mul_i32 s3, s11, s10
	s_sub_i32 s3, s12, s3
	s_sub_i32 s2, s18, s2
	s_add_i32 s8, s11, 1
	s_sub_i32 s9, s3, s10
	s_cmp_ge_u32 s3, s10
	s_cselect_b32 s8, s8, s11
	s_cselect_b32 s3, s9, s3
	s_add_i32 s9, s8, 1
	s_cmp_ge_u32 s3, s10
	s_cselect_b32 s3, s9, s8
	v_readlane_b32 s16, v42, 8
	s_mul_i32 s8, s3, s10
	v_readlane_b32 s17, v42, 9
	v_readlane_b32 s18, v42, 10
	s_sub_i32 s8, s12, s8
	s_mul_i32 s2, s2, s18
	s_mul_i32 s8, s8, s17
	s_add_i32 s2, s8, s2
	s_mul_i32 s3, s3, s16
	s_add_i32 s2, s2, s3
	s_mov_b32 s3, 0
	s_lshl_b64 s[2:3], s[2:3], 3
	v_readlane_b32 s8, v42, 16
	v_readlane_b32 s9, v42, 17
	s_add_u32 s2, s8, s2
	s_addc_u32 s3, s9, s3
	v_mov_b32_e32 v3, 0
	v_readlane_b32 s19, v42, 11
	global_store_dwordx2 v3, v[2:3], s[2:3]
.LBB82_261:
	s_or_b64 exec, exec, s[6:7]
.LBB82_262:
	s_or_saveexec_b64 s[2:3], s[4:5]
	s_mov_b64 s[4:5], 0
	s_xor_b64 exec, exec, s[2:3]
	s_cbranch_execnz .LBB82_265
.LBB82_263:
	s_or_b64 exec, exec, s[2:3]
	s_and_b64 s[4:5], s[4:5], exec
	s_andn2_saveexec_b64 s[0:1], s[0:1]
	s_cbranch_execz .LBB82_248
.LBB82_264:
	s_or_b64 s[4:5], s[4:5], exec
	s_trap 2
	s_or_b64 exec, exec, s[0:1]
	s_and_saveexec_b64 s[0:1], s[4:5]
	s_cbranch_execnz .LBB82_249
	s_branch .LBB82_250
.LBB82_265:
	s_mov_b64 s[4:5], exec
	s_trap 2
	s_branch .LBB82_263
	.section	.rodata,"a",@progbits
	.p2align	6, 0x0
	.amdhsa_kernel _ZN2at6native12_GLOBAL__N_112gatherMedianIajLi3EEEvNS_4cuda6detail10TensorInfoIT_T0_EENS5_IlS7_EENS5_IKS6_S7_EES7_S7_S7_b
		.amdhsa_group_segment_fixed_size 4120
		.amdhsa_private_segment_fixed_size 0
		.amdhsa_kernarg_size 920
		.amdhsa_user_sgpr_count 6
		.amdhsa_user_sgpr_private_segment_buffer 1
		.amdhsa_user_sgpr_dispatch_ptr 0
		.amdhsa_user_sgpr_queue_ptr 0
		.amdhsa_user_sgpr_kernarg_segment_ptr 1
		.amdhsa_user_sgpr_dispatch_id 0
		.amdhsa_user_sgpr_flat_scratch_init 0
		.amdhsa_user_sgpr_kernarg_preload_length 0
		.amdhsa_user_sgpr_kernarg_preload_offset 0
		.amdhsa_user_sgpr_private_segment_size 0
		.amdhsa_uses_dynamic_stack 0
		.amdhsa_system_sgpr_private_segment_wavefront_offset 0
		.amdhsa_system_sgpr_workgroup_id_x 1
		.amdhsa_system_sgpr_workgroup_id_y 1
		.amdhsa_system_sgpr_workgroup_id_z 1
		.amdhsa_system_sgpr_workgroup_info 0
		.amdhsa_system_vgpr_workitem_id 0
		.amdhsa_next_free_vgpr 43
		.amdhsa_next_free_sgpr 96
		.amdhsa_accum_offset 44
		.amdhsa_reserve_vcc 1
		.amdhsa_reserve_flat_scratch 0
		.amdhsa_float_round_mode_32 0
		.amdhsa_float_round_mode_16_64 0
		.amdhsa_float_denorm_mode_32 3
		.amdhsa_float_denorm_mode_16_64 3
		.amdhsa_dx10_clamp 1
		.amdhsa_ieee_mode 1
		.amdhsa_fp16_overflow 0
		.amdhsa_tg_split 0
		.amdhsa_exception_fp_ieee_invalid_op 0
		.amdhsa_exception_fp_denorm_src 0
		.amdhsa_exception_fp_ieee_div_zero 0
		.amdhsa_exception_fp_ieee_overflow 0
		.amdhsa_exception_fp_ieee_underflow 0
		.amdhsa_exception_fp_ieee_inexact 0
		.amdhsa_exception_int_div_zero 0
	.end_amdhsa_kernel
	.section	.text._ZN2at6native12_GLOBAL__N_112gatherMedianIajLi3EEEvNS_4cuda6detail10TensorInfoIT_T0_EENS5_IlS7_EENS5_IKS6_S7_EES7_S7_S7_b,"axG",@progbits,_ZN2at6native12_GLOBAL__N_112gatherMedianIajLi3EEEvNS_4cuda6detail10TensorInfoIT_T0_EENS5_IlS7_EENS5_IKS6_S7_EES7_S7_S7_b,comdat
.Lfunc_end82:
	.size	_ZN2at6native12_GLOBAL__N_112gatherMedianIajLi3EEEvNS_4cuda6detail10TensorInfoIT_T0_EENS5_IlS7_EENS5_IKS6_S7_EES7_S7_S7_b, .Lfunc_end82-_ZN2at6native12_GLOBAL__N_112gatherMedianIajLi3EEEvNS_4cuda6detail10TensorInfoIT_T0_EENS5_IlS7_EENS5_IKS6_S7_EES7_S7_S7_b
                                        ; -- End function
	.section	.AMDGPU.csdata,"",@progbits
; Kernel info:
; codeLenInByte = 10052
; NumSgprs: 100
; NumVgprs: 43
; NumAgprs: 0
; TotalNumVgprs: 43
; ScratchSize: 0
; MemoryBound: 0
; FloatMode: 240
; IeeeMode: 1
; LDSByteSize: 4120 bytes/workgroup (compile time only)
; SGPRBlocks: 12
; VGPRBlocks: 5
; NumSGPRsForWavesPerEU: 100
; NumVGPRsForWavesPerEU: 43
; AccumOffset: 44
; Occupancy: 8
; WaveLimiterHint : 1
; COMPUTE_PGM_RSRC2:SCRATCH_EN: 0
; COMPUTE_PGM_RSRC2:USER_SGPR: 6
; COMPUTE_PGM_RSRC2:TRAP_HANDLER: 0
; COMPUTE_PGM_RSRC2:TGID_X_EN: 1
; COMPUTE_PGM_RSRC2:TGID_Y_EN: 1
; COMPUTE_PGM_RSRC2:TGID_Z_EN: 1
; COMPUTE_PGM_RSRC2:TIDIG_COMP_CNT: 0
; COMPUTE_PGM_RSRC3_GFX90A:ACCUM_OFFSET: 10
; COMPUTE_PGM_RSRC3_GFX90A:TG_SPLIT: 0
	.section	.text._ZN2at6native12_GLOBAL__N_112gatherMedianIajLin1EEEvNS_4cuda6detail10TensorInfoIT_T0_EENS5_IlS7_EENS5_IKS6_S7_EES7_S7_S7_b,"axG",@progbits,_ZN2at6native12_GLOBAL__N_112gatherMedianIajLin1EEEvNS_4cuda6detail10TensorInfoIT_T0_EENS5_IlS7_EENS5_IKS6_S7_EES7_S7_S7_b,comdat
	.globl	_ZN2at6native12_GLOBAL__N_112gatherMedianIajLin1EEEvNS_4cuda6detail10TensorInfoIT_T0_EENS5_IlS7_EENS5_IKS6_S7_EES7_S7_S7_b ; -- Begin function _ZN2at6native12_GLOBAL__N_112gatherMedianIajLin1EEEvNS_4cuda6detail10TensorInfoIT_T0_EENS5_IlS7_EENS5_IKS6_S7_EES7_S7_S7_b
	.p2align	8
	.type	_ZN2at6native12_GLOBAL__N_112gatherMedianIajLin1EEEvNS_4cuda6detail10TensorInfoIT_T0_EENS5_IlS7_EENS5_IKS6_S7_EES7_S7_S7_b,@function
_ZN2at6native12_GLOBAL__N_112gatherMedianIajLin1EEEvNS_4cuda6detail10TensorInfoIT_T0_EENS5_IlS7_EENS5_IKS6_S7_EES7_S7_S7_b: ; @_ZN2at6native12_GLOBAL__N_112gatherMedianIajLin1EEEvNS_4cuda6detail10TensorInfoIT_T0_EENS5_IlS7_EENS5_IKS6_S7_EES7_S7_S7_b
; %bb.0:
	s_load_dwordx2 s[12:13], s[4:5], 0x298
	s_load_dwordx4 s[56:59], s[4:5], 0x288
	s_add_u32 s10, s4, 0x298
	s_addc_u32 s11, s5, 0
	s_waitcnt lgkmcnt(0)
	s_mul_i32 s0, s13, s8
	s_add_i32 s0, s0, s7
	s_mul_i32 s0, s0, s12
	s_add_i32 s7, s0, s6
	s_cmp_ge_u32 s7, s57
	s_cbranch_scc1 .LBB83_259
; %bb.1:
	s_load_dword s0, s[4:5], 0xd0
	s_mov_b32 s61, 0
	s_mov_b32 s33, s7
	s_waitcnt lgkmcnt(0)
	s_cmp_lt_i32 s0, 2
	s_cbranch_scc1 .LBB83_4
; %bb.2:
	s_add_i32 s60, s0, -1
	s_add_i32 s2, s0, 1
	s_lshl_b64 s[0:1], s[60:61], 2
	s_add_u32 s0, s0, s4
	s_addc_u32 s1, s1, s5
	s_add_u32 s0, s0, 8
	s_addc_u32 s1, s1, 0
	s_mov_b32 s33, s7
.LBB83_3:                               ; =>This Inner Loop Header: Depth=1
	s_load_dword s3, s[0:1], 0x0
	s_load_dword s9, s[0:1], 0x64
	s_mov_b32 s8, s33
	s_waitcnt lgkmcnt(0)
	v_cvt_f32_u32_e32 v1, s3
	s_sub_i32 s13, 0, s3
	v_rcp_iflag_f32_e32 v1, v1
	v_mul_f32_e32 v1, 0x4f7ffffe, v1
	v_cvt_u32_f32_e32 v1, v1
	v_readfirstlane_b32 s14, v1
	s_mul_i32 s13, s13, s14
	s_mul_hi_u32 s13, s14, s13
	s_add_i32 s14, s14, s13
	s_mul_hi_u32 s13, s33, s14
	s_mul_i32 s14, s13, s3
	s_sub_i32 s14, s33, s14
	s_add_i32 s15, s13, 1
	s_sub_i32 s16, s14, s3
	s_cmp_ge_u32 s14, s3
	s_cselect_b32 s13, s15, s13
	s_cselect_b32 s14, s16, s14
	s_add_i32 s15, s13, 1
	s_cmp_ge_u32 s14, s3
	s_cselect_b32 s33, s15, s13
	s_mul_i32 s3, s33, s3
	s_sub_i32 s3, s8, s3
	s_mul_i32 s3, s9, s3
	s_add_i32 s2, s2, -1
	s_add_i32 s61, s3, s61
	s_add_u32 s0, s0, -4
	s_addc_u32 s1, s1, -1
	s_cmp_gt_u32 s2, 2
	s_cbranch_scc1 .LBB83_3
.LBB83_4:
	s_load_dword s2, s[4:5], 0x1a8
	s_add_u32 s0, s4, 0xd8
	s_addc_u32 s1, s5, 0
	s_mov_b32 s63, 0
	s_mov_b32 s57, s7
	s_waitcnt lgkmcnt(0)
	s_cmp_lt_i32 s2, 2
	s_cbranch_scc1 .LBB83_7
; %bb.5:
	s_add_i32 s62, s2, -1
	s_add_i32 s8, s2, 1
	s_lshl_b64 s[2:3], s[62:63], 2
	s_add_u32 s2, s2, s0
	s_addc_u32 s3, s3, s1
	s_add_u32 s2, s2, 8
	s_addc_u32 s3, s3, 0
	s_mov_b32 s57, s7
.LBB83_6:                               ; =>This Inner Loop Header: Depth=1
	s_load_dword s9, s[2:3], 0x0
	s_load_dword s14, s[2:3], 0x64
	s_mov_b32 s13, s57
	s_waitcnt lgkmcnt(0)
	v_cvt_f32_u32_e32 v1, s9
	s_sub_i32 s15, 0, s9
	v_rcp_iflag_f32_e32 v1, v1
	v_mul_f32_e32 v1, 0x4f7ffffe, v1
	v_cvt_u32_f32_e32 v1, v1
	v_readfirstlane_b32 s16, v1
	s_mul_i32 s15, s15, s16
	s_mul_hi_u32 s15, s16, s15
	s_add_i32 s16, s16, s15
	s_mul_hi_u32 s15, s57, s16
	s_mul_i32 s16, s15, s9
	s_sub_i32 s16, s57, s16
	s_add_i32 s17, s15, 1
	s_sub_i32 s18, s16, s9
	s_cmp_ge_u32 s16, s9
	s_cselect_b32 s15, s17, s15
	s_cselect_b32 s16, s18, s16
	s_add_i32 s17, s15, 1
	s_cmp_ge_u32 s16, s9
	s_cselect_b32 s57, s17, s15
	s_mul_i32 s9, s57, s9
	s_sub_i32 s9, s13, s9
	s_mul_i32 s9, s14, s9
	s_add_i32 s8, s8, -1
	s_add_i32 s63, s9, s63
	s_add_u32 s2, s2, -4
	s_addc_u32 s3, s3, -1
	s_cmp_gt_u32 s8, 2
	s_cbranch_scc1 .LBB83_6
.LBB83_7:
	s_load_dword s2, s[4:5], 0x6c
                                        ; implicit-def: $vgpr42 : SGPR spill to VGPR lane
	s_add_u32 s8, s4, 0x1b0
	s_addc_u32 s9, s5, 0
	s_mov_b32 s3, 0
	s_waitcnt lgkmcnt(0)
	v_writelane_b32 v42, s2, 0
	s_load_dword s2, s[4:5], 0x280
	s_waitcnt lgkmcnt(0)
	s_cmp_lt_i32 s2, 2
	s_cbranch_scc1 .LBB83_10
; %bb.8:
	s_add_i32 s13, s2, 1
	s_add_i32 s2, s2, -1
	s_lshl_b64 s[14:15], s[2:3], 2
	s_add_u32 s2, s14, s8
	s_addc_u32 s9, s15, s9
	s_add_u32 s8, s2, 8
	s_addc_u32 s9, s9, 0
.LBB83_9:                               ; =>This Inner Loop Header: Depth=1
	s_load_dword s2, s[8:9], 0x0
	s_load_dword s15, s[8:9], 0x64
	s_mov_b32 s14, s7
	s_waitcnt lgkmcnt(0)
	v_cvt_f32_u32_e32 v1, s2
	s_sub_i32 s7, 0, s2
	v_rcp_iflag_f32_e32 v1, v1
	v_mul_f32_e32 v1, 0x4f7ffffe, v1
	v_cvt_u32_f32_e32 v1, v1
	v_readfirstlane_b32 s16, v1
	s_mul_i32 s7, s7, s16
	s_mul_hi_u32 s7, s16, s7
	s_add_i32 s16, s16, s7
	s_mul_hi_u32 s7, s14, s16
	s_mul_i32 s16, s7, s2
	s_sub_i32 s16, s14, s16
	s_add_i32 s17, s7, 1
	s_sub_i32 s18, s16, s2
	s_cmp_ge_u32 s16, s2
	s_cselect_b32 s7, s17, s7
	s_cselect_b32 s16, s18, s16
	s_add_i32 s17, s7, 1
	s_cmp_ge_u32 s16, s2
	s_cselect_b32 s7, s17, s7
	s_mul_i32 s2, s7, s2
	s_sub_i32 s2, s14, s2
	s_mul_i32 s2, s15, s2
	s_add_i32 s13, s13, -1
	s_add_i32 s3, s2, s3
	s_add_u32 s8, s8, -4
	s_addc_u32 s9, s9, -1
	s_cmp_gt_u32 s13, 2
	s_cbranch_scc1 .LBB83_9
.LBB83_10:
	s_load_dword s0, s[0:1], 0x6c
	s_waitcnt lgkmcnt(0)
	v_writelane_b32 v42, s0, 1
	v_cmp_eq_u32_e64 s[0:1], 0, v0
	s_mov_b64 s[8:9], exec
	v_writelane_b32 v42, s0, 2
	v_writelane_b32 v42, s1, 3
	s_and_b64 s[0:1], s[8:9], s[0:1]
	s_mov_b64 exec, s[0:1]
	s_cbranch_execz .LBB83_12
; %bb.11:
	v_mov_b32_e32 v2, 0
	v_mov_b32_e32 v3, v2
	ds_write_b64 v2, v[2:3] offset:4096
.LBB83_12:
	s_or_b64 exec, exec, s[8:9]
	v_mov_b32_e32 v1, 0
	s_waitcnt lgkmcnt(0)
	s_barrier
	s_barrier
	ds_read_b64 v[2:3], v1 offset:4096
	s_load_dwordx2 s[8:9], s[4:5], 0x1b0
	s_bitcmp1_b32 s59, 0
	s_cselect_b64 s[0:1], -1, 0
	s_waitcnt lgkmcnt(0)
	v_cmp_gt_i64_e32 vcc, 1, v[2:3]
	s_or_b64 s[0:1], s[0:1], vcc
	s_andn2_b64 vcc, exec, s[0:1]
	s_mov_b32 s1, s56
	s_cbranch_vccnz .LBB83_14
; %bb.13:
	v_not_b32_e32 v1, v2
	v_not_b32_e32 v2, v3
	v_add_co_u32_e32 v1, vcc, s56, v1
	v_addc_co_u32_e32 v2, vcc, 0, v2, vcc
	v_lshrrev_b32_e32 v3, 31, v2
	v_add_co_u32_e32 v1, vcc, v1, v3
	v_addc_co_u32_e32 v2, vcc, 0, v2, vcc
	v_alignbit_b32 v1, v2, v1, 1
	v_readfirstlane_b32 s0, v1
	s_add_i32 s1, s0, 1
.LBB83_14:
	s_load_dwordx2 s[14:15], s[4:5], 0x0
	s_load_dword s0, s[4:5], 0x21c
                                        ; kill: killed $sgpr4 killed $sgpr5
	s_waitcnt lgkmcnt(0)
	v_writelane_b32 v42, s14, 4
	v_writelane_b32 v42, s15, 5
	s_load_dwordx2 s[14:15], s[4:5], 0xd8
	s_waitcnt lgkmcnt(0)
	v_writelane_b32 v42, s14, 6
	v_writelane_b32 v42, s15, 7
	s_mov_b64 s[4:5], exec
	v_readlane_b32 s14, v42, 2
	v_readlane_b32 s15, v42, 3
	s_and_b64 s[14:15], s[4:5], s[14:15]
	s_mov_b64 exec, s[14:15]
	s_cbranch_execz .LBB83_16
; %bb.15:
	v_mov_b32_e32 v2, 0
	v_mov_b32_e32 v3, s56
	ds_write_b32 v2, v2 offset:4112
	ds_write_b64 v2, v[2:3] offset:4104
.LBB83_16:
	s_or_b64 exec, exec, s[4:5]
	s_waitcnt lgkmcnt(0)
	s_barrier
	s_load_dword s2, s[10:11], 0xc
	s_mul_i32 s0, s0, s7
	s_add_i32 s0, s0, s3
	s_add_u32 s66, s8, s0
	v_cmp_gt_u32_e64 s[4:5], s56, v0
	v_mbcnt_lo_u32_b32 v1, -1, 0
	s_addc_u32 s67, s9, 0
	v_writelane_b32 v42, s4, 8
	s_waitcnt lgkmcnt(0)
	s_and_b32 s59, s2, 0xffff
	v_mbcnt_hi_u32_b32 v12, -1, v1
	v_writelane_b32 v42, s5, 9
	v_cmp_gt_u32_e32 vcc, 64, v0
	v_cmp_gt_i32_e64 s[4:5], 4, v12
	s_add_i32 s0, s59, -1
	s_lshl_b32 s62, s59, 2
	s_bfe_u32 s8, s2, 0xa0006
	s_and_b64 s[72:73], vcc, s[4:5]
	v_writelane_b32 v42, s0, 10
	s_add_i32 s0, s0, s56
	s_cmpk_gt_u32 s56, 0xc00
	s_cselect_b64 s[2:3], -1, 0
	v_writelane_b32 v42, s2, 11
	s_cmp_gt_u32 s59, 63
	v_writelane_b32 v42, s3, 12
	s_cselect_b64 s[2:3], -1, 0
	v_writelane_b32 v42, s2, 13
	s_cmp_lt_u32 s6, s12
	v_writelane_b32 v42, s3, 14
	s_cselect_b32 s2, 12, 18
	s_add_u32 s2, s10, s2
	s_addc_u32 s3, s11, 0
	v_writelane_b32 v42, s2, 15
	v_writelane_b32 v42, s3, 16
	s_add_i32 s2, s8, -2
	s_lshr_b32 s3, s2, 1
	s_add_i32 s3, s3, 1
	v_lshlrev_b64 v[2:3], v12, -1
	s_cmpk_gt_u32 s59, 0x7f
	v_not_b32_e32 v8, v2
	v_cvt_f32_u32_e32 v2, s62
	s_cselect_b64 s[4:5], -1, 0
	s_and_b32 s9, s8, 0x3fe
	s_and_b32 s10, s3, 7
	v_writelane_b32 v42, s4, 17
	s_cmp_gt_u32 s2, 13
	v_writelane_b32 v42, s5, 18
	s_cselect_b64 s[12:13], -1, 0
	v_writelane_b32 v42, s12, 19
	v_rcp_iflag_f32_e32 v2, v2
	v_writelane_b32 v42, s13, 20
	s_and_b32 s2, s3, -8
	v_writelane_b32 v42, s2, 21
	s_cmp_lg_u32 s10, 0
	v_writelane_b32 v42, s10, 22
	s_cselect_b64 s[2:3], -1, 0
	v_writelane_b32 v42, s2, 23
	v_mul_f32_e32 v2, 0x4f7ffffe, v2
	v_writelane_b32 v42, s3, 24
	v_cvt_u32_f32_e32 v2, v2
	v_writelane_b32 v42, s8, 25
	s_cmp_lg_u32 s9, s8
	v_writelane_b32 v42, s9, 26
	s_cselect_b64 s[2:3], -1, 0
	v_writelane_b32 v42, s2, 27
	v_writelane_b32 v42, s3, 28
	s_sub_i32 s2, 0, s62
	v_readfirstlane_b32 s3, v2
	s_mul_i32 s2, s2, s3
	s_mul_hi_u32 s2, s3, s2
	s_add_i32 s79, s3, s2
	v_cvt_f32_u32_e32 v2, s59
	s_mul_hi_u32 s2, s56, s79
	s_mul_i32 s2, s2, s62
	s_sub_i32 s2, s56, s2
	s_sub_i32 s3, s2, s62
	v_rcp_iflag_f32_e32 v2, v2
	s_cmp_ge_u32 s2, s62
	s_cselect_b32 s2, s3, s2
	s_sub_i32 s3, s2, s62
	s_cmp_ge_u32 s2, s62
	v_mul_f32_e32 v2, 0x4f7ffffe, v2
	s_cselect_b32 s2, s3, s2
	v_cvt_u32_f32_e32 v2, v2
	v_lshlrev_b32_e32 v13, 2, v0
	s_sub_i32 s80, s56, s2
	v_cmp_gt_u32_e64 s[8:9], s80, v13
	v_writelane_b32 v42, s8, 29
	v_writelane_b32 v42, s9, 30
	s_sub_i32 s3, 0, s59
	v_readfirstlane_b32 s8, v2
	s_mul_i32 s3, s3, s8
	s_mul_hi_u32 s3, s8, s3
	s_add_i32 s3, s8, s3
	v_writelane_b32 v42, s3, 31
	s_mul_hi_u32 s3, s0, s3
	s_mul_i32 s3, s3, s59
	s_sub_i32 s3, s0, s3
	s_sub_i32 s8, s3, s59
	s_cmp_ge_u32 s3, s59
	s_cselect_b32 s3, s8, s3
	s_sub_i32 s8, s3, s59
	v_mul_lo_u32 v9, v0, s58
	s_cmp_ge_u32 s3, s59
	v_mul_lo_u32 v2, s58, v13
	v_mov_b32_e32 v1, s67
	v_add_co_u32_e32 v6, vcc, s66, v9
	s_cselect_b32 s3, s8, s3
	v_add_u32_e32 v17, s58, v2
	v_or_b32_e32 v2, 2, v13
	v_addc_co_u32_e32 v7, vcc, 0, v1, vcc
	v_lshrrev_b32_e32 v1, 4, v0
	v_add_u32_e32 v16, s80, v0
	s_sub_i32 s12, s0, s3
	v_mul_lo_u32 v18, s58, v2
	v_or_b32_e32 v2, 3, v13
	s_add_i32 s0, s59, s56
	v_and_b32_e32 v14, 60, v1
	v_not_b32_e32 v1, v3
	v_mul_lo_u32 v3, v16, s58
	v_mul_lo_u32 v19, s58, v2
	v_add_u32_e32 v2, s0, v0
	v_lshlrev_b32_e32 v4, 2, v12
	v_mov_b32_e32 v5, s67
	v_add_co_u32_e32 v10, vcc, s66, v3
	v_cmp_gt_u32_e64 s[8:9], s12, v0
	s_mul_i32 s78, s58, s59
	v_subrev_u32_e32 v2, s2, v2
	s_mov_b32 s70, 0
	v_cmp_eq_u32_e64 s[4:5], 0, v12
	v_cmp_gt_u32_e64 s[6:7], 2, v0
	v_and_b32_e32 v15, 0x100, v4
	v_cmp_gt_u32_e64 s[10:11], s56, v16
	v_addc_co_u32_e32 v11, vcc, 0, v5, vcc
	v_writelane_b32 v42, s8, 32
	s_lshl_b32 s13, s78, 2
	v_lshlrev_b32_e32 v20, 2, v9
	v_mul_lo_u32 v21, s58, v2
	v_or_b32_e32 v22, 0xc00, v4
	s_mov_b32 s75, 6
	s_mov_b64 s[88:89], 0
	v_mov_b32_e32 v23, 0
	s_movk_i32 s74, 0x80
	v_mov_b32_e32 v24, 0xc00
	v_mov_b32_e32 v25, 0
	s_mov_b32 s2, 0
	s_mov_b32 s0, 0
	;; [unrolled: 1-line block ×3, first 2 shown]
	v_writelane_b32 v42, s9, 33
                                        ; implicit-def: $sgpr90_sgpr91
                                        ; implicit-def: $sgpr94_sgpr95
                                        ; implicit-def: $sgpr92_sgpr93
                                        ; implicit-def: $sgpr64_sgpr65
                                        ; implicit-def: $sgpr68_sgpr69
                                        ; implicit-def: $sgpr82_sgpr83
	s_branch .LBB83_21
.LBB83_17:                              ;   in Loop: Header=BB83_21 Depth=1
	s_xor_b32 s2, s2, 1
	s_add_i32 s1, s75, -2
	s_cmp_eq_u32 s75, 0
	s_mov_b64 s[16:17], 0
	s_cselect_b64 s[26:27], -1, 0
	s_mov_b32 s75, s1
.LBB83_18:                              ;   in Loop: Header=BB83_21 Depth=1
	s_andn2_b64 s[8:9], s[20:21], exec
	s_and_b64 s[16:17], s[16:17], exec
	s_or_b64 s[20:21], s[8:9], s[16:17]
	s_andn2_b64 s[22:23], s[22:23], exec
	s_andn2_b64 s[18:19], s[18:19], exec
	s_orn2_b64 s[16:17], s[26:27], exec
	s_mov_b32 s1, s35
.LBB83_19:                              ;   in Loop: Header=BB83_21 Depth=1
	s_or_b64 exec, exec, s[24:25]
	s_andn2_b64 s[8:9], s[82:83], exec
	s_and_b64 s[20:21], s[20:21], exec
	s_or_b64 s[82:83], s[8:9], s[20:21]
	s_andn2_b64 s[8:9], s[68:69], exec
	s_and_b64 s[20:21], s[22:23], exec
	s_or_b64 s[68:69], s[8:9], s[20:21]
	;; [unrolled: 3-line block ×3, first 2 shown]
	s_orn2_b64 s[16:17], s[16:17], exec
.LBB83_20:                              ;   in Loop: Header=BB83_21 Depth=1
	s_or_b64 exec, exec, s[14:15]
	s_and_b64 s[8:9], exec, s[16:17]
	s_or_b64 s[88:89], s[8:9], s[88:89]
	s_andn2_b64 s[8:9], s[92:93], exec
	s_and_b64 s[14:15], s[82:83], exec
	s_or_b64 s[92:93], s[8:9], s[14:15]
	s_andn2_b64 s[8:9], s[94:95], exec
	s_and_b64 s[14:15], s[68:69], exec
	;; [unrolled: 3-line block ×3, first 2 shown]
	v_mov_b32_e32 v2, s0
	s_or_b64 s[90:91], s[8:9], s[14:15]
	s_andn2_b64 exec, exec, s[88:89]
	s_cbranch_execz .LBB83_255
.LBB83_21:                              ; =>This Loop Header: Depth=1
                                        ;     Child Loop BB83_26 Depth 2
                                        ;     Child Loop BB83_44 Depth 2
	;; [unrolled: 1-line block ×17, first 2 shown]
	ds_read_b64 v[2:3], v23 offset:4104
	s_waitcnt lgkmcnt(0)
	v_readfirstlane_b32 s71, v2
	s_cmp_lg_u32 s71, 0
	s_cbranch_scc1 .LBB83_51
; %bb.22:                               ;   in Loop: Header=BB83_21 Depth=1
	v_readlane_b32 s8, v42, 11
	v_readlane_b32 s9, v42, 12
	s_and_b64 vcc, exec, s[8:9]
	s_cbranch_vccz .LBB83_34
; %bb.23:                               ;   in Loop: Header=BB83_21 Depth=1
	s_movk_i32 s8, 0xc01
	v_cmp_gt_u32_e32 vcc, s8, v3
	s_mov_b64 s[18:19], 0
	s_mov_b64 s[14:15], 0
	s_cbranch_vccz .LBB83_35
; %bb.24:                               ;   in Loop: Header=BB83_21 Depth=1
	v_readlane_b32 s8, v42, 15
	v_readlane_b32 s9, v42, 16
	s_nop 4
	global_load_ushort v2, v23, s[8:9]
	global_load_ubyte v4, v[6:7], off
	s_mov_b64 s[20:21], 0
	v_mov_b32_e32 v26, v0
	s_waitcnt vmcnt(1)
	v_add_u32_e32 v5, v0, v2
	v_mul_lo_u32 v3, s58, v2
	v_mul_lo_u32 v5, s58, v5
	s_branch .LBB83_26
.LBB83_25:                              ;   in Loop: Header=BB83_26 Depth=2
	s_or_b64 exec, exec, s[16:17]
	v_add_u32_e32 v5, v5, v3
	v_mov_b32_e32 v4, v27
	s_andn2_b64 exec, exec, s[20:21]
	s_cbranch_execz .LBB83_36
.LBB83_26:                              ;   Parent Loop BB83_21 Depth=1
                                        ; =>  This Inner Loop Header: Depth=2
	v_add_u32_e32 v26, v26, v2
	v_cmp_gt_u32_e64 s[14:15], s56, v26
	v_cmp_le_u32_e32 vcc, s56, v26
	s_waitcnt lgkmcnt(0)
	v_mov_b32_e32 v28, 0
	v_mov_b32_e32 v27, 0
	s_and_saveexec_b64 s[16:17], s[14:15]
	s_cbranch_execz .LBB83_28
; %bb.27:                               ;   in Loop: Header=BB83_26 Depth=2
	global_load_ubyte v27, v5, s[66:67]
.LBB83_28:                              ;   in Loop: Header=BB83_26 Depth=2
	s_or_b64 exec, exec, s[16:17]
	s_waitcnt vmcnt(0)
	v_add_u32_sdwa v29, sext(v4), s74 dst_sel:DWORD dst_unused:UNUSED_PAD src0_sel:BYTE_0 src1_sel:DWORD
	v_and_b32_e32 v29, s3, v29
	v_cmp_eq_u32_e64 s[14:15], s0, v29
	s_cmp_lg_u64 s[14:15], 0
	s_cselect_b64 s[8:9], -1, 0
	s_and_b64 s[8:9], s[4:5], s[8:9]
	s_and_saveexec_b64 s[22:23], s[8:9]
	s_cbranch_execz .LBB83_32
; %bb.29:                               ;   in Loop: Header=BB83_26 Depth=2
	s_mov_b64 s[26:27], exec
	v_mbcnt_lo_u32_b32 v28, s26, 0
	v_mbcnt_hi_u32_b32 v28, s27, v28
	s_bcnt1_i32_b64 s8, s[14:15]
	v_cmp_eq_u32_e64 s[16:17], 0, v28
                                        ; implicit-def: $vgpr29
	s_and_saveexec_b64 s[24:25], s[16:17]
	s_cbranch_execz .LBB83_31
; %bb.30:                               ;   in Loop: Header=BB83_26 Depth=2
	s_bcnt1_i32_b64 s9, s[26:27]
	s_mul_i32 s9, s8, s9
	v_mov_b32_e32 v29, s9
	ds_add_rtn_u32 v29, v23, v29 offset:4112
.LBB83_31:                              ;   in Loop: Header=BB83_26 Depth=2
	s_or_b64 exec, exec, s[24:25]
	s_waitcnt lgkmcnt(0)
	v_readfirstlane_b32 s9, v29
	v_mov_b32_e32 v29, s9
	v_mad_u32_u24 v28, s8, v28, v29
.LBB83_32:                              ;   in Loop: Header=BB83_26 Depth=2
	s_or_b64 exec, exec, s[22:23]
	ds_bpermute_b32 v28, v15, v28
	s_and_b64 s[8:9], exec, vcc
	s_or_b64 s[20:21], s[8:9], s[20:21]
	s_and_saveexec_b64 s[16:17], s[14:15]
	s_cbranch_execz .LBB83_25
; %bb.33:                               ;   in Loop: Header=BB83_26 Depth=2
	v_and_b32_e32 v30, s14, v8
	v_and_b32_e32 v29, s15, v1
	v_bcnt_u32_b32 v30, v30, 0
	v_bcnt_u32_b32 v29, v29, v30
	s_waitcnt lgkmcnt(0)
	v_add_u32_e32 v28, v28, v29
	ds_write_b8 v28, v4
	s_branch .LBB83_25
.LBB83_34:                              ;   in Loop: Header=BB83_21 Depth=1
	s_mov_b64 s[14:15], 0
                                        ; implicit-def: $sgpr71
	s_cbranch_execnz .LBB83_39
	s_branch .LBB83_49
.LBB83_35:                              ;   in Loop: Header=BB83_21 Depth=1
	s_mov_b32 s71, 0
	s_and_b64 vcc, exec, s[18:19]
	s_cbranch_vccnz .LBB83_39
	s_branch .LBB83_49
.LBB83_36:                              ;   in Loop: Header=BB83_21 Depth=1
	s_or_b64 exec, exec, s[20:21]
	s_waitcnt lgkmcnt(0)
	s_barrier
	s_mov_b64 s[14:15], exec
	v_readlane_b32 s8, v42, 2
	v_readlane_b32 s9, v42, 3
	s_and_b64 s[8:9], s[14:15], s[8:9]
	s_mov_b64 exec, s[8:9]
	s_cbranch_execz .LBB83_38
; %bb.37:                               ;   in Loop: Header=BB83_21 Depth=1
	ds_read_b32 v2, v23 offset:4112
	s_waitcnt lgkmcnt(0)
	ds_write_b32 v23, v2 offset:4104
.LBB83_38:                              ;   in Loop: Header=BB83_21 Depth=1
	s_or_b64 exec, exec, s[14:15]
	s_waitcnt lgkmcnt(0)
	s_barrier
	s_mov_b64 s[14:15], -1
	s_mov_b32 s71, 0
	s_and_b64 vcc, exec, s[18:19]
	s_cbranch_vccz .LBB83_49
.LBB83_39:                              ;   in Loop: Header=BB83_21 Depth=1
	v_mov_b32_e32 v2, 0
	s_mov_b64 s[14:15], exec
	v_readlane_b32 s8, v42, 8
	v_readlane_b32 s9, v42, 9
	s_and_b64 s[8:9], s[14:15], s[8:9]
	s_mov_b64 exec, s[8:9]
	s_cbranch_execz .LBB83_41
; %bb.40:                               ;   in Loop: Header=BB83_21 Depth=1
	global_load_ubyte v2, v[6:7], off
.LBB83_41:                              ;   in Loop: Header=BB83_21 Depth=1
	s_or_b64 exec, exec, s[14:15]
	s_mov_b64 s[16:17], exec
	v_readlane_b32 s8, v42, 8
	v_readlane_b32 s9, v42, 9
	s_and_b64 s[8:9], s[16:17], s[8:9]
	s_mov_b64 exec, s[8:9]
	s_cbranch_execz .LBB83_46
; %bb.42:                               ;   in Loop: Header=BB83_21 Depth=1
	v_readlane_b32 s8, v42, 15
	v_readlane_b32 s9, v42, 16
	s_mov_b64 s[18:19], 0
	v_mov_b32_e32 v26, v0
	s_nop 2
	global_load_ushort v3, v23, s[8:9]
	s_waitcnt vmcnt(0)
	v_add_u32_e32 v5, v0, v3
	v_mul_lo_u32 v4, s58, v3
	v_mul_lo_u32 v5, s58, v5
	s_branch .LBB83_44
.LBB83_43:                              ;   in Loop: Header=BB83_44 Depth=2
	s_or_b64 exec, exec, s[20:21]
	s_and_b64 s[8:9], exec, vcc
	s_or_b64 s[18:19], s[8:9], s[18:19]
	ds_write_b8 v26, v2
	v_add_u32_e32 v5, v5, v4
	s_waitcnt vmcnt(0)
	v_mov_b32_e32 v2, v28
	v_mov_b32_e32 v26, v27
	s_andn2_b64 exec, exec, s[18:19]
	s_cbranch_execz .LBB83_46
.LBB83_44:                              ;   Parent Loop BB83_21 Depth=1
                                        ; =>  This Inner Loop Header: Depth=2
	v_add_u32_e32 v27, v26, v3
	v_cmp_gt_u32_e64 s[14:15], s56, v27
	v_cmp_le_u32_e32 vcc, s56, v27
	v_mov_b32_e32 v28, 0
	s_and_saveexec_b64 s[20:21], s[14:15]
	s_cbranch_execz .LBB83_43
; %bb.45:                               ;   in Loop: Header=BB83_44 Depth=2
	global_load_ubyte v28, v5, s[66:67]
	s_branch .LBB83_43
.LBB83_46:                              ;   in Loop: Header=BB83_21 Depth=1
	s_or_b64 exec, exec, s[16:17]
	s_waitcnt lgkmcnt(0)
	s_barrier
	s_mov_b64 s[14:15], exec
	v_readlane_b32 s8, v42, 2
	v_readlane_b32 s9, v42, 3
	s_and_b64 s[8:9], s[14:15], s[8:9]
	s_mov_b64 exec, s[8:9]
	s_cbranch_execz .LBB83_48
; %bb.47:                               ;   in Loop: Header=BB83_21 Depth=1
	s_waitcnt vmcnt(0)
	v_mov_b32_e32 v2, s56
	ds_write_b32 v23, v2 offset:4104
.LBB83_48:                              ;   in Loop: Header=BB83_21 Depth=1
	s_or_b64 exec, exec, s[14:15]
	s_mov_b64 s[14:15], -1
	s_waitcnt lgkmcnt(0)
	s_barrier
                                        ; implicit-def: $sgpr71
.LBB83_49:                              ;   in Loop: Header=BB83_21 Depth=1
	s_and_b64 vcc, exec, s[14:15]
	s_cbranch_vccz .LBB83_51
; %bb.50:                               ;   in Loop: Header=BB83_21 Depth=1
	s_waitcnt vmcnt(0)
	ds_read_b32 v2, v23 offset:4104
	s_waitcnt lgkmcnt(0)
	v_readfirstlane_b32 s71, v2
.LBB83_51:                              ;   in Loop: Header=BB83_21 Depth=1
	s_cmp_lt_i32 s71, 1
	s_cbranch_scc0 .LBB83_55
; %bb.52:                               ;   in Loop: Header=BB83_21 Depth=1
	s_waitcnt vmcnt(0)
	v_mov_b32_e32 v2, 0
	s_mov_b32 s60, 0
	v_mov_b32_e32 v3, 0
	v_mov_b32_e32 v4, v2
	;; [unrolled: 1-line block ×3, first 2 shown]
	s_mov_b64 s[84:85], exec
	v_readlane_b32 s8, v42, 29
	v_readlane_b32 s9, v42, 30
	s_and_b64 s[8:9], s[84:85], s[8:9]
	s_mov_b64 exec, s[8:9]
	s_cbranch_execnz .LBB83_56
; %bb.53:                               ;   in Loop: Header=BB83_21 Depth=1
	s_or_b64 exec, exec, s[84:85]
	v_mov_b32_e32 v28, 0
	s_and_saveexec_b64 s[14:15], s[10:11]
	s_cbranch_execnz .LBB83_59
.LBB83_54:                              ;   in Loop: Header=BB83_21 Depth=1
	s_or_b64 exec, exec, s[14:15]
	s_and_saveexec_b64 s[16:17], s[10:11]
	s_cbranch_execnz .LBB83_60
	s_branch .LBB83_65
.LBB83_55:                              ;   in Loop: Header=BB83_21 Depth=1
                                        ; implicit-def: $vgpr5
	s_cbranch_execnz .LBB83_66
	s_branch .LBB83_75
.LBB83_56:                              ;   in Loop: Header=BB83_21 Depth=1
	s_and_b32 s81, s75, 0xfe
	s_mov_b64 s[86:87], 0
	s_mov_b32 s76, 0
	s_mov_b32 s77, 0
	;; [unrolled: 1-line block ×4, first 2 shown]
	v_mov_b32_e32 v26, v13
.LBB83_57:                              ;   Parent Loop BB83_21 Depth=1
                                        ; =>  This Inner Loop Header: Depth=2
	v_add_u32_e32 v2, s60, v20
	v_add_u32_e32 v3, s60, v17
	v_add_u32_e32 v4, s60, v18
	v_add_u32_e32 v5, s60, v19
	global_load_sbyte v2, v2, s[66:67]
	s_nop 0
	global_load_sbyte v3, v3, s[66:67]
	s_nop 0
	;; [unrolled: 2-line block ×3, first 2 shown]
	global_load_sbyte v5, v5, s[66:67]
	v_add_u32_e32 v26, s62, v26
	s_add_i32 s60, s60, s13
	v_cmp_le_u32_e32 vcc, s80, v26
	s_waitcnt vmcnt(3)
	v_add_u32_e32 v2, 0x80, v2
	s_waitcnt vmcnt(2)
	v_add_u32_e32 v3, 0x80, v3
	v_and_b32_e32 v27, s3, v2
	v_bfe_u32 v2, v2, s81, 2
	s_waitcnt vmcnt(1)
	v_add_u32_e32 v4, 0x80, v4
	v_and_b32_e32 v28, s3, v3
	v_bfe_u32 v3, v3, s81, 2
	v_cmp_eq_u32_e64 s[14:15], s0, v27
	v_cmp_eq_u32_e64 s[22:23], 0, v2
	s_waitcnt vmcnt(0)
	v_add_u32_e32 v5, 0x80, v5
	v_and_b32_e32 v29, s3, v4
	v_bfe_u32 v4, v4, s81, 2
	v_cmp_eq_u32_e64 s[16:17], s0, v28
	v_cmp_eq_u32_e64 s[24:25], 0, v3
	s_and_b64 s[22:23], s[14:15], s[22:23]
	v_and_b32_e32 v30, s3, v5
	v_bfe_u32 v5, v5, s81, 2
	v_cmp_eq_u32_e64 s[18:19], s0, v29
	v_cmp_eq_u32_e64 s[26:27], 0, v4
	;; [unrolled: 1-line block ×5, first 2 shown]
	v_cndmask_b32_e64 v2, 0, 1, s[22:23]
	s_and_b64 s[22:23], s[16:17], s[24:25]
	v_cmp_eq_u32_e64 s[20:21], s0, v30
	v_cmp_eq_u32_e64 s[28:29], 0, v5
	;; [unrolled: 1-line block ×5, first 2 shown]
	v_cndmask_b32_e64 v3, 0, 1, s[22:23]
	s_and_b64 s[22:23], s[18:19], s[26:27]
	v_cmp_eq_u32_e64 s[36:37], 1, v4
	v_cmp_eq_u32_e64 s[44:45], 2, v4
	;; [unrolled: 1-line block ×3, first 2 shown]
	v_cndmask_b32_e64 v4, 0, 1, s[22:23]
	s_and_b64 s[22:23], s[20:21], s[28:29]
	v_cmp_eq_u32_e64 s[38:39], 1, v5
	v_cmp_eq_u32_e64 s[46:47], 2, v5
	v_cmp_eq_u32_e64 s[54:55], 3, v5
	v_cndmask_b32_e64 v5, 0, 1, s[22:23]
	s_and_b64 s[22:23], s[14:15], s[30:31]
	v_cndmask_b32_e64 v27, 0, 1, s[22:23]
	s_and_b64 s[22:23], s[16:17], s[34:35]
	;; [unrolled: 2-line block ×5, first 2 shown]
	s_and_b64 s[14:15], s[14:15], s[48:49]
	v_cndmask_b32_e64 v31, 0, 1, s[22:23]
	s_and_b64 s[22:23], s[16:17], s[42:43]
	v_cndmask_b32_e64 v35, 0, 1, s[14:15]
	;; [unrolled: 2-line block ×7, first 2 shown]
	v_cndmask_b32_e64 v38, 0, 1, s[14:15]
	v_cmp_ne_u32_e64 s[14:15], 0, v2
	v_cmp_ne_u32_e64 s[16:17], 0, v3
	;; [unrolled: 1-line block ×11, first 2 shown]
	s_bcnt1_i32_b64 s14, s[14:15]
	s_bcnt1_i32_b64 s15, s[16:17]
	s_bcnt1_i32_b64 s16, s[18:19]
	s_bcnt1_i32_b64 s17, s[20:21]
	s_bcnt1_i32_b64 s18, s[22:23]
	s_bcnt1_i32_b64 s20, s[26:27]
	s_bcnt1_i32_b64 s22, s[30:31]
	s_bcnt1_i32_b64 s26, s[40:41]
	v_cmp_ne_u32_e64 s[28:29], 0, v30
	v_cmp_ne_u32_e64 s[36:37], 0, v33
	;; [unrolled: 1-line block ×3, first 2 shown]
	s_bcnt1_i32_b64 s19, s[24:25]
	s_bcnt1_i32_b64 s23, s[34:35]
	;; [unrolled: 1-line block ×3, first 2 shown]
	s_add_i32 s9, s9, s14
	s_add_i32 s8, s8, s18
	s_add_i32 s14, s77, s22
	s_add_i32 s18, s76, s26
	v_cmp_ne_u32_e64 s[38:39], 0, v34
	v_cmp_ne_u32_e64 s[46:47], 0, v38
	s_bcnt1_i32_b64 s21, s[28:29]
	s_bcnt1_i32_b64 s24, s[36:37]
	;; [unrolled: 1-line block ×3, first 2 shown]
	s_add_i32 s9, s9, s15
	s_add_i32 s8, s8, s19
	;; [unrolled: 1-line block ×4, first 2 shown]
	s_bcnt1_i32_b64 s25, s[38:39]
	s_bcnt1_i32_b64 s29, s[46:47]
	s_add_i32 s9, s9, s16
	s_add_i32 s8, s8, s20
	;; [unrolled: 1-line block ×8, first 2 shown]
	s_or_b64 s[86:87], vcc, s[86:87]
	v_mov_b32_e32 v2, s9
	v_mov_b32_e32 v3, s8
	v_mov_b32_e32 v4, s77
	v_mov_b32_e32 v5, s76
	s_andn2_b64 exec, exec, s[86:87]
	s_cbranch_execnz .LBB83_57
; %bb.58:                               ;   in Loop: Header=BB83_21 Depth=1
	s_or_b64 exec, exec, s[86:87]
	s_or_b64 exec, exec, s[84:85]
	v_mov_b32_e32 v28, 0
	s_and_saveexec_b64 s[14:15], s[10:11]
	s_cbranch_execz .LBB83_54
.LBB83_59:                              ;   in Loop: Header=BB83_21 Depth=1
	global_load_ubyte v28, v[10:11], off
	s_or_b64 exec, exec, s[14:15]
	s_and_saveexec_b64 s[16:17], s[10:11]
	s_cbranch_execz .LBB83_65
.LBB83_60:                              ;   in Loop: Header=BB83_21 Depth=1
	s_and_b32 s8, s75, 0xfe
	s_mov_b64 s[18:19], 0
	v_mov_b32_e32 v26, v21
	v_mov_b32_e32 v27, v16
	s_branch .LBB83_62
.LBB83_61:                              ;   in Loop: Header=BB83_62 Depth=2
	s_or_b64 exec, exec, s[20:21]
	s_waitcnt vmcnt(0)
	v_add_u32_sdwa v28, sext(v28), s74 dst_sel:DWORD dst_unused:UNUSED_PAD src0_sel:BYTE_0 src1_sel:DWORD
	s_and_b64 s[14:15], exec, vcc
	v_and_b32_e32 v30, s3, v28
	v_bfe_u32 v28, v28, s8, 2
	s_or_b64 s[18:19], s[14:15], s[18:19]
	v_cmp_eq_u32_e32 vcc, s0, v30
	v_cmp_eq_u32_e64 s[14:15], 0, v28
	s_and_b64 s[14:15], vcc, s[14:15]
	v_cndmask_b32_e64 v30, 0, 1, s[14:15]
	v_cmp_ne_u32_e64 s[14:15], 0, v30
	s_bcnt1_i32_b64 s9, s[14:15]
	v_cmp_eq_u32_e64 s[14:15], 1, v28
	s_and_b64 s[14:15], vcc, s[14:15]
	v_cndmask_b32_e64 v30, 0, 1, s[14:15]
	v_cmp_ne_u32_e64 s[14:15], 0, v30
	v_add_u32_e32 v2, s9, v2
	s_bcnt1_i32_b64 s9, s[14:15]
	v_cmp_eq_u32_e64 s[14:15], 2, v28
	s_and_b64 s[14:15], vcc, s[14:15]
	v_cndmask_b32_e64 v30, 0, 1, s[14:15]
	v_cmp_ne_u32_e64 s[14:15], 0, v30
	v_add_u32_e32 v3, s9, v3
	s_bcnt1_i32_b64 s9, s[14:15]
	v_cmp_eq_u32_e64 s[14:15], 3, v28
	s_and_b64 s[14:15], vcc, s[14:15]
	v_cndmask_b32_e64 v28, 0, 1, s[14:15]
	v_cmp_ne_u32_e32 vcc, 0, v28
	v_add_u32_e32 v4, s9, v4
	s_bcnt1_i32_b64 s9, vcc
	v_add_u32_e32 v5, s9, v5
	v_add_u32_e32 v26, s78, v26
	v_mov_b32_e32 v28, v29
	s_andn2_b64 exec, exec, s[18:19]
	s_cbranch_execz .LBB83_64
.LBB83_62:                              ;   Parent Loop BB83_21 Depth=1
                                        ; =>  This Inner Loop Header: Depth=2
	v_add_u32_e32 v27, s59, v27
	v_cmp_gt_u32_e64 s[14:15], s56, v27
	v_cmp_le_u32_e32 vcc, s56, v27
	v_mov_b32_e32 v29, 0
	s_and_saveexec_b64 s[20:21], s[14:15]
	s_cbranch_execz .LBB83_61
; %bb.63:                               ;   in Loop: Header=BB83_62 Depth=2
	global_load_ubyte v29, v26, s[66:67]
	s_branch .LBB83_61
.LBB83_64:                              ;   in Loop: Header=BB83_21 Depth=1
	s_or_b64 exec, exec, s[18:19]
.LBB83_65:                              ;   in Loop: Header=BB83_21 Depth=1
	s_or_b64 exec, exec, s[16:17]
	s_branch .LBB83_75
.LBB83_66:                              ;   in Loop: Header=BB83_21 Depth=1
	s_mul_hi_u32 s8, s71, s79
	s_mul_i32 s8, s8, s62
	s_sub_i32 s8, s71, s8
	s_sub_i32 s9, s8, s62
	s_cmp_ge_u32 s8, s62
	s_cselect_b32 s8, s9, s8
	s_sub_i32 s9, s8, s62
	s_cmp_ge_u32 s8, s62
	s_cselect_b32 s8, s9, s8
	s_sub_i32 s60, s71, s8
	v_cmp_gt_u32_e32 vcc, s60, v13
	s_mov_b32 s76, 0
	s_waitcnt vmcnt(0)
	v_mov_b32_e32 v2, 0
	v_mov_b32_e32 v3, 0
	;; [unrolled: 1-line block ×4, first 2 shown]
	s_and_saveexec_b64 s[84:85], vcc
	s_cbranch_execz .LBB83_70
; %bb.67:                               ;   in Loop: Header=BB83_21 Depth=1
	s_and_b32 s81, s75, 0xfe
	s_mov_b64 s[86:87], 0
	s_mov_b32 s8, 0
	s_mov_b32 s9, 0
	;; [unrolled: 1-line block ×3, first 2 shown]
	v_mov_b32_e32 v26, v13
.LBB83_68:                              ;   Parent Loop BB83_21 Depth=1
                                        ; =>  This Inner Loop Header: Depth=2
	ds_read_b32 v2, v26
	v_add_u32_e32 v26, s62, v26
	v_cmp_le_u32_e32 vcc, s60, v26
	s_waitcnt lgkmcnt(0)
	v_add_u32_sdwa v3, sext(v2), s74 dst_sel:DWORD dst_unused:UNUSED_PAD src0_sel:BYTE_0 src1_sel:DWORD
	v_add_u32_sdwa v4, sext(v2), s74 dst_sel:DWORD dst_unused:UNUSED_PAD src0_sel:BYTE_1 src1_sel:DWORD
	v_and_b32_e32 v27, s3, v3
	v_bfe_u32 v3, v3, s81, 2
	v_add_u32_sdwa v5, sext(v2), s74 dst_sel:DWORD dst_unused:UNUSED_PAD src0_sel:BYTE_2 src1_sel:DWORD
	v_add_u32_sdwa v2, sext(v2), s74 dst_sel:DWORD dst_unused:UNUSED_PAD src0_sel:BYTE_3 src1_sel:DWORD
	v_and_b32_e32 v28, s3, v4
	v_bfe_u32 v4, v4, s81, 2
	v_cmp_eq_u32_e64 s[14:15], s0, v27
	v_cmp_eq_u32_e64 s[22:23], 0, v3
	v_and_b32_e32 v29, s3, v5
	v_and_b32_e32 v30, s3, v2
	v_bfe_u32 v5, v5, s81, 2
	v_bfe_u32 v2, v2, s81, 2
	v_cmp_eq_u32_e64 s[16:17], s0, v28
	v_cmp_eq_u32_e64 s[24:25], 0, v4
	s_and_b64 s[22:23], s[14:15], s[22:23]
	v_cmp_eq_u32_e64 s[18:19], s0, v29
	v_cmp_eq_u32_e64 s[26:27], 0, v5
	;; [unrolled: 1-line block ×6, first 2 shown]
	v_cndmask_b32_e64 v2, 0, 1, s[22:23]
	s_and_b64 s[22:23], s[16:17], s[24:25]
	v_cmp_eq_u32_e64 s[20:21], s0, v30
	v_cmp_eq_u32_e64 s[30:31], 1, v3
	;; [unrolled: 1-line block ×4, first 2 shown]
	v_cndmask_b32_e64 v3, 0, 1, s[22:23]
	s_and_b64 s[22:23], s[18:19], s[26:27]
	v_cmp_eq_u32_e64 s[34:35], 1, v4
	v_cmp_eq_u32_e64 s[42:43], 2, v4
	;; [unrolled: 1-line block ×3, first 2 shown]
	v_cndmask_b32_e64 v4, 0, 1, s[22:23]
	s_and_b64 s[22:23], s[20:21], s[28:29]
	v_cmp_eq_u32_e64 s[36:37], 1, v5
	v_cmp_eq_u32_e64 s[44:45], 2, v5
	;; [unrolled: 1-line block ×3, first 2 shown]
	v_cndmask_b32_e64 v5, 0, 1, s[22:23]
	s_and_b64 s[22:23], s[14:15], s[30:31]
	v_cndmask_b32_e64 v27, 0, 1, s[22:23]
	s_and_b64 s[22:23], s[16:17], s[34:35]
	;; [unrolled: 2-line block ×5, first 2 shown]
	s_and_b64 s[14:15], s[14:15], s[48:49]
	v_cndmask_b32_e64 v31, 0, 1, s[22:23]
	s_and_b64 s[22:23], s[16:17], s[42:43]
	v_cndmask_b32_e64 v35, 0, 1, s[14:15]
	;; [unrolled: 2-line block ×7, first 2 shown]
	v_cndmask_b32_e64 v38, 0, 1, s[14:15]
	v_cmp_ne_u32_e64 s[14:15], 0, v2
	v_cmp_ne_u32_e64 s[16:17], 0, v3
	;; [unrolled: 1-line block ×11, first 2 shown]
	s_bcnt1_i32_b64 s14, s[14:15]
	s_bcnt1_i32_b64 s15, s[16:17]
	;; [unrolled: 1-line block ×8, first 2 shown]
	v_cmp_ne_u32_e64 s[28:29], 0, v30
	v_cmp_ne_u32_e64 s[36:37], 0, v33
	;; [unrolled: 1-line block ×3, first 2 shown]
	s_bcnt1_i32_b64 s19, s[24:25]
	s_bcnt1_i32_b64 s23, s[34:35]
	;; [unrolled: 1-line block ×3, first 2 shown]
	s_add_i32 s14, s77, s14
	s_add_i32 s9, s9, s18
	;; [unrolled: 1-line block ×4, first 2 shown]
	v_cmp_ne_u32_e64 s[38:39], 0, v34
	v_cmp_ne_u32_e64 s[46:47], 0, v38
	s_bcnt1_i32_b64 s21, s[28:29]
	s_bcnt1_i32_b64 s24, s[36:37]
	;; [unrolled: 1-line block ×3, first 2 shown]
	s_add_i32 s14, s14, s15
	s_add_i32 s9, s9, s19
	;; [unrolled: 1-line block ×4, first 2 shown]
	s_bcnt1_i32_b64 s25, s[38:39]
	s_bcnt1_i32_b64 s29, s[46:47]
	s_add_i32 s14, s14, s16
	s_add_i32 s9, s9, s20
	;; [unrolled: 1-line block ×8, first 2 shown]
	s_or_b64 s[86:87], vcc, s[86:87]
	v_mov_b32_e32 v2, s77
	v_mov_b32_e32 v3, s9
	;; [unrolled: 1-line block ×4, first 2 shown]
	s_andn2_b64 exec, exec, s[86:87]
	s_cbranch_execnz .LBB83_68
; %bb.69:                               ;   in Loop: Header=BB83_21 Depth=1
	s_or_b64 exec, exec, s[86:87]
.LBB83_70:                              ;   in Loop: Header=BB83_21 Depth=1
	s_or_b64 exec, exec, s[84:85]
	v_add_u32_e32 v26, s60, v0
	v_cmp_gt_u32_e32 vcc, s71, v26
	s_and_saveexec_b64 s[24:25], vcc
	s_cbranch_execz .LBB83_74
; %bb.71:                               ;   in Loop: Header=BB83_21 Depth=1
	s_and_b32 s8, s75, 0xfe
	s_mov_b64 s[26:27], 0
.LBB83_72:                              ;   Parent Loop BB83_21 Depth=1
                                        ; =>  This Inner Loop Header: Depth=2
	ds_read_i8 v27, v26
	v_add_u32_e32 v26, s59, v26
	v_cmp_le_u32_e32 vcc, s71, v26
	s_waitcnt lgkmcnt(0)
	v_add_u32_e32 v27, 0x80, v27
	v_and_b32_e32 v28, s3, v27
	v_bfe_u32 v27, v27, s8, 2
	v_cmp_eq_u32_e64 s[14:15], s0, v28
	v_cmp_eq_u32_e64 s[16:17], 0, v27
	;; [unrolled: 1-line block ×3, first 2 shown]
	s_and_b64 s[16:17], s[14:15], s[16:17]
	v_cmp_eq_u32_e64 s[20:21], 2, v27
	v_cmp_eq_u32_e64 s[22:23], 3, v27
	v_cndmask_b32_e64 v27, 0, 1, s[16:17]
	s_and_b64 s[16:17], s[14:15], s[18:19]
	v_cndmask_b32_e64 v28, 0, 1, s[16:17]
	s_and_b64 s[16:17], s[14:15], s[20:21]
	s_and_b64 s[14:15], s[14:15], s[22:23]
	v_cndmask_b32_e64 v29, 0, 1, s[16:17]
	v_cndmask_b32_e64 v30, 0, 1, s[14:15]
	v_cmp_ne_u32_e64 s[14:15], 0, v27
	v_cmp_ne_u32_e64 s[16:17], 0, v28
	;; [unrolled: 1-line block ×4, first 2 shown]
	s_bcnt1_i32_b64 s9, s[14:15]
	s_bcnt1_i32_b64 s14, s[16:17]
	;; [unrolled: 1-line block ×4, first 2 shown]
	v_add_u32_e32 v2, s9, v2
	v_add_u32_e32 v3, s14, v3
	v_add_u32_e32 v4, s15, v4
	s_or_b64 s[26:27], vcc, s[26:27]
	v_add_u32_e32 v5, s16, v5
	s_andn2_b64 exec, exec, s[26:27]
	s_cbranch_execnz .LBB83_72
; %bb.73:                               ;   in Loop: Header=BB83_21 Depth=1
	s_or_b64 exec, exec, s[26:27]
.LBB83_74:                              ;   in Loop: Header=BB83_21 Depth=1
	s_or_b64 exec, exec, s[24:25]
.LBB83_75:                              ;   in Loop: Header=BB83_21 Depth=1
	s_lshl_b32 s8, s2, 6
	s_and_saveexec_b64 s[14:15], s[4:5]
	s_cbranch_execz .LBB83_77
; %bb.76:                               ;   in Loop: Header=BB83_21 Depth=1
	v_or_b32_e32 v26, s8, v14
	v_lshlrev_b32_e32 v26, 2, v26
	s_waitcnt vmcnt(0)
	ds_write_b128 v26, v[2:5] offset:3072
.LBB83_77:                              ;   in Loop: Header=BB83_21 Depth=1
	s_or_b64 exec, exec, s[14:15]
	s_waitcnt lgkmcnt(0)
	s_barrier
	s_and_saveexec_b64 s[14:15], s[72:73]
	s_cbranch_execz .LBB83_91
; %bb.78:                               ;   in Loop: Header=BB83_21 Depth=1
	v_readlane_b32 s16, v42, 13
	v_readlane_b32 s17, v42, 14
	v_add_u32_e32 v4, s8, v12
	s_andn2_b64 vcc, exec, s[16:17]
	s_waitcnt vmcnt(0)
	v_mov_b32_e32 v2, 0
	s_cbranch_vccnz .LBB83_90
; %bb.79:                               ;   in Loop: Header=BB83_21 Depth=1
	v_readlane_b32 s16, v42, 17
	v_readlane_b32 s17, v42, 18
	s_mov_b32 s9, 0
	s_and_b64 vcc, exec, s[16:17]
	v_mov_b32_e32 v2, 0
	s_cbranch_vccz .LBB83_83
; %bb.80:                               ;   in Loop: Header=BB83_21 Depth=1
	v_readlane_b32 s16, v42, 19
	v_readlane_b32 s17, v42, 20
	v_lshl_add_u32 v5, v4, 2, v24
	s_andn2_b64 vcc, exec, s[16:17]
	s_cbranch_vccnz .LBB83_84
; %bb.81:                               ;   in Loop: Header=BB83_21 Depth=1
	s_mov_b32 s17, 1
	s_mov_b32 s16, 0
	v_mov_b32_e32 v2, 0
	v_readlane_b32 s9, v42, 21
	v_mov_b32_e32 v3, 0
.LBB83_82:                              ;   Parent Loop BB83_21 Depth=1
                                        ; =>  This Inner Loop Header: Depth=2
	v_lshl_add_u32 v38, s16, 4, v5
	v_lshl_add_u32 v40, s17, 4, v5
	ds_read2_b32 v[26:27], v38 offset1:8
	ds_read2_b32 v[28:29], v40 offset1:8
	ds_read2_b32 v[30:31], v38 offset0:16 offset1:24
	ds_read2_b32 v[32:33], v40 offset0:16 offset1:24
	ds_read2_b32 v[34:35], v38 offset0:32 offset1:40
	ds_read2_b32 v[36:37], v40 offset0:32 offset1:40
	ds_read2_b32 v[38:39], v38 offset0:48 offset1:56
	ds_read2_b32 v[40:41], v40 offset0:48 offset1:56
	s_waitcnt lgkmcnt(7)
	v_add3_u32 v2, v26, v2, v27
	s_waitcnt lgkmcnt(6)
	v_add3_u32 v3, v28, v3, v29
	;; [unrolled: 2-line block ×3, first 2 shown]
	v_add3_u32 v2, v30, v2, v31
	s_add_i32 s17, s17, 16
	s_add_i32 s16, s16, 16
	s_add_i32 s9, s9, -8
	s_waitcnt lgkmcnt(3)
	v_add3_u32 v2, v34, v2, v35
	s_waitcnt lgkmcnt(2)
	v_add3_u32 v3, v36, v3, v37
	s_cmp_lg_u32 s9, 0
	s_waitcnt lgkmcnt(0)
	v_add3_u32 v3, v40, v3, v41
	v_add3_u32 v2, v38, v2, v39
	s_cbranch_scc1 .LBB83_82
	s_branch .LBB83_85
.LBB83_83:                              ;   in Loop: Header=BB83_21 Depth=1
	s_cbranch_execnz .LBB83_88
	s_branch .LBB83_90
.LBB83_84:                              ;   in Loop: Header=BB83_21 Depth=1
	s_mov_b32 s71, s70
	v_pk_mov_b32 v[2:3], s[70:71], s[70:71] op_sel:[0,1]
	s_mov_b32 s71, 1
	s_mov_b64 s[16:17], s[70:71]
.LBB83_85:                              ;   in Loop: Header=BB83_21 Depth=1
	v_readlane_b32 s18, v42, 23
	v_readlane_b32 s19, v42, 24
	s_andn2_b64 vcc, exec, s[18:19]
	v_readlane_b32 s9, v42, 22
	s_cbranch_vccnz .LBB83_87
.LBB83_86:                              ;   Parent Loop BB83_21 Depth=1
                                        ; =>  This Inner Loop Header: Depth=2
	v_lshl_add_u32 v26, s16, 4, v5
	v_lshl_add_u32 v27, s17, 4, v5
	ds_read_b32 v27, v27
	ds_read_b32 v26, v26
	s_add_i32 s17, s17, 2
	s_add_i32 s16, s16, 2
	s_add_i32 s9, s9, -1
	s_cmp_lg_u32 s9, 0
	s_waitcnt lgkmcnt(1)
	v_add_u32_e32 v3, v27, v3
	s_waitcnt lgkmcnt(0)
	v_add_u32_e32 v2, v26, v2
	s_cbranch_scc1 .LBB83_86
.LBB83_87:                              ;   in Loop: Header=BB83_21 Depth=1
	v_readlane_b32 s16, v42, 27
	v_add_u32_e32 v2, v2, v3
	v_readlane_b32 s9, v42, 26
	v_readlane_b32 s17, v42, 28
	s_and_b64 vcc, exec, s[16:17]
	s_cbranch_vccz .LBB83_90
.LBB83_88:                              ;   in Loop: Header=BB83_21 Depth=1
	s_lshl_b32 s16, s2, 8
	s_lshl_b32 s17, s9, 4
	s_add_i32 s16, s16, s17
	v_add_u32_e32 v3, s16, v22
	v_readlane_b32 s16, v42, 25
	s_sub_i32 s9, s16, s9
.LBB83_89:                              ;   Parent Loop BB83_21 Depth=1
                                        ; =>  This Inner Loop Header: Depth=2
	ds_read_b32 v5, v3
	s_add_i32 s9, s9, -1
	v_add_u32_e32 v3, 16, v3
	s_cmp_eq_u32 s9, 0
	s_waitcnt lgkmcnt(0)
	v_add_u32_e32 v2, v5, v2
	s_cbranch_scc0 .LBB83_89
.LBB83_90:                              ;   in Loop: Header=BB83_21 Depth=1
	v_lshlrev_b32_e32 v3, 2, v4
	ds_write_b32 v3, v2 offset:3072
.LBB83_91:                              ;   in Loop: Header=BB83_21 Depth=1
	s_or_b64 exec, exec, s[14:15]
	s_lshl_b32 s8, s8, 2
	s_waitcnt vmcnt(0)
	v_mov_b32_e32 v2, s8
	s_waitcnt lgkmcnt(0)
	s_barrier
	ds_read_b128 v[2:5], v2 offset:3072
	s_and_b32 s43, s75, 0xfe
	s_lshl_b32 s51, 3, s43
	s_not_b32 s44, s51
	s_mov_b64 s[16:17], -1
	s_waitcnt lgkmcnt(0)
	v_readfirstlane_b32 s26, v2
	s_cmp_eq_u32 s26, 1
	s_cselect_b64 s[8:9], -1, 0
	s_cmp_eq_u32 s1, 1
	s_cselect_b64 s[14:15], -1, 0
	s_and_b64 s[18:19], s[8:9], s[14:15]
	v_readfirstlane_b32 s34, v3
	v_readfirstlane_b32 s42, v4
	;; [unrolled: 1-line block ×3, first 2 shown]
	s_and_b64 vcc, exec, s[18:19]
	s_cbranch_vccz .LBB83_103
; %bb.92:                               ;   in Loop: Header=BB83_21 Depth=1
	ds_read_b32 v2, v23 offset:4104
	s_waitcnt lgkmcnt(0)
	s_barrier
	v_readfirstlane_b32 s8, v2
	s_and_saveexec_b64 s[14:15], s[6:7]
	s_cbranch_execz .LBB83_94
; %bb.93:                               ;   in Loop: Header=BB83_21 Depth=1
	ds_write_b8 v0, v23 offset:3072
.LBB83_94:                              ;   in Loop: Header=BB83_21 Depth=1
	s_or_b64 exec, exec, s[14:15]
	s_and_b32 s0, s0, s44
	s_or_b32 s3, s3, s51
	s_cmp_eq_u32 s8, 0
	s_waitcnt lgkmcnt(0)
	s_barrier
	s_cbranch_scc1 .LBB83_104
; %bb.95:                               ;   in Loop: Header=BB83_21 Depth=1
	v_readlane_b32 s9, v42, 10
	s_add_i32 s9, s8, s9
	v_readlane_b32 s14, v42, 31
	s_mul_hi_u32 s14, s9, s14
	s_mul_i32 s14, s14, s59
	s_sub_i32 s14, s9, s14
	s_sub_i32 s15, s14, s59
	s_cmp_ge_u32 s14, s59
	s_cselect_b32 s14, s15, s14
	s_sub_i32 s15, s14, s59
	s_cmp_ge_u32 s14, s59
	s_cselect_b32 s14, s15, s14
	s_sub_i32 s9, s9, s14
	v_cmp_gt_u32_e32 vcc, s9, v0
	s_mov_b64 s[20:21], 0
                                        ; implicit-def: $vgpr25
	s_and_saveexec_b64 s[14:15], vcc
	s_cbranch_execz .LBB83_106
; %bb.96:                               ;   in Loop: Header=BB83_21 Depth=1
	v_mov_b32_e32 v2, v0
                                        ; implicit-def: $sgpr22_sgpr23
	s_branch .LBB83_98
.LBB83_97:                              ;   in Loop: Header=BB83_98 Depth=2
	s_or_b64 exec, exec, s[24:25]
	s_waitcnt lgkmcnt(0)
	s_barrier
	ds_read_u16 v3, v23 offset:3072
	v_add_u32_e32 v2, s59, v2
	v_cmp_le_u32_e32 vcc, s9, v2
	s_waitcnt lgkmcnt(0)
	s_barrier
	v_cmp_ne_u16_sdwa s[24:25], v3, v23 src0_sel:BYTE_0 src1_sel:DWORD
	s_or_b64 s[28:29], vcc, s[24:25]
	s_and_b64 s[28:29], exec, s[28:29]
	s_or_b64 s[20:21], s[28:29], s[20:21]
	s_andn2_b64 s[22:23], s[22:23], exec
	s_and_b64 s[24:25], s[24:25], exec
	s_or_b64 s[22:23], s[22:23], s[24:25]
	s_andn2_b64 exec, exec, s[20:21]
	s_cbranch_execz .LBB83_105
.LBB83_98:                              ;   Parent Loop BB83_21 Depth=1
                                        ; =>  This Inner Loop Header: Depth=2
	v_cmp_gt_u32_e32 vcc, s8, v2
	v_mov_b32_e32 v3, 0
	s_and_saveexec_b64 s[24:25], vcc
	s_cbranch_execz .LBB83_100
; %bb.99:                               ;   in Loop: Header=BB83_98 Depth=2
	ds_read_u8 v3, v2
.LBB83_100:                             ;   in Loop: Header=BB83_98 Depth=2
	s_or_b64 exec, exec, s[24:25]
	s_and_saveexec_b64 s[24:25], vcc
	s_cbranch_execz .LBB83_97
; %bb.101:                              ;   in Loop: Header=BB83_98 Depth=2
	s_waitcnt lgkmcnt(0)
	v_add_u32_sdwa v4, sext(v3), s74 dst_sel:DWORD dst_unused:UNUSED_PAD src0_sel:BYTE_0 src1_sel:DWORD
	v_and_b32_e32 v4, s3, v4
	v_cmp_eq_u32_e32 vcc, s0, v4
	s_and_b64 exec, exec, vcc
	s_cbranch_execz .LBB83_97
; %bb.102:                              ;   in Loop: Header=BB83_98 Depth=2
	v_lshlrev_b16_e32 v3, 8, v3
	v_or_b32_e32 v3, 1, v3
	ds_write_b16 v23, v3 offset:3072
	s_branch .LBB83_97
.LBB83_103:                             ;   in Loop: Header=BB83_21 Depth=1
	s_mov_b64 s[20:21], -1
                                        ; implicit-def: $sgpr14_sgpr15
                                        ; implicit-def: $sgpr24_sgpr25
                                        ; implicit-def: $sgpr22_sgpr23
	s_branch .LBB83_117
.LBB83_104:                             ;   in Loop: Header=BB83_21 Depth=1
	s_mov_b64 s[14:15], -1
	s_mov_b64 s[20:21], 0
                                        ; implicit-def: $sgpr22_sgpr23
                                        ; implicit-def: $vgpr25
	s_mov_b64 s[24:25], s[14:15]
	s_cbranch_execnz .LBB83_107
	s_branch .LBB83_117
.LBB83_105:                             ;   in Loop: Header=BB83_21 Depth=1
	s_or_b64 exec, exec, s[20:21]
	v_lshrrev_b16_e32 v25, 8, v3
	s_and_b64 s[20:21], s[22:23], exec
.LBB83_106:                             ;   in Loop: Header=BB83_21 Depth=1
	s_or_b64 exec, exec, s[14:15]
	s_mov_b64 s[22:23], -1
	s_mov_b64 s[14:15], 0
	s_mov_b64 s[24:25], s[14:15]
	s_branch .LBB83_117
.LBB83_107:                             ;   in Loop: Header=BB83_21 Depth=1
	s_mov_b64 s[20:21], 0
                                        ; implicit-def: $vgpr25
	s_mov_b64 s[14:15], exec
	v_readlane_b32 s8, v42, 32
	v_readlane_b32 s9, v42, 33
	s_and_b64 s[8:9], s[14:15], s[8:9]
	s_mov_b64 exec, s[8:9]
	s_cbranch_execz .LBB83_116
; %bb.108:                              ;   in Loop: Header=BB83_21 Depth=1
	v_mov_b32_e32 v2, v9
	v_mov_b32_e32 v3, v0
                                        ; implicit-def: $sgpr22_sgpr23
	s_branch .LBB83_110
.LBB83_109:                             ;   in Loop: Header=BB83_110 Depth=2
	s_or_b64 exec, exec, s[24:25]
	s_waitcnt lgkmcnt(0)
	s_barrier
	s_waitcnt vmcnt(0)
	ds_read_u16 v4, v23 offset:3072
	v_add_u32_e32 v3, s59, v3
	v_cmp_le_u32_e32 vcc, s12, v3
	v_add_u32_e32 v2, s78, v2
	s_waitcnt lgkmcnt(0)
	v_cmp_ne_u16_sdwa s[8:9], v4, v23 src0_sel:BYTE_0 src1_sel:DWORD
	s_or_b64 s[24:25], vcc, s[8:9]
	s_and_b64 s[24:25], exec, s[24:25]
	s_or_b64 s[20:21], s[24:25], s[20:21]
	s_andn2_b64 s[22:23], s[22:23], exec
	s_and_b64 s[8:9], s[8:9], exec
	s_or_b64 s[22:23], s[22:23], s[8:9]
	s_barrier
	s_andn2_b64 exec, exec, s[20:21]
	s_cbranch_execz .LBB83_115
.LBB83_110:                             ;   Parent Loop BB83_21 Depth=1
                                        ; =>  This Inner Loop Header: Depth=2
	v_cmp_gt_u32_e32 vcc, s56, v3
	v_mov_b32_e32 v4, 0
	s_and_saveexec_b64 s[24:25], vcc
	s_cbranch_execz .LBB83_112
; %bb.111:                              ;   in Loop: Header=BB83_110 Depth=2
	global_load_ubyte v4, v2, s[66:67]
.LBB83_112:                             ;   in Loop: Header=BB83_110 Depth=2
	s_or_b64 exec, exec, s[24:25]
	s_and_saveexec_b64 s[24:25], vcc
	s_cbranch_execz .LBB83_109
; %bb.113:                              ;   in Loop: Header=BB83_110 Depth=2
	s_waitcnt vmcnt(0)
	v_add_u32_sdwa v5, sext(v4), s74 dst_sel:DWORD dst_unused:UNUSED_PAD src0_sel:BYTE_0 src1_sel:DWORD
	v_and_b32_e32 v5, s3, v5
	v_cmp_eq_u32_e32 vcc, s0, v5
	s_and_b64 exec, exec, vcc
	s_cbranch_execz .LBB83_109
; %bb.114:                              ;   in Loop: Header=BB83_110 Depth=2
	v_lshlrev_b16_e32 v4, 8, v4
	v_or_b32_e32 v4, 1, v4
	ds_write_b16 v23, v4 offset:3072
	s_branch .LBB83_109
.LBB83_115:                             ;   in Loop: Header=BB83_21 Depth=1
	s_or_b64 exec, exec, s[20:21]
	v_lshrrev_b16_e32 v25, 8, v4
	s_and_b64 s[20:21], s[22:23], exec
.LBB83_116:                             ;   in Loop: Header=BB83_21 Depth=1
	s_or_b64 exec, exec, s[14:15]
	s_mov_b64 s[24:25], -1
	s_mov_b64 s[14:15], 0
	s_mov_b64 s[22:23], 0
.LBB83_117:                             ;   in Loop: Header=BB83_21 Depth=1
	s_andn2_b64 s[8:9], s[82:83], exec
	s_and_b64 s[14:15], s[14:15], exec
	s_or_b64 s[82:83], s[8:9], s[14:15]
	s_andn2_b64 s[8:9], s[68:69], exec
	s_and_b64 s[14:15], s[24:25], exec
	s_or_b64 s[68:69], s[8:9], s[14:15]
	;; [unrolled: 3-line block ×3, first 2 shown]
	s_and_saveexec_b64 s[14:15], s[20:21]
	s_cbranch_execz .LBB83_20
; %bb.118:                              ;   in Loop: Header=BB83_21 Depth=1
	s_xor_b64 s[8:9], s[18:19], -1
	s_mov_b64 s[20:21], 0
	s_andn2_b64 vcc, exec, s[8:9]
	s_mov_b32 s35, 1
	s_cbranch_vccnz .LBB83_129
; %bb.119:                              ;   in Loop: Header=BB83_21 Depth=1
	s_cmp_gt_u32 s1, s26
	s_mov_b64 s[20:21], -1
                                        ; implicit-def: $sgpr52
                                        ; implicit-def: $sgpr8
                                        ; implicit-def: $sgpr9
	s_cbranch_scc1 .LBB83_125
; %bb.120:                              ;   in Loop: Header=BB83_21 Depth=1
	ds_read_b32 v2, v23 offset:4104
	s_waitcnt lgkmcnt(0)
	v_cmp_ne_u32_e32 vcc, 0, v2
	s_cbranch_vccnz .LBB83_124
; %bb.121:                              ;   in Loop: Header=BB83_21 Depth=1
	s_mov_b64 s[16:17], exec
	v_readlane_b32 s8, v42, 2
	v_readlane_b32 s9, v42, 3
	s_and_b64 s[8:9], s[16:17], s[8:9]
	s_mov_b64 exec, s[8:9]
	s_cbranch_execz .LBB83_123
; %bb.122:                              ;   in Loop: Header=BB83_21 Depth=1
	v_mov_b32_e32 v2, s26
	ds_write_b32 v23, v2 offset:4108
.LBB83_123:                             ;   in Loop: Header=BB83_21 Depth=1
	s_or_b64 exec, exec, s[16:17]
	s_waitcnt lgkmcnt(0)
	s_barrier
.LBB83_124:                             ;   in Loop: Header=BB83_21 Depth=1
	s_and_b32 s8, s0, s44
	s_or_b32 s9, s3, s51
	s_mov_b64 s[20:21], 0
	s_mov_b32 s52, 8
.LBB83_125:                             ;   in Loop: Header=BB83_21 Depth=1
	s_andn2_b64 vcc, exec, s[20:21]
	s_cbranch_vccnz .LBB83_127
; %bb.126:                              ;   in Loop: Header=BB83_21 Depth=1
	s_sub_i32 s1, s1, s26
	s_mov_b64 s[20:21], -1
	s_mov_b32 s52, 0
	s_mov_b32 s8, s0
	;; [unrolled: 1-line block ×3, first 2 shown]
.LBB83_127:                             ;   in Loop: Header=BB83_21 Depth=1
	s_mov_b32 s3, s9
	s_mov_b32 s0, s8
	s_mov_b32 s35, s1
	s_mov_b64 s[16:17], -1
	s_and_b64 vcc, exec, s[20:21]
	s_cbranch_vccnz .LBB83_130
.LBB83_128:                             ;   in Loop: Header=BB83_21 Depth=1
	s_mov_b64 s[30:31], -1
                                        ; implicit-def: $sgpr18_sgpr19
                                        ; implicit-def: $sgpr22_sgpr23
                                        ; implicit-def: $sgpr20_sgpr21
                                        ; implicit-def: $sgpr1
	s_and_saveexec_b64 s[8:9], s[30:31]
	s_xor_b64 s[24:25], exec, s[8:9]
	s_cbranch_execz .LBB83_19
	s_branch .LBB83_253
.LBB83_129:                             ;   in Loop: Header=BB83_21 Depth=1
	s_mov_b32 s52, 1
	s_mov_b64 s[16:17], -1
	s_and_b64 vcc, exec, s[20:21]
	s_cbranch_vccz .LBB83_128
.LBB83_130:                             ;   in Loop: Header=BB83_21 Depth=1
	s_cmp_eq_u32 s34, 1
	s_cselect_b64 s[8:9], -1, 0
	s_cmp_eq_u32 s35, 1
	s_cselect_b64 s[18:19], -1, 0
	s_and_b64 s[26:27], s[8:9], s[18:19]
	s_mov_b64 s[28:29], -1
	s_and_b64 vcc, exec, s[26:27]
	s_cbranch_vccz .LBB83_142
; %bb.131:                              ;   in Loop: Header=BB83_21 Depth=1
	ds_read_b32 v2, v23 offset:4104
	s_waitcnt lgkmcnt(0)
	s_barrier
	v_readfirstlane_b32 s1, v2
	s_and_saveexec_b64 s[18:19], s[6:7]
	s_cbranch_execz .LBB83_133
; %bb.132:                              ;   in Loop: Header=BB83_21 Depth=1
	ds_write_b8 v0, v23 offset:3072
.LBB83_133:                             ;   in Loop: Header=BB83_21 Depth=1
	s_or_b64 exec, exec, s[18:19]
	s_lshl_b32 s8, 1, s43
	s_and_b32 s0, s0, s44
	s_or_b32 s0, s0, s8
	s_or_b32 s3, s3, s51
	s_cmp_eq_u32 s1, 0
	s_waitcnt lgkmcnt(0)
	s_barrier
	s_cbranch_scc1 .LBB83_143
; %bb.134:                              ;   in Loop: Header=BB83_21 Depth=1
	v_readlane_b32 s8, v42, 10
	s_add_i32 s8, s1, s8
	v_readlane_b32 s9, v42, 31
	s_mul_hi_u32 s9, s8, s9
	s_mul_i32 s9, s9, s59
	s_sub_i32 s9, s8, s9
	s_sub_i32 s18, s9, s59
	s_cmp_ge_u32 s9, s59
	s_cselect_b32 s9, s18, s9
	s_sub_i32 s18, s9, s59
	s_cmp_ge_u32 s9, s59
	s_cselect_b32 s9, s18, s9
	s_sub_i32 s8, s8, s9
	v_cmp_gt_u32_e32 vcc, s8, v0
	s_mov_b64 s[28:29], 0
                                        ; implicit-def: $vgpr25
	s_and_saveexec_b64 s[18:19], vcc
	s_cbranch_execz .LBB83_145
; %bb.135:                              ;   in Loop: Header=BB83_21 Depth=1
	s_mov_b64 s[20:21], 0
	v_mov_b32_e32 v2, v0
                                        ; implicit-def: $sgpr22_sgpr23
	s_branch .LBB83_137
.LBB83_136:                             ;   in Loop: Header=BB83_137 Depth=2
	s_or_b64 exec, exec, s[24:25]
	s_waitcnt lgkmcnt(0)
	s_barrier
	ds_read_u16 v3, v23 offset:3072
	v_add_u32_e32 v2, s59, v2
	v_cmp_le_u32_e32 vcc, s8, v2
	s_waitcnt lgkmcnt(0)
	s_barrier
	v_cmp_ne_u16_sdwa s[24:25], v3, v23 src0_sel:BYTE_0 src1_sel:DWORD
	s_or_b64 s[28:29], vcc, s[24:25]
	s_and_b64 s[28:29], exec, s[28:29]
	s_or_b64 s[20:21], s[28:29], s[20:21]
	s_andn2_b64 s[22:23], s[22:23], exec
	s_and_b64 s[24:25], s[24:25], exec
	s_or_b64 s[22:23], s[22:23], s[24:25]
	s_andn2_b64 exec, exec, s[20:21]
	s_cbranch_execz .LBB83_144
.LBB83_137:                             ;   Parent Loop BB83_21 Depth=1
                                        ; =>  This Inner Loop Header: Depth=2
	v_cmp_gt_u32_e32 vcc, s1, v2
	v_mov_b32_e32 v3, 0
	s_and_saveexec_b64 s[24:25], vcc
	s_cbranch_execz .LBB83_139
; %bb.138:                              ;   in Loop: Header=BB83_137 Depth=2
	ds_read_u8 v3, v2
.LBB83_139:                             ;   in Loop: Header=BB83_137 Depth=2
	s_or_b64 exec, exec, s[24:25]
	s_and_saveexec_b64 s[24:25], vcc
	s_cbranch_execz .LBB83_136
; %bb.140:                              ;   in Loop: Header=BB83_137 Depth=2
	s_waitcnt lgkmcnt(0)
	v_add_u32_sdwa v4, sext(v3), s74 dst_sel:DWORD dst_unused:UNUSED_PAD src0_sel:BYTE_0 src1_sel:DWORD
	v_and_b32_e32 v4, s3, v4
	v_cmp_eq_u32_e32 vcc, s0, v4
	s_and_b64 exec, exec, vcc
	s_cbranch_execz .LBB83_136
; %bb.141:                              ;   in Loop: Header=BB83_137 Depth=2
	v_lshlrev_b16_e32 v3, 8, v3
	v_or_b32_e32 v3, 1, v3
	ds_write_b16 v23, v3 offset:3072
	s_branch .LBB83_136
.LBB83_142:                             ;   in Loop: Header=BB83_21 Depth=1
                                        ; implicit-def: $sgpr20_sgpr21
                                        ; implicit-def: $sgpr22_sgpr23
                                        ; implicit-def: $sgpr18_sgpr19
	s_branch .LBB83_156
.LBB83_143:                             ;   in Loop: Header=BB83_21 Depth=1
	s_mov_b64 s[20:21], -1
	s_mov_b64 s[28:29], 0
                                        ; implicit-def: $sgpr18_sgpr19
                                        ; implicit-def: $vgpr25
	s_mov_b64 s[22:23], s[20:21]
	s_cbranch_execnz .LBB83_146
	s_branch .LBB83_156
.LBB83_144:                             ;   in Loop: Header=BB83_21 Depth=1
	s_or_b64 exec, exec, s[20:21]
	v_lshrrev_b16_e32 v25, 8, v3
	s_and_b64 s[28:29], s[22:23], exec
.LBB83_145:                             ;   in Loop: Header=BB83_21 Depth=1
	s_or_b64 exec, exec, s[18:19]
	s_mov_b64 s[18:19], -1
	s_mov_b64 s[20:21], 0
	s_mov_b64 s[22:23], s[20:21]
	s_branch .LBB83_156
.LBB83_146:                             ;   in Loop: Header=BB83_21 Depth=1
	s_mov_b64 s[28:29], 0
                                        ; implicit-def: $vgpr25
	s_mov_b64 s[18:19], exec
	v_readlane_b32 s8, v42, 32
	v_readlane_b32 s9, v42, 33
	s_and_b64 s[8:9], s[18:19], s[8:9]
	s_mov_b64 exec, s[8:9]
	s_cbranch_execz .LBB83_155
; %bb.147:                              ;   in Loop: Header=BB83_21 Depth=1
	s_mov_b64 s[20:21], 0
	v_mov_b32_e32 v2, v9
	v_mov_b32_e32 v3, v0
                                        ; implicit-def: $sgpr22_sgpr23
	s_branch .LBB83_149
.LBB83_148:                             ;   in Loop: Header=BB83_149 Depth=2
	s_or_b64 exec, exec, s[24:25]
	s_waitcnt lgkmcnt(0)
	s_barrier
	s_waitcnt vmcnt(0)
	ds_read_u16 v4, v23 offset:3072
	v_add_u32_e32 v3, s59, v3
	v_cmp_le_u32_e32 vcc, s12, v3
	v_add_u32_e32 v2, s78, v2
	s_waitcnt lgkmcnt(0)
	v_cmp_ne_u16_sdwa s[8:9], v4, v23 src0_sel:BYTE_0 src1_sel:DWORD
	s_or_b64 s[24:25], vcc, s[8:9]
	s_and_b64 s[24:25], exec, s[24:25]
	s_or_b64 s[20:21], s[24:25], s[20:21]
	s_andn2_b64 s[22:23], s[22:23], exec
	s_and_b64 s[8:9], s[8:9], exec
	s_or_b64 s[22:23], s[22:23], s[8:9]
	s_barrier
	s_andn2_b64 exec, exec, s[20:21]
	s_cbranch_execz .LBB83_154
.LBB83_149:                             ;   Parent Loop BB83_21 Depth=1
                                        ; =>  This Inner Loop Header: Depth=2
	v_cmp_gt_u32_e32 vcc, s56, v3
	v_mov_b32_e32 v4, 0
	s_and_saveexec_b64 s[24:25], vcc
	s_cbranch_execz .LBB83_151
; %bb.150:                              ;   in Loop: Header=BB83_149 Depth=2
	global_load_ubyte v4, v2, s[66:67]
.LBB83_151:                             ;   in Loop: Header=BB83_149 Depth=2
	s_or_b64 exec, exec, s[24:25]
	s_and_saveexec_b64 s[24:25], vcc
	s_cbranch_execz .LBB83_148
; %bb.152:                              ;   in Loop: Header=BB83_149 Depth=2
	s_waitcnt vmcnt(0)
	v_add_u32_sdwa v5, sext(v4), s74 dst_sel:DWORD dst_unused:UNUSED_PAD src0_sel:BYTE_0 src1_sel:DWORD
	v_and_b32_e32 v5, s3, v5
	v_cmp_eq_u32_e32 vcc, s0, v5
	s_and_b64 exec, exec, vcc
	s_cbranch_execz .LBB83_148
; %bb.153:                              ;   in Loop: Header=BB83_149 Depth=2
	v_lshlrev_b16_e32 v4, 8, v4
	v_or_b32_e32 v4, 1, v4
	ds_write_b16 v23, v4 offset:3072
	s_branch .LBB83_148
.LBB83_154:                             ;   in Loop: Header=BB83_21 Depth=1
	s_or_b64 exec, exec, s[20:21]
	v_lshrrev_b16_e32 v25, 8, v4
	s_and_b64 s[28:29], s[22:23], exec
.LBB83_155:                             ;   in Loop: Header=BB83_21 Depth=1
	s_or_b64 exec, exec, s[18:19]
	s_mov_b64 s[22:23], -1
	s_mov_b64 s[20:21], 0
	s_mov_b64 s[18:19], 0
.LBB83_156:                             ;   in Loop: Header=BB83_21 Depth=1
	s_mov_b64 s[30:31], 0
                                        ; implicit-def: $sgpr52
	s_and_saveexec_b64 s[24:25], s[28:29]
	s_cbranch_execz .LBB83_252
; %bb.157:                              ;   in Loop: Header=BB83_21 Depth=1
	s_xor_b64 s[8:9], s[26:27], -1
	s_mov_b64 s[28:29], 0
	s_andn2_b64 vcc, exec, s[8:9]
	s_mov_b32 s45, 1
	s_cbranch_vccnz .LBB83_168
; %bb.158:                              ;   in Loop: Header=BB83_21 Depth=1
	s_cmp_gt_u32 s35, s34
	s_mov_b64 s[28:29], -1
                                        ; implicit-def: $sgpr52
                                        ; implicit-def: $sgpr1
                                        ; implicit-def: $sgpr8
	s_cbranch_scc1 .LBB83_164
; %bb.159:                              ;   in Loop: Header=BB83_21 Depth=1
	ds_read_b32 v2, v23 offset:4104
	s_waitcnt lgkmcnt(0)
	v_cmp_ne_u32_e32 vcc, 0, v2
	s_cbranch_vccnz .LBB83_163
; %bb.160:                              ;   in Loop: Header=BB83_21 Depth=1
	s_mov_b64 s[26:27], exec
	v_readlane_b32 s8, v42, 2
	v_readlane_b32 s9, v42, 3
	s_and_b64 s[8:9], s[26:27], s[8:9]
	s_mov_b64 exec, s[8:9]
	s_cbranch_execz .LBB83_162
; %bb.161:                              ;   in Loop: Header=BB83_21 Depth=1
	v_mov_b32_e32 v2, s34
	ds_write_b32 v23, v2 offset:4108
.LBB83_162:                             ;   in Loop: Header=BB83_21 Depth=1
	s_or_b64 exec, exec, s[26:27]
	s_waitcnt lgkmcnt(0)
	s_barrier
.LBB83_163:                             ;   in Loop: Header=BB83_21 Depth=1
	s_lshl_b32 s1, 1, s43
	s_and_b32 s8, s0, s44
	s_or_b32 s1, s8, s1
	s_or_b32 s8, s3, s51
	s_mov_b64 s[28:29], 0
	s_mov_b32 s52, 8
.LBB83_164:                             ;   in Loop: Header=BB83_21 Depth=1
	s_andn2_b64 vcc, exec, s[28:29]
	s_cbranch_vccnz .LBB83_166
; %bb.165:                              ;   in Loop: Header=BB83_21 Depth=1
	s_sub_i32 s35, s35, s34
	s_mov_b64 s[28:29], -1
	s_mov_b32 s52, 0
	s_mov_b32 s1, s0
	s_mov_b32 s8, s3
.LBB83_166:                             ;   in Loop: Header=BB83_21 Depth=1
	s_mov_b32 s3, s8
	s_mov_b32 s0, s1
	;; [unrolled: 1-line block ×3, first 2 shown]
	s_andn2_b64 vcc, exec, s[28:29]
	s_mov_b64 s[40:41], -1
	s_cbranch_vccz .LBB83_169
.LBB83_167:                             ;   in Loop: Header=BB83_21 Depth=1
                                        ; implicit-def: $sgpr28_sgpr29
                                        ; implicit-def: $sgpr30_sgpr31
                                        ; implicit-def: $sgpr26_sgpr27
	s_branch .LBB83_251
.LBB83_168:                             ;   in Loop: Header=BB83_21 Depth=1
	s_mov_b32 s52, 1
	s_andn2_b64 vcc, exec, s[28:29]
	s_mov_b64 s[40:41], -1
	s_cbranch_vccnz .LBB83_167
.LBB83_169:                             ;   in Loop: Header=BB83_21 Depth=1
	s_cmp_eq_u32 s42, 1
	s_cselect_b64 s[8:9], -1, 0
	s_cmp_eq_u32 s45, 1
	s_cselect_b64 s[26:27], -1, 0
	s_and_b64 s[36:37], s[8:9], s[26:27]
	s_mov_b64 s[38:39], -1
	s_and_b64 vcc, exec, s[36:37]
	s_cbranch_vccz .LBB83_181
; %bb.170:                              ;   in Loop: Header=BB83_21 Depth=1
	ds_read_b32 v2, v23 offset:4104
	s_waitcnt lgkmcnt(0)
	s_barrier
	v_readfirstlane_b32 s1, v2
	s_and_saveexec_b64 s[26:27], s[6:7]
	s_cbranch_execz .LBB83_172
; %bb.171:                              ;   in Loop: Header=BB83_21 Depth=1
	ds_write_b8 v0, v23 offset:3072
.LBB83_172:                             ;   in Loop: Header=BB83_21 Depth=1
	s_or_b64 exec, exec, s[26:27]
	s_lshl_b32 s8, 2, s43
	s_and_b32 s0, s0, s44
	s_or_b32 s0, s0, s8
	s_or_b32 s3, s3, s51
	s_cmp_eq_u32 s1, 0
	s_waitcnt lgkmcnt(0)
	s_barrier
	s_cbranch_scc1 .LBB83_182
; %bb.173:                              ;   in Loop: Header=BB83_21 Depth=1
	v_readlane_b32 s8, v42, 10
	s_add_i32 s8, s1, s8
	v_readlane_b32 s9, v42, 31
	s_mul_hi_u32 s9, s8, s9
	s_mul_i32 s9, s9, s59
	s_sub_i32 s9, s8, s9
	s_sub_i32 s26, s9, s59
	s_cmp_ge_u32 s9, s59
	s_cselect_b32 s9, s26, s9
	s_sub_i32 s26, s9, s59
	s_cmp_ge_u32 s9, s59
	s_cselect_b32 s9, s26, s9
	s_sub_i32 s8, s8, s9
	v_cmp_gt_u32_e32 vcc, s8, v0
	s_mov_b64 s[38:39], 0
                                        ; implicit-def: $vgpr25
	s_and_saveexec_b64 s[26:27], vcc
	s_cbranch_execz .LBB83_184
; %bb.174:                              ;   in Loop: Header=BB83_21 Depth=1
	s_mov_b64 s[28:29], 0
	v_mov_b32_e32 v2, v0
                                        ; implicit-def: $sgpr30_sgpr31
	s_branch .LBB83_176
.LBB83_175:                             ;   in Loop: Header=BB83_176 Depth=2
	s_or_b64 exec, exec, s[34:35]
	s_waitcnt lgkmcnt(0)
	s_barrier
	ds_read_u16 v3, v23 offset:3072
	v_add_u32_e32 v2, s59, v2
	v_cmp_le_u32_e32 vcc, s8, v2
	s_waitcnt lgkmcnt(0)
	s_barrier
	v_cmp_ne_u16_sdwa s[34:35], v3, v23 src0_sel:BYTE_0 src1_sel:DWORD
	s_or_b64 s[38:39], vcc, s[34:35]
	s_and_b64 s[38:39], exec, s[38:39]
	s_or_b64 s[28:29], s[38:39], s[28:29]
	s_andn2_b64 s[30:31], s[30:31], exec
	s_and_b64 s[34:35], s[34:35], exec
	s_or_b64 s[30:31], s[30:31], s[34:35]
	s_andn2_b64 exec, exec, s[28:29]
	s_cbranch_execz .LBB83_183
.LBB83_176:                             ;   Parent Loop BB83_21 Depth=1
                                        ; =>  This Inner Loop Header: Depth=2
	v_cmp_gt_u32_e32 vcc, s1, v2
	v_mov_b32_e32 v3, 0
	s_and_saveexec_b64 s[34:35], vcc
	s_cbranch_execz .LBB83_178
; %bb.177:                              ;   in Loop: Header=BB83_176 Depth=2
	ds_read_u8 v3, v2
.LBB83_178:                             ;   in Loop: Header=BB83_176 Depth=2
	s_or_b64 exec, exec, s[34:35]
	s_and_saveexec_b64 s[34:35], vcc
	s_cbranch_execz .LBB83_175
; %bb.179:                              ;   in Loop: Header=BB83_176 Depth=2
	s_waitcnt lgkmcnt(0)
	v_add_u32_sdwa v4, sext(v3), s74 dst_sel:DWORD dst_unused:UNUSED_PAD src0_sel:BYTE_0 src1_sel:DWORD
	v_and_b32_e32 v4, s3, v4
	v_cmp_eq_u32_e32 vcc, s0, v4
	s_and_b64 exec, exec, vcc
	s_cbranch_execz .LBB83_175
; %bb.180:                              ;   in Loop: Header=BB83_176 Depth=2
	v_lshlrev_b16_e32 v3, 8, v3
	v_or_b32_e32 v3, 1, v3
	ds_write_b16 v23, v3 offset:3072
	s_branch .LBB83_175
.LBB83_181:                             ;   in Loop: Header=BB83_21 Depth=1
                                        ; implicit-def: $sgpr26_sgpr27
                                        ; implicit-def: $sgpr30_sgpr31
                                        ; implicit-def: $sgpr28_sgpr29
	s_branch .LBB83_195
.LBB83_182:                             ;   in Loop: Header=BB83_21 Depth=1
	s_mov_b64 s[26:27], -1
	s_mov_b64 s[38:39], 0
                                        ; implicit-def: $sgpr28_sgpr29
                                        ; implicit-def: $vgpr25
	s_mov_b64 s[30:31], s[26:27]
	s_cbranch_execnz .LBB83_185
	s_branch .LBB83_195
.LBB83_183:                             ;   in Loop: Header=BB83_21 Depth=1
	s_or_b64 exec, exec, s[28:29]
	v_lshrrev_b16_e32 v25, 8, v3
	s_and_b64 s[38:39], s[30:31], exec
.LBB83_184:                             ;   in Loop: Header=BB83_21 Depth=1
	s_or_b64 exec, exec, s[26:27]
	s_mov_b64 s[28:29], -1
	s_mov_b64 s[26:27], 0
	s_mov_b64 s[30:31], s[26:27]
	s_branch .LBB83_195
.LBB83_185:                             ;   in Loop: Header=BB83_21 Depth=1
	s_mov_b64 s[38:39], 0
                                        ; implicit-def: $vgpr25
	s_mov_b64 s[26:27], exec
	v_readlane_b32 s8, v42, 32
	v_readlane_b32 s9, v42, 33
	s_and_b64 s[8:9], s[26:27], s[8:9]
	s_mov_b64 exec, s[8:9]
	s_cbranch_execz .LBB83_194
; %bb.186:                              ;   in Loop: Header=BB83_21 Depth=1
	s_mov_b64 s[28:29], 0
	v_mov_b32_e32 v2, v9
	v_mov_b32_e32 v3, v0
                                        ; implicit-def: $sgpr30_sgpr31
	s_branch .LBB83_188
.LBB83_187:                             ;   in Loop: Header=BB83_188 Depth=2
	s_or_b64 exec, exec, s[34:35]
	s_waitcnt lgkmcnt(0)
	s_barrier
	s_waitcnt vmcnt(0)
	ds_read_u16 v4, v23 offset:3072
	v_add_u32_e32 v3, s59, v3
	v_cmp_le_u32_e32 vcc, s12, v3
	v_add_u32_e32 v2, s78, v2
	s_waitcnt lgkmcnt(0)
	v_cmp_ne_u16_sdwa s[8:9], v4, v23 src0_sel:BYTE_0 src1_sel:DWORD
	s_or_b64 s[34:35], vcc, s[8:9]
	s_and_b64 s[34:35], exec, s[34:35]
	s_or_b64 s[28:29], s[34:35], s[28:29]
	s_andn2_b64 s[30:31], s[30:31], exec
	s_and_b64 s[8:9], s[8:9], exec
	s_or_b64 s[30:31], s[30:31], s[8:9]
	s_barrier
	s_andn2_b64 exec, exec, s[28:29]
	s_cbranch_execz .LBB83_193
.LBB83_188:                             ;   Parent Loop BB83_21 Depth=1
                                        ; =>  This Inner Loop Header: Depth=2
	v_cmp_gt_u32_e32 vcc, s56, v3
	v_mov_b32_e32 v4, 0
	s_and_saveexec_b64 s[34:35], vcc
	s_cbranch_execz .LBB83_190
; %bb.189:                              ;   in Loop: Header=BB83_188 Depth=2
	global_load_ubyte v4, v2, s[66:67]
.LBB83_190:                             ;   in Loop: Header=BB83_188 Depth=2
	s_or_b64 exec, exec, s[34:35]
	s_and_saveexec_b64 s[34:35], vcc
	s_cbranch_execz .LBB83_187
; %bb.191:                              ;   in Loop: Header=BB83_188 Depth=2
	s_waitcnt vmcnt(0)
	v_add_u32_sdwa v5, sext(v4), s74 dst_sel:DWORD dst_unused:UNUSED_PAD src0_sel:BYTE_0 src1_sel:DWORD
	v_and_b32_e32 v5, s3, v5
	v_cmp_eq_u32_e32 vcc, s0, v5
	s_and_b64 exec, exec, vcc
	s_cbranch_execz .LBB83_187
; %bb.192:                              ;   in Loop: Header=BB83_188 Depth=2
	v_lshlrev_b16_e32 v4, 8, v4
	v_or_b32_e32 v4, 1, v4
	ds_write_b16 v23, v4 offset:3072
	s_branch .LBB83_187
.LBB83_193:                             ;   in Loop: Header=BB83_21 Depth=1
	s_or_b64 exec, exec, s[28:29]
	v_lshrrev_b16_e32 v25, 8, v4
	s_and_b64 s[38:39], s[30:31], exec
.LBB83_194:                             ;   in Loop: Header=BB83_21 Depth=1
	s_or_b64 exec, exec, s[26:27]
	s_mov_b64 s[30:31], -1
	s_mov_b64 s[26:27], 0
	s_mov_b64 s[28:29], 0
.LBB83_195:                             ;   in Loop: Header=BB83_21 Depth=1
	s_mov_b64 s[40:41], 0
                                        ; implicit-def: $sgpr52
	s_and_saveexec_b64 s[34:35], s[38:39]
	s_cbranch_execz .LBB83_250
; %bb.196:                              ;   in Loop: Header=BB83_21 Depth=1
	s_xor_b64 s[8:9], s[36:37], -1
	s_mov_b64 s[38:39], 0
	s_andn2_b64 vcc, exec, s[8:9]
	s_mov_b32 s1, 1
	s_cbranch_vccnz .LBB83_207
; %bb.197:                              ;   in Loop: Header=BB83_21 Depth=1
	s_cmp_gt_u32 s45, s42
	s_mov_b64 s[38:39], -1
                                        ; implicit-def: $sgpr52
                                        ; implicit-def: $sgpr1
                                        ; implicit-def: $sgpr8
	s_cbranch_scc1 .LBB83_203
; %bb.198:                              ;   in Loop: Header=BB83_21 Depth=1
	ds_read_b32 v2, v23 offset:4104
	s_waitcnt lgkmcnt(0)
	v_cmp_ne_u32_e32 vcc, 0, v2
	s_cbranch_vccnz .LBB83_202
; %bb.199:                              ;   in Loop: Header=BB83_21 Depth=1
	s_mov_b64 s[36:37], exec
	v_readlane_b32 s8, v42, 2
	v_readlane_b32 s9, v42, 3
	s_and_b64 s[8:9], s[36:37], s[8:9]
	s_mov_b64 exec, s[8:9]
	s_cbranch_execz .LBB83_201
; %bb.200:                              ;   in Loop: Header=BB83_21 Depth=1
	v_mov_b32_e32 v2, s42
	ds_write_b32 v23, v2 offset:4108
.LBB83_201:                             ;   in Loop: Header=BB83_21 Depth=1
	s_or_b64 exec, exec, s[36:37]
	s_waitcnt lgkmcnt(0)
	s_barrier
.LBB83_202:                             ;   in Loop: Header=BB83_21 Depth=1
	s_lshl_b32 s1, 2, s43
	s_and_b32 s8, s0, s44
	s_or_b32 s1, s8, s1
	s_or_b32 s8, s3, s51
	s_mov_b64 s[38:39], 0
	s_mov_b32 s52, 8
.LBB83_203:                             ;   in Loop: Header=BB83_21 Depth=1
	s_andn2_b64 vcc, exec, s[38:39]
	s_cbranch_vccnz .LBB83_205
; %bb.204:                              ;   in Loop: Header=BB83_21 Depth=1
	s_sub_i32 s45, s45, s42
	s_mov_b64 s[38:39], -1
	s_mov_b32 s52, 0
	s_mov_b32 s1, s0
	;; [unrolled: 1-line block ×3, first 2 shown]
.LBB83_205:                             ;   in Loop: Header=BB83_21 Depth=1
	s_mov_b32 s3, s8
	s_mov_b32 s0, s1
	;; [unrolled: 1-line block ×3, first 2 shown]
	s_andn2_b64 vcc, exec, s[38:39]
	s_mov_b64 s[48:49], -1
	s_cbranch_vccz .LBB83_208
.LBB83_206:                             ;   in Loop: Header=BB83_21 Depth=1
                                        ; implicit-def: $sgpr38_sgpr39
                                        ; implicit-def: $sgpr42_sgpr43
                                        ; implicit-def: $sgpr40_sgpr41
	s_branch .LBB83_249
.LBB83_207:                             ;   in Loop: Header=BB83_21 Depth=1
	s_mov_b32 s52, 1
	s_andn2_b64 vcc, exec, s[38:39]
	s_mov_b64 s[48:49], -1
	s_cbranch_vccnz .LBB83_206
.LBB83_208:                             ;   in Loop: Header=BB83_21 Depth=1
	s_cmp_eq_u32 s50, 1
	s_cselect_b64 s[8:9], -1, 0
	s_cmp_eq_u32 s1, 1
	s_cselect_b64 s[36:37], -1, 0
	s_and_b64 s[36:37], s[8:9], s[36:37]
	s_mov_b64 s[44:45], -1
	s_and_b64 vcc, exec, s[36:37]
	s_cbranch_vccz .LBB83_220
; %bb.209:                              ;   in Loop: Header=BB83_21 Depth=1
	ds_read_b32 v2, v23 offset:4104
	s_waitcnt lgkmcnt(0)
	s_barrier
	v_readfirstlane_b32 s8, v2
	s_and_saveexec_b64 s[38:39], s[6:7]
	s_cbranch_execz .LBB83_211
; %bb.210:                              ;   in Loop: Header=BB83_21 Depth=1
	ds_write_b8 v0, v23 offset:3072
.LBB83_211:                             ;   in Loop: Header=BB83_21 Depth=1
	s_or_b64 exec, exec, s[38:39]
	s_or_b32 s0, s0, s51
	s_or_b32 s3, s3, s51
	s_cmp_eq_u32 s8, 0
	s_waitcnt lgkmcnt(0)
	s_barrier
	s_cbranch_scc1 .LBB83_221
; %bb.212:                              ;   in Loop: Header=BB83_21 Depth=1
	v_readlane_b32 s9, v42, 10
	s_add_i32 s9, s8, s9
	v_readlane_b32 s38, v42, 31
	s_mul_hi_u32 s38, s9, s38
	s_mul_i32 s38, s38, s59
	s_sub_i32 s38, s9, s38
	s_sub_i32 s39, s38, s59
	s_cmp_ge_u32 s38, s59
	s_cselect_b32 s38, s39, s38
	s_sub_i32 s39, s38, s59
	s_cmp_ge_u32 s38, s59
	s_cselect_b32 s38, s39, s38
	s_sub_i32 s9, s9, s38
	v_cmp_gt_u32_e32 vcc, s9, v0
	s_mov_b64 s[44:45], 0
                                        ; implicit-def: $vgpr25
	s_and_saveexec_b64 s[38:39], vcc
	s_cbranch_execz .LBB83_223
; %bb.213:                              ;   in Loop: Header=BB83_21 Depth=1
	v_mov_b32_e32 v2, v0
                                        ; implicit-def: $sgpr42_sgpr43
	s_branch .LBB83_215
.LBB83_214:                             ;   in Loop: Header=BB83_215 Depth=2
	s_or_b64 exec, exec, s[44:45]
	s_waitcnt lgkmcnt(0)
	s_barrier
	ds_read_u16 v3, v23 offset:3072
	v_add_u32_e32 v2, s59, v2
	v_cmp_le_u32_e32 vcc, s9, v2
	s_waitcnt lgkmcnt(0)
	s_barrier
	v_cmp_ne_u16_sdwa s[44:45], v3, v23 src0_sel:BYTE_0 src1_sel:DWORD
	s_or_b64 s[46:47], vcc, s[44:45]
	s_and_b64 s[46:47], exec, s[46:47]
	s_or_b64 s[40:41], s[46:47], s[40:41]
	s_andn2_b64 s[42:43], s[42:43], exec
	s_and_b64 s[44:45], s[44:45], exec
	s_or_b64 s[42:43], s[42:43], s[44:45]
	s_andn2_b64 exec, exec, s[40:41]
	s_cbranch_execz .LBB83_222
.LBB83_215:                             ;   Parent Loop BB83_21 Depth=1
                                        ; =>  This Inner Loop Header: Depth=2
	v_cmp_gt_u32_e32 vcc, s8, v2
	v_mov_b32_e32 v3, 0
	s_and_saveexec_b64 s[44:45], vcc
	s_cbranch_execz .LBB83_217
; %bb.216:                              ;   in Loop: Header=BB83_215 Depth=2
	ds_read_u8 v3, v2
.LBB83_217:                             ;   in Loop: Header=BB83_215 Depth=2
	s_or_b64 exec, exec, s[44:45]
	s_and_saveexec_b64 s[44:45], vcc
	s_cbranch_execz .LBB83_214
; %bb.218:                              ;   in Loop: Header=BB83_215 Depth=2
	s_waitcnt lgkmcnt(0)
	v_add_u32_sdwa v4, sext(v3), s74 dst_sel:DWORD dst_unused:UNUSED_PAD src0_sel:BYTE_0 src1_sel:DWORD
	v_and_b32_e32 v4, s3, v4
	v_cmp_eq_u32_e32 vcc, s0, v4
	s_and_b64 exec, exec, vcc
	s_cbranch_execz .LBB83_214
; %bb.219:                              ;   in Loop: Header=BB83_215 Depth=2
	v_lshlrev_b16_e32 v3, 8, v3
	v_or_b32_e32 v3, 1, v3
	ds_write_b16 v23, v3 offset:3072
	s_branch .LBB83_214
.LBB83_220:                             ;   in Loop: Header=BB83_21 Depth=1
                                        ; implicit-def: $sgpr38_sgpr39
                                        ; implicit-def: $sgpr42_sgpr43
                                        ; implicit-def: $sgpr40_sgpr41
	s_branch .LBB83_234
.LBB83_221:                             ;   in Loop: Header=BB83_21 Depth=1
	s_mov_b64 s[38:39], -1
	s_mov_b64 s[44:45], 0
                                        ; implicit-def: $sgpr40_sgpr41
                                        ; implicit-def: $vgpr25
	s_mov_b64 s[42:43], s[38:39]
	s_cbranch_execnz .LBB83_224
	s_branch .LBB83_234
.LBB83_222:                             ;   in Loop: Header=BB83_21 Depth=1
	s_or_b64 exec, exec, s[40:41]
	v_lshrrev_b16_e32 v25, 8, v3
	s_and_b64 s[44:45], s[42:43], exec
.LBB83_223:                             ;   in Loop: Header=BB83_21 Depth=1
	s_or_b64 exec, exec, s[38:39]
	s_mov_b64 s[40:41], -1
	s_mov_b64 s[38:39], 0
	s_mov_b64 s[42:43], s[38:39]
	s_branch .LBB83_234
.LBB83_224:                             ;   in Loop: Header=BB83_21 Depth=1
	s_mov_b64 s[44:45], 0
                                        ; implicit-def: $vgpr25
	s_mov_b64 s[38:39], exec
	v_readlane_b32 s8, v42, 32
	v_readlane_b32 s9, v42, 33
	s_and_b64 s[8:9], s[38:39], s[8:9]
	s_mov_b64 exec, s[8:9]
	s_cbranch_execz .LBB83_233
; %bb.225:                              ;   in Loop: Header=BB83_21 Depth=1
	s_mov_b64 s[40:41], 0
	v_mov_b32_e32 v2, v9
	v_mov_b32_e32 v3, v0
                                        ; implicit-def: $sgpr42_sgpr43
	s_branch .LBB83_227
.LBB83_226:                             ;   in Loop: Header=BB83_227 Depth=2
	s_or_b64 exec, exec, s[44:45]
	s_waitcnt lgkmcnt(0)
	s_barrier
	s_waitcnt vmcnt(0)
	ds_read_u16 v4, v23 offset:3072
	v_add_u32_e32 v3, s59, v3
	v_cmp_le_u32_e32 vcc, s12, v3
	v_add_u32_e32 v2, s78, v2
	s_waitcnt lgkmcnt(0)
	v_cmp_ne_u16_sdwa s[8:9], v4, v23 src0_sel:BYTE_0 src1_sel:DWORD
	s_or_b64 s[44:45], vcc, s[8:9]
	s_and_b64 s[44:45], exec, s[44:45]
	s_or_b64 s[40:41], s[44:45], s[40:41]
	s_andn2_b64 s[42:43], s[42:43], exec
	s_and_b64 s[8:9], s[8:9], exec
	s_or_b64 s[42:43], s[42:43], s[8:9]
	s_barrier
	s_andn2_b64 exec, exec, s[40:41]
	s_cbranch_execz .LBB83_232
.LBB83_227:                             ;   Parent Loop BB83_21 Depth=1
                                        ; =>  This Inner Loop Header: Depth=2
	v_cmp_gt_u32_e32 vcc, s56, v3
	v_mov_b32_e32 v4, 0
	s_and_saveexec_b64 s[44:45], vcc
	s_cbranch_execz .LBB83_229
; %bb.228:                              ;   in Loop: Header=BB83_227 Depth=2
	global_load_ubyte v4, v2, s[66:67]
.LBB83_229:                             ;   in Loop: Header=BB83_227 Depth=2
	s_or_b64 exec, exec, s[44:45]
	s_and_saveexec_b64 s[44:45], vcc
	s_cbranch_execz .LBB83_226
; %bb.230:                              ;   in Loop: Header=BB83_227 Depth=2
	s_waitcnt vmcnt(0)
	v_add_u32_sdwa v5, sext(v4), s74 dst_sel:DWORD dst_unused:UNUSED_PAD src0_sel:BYTE_0 src1_sel:DWORD
	v_and_b32_e32 v5, s3, v5
	v_cmp_eq_u32_e32 vcc, s0, v5
	s_and_b64 exec, exec, vcc
	s_cbranch_execz .LBB83_226
; %bb.231:                              ;   in Loop: Header=BB83_227 Depth=2
	v_lshlrev_b16_e32 v4, 8, v4
	v_or_b32_e32 v4, 1, v4
	ds_write_b16 v23, v4 offset:3072
	s_branch .LBB83_226
.LBB83_232:                             ;   in Loop: Header=BB83_21 Depth=1
	s_or_b64 exec, exec, s[40:41]
	v_lshrrev_b16_e32 v25, 8, v4
	s_and_b64 s[44:45], s[42:43], exec
.LBB83_233:                             ;   in Loop: Header=BB83_21 Depth=1
	s_or_b64 exec, exec, s[38:39]
	s_mov_b64 s[42:43], -1
	s_mov_b64 s[38:39], 0
	s_mov_b64 s[40:41], 0
.LBB83_234:                             ;   in Loop: Header=BB83_21 Depth=1
	s_mov_b64 s[48:49], 0
                                        ; implicit-def: $sgpr52
	s_and_saveexec_b64 s[46:47], s[44:45]
	s_cbranch_execz .LBB83_248
; %bb.235:                              ;   in Loop: Header=BB83_21 Depth=1
	s_xor_b64 s[8:9], s[36:37], -1
	s_andn2_b64 vcc, exec, s[8:9]
	s_mov_b32 s52, 1
	s_cbranch_vccnz .LBB83_242
; %bb.236:                              ;   in Loop: Header=BB83_21 Depth=1
	s_cmp_gt_u32 s1, s50
	s_cbranch_scc1 .LBB83_243
; %bb.237:                              ;   in Loop: Header=BB83_21 Depth=1
	ds_read_b32 v2, v23 offset:4104
	s_waitcnt lgkmcnt(0)
	v_cmp_ne_u32_e32 vcc, 0, v2
	s_cbranch_vccnz .LBB83_241
; %bb.238:                              ;   in Loop: Header=BB83_21 Depth=1
	s_mov_b64 s[36:37], exec
	v_readlane_b32 s8, v42, 2
	v_readlane_b32 s9, v42, 3
	s_and_b64 s[8:9], s[36:37], s[8:9]
	s_mov_b64 exec, s[8:9]
	s_cbranch_execz .LBB83_240
; %bb.239:                              ;   in Loop: Header=BB83_21 Depth=1
	v_mov_b32_e32 v2, s50
	ds_write_b32 v23, v2 offset:4108
.LBB83_240:                             ;   in Loop: Header=BB83_21 Depth=1
	s_or_b64 exec, exec, s[36:37]
	s_waitcnt lgkmcnt(0)
	s_barrier
.LBB83_241:                             ;   in Loop: Header=BB83_21 Depth=1
	s_or_b32 s8, s0, s51
	s_or_b32 s9, s3, s51
	s_mov_b64 s[36:37], 0
	s_mov_b32 s52, 8
	s_branch .LBB83_244
.LBB83_242:                             ;   in Loop: Header=BB83_21 Depth=1
	s_mov_b32 s1, 1
	s_branch .LBB83_247
.LBB83_243:                             ;   in Loop: Header=BB83_21 Depth=1
	s_mov_b64 s[36:37], -1
                                        ; implicit-def: $sgpr52
                                        ; implicit-def: $sgpr8
                                        ; implicit-def: $sgpr9
.LBB83_244:                             ;   in Loop: Header=BB83_21 Depth=1
	s_andn2_b64 vcc, exec, s[36:37]
	s_cbranch_vccnz .LBB83_246
; %bb.245:                              ;   in Loop: Header=BB83_21 Depth=1
	s_sub_i32 s1, s1, s50
	s_mov_b32 s52, 8
	s_mov_b32 s8, s0
	;; [unrolled: 1-line block ×3, first 2 shown]
.LBB83_246:                             ;   in Loop: Header=BB83_21 Depth=1
	s_mov_b32 s0, s8
	s_mov_b32 s3, s9
.LBB83_247:                             ;   in Loop: Header=BB83_21 Depth=1
	s_mov_b64 s[48:49], exec
.LBB83_248:                             ;   in Loop: Header=BB83_21 Depth=1
	s_or_b64 exec, exec, s[46:47]
.LBB83_249:                             ;   in Loop: Header=BB83_21 Depth=1
	s_andn2_b64 s[8:9], s[26:27], exec
	s_and_b64 s[26:27], s[38:39], exec
	s_or_b64 s[26:27], s[8:9], s[26:27]
	s_andn2_b64 s[8:9], s[30:31], exec
	s_and_b64 s[30:31], s[42:43], exec
	s_or_b64 s[30:31], s[8:9], s[30:31]
	;; [unrolled: 3-line block ×3, first 2 shown]
	s_and_b64 s[40:41], s[48:49], exec
	s_mov_b32 s45, s1
.LBB83_250:                             ;   in Loop: Header=BB83_21 Depth=1
	s_or_b64 exec, exec, s[34:35]
.LBB83_251:                             ;   in Loop: Header=BB83_21 Depth=1
	s_andn2_b64 s[8:9], s[20:21], exec
	s_and_b64 s[20:21], s[26:27], exec
	s_or_b64 s[20:21], s[8:9], s[20:21]
	s_andn2_b64 s[8:9], s[22:23], exec
	s_and_b64 s[22:23], s[30:31], exec
	s_or_b64 s[22:23], s[8:9], s[22:23]
	;; [unrolled: 3-line block ×3, first 2 shown]
	s_and_b64 s[30:31], s[40:41], exec
	s_mov_b32 s35, s45
.LBB83_252:                             ;   in Loop: Header=BB83_21 Depth=1
	s_or_b64 exec, exec, s[24:25]
                                        ; implicit-def: $sgpr1
	s_and_saveexec_b64 s[8:9], s[30:31]
	s_xor_b64 s[24:25], exec, s[8:9]
	s_cbranch_execz .LBB83_19
.LBB83_253:                             ;   in Loop: Header=BB83_21 Depth=1
	s_and_b32 s1, s52, -9
	s_cmp_eq_u32 s1, 0
	s_cbranch_scc1 .LBB83_17
; %bb.254:                              ;   in Loop: Header=BB83_21 Depth=1
	s_mov_b64 s[16:17], -1
                                        ; implicit-def: $sgpr3
                                        ; implicit-def: $sgpr35
                                        ; implicit-def: $sgpr75
                                        ; implicit-def: $sgpr2
	s_mov_b64 s[26:27], -1
	s_branch .LBB83_18
.LBB83_255:
	s_or_b64 exec, exec, s[88:89]
	s_xor_b64 s[8:9], s[94:95], -1
	s_xor_b64 s[0:1], s[90:91], -1
	;; [unrolled: 1-line block ×3, first 2 shown]
	s_mov_b64 s[4:5], 0
	s_and_saveexec_b64 s[2:3], s[0:1]
	s_xor_b64 s[0:1], exec, s[2:3]
	s_cbranch_execnz .LBB83_260
; %bb.256:
	s_andn2_saveexec_b64 s[0:1], s[0:1]
	s_cbranch_execnz .LBB83_273
.LBB83_257:
	s_or_b64 exec, exec, s[0:1]
	s_and_saveexec_b64 s[0:1], s[4:5]
.LBB83_258:
	; divergent unreachable
.LBB83_259:
	s_endpgm
.LBB83_260:
	s_and_saveexec_b64 s[2:3], s[8:9]
	s_xor_b64 s[4:5], exec, s[2:3]
	s_cbranch_execz .LBB83_271
; %bb.261:
	s_and_saveexec_b64 s[2:3], s[6:7]
	s_xor_b64 s[6:7], exec, s[2:3]
; %bb.262:
	v_xor_b32_e32 v25, 0xffffff80, v2
; %bb.263:
	s_or_b64 exec, exec, s[6:7]
	v_readlane_b32 s2, v42, 0
	s_mul_i32 s2, s2, s33
	s_add_i32 s2, s2, s61
	v_mov_b32_e32 v1, s2
	v_readlane_b32 s2, v42, 4
	v_readlane_b32 s3, v42, 5
	s_nop 4
	global_store_byte v1, v25, s[2:3]
	s_mov_b64 s[6:7], exec
	v_readlane_b32 s2, v42, 8
	v_readlane_b32 s3, v42, 9
	s_and_b64 s[2:3], s[6:7], s[2:3]
	s_mov_b64 exec, s[2:3]
	s_cbranch_execz .LBB83_270
; %bb.264:
	s_mov_b64 s[2:3], 0
                                        ; implicit-def: $sgpr8_sgpr9
                                        ; implicit-def: $sgpr12_sgpr13
                                        ; implicit-def: $sgpr10_sgpr11
	s_branch .LBB83_266
.LBB83_265:                             ;   in Loop: Header=BB83_266 Depth=1
	s_or_b64 exec, exec, s[14:15]
	s_and_b64 s[14:15], exec, s[12:13]
	s_or_b64 s[2:3], s[14:15], s[2:3]
	s_andn2_b64 s[8:9], s[8:9], exec
	s_and_b64 s[14:15], s[10:11], exec
	s_or_b64 s[8:9], s[8:9], s[14:15]
	s_andn2_b64 exec, exec, s[2:3]
	s_cbranch_execz .LBB83_268
.LBB83_266:                             ; =>This Inner Loop Header: Depth=1
	global_load_ubyte v1, v9, s[66:67]
	v_mov_b32_e32 v2, v0
	s_or_b64 s[10:11], s[10:11], exec
	s_or_b64 s[12:13], s[12:13], exec
                                        ; implicit-def: $vgpr0
	s_waitcnt vmcnt(0)
	v_cmp_ne_u16_sdwa s[16:17], v1, v25 src0_sel:DWORD src1_sel:BYTE_0
	s_and_saveexec_b64 s[14:15], s[16:17]
	s_cbranch_execz .LBB83_265
; %bb.267:                              ;   in Loop: Header=BB83_266 Depth=1
	v_add_u32_e32 v0, s59, v2
	v_cmp_le_u32_e32 vcc, s56, v0
	s_andn2_b64 s[12:13], s[12:13], exec
	s_and_b64 s[16:17], vcc, exec
	v_add_u32_e32 v9, s78, v9
	s_andn2_b64 s[10:11], s[10:11], exec
	s_or_b64 s[12:13], s[12:13], s[16:17]
	s_branch .LBB83_265
.LBB83_268:
	s_or_b64 exec, exec, s[2:3]
	s_and_saveexec_b64 s[2:3], s[8:9]
	s_xor_b64 s[2:3], exec, s[2:3]
	s_cbranch_execz .LBB83_270
; %bb.269:
	v_readlane_b32 s2, v42, 1
	s_mul_i32 s2, s2, s57
	s_add_i32 s2, s2, s63
	s_mov_b32 s3, 0
	s_lshl_b64 s[2:3], s[2:3], 3
	v_readlane_b32 s8, v42, 6
	v_readlane_b32 s9, v42, 7
	s_add_u32 s2, s8, s2
	s_addc_u32 s3, s9, s3
	v_mov_b32_e32 v3, 0
	global_store_dwordx2 v3, v[2:3], s[2:3]
.LBB83_270:
	s_or_b64 exec, exec, s[6:7]
.LBB83_271:
	s_or_saveexec_b64 s[2:3], s[4:5]
	s_mov_b64 s[4:5], 0
	s_xor_b64 exec, exec, s[2:3]
	s_cbranch_execnz .LBB83_274
.LBB83_272:
	s_or_b64 exec, exec, s[2:3]
	s_and_b64 s[4:5], s[4:5], exec
	s_andn2_saveexec_b64 s[0:1], s[0:1]
	s_cbranch_execz .LBB83_257
.LBB83_273:
	s_or_b64 s[4:5], s[4:5], exec
	s_trap 2
	s_or_b64 exec, exec, s[0:1]
	s_and_saveexec_b64 s[0:1], s[4:5]
	s_cbranch_execnz .LBB83_258
	s_branch .LBB83_259
.LBB83_274:
	s_mov_b64 s[4:5], exec
	s_trap 2
	s_branch .LBB83_272
	.section	.rodata,"a",@progbits
	.p2align	6, 0x0
	.amdhsa_kernel _ZN2at6native12_GLOBAL__N_112gatherMedianIajLin1EEEvNS_4cuda6detail10TensorInfoIT_T0_EENS5_IlS7_EENS5_IKS6_S7_EES7_S7_S7_b
		.amdhsa_group_segment_fixed_size 4120
		.amdhsa_private_segment_fixed_size 0
		.amdhsa_kernarg_size 920
		.amdhsa_user_sgpr_count 6
		.amdhsa_user_sgpr_private_segment_buffer 1
		.amdhsa_user_sgpr_dispatch_ptr 0
		.amdhsa_user_sgpr_queue_ptr 0
		.amdhsa_user_sgpr_kernarg_segment_ptr 1
		.amdhsa_user_sgpr_dispatch_id 0
		.amdhsa_user_sgpr_flat_scratch_init 0
		.amdhsa_user_sgpr_kernarg_preload_length 0
		.amdhsa_user_sgpr_kernarg_preload_offset 0
		.amdhsa_user_sgpr_private_segment_size 0
		.amdhsa_uses_dynamic_stack 0
		.amdhsa_system_sgpr_private_segment_wavefront_offset 0
		.amdhsa_system_sgpr_workgroup_id_x 1
		.amdhsa_system_sgpr_workgroup_id_y 1
		.amdhsa_system_sgpr_workgroup_id_z 1
		.amdhsa_system_sgpr_workgroup_info 0
		.amdhsa_system_vgpr_workitem_id 0
		.amdhsa_next_free_vgpr 43
		.amdhsa_next_free_sgpr 96
		.amdhsa_accum_offset 44
		.amdhsa_reserve_vcc 1
		.amdhsa_reserve_flat_scratch 0
		.amdhsa_float_round_mode_32 0
		.amdhsa_float_round_mode_16_64 0
		.amdhsa_float_denorm_mode_32 3
		.amdhsa_float_denorm_mode_16_64 3
		.amdhsa_dx10_clamp 1
		.amdhsa_ieee_mode 1
		.amdhsa_fp16_overflow 0
		.amdhsa_tg_split 0
		.amdhsa_exception_fp_ieee_invalid_op 0
		.amdhsa_exception_fp_denorm_src 0
		.amdhsa_exception_fp_ieee_div_zero 0
		.amdhsa_exception_fp_ieee_overflow 0
		.amdhsa_exception_fp_ieee_underflow 0
		.amdhsa_exception_fp_ieee_inexact 0
		.amdhsa_exception_int_div_zero 0
	.end_amdhsa_kernel
	.section	.text._ZN2at6native12_GLOBAL__N_112gatherMedianIajLin1EEEvNS_4cuda6detail10TensorInfoIT_T0_EENS5_IlS7_EENS5_IKS6_S7_EES7_S7_S7_b,"axG",@progbits,_ZN2at6native12_GLOBAL__N_112gatherMedianIajLin1EEEvNS_4cuda6detail10TensorInfoIT_T0_EENS5_IlS7_EENS5_IKS6_S7_EES7_S7_S7_b,comdat
.Lfunc_end83:
	.size	_ZN2at6native12_GLOBAL__N_112gatherMedianIajLin1EEEvNS_4cuda6detail10TensorInfoIT_T0_EENS5_IlS7_EENS5_IKS6_S7_EES7_S7_S7_b, .Lfunc_end83-_ZN2at6native12_GLOBAL__N_112gatherMedianIajLin1EEEvNS_4cuda6detail10TensorInfoIT_T0_EENS5_IlS7_EENS5_IKS6_S7_EES7_S7_S7_b
                                        ; -- End function
	.section	.AMDGPU.csdata,"",@progbits
; Kernel info:
; codeLenInByte = 9884
; NumSgprs: 100
; NumVgprs: 43
; NumAgprs: 0
; TotalNumVgprs: 43
; ScratchSize: 0
; MemoryBound: 0
; FloatMode: 240
; IeeeMode: 1
; LDSByteSize: 4120 bytes/workgroup (compile time only)
; SGPRBlocks: 12
; VGPRBlocks: 5
; NumSGPRsForWavesPerEU: 100
; NumVGPRsForWavesPerEU: 43
; AccumOffset: 44
; Occupancy: 8
; WaveLimiterHint : 1
; COMPUTE_PGM_RSRC2:SCRATCH_EN: 0
; COMPUTE_PGM_RSRC2:USER_SGPR: 6
; COMPUTE_PGM_RSRC2:TRAP_HANDLER: 0
; COMPUTE_PGM_RSRC2:TGID_X_EN: 1
; COMPUTE_PGM_RSRC2:TGID_Y_EN: 1
; COMPUTE_PGM_RSRC2:TGID_Z_EN: 1
; COMPUTE_PGM_RSRC2:TIDIG_COMP_CNT: 0
; COMPUTE_PGM_RSRC3_GFX90A:ACCUM_OFFSET: 10
; COMPUTE_PGM_RSRC3_GFX90A:TG_SPLIT: 0
	.section	.text._ZN2at6native12_GLOBAL__N_112gatherMedianIamLi1EEEvNS_4cuda6detail10TensorInfoIT_T0_EENS5_IlS7_EENS5_IKS6_S7_EES7_S7_S7_b,"axG",@progbits,_ZN2at6native12_GLOBAL__N_112gatherMedianIamLi1EEEvNS_4cuda6detail10TensorInfoIT_T0_EENS5_IlS7_EENS5_IKS6_S7_EES7_S7_S7_b,comdat
	.globl	_ZN2at6native12_GLOBAL__N_112gatherMedianIamLi1EEEvNS_4cuda6detail10TensorInfoIT_T0_EENS5_IlS7_EENS5_IKS6_S7_EES7_S7_S7_b ; -- Begin function _ZN2at6native12_GLOBAL__N_112gatherMedianIamLi1EEEvNS_4cuda6detail10TensorInfoIT_T0_EENS5_IlS7_EENS5_IKS6_S7_EES7_S7_S7_b
	.p2align	8
	.type	_ZN2at6native12_GLOBAL__N_112gatherMedianIamLi1EEEvNS_4cuda6detail10TensorInfoIT_T0_EENS5_IlS7_EENS5_IKS6_S7_EES7_S7_S7_b,@function
_ZN2at6native12_GLOBAL__N_112gatherMedianIamLi1EEEvNS_4cuda6detail10TensorInfoIT_T0_EENS5_IlS7_EENS5_IKS6_S7_EES7_S7_S7_b: ; @_ZN2at6native12_GLOBAL__N_112gatherMedianIamLi1EEEvNS_4cuda6detail10TensorInfoIT_T0_EENS5_IlS7_EENS5_IKS6_S7_EES7_S7_S7_b
; %bb.0:
	s_load_dwordx4 s[52:55], s[4:5], 0x4e0
	s_load_dwordx2 s[0:1], s[4:5], 0x500
	s_add_u32 s2, s4, 0x500
	s_addc_u32 s3, s5, 0
	s_mov_b32 s19, 0
	s_waitcnt lgkmcnt(0)
	v_mov_b32_e32 v2, s54
	s_mul_i32 s1, s1, s8
	s_add_i32 s1, s1, s7
	s_mul_i32 s1, s1, s0
	v_mov_b32_e32 v3, s55
	s_add_i32 s18, s1, s6
	v_cmp_ge_u64_e32 vcc, s[18:19], v[2:3]
	s_cbranch_vccnz .LBB84_280
; %bb.1:
	s_load_dwordx2 s[64:65], s[4:5], 0x4f0
	s_load_dwordx2 s[10:11], s[4:5], 0x410
	;; [unrolled: 1-line block ×3, first 2 shown]
	v_cmp_eq_u32_e64 s[14:15], 0, v0
	s_mov_b64 s[12:13], exec
                                        ; implicit-def: $vgpr44 : SGPR spill to VGPR lane
	v_writelane_b32 v44, s14, 0
	v_writelane_b32 v44, s15, 1
	s_and_b64 s[14:15], s[12:13], s[14:15]
	s_mov_b64 exec, s[14:15]
	s_cbranch_execz .LBB84_3
; %bb.2:
	v_mov_b32_e32 v2, 0
	v_mov_b32_e32 v3, v2
	ds_write_b64 v2, v[2:3] offset:5136
.LBB84_3:
	s_or_b64 exec, exec, s[12:13]
	s_load_dwordx2 s[12:13], s[4:5], 0x270
	v_mov_b32_e32 v13, 0
	s_waitcnt lgkmcnt(0)
	s_barrier
	v_writelane_b32 v44, s12, 2
	v_writelane_b32 v44, s13, 3
	s_load_dwordx2 s[12:13], s[4:5], 0x1a0
	s_waitcnt lgkmcnt(0)
	s_barrier
	ds_read_b64 v[2:3], v13 offset:5136
	v_writelane_b32 v44, s12, 4
	v_writelane_b32 v44, s13, 5
	s_load_dwordx2 s[12:13], s[4:5], 0xd0
	s_waitcnt lgkmcnt(0)
	v_writelane_b32 v44, s12, 6
	v_writelane_b32 v44, s13, 7
	s_load_dwordx2 s[12:13], s[4:5], 0x0
	s_waitcnt lgkmcnt(0)
	v_writelane_b32 v44, s12, 8
	v_writelane_b32 v44, s13, 9
	v_readfirstlane_b32 s12, v2
	v_readfirstlane_b32 s13, v3
	s_mov_b64 s[14:15], exec
	v_readlane_b32 s16, v44, 0
	v_readlane_b32 s17, v44, 1
	s_and_b64 s[16:17], s[14:15], s[16:17]
	s_mov_b64 exec, s[16:17]
	s_cbranch_execz .LBB84_5
; %bb.4:
	v_mov_b32_e32 v2, 0
	v_mov_b32_e32 v4, s52
	;; [unrolled: 1-line block ×4, first 2 shown]
	ds_write_b32 v2, v2 offset:5144
	ds_write_b128 v2, v[2:5] offset:5120
.LBB84_5:
	s_or_b64 exec, exec, s[14:15]
	s_load_dword s1, s[4:5], 0x4f8
	v_cmp_lt_i64_e64 s[4:5], s[12:13], 1
	s_mul_i32 s7, s11, s18
	v_mov_b32_e32 v1, 0
	v_mbcnt_lo_u32_b32 v2, -1, 0
	s_waitcnt lgkmcnt(0)
	s_bitcmp1_b32 s1, 0
	s_cselect_b64 s[14:15], -1, 0
	s_not_b64 s[12:13], s[12:13]
	s_or_b64 s[4:5], s[14:15], s[4:5]
	s_add_u32 s12, s12, s52
	s_addc_u32 s13, s13, s53
	s_lshr_b64 s[12:13], s[12:13], 1
	s_add_u32 s1, s12, 1
	s_addc_u32 s11, s13, 0
	s_and_b64 s[4:5], s[4:5], exec
	s_mov_b32 s4, s18
	s_cselect_b32 s42, s1, s52
	s_mul_hi_u32 s1, s10, s18
	v_writelane_b32 v44, s4, 10
	s_cselect_b32 s43, s11, s53
	s_add_i32 s1, s1, s7
	v_writelane_b32 v44, s5, 11
	s_mul_i32 s4, s10, s18
	s_add_u32 s82, s8, s4
	v_cmp_gt_u64_e64 s[4:5], s[52:53], v[0:1]
	v_mbcnt_hi_u32_b32 v30, -1, v2
	s_addc_u32 s83, s9, s1
	v_writelane_b32 v44, s4, 12
	v_cmp_gt_u32_e32 vcc, 64, v0
	v_cmp_gt_i32_e64 s[8:9], 4, v30
	v_writelane_b32 v44, s5, 13
	s_barrier
	s_and_b64 s[46:47], vcc, s[8:9]
	v_cmp_gt_u32_e64 s[8:9], 2, v0
	v_mov_b32_e32 v2, 0xc00
	s_load_dword s1, s[2:3], 0xc
	v_writelane_b32 v44, s8, 14
	v_mov_b32_e32 v3, 0
	v_writelane_b32 v44, s9, 15
	v_cmp_gt_u64_e64 s[8:9], s[52:53], v[2:3]
	v_writelane_b32 v44, s8, 16
	v_pk_mov_b32 v[4:5], s[82:83], s[82:83] op_sel:[0,1]
	v_writelane_b32 v44, s9, 17
	v_mad_u64_u32 v[2:3], s[8:9], v0, s64, 0
	v_mad_u64_u32 v[10:11], s[8:9], v0, s64, v[4:5]
	s_waitcnt lgkmcnt(0)
	s_and_b32 s33, s1, 0xffff
	s_bfe_u32 s7, s1, 0xa0006
	v_cmp_gt_u16_e64 s[8:9], s1, 63
	v_writelane_b32 v44, s8, 18
	s_add_u32 s1, s33, -1
	v_writelane_b32 v44, s9, 19
	s_addc_u32 s8, 0, -1
	s_add_u32 s85, s1, s52
	s_addc_u32 s55, s8, s53
	s_cmp_lt_u32 s6, s0
	s_cselect_b32 s0, 12, 18
	s_add_u32 s48, s2, s0
	v_writelane_b32 v44, s1, 20
	s_addc_u32 s49, s3, 0
	s_add_i32 s0, s7, -1
	s_bfe_u32 s1, s33, 0x30006
	s_cmp_gt_u32 s0, 6
	v_writelane_b32 v44, s8, 21
	s_cselect_b64 s[2:3], -1, 0
	v_lshrrev_b32_e32 v4, 4, v0
	v_writelane_b32 v44, s2, 22
	s_and_b32 s84, s7, 0x3f8
	v_and_b32_e32 v31, 60, v4
	v_lshlrev_b32_e32 v4, 2, v30
	v_writelane_b32 v44, s3, 23
	s_cmp_lg_u32 s1, 0
	v_lshlrev_b32_e32 v14, 2, v0
	v_and_b32_e32 v32, 0x100, v4
	v_lshlrev_b64 v[4:5], v30, -1
	v_writelane_b32 v44, s1, 24
	s_cselect_b64 s[0:1], -1, 0
	v_not_b32_e32 v17, v5
	v_writelane_b32 v44, s0, 25
	v_or_b32_e32 v5, 3, v14
	v_writelane_b32 v44, s1, 26
	v_mad_u64_u32 v[18:19], s[0:1], s64, v5, 0
	v_not_b32_e32 v16, v4
	v_mov_b32_e32 v4, v19
	v_mad_u64_u32 v[4:5], s[0:1], s65, v5, v[4:5]
	s_lshl_b64 s[0:1], s[64:65], 2
	v_writelane_b32 v44, s0, 27
	v_or_b32_e32 v5, 2, v14
	v_writelane_b32 v44, s1, 28
	v_mad_u64_u32 v[20:21], s[0:1], s64, v5, 0
	v_mov_b32_e32 v19, v4
	v_mov_b32_e32 v4, v21
	v_mad_u64_u32 v[4:5], s[0:1], s65, v5, v[4:5]
	v_mov_b32_e32 v21, v4
	v_pk_mov_b32 v[4:5], s[64:65], s[64:65] op_sel:[0,1]
	v_mad_u64_u32 v[22:23], s[0:1], s64, v14, v[4:5]
	v_writelane_b32 v44, s46, 29
	v_mul_lo_u32 v6, v0, s65
	v_mov_b32_e32 v4, v23
	v_writelane_b32 v44, s47, 30
	v_add_u32_e32 v3, v3, v6
	v_mad_u64_u32 v[4:5], s[0:1], s65, v14, v[4:5]
	v_writelane_b32 v44, s48, 31
	s_mov_b32 s69, 0
	v_cmp_eq_u32_e64 s[4:5], 0, v30
	v_lshlrev_b64 v[24:25], 2, v[2:3]
	v_mov_b32_e32 v2, 0xc00
	s_mul_i32 s0, s65, s33
	s_mul_hi_u32 s1, s64, s33
	v_writelane_b32 v44, s49, 32
	v_add_u32_e32 v11, v6, v11
	v_mov_b32_e32 v15, v1
	s_mov_b32 s74, s69
	s_mov_b32 s50, 6
	v_mov_b32_e32 v23, v4
	v_lshl_or_b32 v33, v30, 3, v2
	s_add_i32 s75, s1, s0
	s_mul_i32 s26, s64, s33
	s_mov_b64 s[86:87], 0
	s_movk_i32 s70, 0x80
	v_mov_b32_e32 v34, 0x4f800000
	v_mov_b32_e32 v35, 0
	s_mov_b32 s72, 0
	s_mov_b32 s79, 0
	;; [unrolled: 1-line block ×3, first 2 shown]
	v_writelane_b32 v44, s4, 33
                                        ; implicit-def: $sgpr90_sgpr91
                                        ; implicit-def: $sgpr94_sgpr95
                                        ; implicit-def: $sgpr92_sgpr93
                                        ; implicit-def: $sgpr56_sgpr57
                                        ; implicit-def: $sgpr58_sgpr59
                                        ; implicit-def: $sgpr60_sgpr61
	v_writelane_b32 v44, s5, 34
	s_branch .LBB84_10
.LBB84_6:                               ;   in Loop: Header=BB84_10 Depth=1
	s_xor_b32 s72, s72, 1
	s_add_i32 s8, s50, -2
	s_cmp_eq_u32 s50, 0
	s_mov_b64 s[2:3], 0
	s_cselect_b64 s[6:7], -1, 0
	s_mov_b32 s50, s8
.LBB84_7:                               ;   in Loop: Header=BB84_10 Depth=1
	s_andn2_b64 s[8:9], s[18:19], exec
	s_and_b64 s[2:3], s[2:3], exec
	s_or_b64 s[18:19], s[8:9], s[2:3]
	s_andn2_b64 s[20:21], s[20:21], exec
	s_andn2_b64 s[16:17], s[16:17], exec
	s_orn2_b64 s[12:13], s[6:7], exec
.LBB84_8:                               ;   in Loop: Header=BB84_10 Depth=1
	s_or_b64 exec, exec, s[0:1]
	s_andn2_b64 s[0:1], s[60:61], exec
	s_and_b64 s[2:3], s[18:19], exec
	s_or_b64 s[60:61], s[0:1], s[2:3]
	s_andn2_b64 s[0:1], s[58:59], exec
	s_and_b64 s[2:3], s[20:21], exec
	s_or_b64 s[58:59], s[0:1], s[2:3]
	;; [unrolled: 3-line block ×3, first 2 shown]
	s_orn2_b64 s[16:17], s[12:13], exec
.LBB84_9:                               ;   in Loop: Header=BB84_10 Depth=1
	s_or_b64 exec, exec, s[10:11]
	s_and_b64 s[0:1], exec, s[16:17]
	s_or_b64 s[86:87], s[0:1], s[86:87]
	s_andn2_b64 s[0:1], s[92:93], exec
	s_and_b64 s[2:3], s[60:61], exec
	s_or_b64 s[92:93], s[0:1], s[2:3]
	s_andn2_b64 s[0:1], s[94:95], exec
	s_and_b64 s[2:3], s[58:59], exec
	;; [unrolled: 3-line block ×3, first 2 shown]
	v_mov_b32_e32 v2, s79
	s_or_b64 s[90:91], s[0:1], s[2:3]
	s_andn2_b64 exec, exec, s[86:87]
	s_cbranch_execz .LBB84_276
.LBB84_10:                              ; =>This Loop Header: Depth=1
                                        ;     Child Loop BB84_15 Depth 2
                                        ;     Child Loop BB84_30 Depth 2
	;; [unrolled: 1-line block ×16, first 2 shown]
	ds_read_b128 v[2:5], v13 offset:5120
	s_waitcnt lgkmcnt(0)
	v_readfirstlane_b32 s63, v3
	v_readfirstlane_b32 s62, v2
	s_cmp_lg_u64 s[62:63], 0
	s_cbranch_scc1 .LBB84_37
; %bb.11:                               ;   in Loop: Header=BB84_10 Depth=1
	v_readlane_b32 s0, v44, 16
	v_readlane_b32 s1, v44, 17
	s_and_b64 vcc, exec, s[0:1]
	s_cbranch_vccz .LBB84_23
; %bb.12:                               ;   in Loop: Header=BB84_10 Depth=1
	s_mov_b64 s[0:1], 0xc01
	v_cmp_gt_u64_e32 vcc, s[0:1], v[4:5]
	s_mov_b64 s[62:63], 0
	s_mov_b64 s[0:1], 0
	s_cbranch_vccz .LBB84_24
; %bb.13:                               ;   in Loop: Header=BB84_10 Depth=1
	global_load_ushort v6, v13, s[48:49]
	global_load_ubyte v7, v[10:11], off
	v_pk_mov_b32 v[2:3], s[82:83], s[82:83] op_sel:[0,1]
	s_waitcnt vmcnt(1)
	v_readfirstlane_b32 s2, v6
	s_and_b32 s2, 0xffff, s2
	v_add_u32_e32 v5, s2, v0
	s_mul_i32 s6, s65, s2
	s_mul_hi_u32 s7, s64, s2
	s_mul_i32 s14, s64, s2
	v_mad_u64_u32 v[2:3], s[2:3], s64, v5, v[2:3]
	v_mov_b32_e32 v4, v3
	v_mad_u64_u32 v[4:5], s[2:3], s65, v5, v[4:5]
	s_add_i32 s15, s7, s6
	v_mov_b32_e32 v3, v4
	v_pk_mov_b32 v[4:5], v[0:1], v[0:1] op_sel:[0,1]
	s_branch .LBB84_15
.LBB84_14:                              ;   in Loop: Header=BB84_15 Depth=2
	s_or_b64 exec, exec, s[2:3]
	v_mov_b32_e32 v7, s15
	v_add_co_u32_e32 v2, vcc, s14, v2
	v_addc_co_u32_e32 v3, vcc, v3, v7, vcc
	v_mov_b32_e32 v7, v8
	s_andn2_b64 exec, exec, s[0:1]
	s_cbranch_execz .LBB84_140
.LBB84_15:                              ;   Parent Loop BB84_10 Depth=1
                                        ; =>  This Inner Loop Header: Depth=2
	v_add_co_u32_sdwa v4, vcc, v4, v6 dst_sel:DWORD dst_unused:UNUSED_PAD src0_sel:DWORD src1_sel:WORD_0
	v_addc_co_u32_e32 v5, vcc, 0, v5, vcc
	v_cmp_gt_u64_e64 s[6:7], s[52:53], v[4:5]
	v_cmp_le_u64_e32 vcc, s[52:53], v[4:5]
	s_waitcnt lgkmcnt(0)
	v_mov_b32_e32 v9, 0
	v_mov_b32_e32 v8, 0
	s_and_saveexec_b64 s[2:3], s[6:7]
	s_cbranch_execz .LBB84_17
; %bb.16:                               ;   in Loop: Header=BB84_15 Depth=2
	global_load_ubyte v8, v[2:3], off
.LBB84_17:                              ;   in Loop: Header=BB84_15 Depth=2
	s_or_b64 exec, exec, s[2:3]
	s_waitcnt vmcnt(0)
	v_add_u32_sdwa v12, sext(v7), s70 dst_sel:DWORD dst_unused:UNUSED_PAD src0_sel:BYTE_0 src1_sel:DWORD
	v_and_b32_e32 v12, s78, v12
	v_cmp_eq_u32_e64 s[10:11], s79, v12
	s_cmp_lg_u64 s[10:11], 0
	s_cselect_b64 s[2:3], -1, 0
	s_and_b64 s[6:7], s[4:5], s[2:3]
	s_and_saveexec_b64 s[2:3], s[6:7]
	s_cbranch_execz .LBB84_21
; %bb.18:                               ;   in Loop: Header=BB84_15 Depth=2
	s_mov_b64 s[12:13], exec
	v_mbcnt_lo_u32_b32 v9, s12, 0
	v_mbcnt_hi_u32_b32 v9, s13, v9
	s_bcnt1_i32_b64 s16, s[10:11]
	v_cmp_eq_u32_e64 s[6:7], 0, v9
                                        ; implicit-def: $vgpr12
	s_and_saveexec_b64 s[8:9], s[6:7]
	s_cbranch_execz .LBB84_20
; %bb.19:                               ;   in Loop: Header=BB84_15 Depth=2
	s_bcnt1_i32_b64 s6, s[12:13]
	s_mul_i32 s6, s16, s6
	v_mov_b32_e32 v12, s6
	ds_add_rtn_u32 v12, v13, v12 offset:5144
.LBB84_20:                              ;   in Loop: Header=BB84_15 Depth=2
	s_or_b64 exec, exec, s[8:9]
	s_waitcnt lgkmcnt(0)
	v_readfirstlane_b32 s6, v12
	v_mov_b32_e32 v12, s6
	v_mad_u32_u24 v9, s16, v9, v12
.LBB84_21:                              ;   in Loop: Header=BB84_15 Depth=2
	s_or_b64 exec, exec, s[2:3]
	ds_bpermute_b32 v9, v32, v9
	s_and_b64 s[2:3], exec, vcc
	s_or_b64 s[0:1], s[2:3], s[0:1]
	s_and_saveexec_b64 s[2:3], s[10:11]
	s_cbranch_execz .LBB84_14
; %bb.22:                               ;   in Loop: Header=BB84_15 Depth=2
	v_and_b32_e32 v26, s10, v16
	v_and_b32_e32 v12, s11, v17
	v_bcnt_u32_b32 v26, v26, 0
	v_bcnt_u32_b32 v12, v12, v26
	s_waitcnt lgkmcnt(0)
	v_add_u32_e32 v9, v9, v12
	ds_write_b8 v9, v7
	s_branch .LBB84_14
.LBB84_23:                              ;   in Loop: Header=BB84_10 Depth=1
	s_mov_b64 s[62:63], -1
	s_mov_b64 s[0:1], 0
.LBB84_24:                              ;   in Loop: Header=BB84_10 Depth=1
	s_and_b64 vcc, exec, s[62:63]
	s_cbranch_vccz .LBB84_35
.LBB84_25:                              ;   in Loop: Header=BB84_10 Depth=1
	v_mov_b32_e32 v6, 0
	s_mov_b64 s[0:1], exec
	v_readlane_b32 s2, v44, 12
	v_readlane_b32 s3, v44, 13
	s_and_b64 s[2:3], s[0:1], s[2:3]
	s_mov_b64 exec, s[2:3]
	s_cbranch_execz .LBB84_27
; %bb.26:                               ;   in Loop: Header=BB84_10 Depth=1
	global_load_ubyte v6, v[10:11], off
.LBB84_27:                              ;   in Loop: Header=BB84_10 Depth=1
	s_or_b64 exec, exec, s[0:1]
	s_mov_b64 s[0:1], exec
	v_readlane_b32 s2, v44, 12
	v_readlane_b32 s3, v44, 13
	s_and_b64 s[2:3], s[0:1], s[2:3]
	s_mov_b64 exec, s[2:3]
	s_cbranch_execz .LBB84_32
; %bb.28:                               ;   in Loop: Header=BB84_10 Depth=1
	global_load_ushort v7, v13, s[48:49]
	v_pk_mov_b32 v[2:3], s[82:83], s[82:83] op_sel:[0,1]
	s_mov_b64 s[2:3], 0
	v_mov_b32_e32 v8, v0
	s_waitcnt vmcnt(0)
	v_readfirstlane_b32 s6, v7
	s_and_b32 s10, 0xffff, s6
	v_add_u32_e32 v5, s10, v0
	v_mad_u64_u32 v[2:3], s[6:7], s64, v5, v[2:3]
	v_mov_b32_e32 v4, v3
	s_mul_i32 s8, s65, s10
	s_mul_hi_u32 s9, s64, s10
	v_mad_u64_u32 v[4:5], s[6:7], s65, v5, v[4:5]
	s_mul_i32 s11, s64, s10
	s_add_i32 s12, s9, s8
	v_mov_b32_e32 v3, v4
	v_pk_mov_b32 v[4:5], v[0:1], v[0:1] op_sel:[0,1]
	s_branch .LBB84_30
.LBB84_29:                              ;   in Loop: Header=BB84_30 Depth=2
	s_or_b64 exec, exec, s[8:9]
	s_and_b64 s[6:7], exec, vcc
	ds_write_b8 v8, v6
	v_mov_b32_e32 v6, s12
	v_add_co_u32_e32 v2, vcc, s11, v2
	s_or_b64 s[2:3], s[6:7], s[2:3]
	v_add_u32_e32 v8, s10, v8
	v_addc_co_u32_e32 v3, vcc, v3, v6, vcc
	s_waitcnt vmcnt(0)
	v_mov_b32_e32 v6, v9
	s_andn2_b64 exec, exec, s[2:3]
	s_cbranch_execz .LBB84_32
.LBB84_30:                              ;   Parent Loop BB84_10 Depth=1
                                        ; =>  This Inner Loop Header: Depth=2
	v_add_co_u32_sdwa v4, vcc, v4, v7 dst_sel:DWORD dst_unused:UNUSED_PAD src0_sel:DWORD src1_sel:WORD_0
	v_addc_co_u32_e32 v5, vcc, 0, v5, vcc
	v_cmp_gt_u64_e64 s[6:7], s[52:53], v[4:5]
	v_cmp_le_u64_e32 vcc, s[52:53], v[4:5]
	v_mov_b32_e32 v9, 0
	s_and_saveexec_b64 s[8:9], s[6:7]
	s_cbranch_execz .LBB84_29
; %bb.31:                               ;   in Loop: Header=BB84_30 Depth=2
	global_load_ubyte v9, v[2:3], off
	s_branch .LBB84_29
.LBB84_32:                              ;   in Loop: Header=BB84_10 Depth=1
	s_or_b64 exec, exec, s[0:1]
	s_waitcnt lgkmcnt(0)
	s_barrier
	s_mov_b64 s[0:1], exec
	v_readlane_b32 s2, v44, 0
	v_readlane_b32 s3, v44, 1
	s_and_b64 s[2:3], s[0:1], s[2:3]
	s_mov_b64 exec, s[2:3]
	s_cbranch_execz .LBB84_34
; %bb.33:                               ;   in Loop: Header=BB84_10 Depth=1
	v_pk_mov_b32 v[2:3], s[52:53], s[52:53] op_sel:[0,1]
	ds_write_b64 v13, v[2:3] offset:5120
.LBB84_34:                              ;   in Loop: Header=BB84_10 Depth=1
	s_or_b64 exec, exec, s[0:1]
	s_mov_b64 s[0:1], -1
	s_waitcnt lgkmcnt(0)
	s_barrier
                                        ; implicit-def: $sgpr62_sgpr63
.LBB84_35:                              ;   in Loop: Header=BB84_10 Depth=1
	s_and_b64 vcc, exec, s[0:1]
	s_cbranch_vccz .LBB84_37
; %bb.36:                               ;   in Loop: Header=BB84_10 Depth=1
	ds_read_b64 v[2:3], v13 offset:5120
	s_waitcnt lgkmcnt(0)
	v_readfirstlane_b32 s62, v2
.LBB84_37:                              ;   in Loop: Header=BB84_10 Depth=1
	s_cmp_lt_i32 s62, 1
	s_cbranch_scc0 .LBB84_52
; %bb.38:                               ;   in Loop: Header=BB84_10 Depth=1
	global_load_ushort v2, v13, s[48:49]
	s_mov_b32 s0, s69
	s_waitcnt vmcnt(0)
	v_readfirstlane_b32 s1, v2
	s_and_b32 s63, s1, 0xffff
	s_lshl_b32 s68, s63, 2
	s_mov_b32 s1, s53
	s_cmp_lg_u64 s[0:1], 0
	s_cbranch_scc0 .LBB84_72
; %bb.39:                               ;   in Loop: Header=BB84_10 Depth=1
	v_cvt_f32_u32_e32 v2, s68
	s_sub_u32 s0, 0, s68
	s_subb_u32 s1, 0, 0
	v_mac_f32_e32 v2, 0, v34
	v_rcp_f32_e32 v2, v2
	v_mul_f32_e32 v2, 0x5f7ffffc, v2
	v_mul_f32_e32 v3, 0x2f800000, v2
	v_trunc_f32_e32 v3, v3
	v_mac_f32_e32 v2, 0xcf800000, v3
	v_cvt_u32_f32_e32 v3, v3
	v_cvt_u32_f32_e32 v2, v2
	v_readfirstlane_b32 s2, v3
	v_readfirstlane_b32 s3, v2
	s_mul_i32 s6, s0, s2
	s_mul_hi_u32 s8, s0, s3
	s_mul_i32 s7, s1, s3
	s_add_i32 s6, s8, s6
	s_mul_i32 s9, s0, s3
	s_add_i32 s6, s6, s7
	s_mul_hi_u32 s8, s3, s9
	s_mul_hi_u32 s7, s3, s6
	s_mul_i32 s3, s3, s6
	s_add_u32 s3, s8, s3
	s_addc_u32 s7, 0, s7
	s_mul_hi_u32 s10, s2, s9
	s_mul_i32 s9, s2, s9
	s_add_u32 s3, s3, s9
	s_mul_hi_u32 s8, s2, s6
	s_addc_u32 s3, s7, s10
	s_addc_u32 s7, s8, 0
	s_mul_i32 s6, s2, s6
	s_add_u32 s3, s3, s6
	s_addc_u32 s6, 0, s7
	v_add_co_u32_e32 v2, vcc, s3, v2
	s_cmp_lg_u64 vcc, 0
	s_addc_u32 s2, s2, s6
	v_readfirstlane_b32 s6, v2
	s_mul_i32 s3, s0, s2
	s_mul_hi_u32 s7, s0, s6
	s_add_i32 s3, s7, s3
	s_mul_i32 s1, s1, s6
	s_add_i32 s3, s3, s1
	s_mul_i32 s0, s0, s6
	s_mul_hi_u32 s7, s2, s0
	s_mul_i32 s8, s2, s0
	s_mul_i32 s10, s6, s3
	s_mul_hi_u32 s0, s6, s0
	s_mul_hi_u32 s9, s6, s3
	s_add_u32 s0, s0, s10
	s_addc_u32 s6, 0, s9
	s_add_u32 s0, s0, s8
	s_mul_hi_u32 s1, s2, s3
	s_addc_u32 s0, s6, s7
	s_addc_u32 s1, s1, 0
	s_mul_i32 s3, s2, s3
	s_add_u32 s0, s0, s3
	s_addc_u32 s1, 0, s1
	v_add_co_u32_e32 v2, vcc, s0, v2
	s_cmp_lg_u64 vcc, 0
	s_addc_u32 s0, s2, s1
	v_readfirstlane_b32 s3, v2
	s_mul_i32 s2, s52, s0
	s_mul_hi_u32 s6, s52, s3
	s_mul_hi_u32 s1, s52, s0
	s_add_u32 s2, s6, s2
	s_addc_u32 s1, 0, s1
	s_mul_hi_u32 s7, s53, s3
	s_mul_i32 s3, s53, s3
	s_add_u32 s2, s2, s3
	s_mul_hi_u32 s6, s53, s0
	s_addc_u32 s1, s1, s7
	s_addc_u32 s2, s6, 0
	s_mul_i32 s0, s53, s0
	s_add_u32 s0, s1, s0
	s_addc_u32 s1, 0, s2
	s_mul_hi_u32 s2, s68, s0
	s_mul_i32 s0, s68, s0
	s_mul_i32 s1, s68, s1
	v_mov_b32_e32 v2, s0
	s_add_i32 s2, s2, s1
	v_sub_co_u32_e32 v2, vcc, s52, v2
	s_cmp_lg_u64 vcc, 0
	s_subb_u32 s0, s53, s2
	v_subrev_co_u32_e32 v3, vcc, s68, v2
	s_cmp_lg_u64 vcc, 0
	s_subb_u32 s1, s0, 0
	v_subrev_co_u32_e32 v4, vcc, s68, v3
	s_cmp_lg_u64 vcc, 0
	s_subb_u32 s2, s1, 0
	v_cmp_le_u32_e32 vcc, s68, v3
	s_cmp_eq_u32 s1, 0
	v_cndmask_b32_e64 v5, 0, -1, vcc
	s_cselect_b64 vcc, -1, 0
	v_cndmask_b32_e32 v5, -1, v5, vcc
	v_mov_b32_e32 v6, s1
	v_mov_b32_e32 v7, s2
	v_cmp_ne_u32_e32 vcc, 0, v5
	v_cndmask_b32_e32 v5, v6, v7, vcc
	v_cndmask_b32_e32 v4, v3, v4, vcc
	v_cmp_le_u32_e32 vcc, s68, v2
	s_cmp_eq_u32 s0, 0
	v_cndmask_b32_e64 v3, 0, -1, vcc
	s_cselect_b64 vcc, -1, 0
	v_cndmask_b32_e32 v3, -1, v3, vcc
	v_mov_b32_e32 v6, s0
	v_cmp_ne_u32_e32 vcc, 0, v3
	v_cndmask_b32_e32 v3, v6, v5, vcc
	v_cndmask_b32_e32 v2, v2, v4, vcc
	s_cbranch_execnz .LBB84_41
.LBB84_40:                              ;   in Loop: Header=BB84_10 Depth=1
	v_cvt_f32_u32_e32 v2, s68
	s_sub_i32 s0, 0, s68
	v_rcp_iflag_f32_e32 v2, v2
	v_mul_f32_e32 v2, 0x4f7ffffe, v2
	v_cvt_u32_f32_e32 v2, v2
	v_mul_lo_u32 v3, s0, v2
	v_mul_hi_u32 v3, v2, v3
	v_add_u32_e32 v2, v2, v3
	v_mul_hi_u32 v2, s52, v2
	v_mul_lo_u32 v2, v2, s68
	v_sub_u32_e32 v2, s52, v2
	v_subrev_u32_e32 v3, s68, v2
	v_cmp_le_u32_e32 vcc, s68, v2
	v_cndmask_b32_e32 v2, v2, v3, vcc
	v_subrev_u32_e32 v3, s68, v2
	v_cmp_le_u32_e32 vcc, s68, v2
	v_cndmask_b32_e32 v12, v2, v3, vcc
	v_pk_mov_b32 v[2:3], v[12:13], v[12:13] op_sel:[0,1]
.LBB84_41:                              ;   in Loop: Header=BB84_10 Depth=1
	v_mov_b32_e32 v4, s53
	v_sub_co_u32_e32 v26, vcc, s52, v2
	v_subb_co_u32_e32 v27, vcc, v4, v3, vcc
	v_pk_mov_b32 v[2:3], 0, 0
	v_cmp_gt_u64_e32 vcc, v[26:27], v[14:15]
	s_mov_b64 s[80:81], 0
	v_pk_mov_b32 v[4:5], v[2:3], v[2:3] op_sel:[0,1]
	v_pk_mov_b32 v[6:7], v[2:3], v[2:3] op_sel:[0,1]
	;; [unrolled: 1-line block ×3, first 2 shown]
	s_and_saveexec_b64 s[88:89], vcc
	s_cbranch_execz .LBB84_45
; %bb.42:                               ;   in Loop: Header=BB84_10 Depth=1
	v_readlane_b32 s2, v44, 27
	v_readlane_b32 s3, v44, 28
	s_mul_i32 s0, s3, s63
	s_mul_hi_u32 s1, s2, s63
	s_mov_b64 s[4:5], s[42:43]
	s_mov_b32 s73, s55
	s_mov_b32 s77, s50
	s_and_b32 s76, s50, 0xfe
	s_add_i32 s71, s1, s0
	s_mul_i32 s27, s2, s63
	s_mov_b64 s[66:67], s[82:83]
	s_mov_b64 s[54:55], 0
	;; [unrolled: 1-line block ×5, first 2 shown]
	v_pk_mov_b32 v[28:29], v[14:15], v[14:15] op_sel:[0,1]
.LBB84_43:                              ;   Parent Loop BB84_10 Depth=1
                                        ; =>  This Inner Loop Header: Depth=2
	v_add_co_u32_e64 v28, s[6:7], s68, v28
	v_addc_co_u32_e64 v29, s[6:7], 0, v29, s[6:7]
	v_mov_b32_e32 v7, s67
	v_add_co_u32_e32 v2, vcc, s66, v22
	v_add_co_u32_e64 v8, s[6:7], s66, v24
	v_add_co_u32_e64 v4, s[10:11], s66, v20
	;; [unrolled: 1-line block ×3, first 2 shown]
	v_addc_co_u32_e64 v9, s[6:7], v7, v25, s[6:7]
	v_addc_co_u32_e32 v3, vcc, v7, v23, vcc
	v_addc_co_u32_e64 v5, vcc, v7, v21, s[10:11]
	v_addc_co_u32_e64 v7, vcc, v7, v19, s[12:13]
	global_load_sbyte v8, v[8:9], off
	s_nop 0
	global_load_sbyte v2, v[2:3], off
	s_nop 0
	global_load_sbyte v3, v[4:5], off
	s_nop 0
	global_load_sbyte v4, v[6:7], off
	v_cmp_ge_u64_e32 vcc, v[28:29], v[26:27]
	s_waitcnt vmcnt(3)
	v_add_u32_e32 v5, 0x80, v8
	s_waitcnt vmcnt(2)
	v_add_u32_e32 v2, 0x80, v2
	v_and_b32_e32 v6, s78, v5
	v_bfe_u32 v5, v5, s76, 2
	s_waitcnt vmcnt(1)
	v_add_u32_e32 v3, 0x80, v3
	v_and_b32_e32 v7, s78, v2
	v_bfe_u32 v2, v2, s76, 2
	v_cmp_eq_u32_e64 s[16:17], s79, v6
	v_cmp_eq_u32_e64 s[6:7], 0, v5
	s_waitcnt vmcnt(0)
	v_add_u32_e32 v4, 0x80, v4
	v_and_b32_e32 v8, s78, v3
	v_bfe_u32 v3, v3, s76, 2
	v_cmp_eq_u32_e64 s[14:15], s79, v7
	v_cmp_eq_u32_e64 s[28:29], 0, v2
	s_and_b64 s[6:7], s[16:17], s[6:7]
	v_and_b32_e32 v9, s78, v4
	v_bfe_u32 v4, v4, s76, 2
	v_cmp_eq_u32_e64 s[12:13], s79, v8
	v_cmp_eq_u32_e64 s[30:31], 0, v3
	;; [unrolled: 1-line block ×5, first 2 shown]
	v_cndmask_b32_e64 v2, 0, 1, s[6:7]
	s_and_b64 s[6:7], s[14:15], s[28:29]
	v_cmp_eq_u32_e64 s[10:11], s79, v9
	v_cmp_eq_u32_e64 s[34:35], 0, v4
	;; [unrolled: 1-line block ×5, first 2 shown]
	v_cndmask_b32_e64 v3, 0, 1, s[6:7]
	s_and_b64 s[6:7], s[12:13], s[30:31]
	v_cmp_eq_u32_e64 s[42:43], 1, v4
	v_cmp_eq_u32_e64 s[50:51], 2, v4
	;; [unrolled: 1-line block ×3, first 2 shown]
	v_cndmask_b32_e64 v4, 0, 1, s[6:7]
	s_and_b64 s[6:7], s[10:11], s[34:35]
	v_cmp_eq_u32_e64 s[36:37], 1, v5
	v_cmp_eq_u32_e64 s[44:45], 2, v5
	v_cmp_eq_u32_e64 s[24:25], 3, v5
	v_cndmask_b32_e64 v5, 0, 1, s[6:7]
	v_cmp_ne_u32_e64 s[6:7], 0, v2
	v_cmp_ne_u32_e64 s[28:29], 0, v3
	v_cmp_ne_u32_e64 s[30:31], 0, v4
	v_cmp_ne_u32_e64 s[34:35], 0, v5
	s_bcnt1_i32_b64 s6, s[6:7]
	s_bcnt1_i32_b64 s7, s[28:29]
	s_bcnt1_i32_b64 s28, s[30:31]
	s_bcnt1_i32_b64 s29, s[34:35]
	s_add_u32 s0, s6, s0
	s_addc_u32 s1, 0, s1
	s_add_u32 s0, s0, s7
	s_addc_u32 s1, s1, 0
	s_add_u32 s0, s0, s28
	s_addc_u32 s1, s1, 0
	s_add_u32 s0, s0, s29
	s_addc_u32 s1, s1, 0
	s_and_b64 s[6:7], s[16:17], s[36:37]
	v_cndmask_b32_e64 v4, 0, 1, s[6:7]
	s_and_b64 s[6:7], s[14:15], s[38:39]
	v_cndmask_b32_e64 v5, 0, 1, s[6:7]
	s_and_b64 s[6:7], s[12:13], s[40:41]
	v_cndmask_b32_e64 v6, 0, 1, s[6:7]
	s_and_b64 s[6:7], s[10:11], s[42:43]
	v_cndmask_b32_e64 v7, 0, 1, s[6:7]
	v_cmp_ne_u32_e64 s[6:7], 0, v4
	v_cmp_ne_u32_e64 s[28:29], 0, v5
	v_cmp_ne_u32_e64 s[30:31], 0, v6
	v_cmp_ne_u32_e64 s[34:35], 0, v7
	s_bcnt1_i32_b64 s6, s[6:7]
	s_bcnt1_i32_b64 s7, s[28:29]
	s_bcnt1_i32_b64 s28, s[30:31]
	s_bcnt1_i32_b64 s29, s[34:35]
	s_add_u32 s2, s6, s2
	s_addc_u32 s3, 0, s3
	s_add_u32 s2, s2, s7
	s_addc_u32 s3, s3, 0
	s_add_u32 s2, s2, s28
	s_addc_u32 s3, s3, 0
	s_add_u32 s2, s2, s29
	s_addc_u32 s3, s3, 0
	s_and_b64 s[6:7], s[16:17], s[44:45]
	v_cndmask_b32_e64 v6, 0, 1, s[6:7]
	s_and_b64 s[6:7], s[14:15], s[46:47]
	v_cndmask_b32_e64 v7, 0, 1, s[6:7]
	s_and_b64 s[6:7], s[12:13], s[48:49]
	v_cndmask_b32_e64 v8, 0, 1, s[6:7]
	s_and_b64 s[6:7], s[10:11], s[50:51]
	;; [unrolled: 24-line block ×3, first 2 shown]
	v_cndmask_b32_e64 v36, 0, 1, s[6:7]
	v_cmp_ne_u32_e64 s[6:7], 0, v8
	v_cmp_ne_u32_e64 s[10:11], 0, v9
	;; [unrolled: 1-line block ×4, first 2 shown]
	s_bcnt1_i32_b64 s6, s[6:7]
	s_bcnt1_i32_b64 s7, s[10:11]
	;; [unrolled: 1-line block ×4, first 2 shown]
	s_add_u32 s6, s6, s54
	s_addc_u32 s12, 0, s55
	s_add_u32 s6, s6, s7
	s_addc_u32 s7, s12, 0
	;; [unrolled: 2-line block ×5, first 2 shown]
	v_pk_mov_b32 v[2:3], s[0:1], s[0:1] op_sel:[0,1]
	v_pk_mov_b32 v[4:5], s[2:3], s[2:3] op_sel:[0,1]
	;; [unrolled: 1-line block ×3, first 2 shown]
	s_or_b64 s[80:81], vcc, s[80:81]
	v_pk_mov_b32 v[8:9], s[54:55], s[54:55] op_sel:[0,1]
	s_andn2_b64 exec, exec, s[80:81]
	s_cbranch_execnz .LBB84_43
; %bb.44:                               ;   in Loop: Header=BB84_10 Depth=1
	s_or_b64 exec, exec, s[80:81]
	v_readlane_b32 s46, v44, 29
	v_readlane_b32 s48, v44, 31
	s_mov_b64 s[42:43], s[4:5]
	v_readlane_b32 s4, v44, 33
	v_readlane_b32 s47, v44, 30
	v_readlane_b32 s49, v44, 32
	s_mov_b32 s50, s77
	s_mov_b32 s55, s73
	v_readlane_b32 s5, v44, 34
.LBB84_45:                              ;   in Loop: Header=BB84_10 Depth=1
	s_or_b64 exec, exec, s[88:89]
	v_add_co_u32_e32 v26, vcc, v26, v0
	v_addc_co_u32_e32 v27, vcc, 0, v27, vcc
	v_cmp_gt_u64_e32 vcc, s[52:53], v[26:27]
	v_mov_b32_e32 v12, 0
	s_and_saveexec_b64 s[0:1], vcc
	s_cbranch_execz .LBB84_47
; %bb.46:                               ;   in Loop: Header=BB84_10 Depth=1
	v_pk_mov_b32 v[28:29], s[82:83], s[82:83] op_sel:[0,1]
	v_mad_u64_u32 v[28:29], s[2:3], v26, s64, v[28:29]
	v_mul_lo_u32 v12, v26, s65
	v_mul_lo_u32 v36, v27, s64
	v_add3_u32 v29, v36, v29, v12
	global_load_ubyte v12, v[28:29], off
.LBB84_47:                              ;   in Loop: Header=BB84_10 Depth=1
	s_or_b64 exec, exec, s[0:1]
	s_and_saveexec_b64 s[0:1], vcc
	s_cbranch_execz .LBB84_54
; %bb.48:                               ;   in Loop: Header=BB84_10 Depth=1
	s_and_b32 s10, s50, 0xfe
	s_mov_b64 s[2:3], 0
	s_branch .LBB84_50
.LBB84_49:                              ;   in Loop: Header=BB84_50 Depth=2
	s_or_b64 exec, exec, s[8:9]
	s_waitcnt vmcnt(0)
	v_add_u32_sdwa v12, sext(v12), s70 dst_sel:DWORD dst_unused:UNUSED_PAD src0_sel:BYTE_0 src1_sel:DWORD
	s_and_b64 s[6:7], exec, vcc
	v_and_b32_e32 v29, s78, v12
	v_bfe_u32 v12, v12, s10, 2
	s_or_b64 s[2:3], s[6:7], s[2:3]
	v_cmp_eq_u32_e32 vcc, s79, v29
	v_cmp_eq_u32_e64 s[6:7], 0, v12
	s_and_b64 s[6:7], vcc, s[6:7]
	v_cndmask_b32_e64 v29, 0, 1, s[6:7]
	v_cmp_ne_u32_e64 s[6:7], 0, v29
	s_bcnt1_i32_b64 s6, s[6:7]
	v_add_co_u32_e64 v2, s[6:7], s6, v2
	v_addc_co_u32_e64 v3, s[6:7], 0, v3, s[6:7]
	v_cmp_eq_u32_e64 s[6:7], 1, v12
	s_and_b64 s[6:7], vcc, s[6:7]
	v_cndmask_b32_e64 v29, 0, 1, s[6:7]
	v_cmp_ne_u32_e64 s[6:7], 0, v29
	s_bcnt1_i32_b64 s6, s[6:7]
	v_add_co_u32_e64 v4, s[6:7], s6, v4
	v_addc_co_u32_e64 v5, s[6:7], 0, v5, s[6:7]
	;; [unrolled: 7-line block ×3, first 2 shown]
	v_cmp_eq_u32_e64 s[6:7], 3, v12
	s_and_b64 s[6:7], vcc, s[6:7]
	v_cndmask_b32_e64 v12, 0, 1, s[6:7]
	v_cmp_ne_u32_e32 vcc, 0, v12
	s_bcnt1_i32_b64 s6, vcc
	v_add_co_u32_e32 v8, vcc, s6, v8
	v_addc_co_u32_e32 v9, vcc, 0, v9, vcc
	v_mov_b32_e32 v12, v28
	s_andn2_b64 exec, exec, s[2:3]
	s_cbranch_execz .LBB84_53
.LBB84_50:                              ;   Parent Loop BB84_10 Depth=1
                                        ; =>  This Inner Loop Header: Depth=2
	v_mov_b32_e32 v28, s69
	v_add_co_u32_e32 v26, vcc, s63, v26
	v_addc_co_u32_e32 v27, vcc, v27, v28, vcc
	v_cmp_gt_u64_e64 s[6:7], s[52:53], v[26:27]
	v_cmp_le_u64_e32 vcc, s[52:53], v[26:27]
	v_mov_b32_e32 v28, 0
	s_and_saveexec_b64 s[8:9], s[6:7]
	s_cbranch_execz .LBB84_49
; %bb.51:                               ;   in Loop: Header=BB84_50 Depth=2
	v_pk_mov_b32 v[28:29], s[82:83], s[82:83] op_sel:[0,1]
	v_mad_u64_u32 v[28:29], s[6:7], v26, s64, v[28:29]
	v_mul_lo_u32 v36, v26, s65
	v_mul_lo_u32 v37, v27, s64
	v_add3_u32 v29, v37, v29, v36
	global_load_ubyte v28, v[28:29], off
	s_branch .LBB84_49
.LBB84_52:                              ;   in Loop: Header=BB84_10 Depth=1
                                        ; implicit-def: $vgpr8_vgpr9
                                        ; implicit-def: $vgpr4_vgpr5
	s_cbranch_execnz .LBB84_55
	s_branch .LBB84_64
.LBB84_53:                              ;   in Loop: Header=BB84_10 Depth=1
	s_or_b64 exec, exec, s[2:3]
.LBB84_54:                              ;   in Loop: Header=BB84_10 Depth=1
	s_or_b64 exec, exec, s[0:1]
	s_branch .LBB84_64
.LBB84_55:                              ;   in Loop: Header=BB84_10 Depth=1
	global_load_ushort v12, v13, s[48:49]
	s_mov_b64 s[66:67], 0
	s_waitcnt vmcnt(0)
	v_readfirstlane_b32 s0, v12
	s_and_b32 s0, 0xffff, s0
	s_lshl_b32 s63, s0, 2
	v_cvt_f32_u32_e32 v2, s63
	s_sub_i32 s0, 0, s63
	v_rcp_iflag_f32_e32 v4, v2
	v_pk_mov_b32 v[2:3], 0, 0
	v_pk_mov_b32 v[6:7], v[2:3], v[2:3] op_sel:[0,1]
	v_mul_f32_e32 v4, 0x4f7ffffe, v4
	v_cvt_u32_f32_e32 v8, v4
	v_pk_mov_b32 v[4:5], v[2:3], v[2:3] op_sel:[0,1]
	v_readfirstlane_b32 s1, v8
	s_mul_i32 s0, s0, s1
	s_mul_hi_u32 s0, s1, s0
	s_add_i32 s1, s1, s0
	s_mul_hi_u32 s0, s62, s1
	s_mul_i32 s0, s0, s63
	s_sub_i32 s0, s62, s0
	s_sub_i32 s1, s0, s63
	s_cmp_ge_u32 s0, s63
	s_cselect_b32 s0, s1, s0
	s_sub_i32 s1, s0, s63
	s_cmp_ge_u32 s0, s63
	s_cselect_b32 s0, s1, s0
	s_sub_i32 s68, s62, s0
	v_cmp_gt_u32_e32 vcc, s68, v14
	v_pk_mov_b32 v[8:9], v[2:3], v[2:3] op_sel:[0,1]
	s_and_saveexec_b64 s[0:1], vcc
	s_cbranch_execz .LBB84_59
; %bb.56:                               ;   in Loop: Header=BB84_10 Depth=1
	s_mov_b64 s[4:5], s[42:43]
	s_mov_b32 s73, s55
	s_mov_b32 s76, s50
	s_and_b32 s27, s50, 0xfe
	v_mov_b32_e32 v28, v14
	s_mov_b64 s[2:3], 0
	s_mov_b64 s[8:9], 0
	s_mov_b64 s[54:55], 0
	s_mov_b64 s[80:81], 0
	v_pk_mov_b32 v[26:27], v[14:15], v[14:15] op_sel:[0,1]
.LBB84_57:                              ;   Parent Loop BB84_10 Depth=1
                                        ; =>  This Inner Loop Header: Depth=2
	ds_read_b32 v2, v28
	v_add_co_u32_e32 v26, vcc, s63, v26
	v_addc_co_u32_e32 v27, vcc, 0, v27, vcc
	s_waitcnt lgkmcnt(0)
	v_add_u32_sdwa v3, sext(v2), s70 dst_sel:DWORD dst_unused:UNUSED_PAD src0_sel:BYTE_0 src1_sel:DWORD
	v_add_u32_sdwa v4, sext(v2), s70 dst_sel:DWORD dst_unused:UNUSED_PAD src0_sel:BYTE_1 src1_sel:DWORD
	v_and_b32_e32 v6, s78, v3
	v_bfe_u32 v3, v3, s27, 2
	v_add_u32_sdwa v5, sext(v2), s70 dst_sel:DWORD dst_unused:UNUSED_PAD src0_sel:BYTE_2 src1_sel:DWORD
	v_add_u32_sdwa v2, sext(v2), s70 dst_sel:DWORD dst_unused:UNUSED_PAD src0_sel:BYTE_3 src1_sel:DWORD
	v_and_b32_e32 v7, s78, v4
	v_bfe_u32 v4, v4, s27, 2
	v_cmp_eq_u32_e64 s[16:17], s79, v6
	v_cmp_eq_u32_e64 s[6:7], 0, v3
	v_and_b32_e32 v8, s78, v5
	v_and_b32_e32 v9, s78, v2
	v_bfe_u32 v5, v5, s27, 2
	v_bfe_u32 v2, v2, s27, 2
	v_cmp_eq_u32_e64 s[14:15], s79, v7
	v_cmp_eq_u32_e64 s[28:29], 0, v4
	s_and_b64 s[6:7], s[16:17], s[6:7]
	v_cmp_eq_u32_e64 s[12:13], s79, v8
	v_cmp_eq_u32_e64 s[30:31], 0, v5
	;; [unrolled: 1-line block ×6, first 2 shown]
	v_cndmask_b32_e64 v2, 0, 1, s[6:7]
	s_and_b64 s[6:7], s[14:15], s[28:29]
	v_cmp_eq_u32_e64 s[10:11], s79, v9
	v_cmp_eq_u32_e64 s[36:37], 1, v3
	;; [unrolled: 1-line block ×4, first 2 shown]
	v_cndmask_b32_e64 v3, 0, 1, s[6:7]
	s_and_b64 s[6:7], s[12:13], s[30:31]
	v_cmp_eq_u32_e64 s[38:39], 1, v4
	v_cmp_eq_u32_e64 s[46:47], 2, v4
	;; [unrolled: 1-line block ×3, first 2 shown]
	v_cndmask_b32_e64 v4, 0, 1, s[6:7]
	s_and_b64 s[6:7], s[10:11], s[34:35]
	v_cmp_eq_u32_e64 s[40:41], 1, v5
	v_cmp_eq_u32_e64 s[48:49], 2, v5
	v_cmp_eq_u32_e64 s[20:21], 3, v5
	v_cndmask_b32_e64 v5, 0, 1, s[6:7]
	v_cmp_ne_u32_e64 s[6:7], 0, v2
	v_cmp_ne_u32_e64 s[28:29], 0, v3
	v_cmp_ne_u32_e64 s[30:31], 0, v4
	v_cmp_ne_u32_e64 s[34:35], 0, v5
	s_bcnt1_i32_b64 s6, s[6:7]
	s_bcnt1_i32_b64 s7, s[28:29]
	s_bcnt1_i32_b64 s28, s[30:31]
	s_bcnt1_i32_b64 s29, s[34:35]
	s_add_u32 s6, s6, s80
	s_addc_u32 s30, 0, s81
	s_add_u32 s6, s6, s7
	s_addc_u32 s7, s30, 0
	s_add_u32 s6, s6, s28
	s_addc_u32 s7, s7, 0
	s_add_u32 s80, s6, s29
	s_addc_u32 s81, s7, 0
	s_and_b64 s[6:7], s[16:17], s[36:37]
	v_cndmask_b32_e64 v4, 0, 1, s[6:7]
	s_and_b64 s[6:7], s[14:15], s[38:39]
	v_cndmask_b32_e64 v5, 0, 1, s[6:7]
	s_and_b64 s[6:7], s[12:13], s[40:41]
	v_cndmask_b32_e64 v6, 0, 1, s[6:7]
	s_and_b64 s[6:7], s[10:11], s[42:43]
	v_cndmask_b32_e64 v7, 0, 1, s[6:7]
	v_cmp_ne_u32_e64 s[6:7], 0, v4
	v_cmp_ne_u32_e64 s[28:29], 0, v5
	v_cmp_ne_u32_e64 s[30:31], 0, v6
	v_cmp_ne_u32_e64 s[34:35], 0, v7
	s_bcnt1_i32_b64 s6, s[6:7]
	s_bcnt1_i32_b64 s7, s[28:29]
	s_bcnt1_i32_b64 s28, s[30:31]
	s_bcnt1_i32_b64 s29, s[34:35]
	s_add_u32 s6, s6, s54
	s_addc_u32 s30, 0, s55
	s_add_u32 s6, s6, s7
	s_addc_u32 s7, s30, 0
	s_add_u32 s6, s6, s28
	s_addc_u32 s7, s7, 0
	s_add_u32 s54, s6, s29
	s_addc_u32 s55, s7, 0
	s_and_b64 s[6:7], s[16:17], s[44:45]
	v_cndmask_b32_e64 v6, 0, 1, s[6:7]
	s_and_b64 s[6:7], s[14:15], s[46:47]
	v_cndmask_b32_e64 v7, 0, 1, s[6:7]
	s_and_b64 s[6:7], s[12:13], s[48:49]
	v_cndmask_b32_e64 v8, 0, 1, s[6:7]
	s_and_b64 s[6:7], s[10:11], s[50:51]
	;; [unrolled: 24-line block ×3, first 2 shown]
	v_cndmask_b32_e64 v36, 0, 1, s[6:7]
	v_cmp_ne_u32_e64 s[6:7], 0, v8
	v_cmp_ne_u32_e64 s[10:11], 0, v9
	;; [unrolled: 1-line block ×4, first 2 shown]
	s_bcnt1_i32_b64 s6, s[6:7]
	s_bcnt1_i32_b64 s7, s[10:11]
	;; [unrolled: 1-line block ×4, first 2 shown]
	s_add_u32 s2, s6, s2
	s_addc_u32 s3, 0, s3
	s_add_u32 s2, s2, s7
	s_addc_u32 s3, s3, 0
	;; [unrolled: 2-line block ×3, first 2 shown]
	s_add_u32 s2, s2, s11
	v_cmp_le_u64_e32 vcc, s[68:69], v[26:27]
	s_addc_u32 s3, s3, 0
	v_add_u32_e32 v28, s63, v28
	v_pk_mov_b32 v[2:3], s[80:81], s[80:81] op_sel:[0,1]
	v_pk_mov_b32 v[4:5], s[54:55], s[54:55] op_sel:[0,1]
	;; [unrolled: 1-line block ×3, first 2 shown]
	s_or_b64 s[66:67], vcc, s[66:67]
	v_pk_mov_b32 v[8:9], s[2:3], s[2:3] op_sel:[0,1]
	s_andn2_b64 exec, exec, s[66:67]
	s_cbranch_execnz .LBB84_57
; %bb.58:                               ;   in Loop: Header=BB84_10 Depth=1
	s_or_b64 exec, exec, s[66:67]
	v_readlane_b32 s46, v44, 29
	v_readlane_b32 s48, v44, 31
	s_mov_b64 s[42:43], s[4:5]
	v_readlane_b32 s4, v44, 33
	v_readlane_b32 s47, v44, 30
	;; [unrolled: 1-line block ×3, first 2 shown]
	s_mov_b32 s50, s76
	s_mov_b32 s55, s73
	v_readlane_b32 s5, v44, 34
.LBB84_59:                              ;   in Loop: Header=BB84_10 Depth=1
	s_or_b64 exec, exec, s[0:1]
	v_and_b32_e32 v28, 0xffff, v12
	v_add_u32_e32 v12, s68, v0
	v_cmp_gt_u32_e32 vcc, s62, v12
	s_and_saveexec_b64 s[0:1], vcc
	s_cbranch_execz .LBB84_63
; %bb.60:                               ;   in Loop: Header=BB84_10 Depth=1
	s_and_b32 s2, s62, 0x7fffffff
	s_mov_b32 s3, s69
	s_and_b32 s18, s50, 0xfe
	v_add_u32_e32 v29, s68, v0
	s_mov_b64 s[8:9], 0
	v_pk_mov_b32 v[26:27], v[12:13], v[12:13] op_sel:[0,1]
.LBB84_61:                              ;   Parent Loop BB84_10 Depth=1
                                        ; =>  This Inner Loop Header: Depth=2
	ds_read_i8 v12, v29
	v_add_co_u32_e32 v26, vcc, v26, v28
	v_addc_co_u32_e32 v27, vcc, 0, v27, vcc
	s_waitcnt lgkmcnt(0)
	v_add_u32_e32 v12, 0x80, v12
	v_and_b32_e32 v36, s78, v12
	v_bfe_u32 v12, v12, s18, 2
	v_cmp_eq_u32_e64 s[6:7], s79, v36
	v_cmp_eq_u32_e64 s[10:11], 0, v12
	;; [unrolled: 1-line block ×3, first 2 shown]
	s_and_b64 s[10:11], s[6:7], s[10:11]
	v_cmp_eq_u32_e64 s[14:15], 2, v12
	v_cmp_eq_u32_e64 s[16:17], 3, v12
	v_cndmask_b32_e64 v12, 0, 1, s[10:11]
	s_and_b64 s[10:11], s[6:7], s[12:13]
	v_cndmask_b32_e64 v36, 0, 1, s[10:11]
	s_and_b64 s[10:11], s[6:7], s[14:15]
	s_and_b64 s[6:7], s[6:7], s[16:17]
	v_cndmask_b32_e64 v38, 0, 1, s[6:7]
	v_cmp_ne_u32_e64 s[6:7], 0, v12
	s_bcnt1_i32_b64 s6, s[6:7]
	v_cndmask_b32_e64 v37, 0, 1, s[10:11]
	v_cmp_ne_u32_e64 s[10:11], 0, v36
	v_add_co_u32_e64 v2, s[6:7], s6, v2
	s_bcnt1_i32_b64 s10, s[10:11]
	v_addc_co_u32_e64 v3, s[6:7], 0, v3, s[6:7]
	v_cmp_ne_u32_e64 s[12:13], 0, v37
	v_cmp_ne_u32_e64 s[14:15], 0, v38
	v_add_co_u32_e64 v4, s[6:7], s10, v4
	v_cmp_le_u64_e32 vcc, s[2:3], v[26:27]
	s_bcnt1_i32_b64 s11, s[12:13]
	s_bcnt1_i32_b64 s12, s[14:15]
	v_addc_co_u32_e64 v5, s[6:7], 0, v5, s[6:7]
	v_add_co_u32_e64 v6, s[6:7], s11, v6
	s_or_b64 s[8:9], vcc, s[8:9]
	v_add_co_u32_e32 v8, vcc, s12, v8
	v_add_u32_e32 v29, v29, v28
	v_addc_co_u32_e64 v7, s[6:7], 0, v7, s[6:7]
	v_addc_co_u32_e32 v9, vcc, 0, v9, vcc
	s_andn2_b64 exec, exec, s[8:9]
	s_cbranch_execnz .LBB84_61
; %bb.62:                               ;   in Loop: Header=BB84_10 Depth=1
	s_or_b64 exec, exec, s[8:9]
.LBB84_63:                              ;   in Loop: Header=BB84_10 Depth=1
	s_or_b64 exec, exec, s[0:1]
.LBB84_64:                              ;   in Loop: Header=BB84_10 Depth=1
	s_lshl_b32 s2, s72, 6
	s_and_saveexec_b64 s[0:1], s[4:5]
	s_cbranch_execz .LBB84_66
; %bb.65:                               ;   in Loop: Header=BB84_10 Depth=1
	s_waitcnt vmcnt(0)
	v_or_b32_e32 v12, s2, v31
	v_lshlrev_b32_e32 v12, 3, v12
	ds_write_b128 v12, v[2:5] offset:3072
	ds_write_b128 v12, v[6:9] offset:3088
.LBB84_66:                              ;   in Loop: Header=BB84_10 Depth=1
	s_or_b64 exec, exec, s[0:1]
	s_waitcnt lgkmcnt(0)
	s_barrier
	s_and_saveexec_b64 s[0:1], s[46:47]
	s_cbranch_execz .LBB84_78
; %bb.67:                               ;   in Loop: Header=BB84_10 Depth=1
	v_readlane_b32 s6, v44, 18
	v_readlane_b32 s7, v44, 19
	s_andn2_b64 vcc, exec, s[6:7]
	v_pk_mov_b32 v[2:3], 0, 0
	s_cbranch_vccnz .LBB84_77
; %bb.68:                               ;   in Loop: Header=BB84_10 Depth=1
	v_readlane_b32 s6, v44, 22
	v_readlane_b32 s7, v44, 23
	s_andn2_b64 vcc, exec, s[6:7]
	s_cbranch_vccnz .LBB84_73
; %bb.69:                               ;   in Loop: Header=BB84_10 Depth=1
	v_lshl_add_u32 v4, s72, 9, v33
	s_mov_b32 s3, 0
	v_pk_mov_b32 v[2:3], 0, 0
.LBB84_70:                              ;   Parent Loop BB84_10 Depth=1
                                        ; =>  This Inner Loop Header: Depth=2
	s_waitcnt vmcnt(0)
	ds_read2_b64 v[6:9], v4 offset1:4
	ds_read2_b64 v[26:29], v4 offset0:8 offset1:12
	ds_read2_b64 v[36:39], v4 offset0:16 offset1:20
	ds_read2_b64 v[40:43], v4 offset0:24 offset1:28
	s_add_i32 s3, s3, 8
	s_waitcnt lgkmcnt(3)
	v_add_co_u32_e32 v2, vcc, v6, v2
	v_addc_co_u32_e32 v3, vcc, v7, v3, vcc
	v_add_co_u32_e32 v2, vcc, v8, v2
	v_addc_co_u32_e32 v3, vcc, v9, v3, vcc
	s_waitcnt lgkmcnt(2)
	v_add_co_u32_e32 v2, vcc, v26, v2
	v_addc_co_u32_e32 v3, vcc, v27, v3, vcc
	v_add_co_u32_e32 v2, vcc, v28, v2
	v_addc_co_u32_e32 v3, vcc, v29, v3, vcc
	;; [unrolled: 5-line block ×3, first 2 shown]
	s_waitcnt lgkmcnt(0)
	v_add_co_u32_e32 v2, vcc, v40, v2
	v_addc_co_u32_e32 v3, vcc, v41, v3, vcc
	v_add_co_u32_e32 v2, vcc, v42, v2
	v_add_u32_e32 v4, 0x100, v4
	s_cmp_eq_u32 s84, s3
	v_addc_co_u32_e32 v3, vcc, v43, v3, vcc
	s_cbranch_scc0 .LBB84_70
; %bb.71:                               ;   in Loop: Header=BB84_10 Depth=1
	s_mov_b32 s3, s84
	s_branch .LBB84_74
.LBB84_72:                              ;   in Loop: Header=BB84_10 Depth=1
                                        ; implicit-def: $vgpr2_vgpr3
	s_branch .LBB84_40
.LBB84_73:                              ;   in Loop: Header=BB84_10 Depth=1
	s_mov_b32 s3, 0
	v_pk_mov_b32 v[2:3], 0, 0
.LBB84_74:                              ;   in Loop: Header=BB84_10 Depth=1
	v_readlane_b32 s6, v44, 25
	v_readlane_b32 s7, v44, 26
	s_andn2_b64 vcc, exec, s[6:7]
	s_cbranch_vccnz .LBB84_77
; %bb.75:                               ;   in Loop: Header=BB84_10 Depth=1
	s_lshl_b32 s6, s72, 9
	s_lshl_b32 s3, s3, 5
	s_add_i32 s6, s6, s3
	v_add_u32_e32 v4, s6, v33
	v_readlane_b32 s3, v44, 24
.LBB84_76:                              ;   Parent Loop BB84_10 Depth=1
                                        ; =>  This Inner Loop Header: Depth=2
	s_waitcnt vmcnt(0)
	ds_read_b64 v[6:7], v4
	s_add_i32 s3, s3, -1
	v_add_u32_e32 v4, 32, v4
	s_cmp_lg_u32 s3, 0
	s_waitcnt lgkmcnt(0)
	v_add_co_u32_e32 v2, vcc, v6, v2
	v_addc_co_u32_e32 v3, vcc, v7, v3, vcc
	s_cbranch_scc1 .LBB84_76
.LBB84_77:                              ;   in Loop: Header=BB84_10 Depth=1
	v_add_lshl_u32 v4, s2, v30, 3
	ds_write_b64 v4, v[2:3] offset:3072
.LBB84_78:                              ;   in Loop: Header=BB84_10 Depth=1
	s_or_b64 exec, exec, s[0:1]
	s_lshl_b32 s0, s2, 3
	s_waitcnt vmcnt(0)
	v_mov_b32_e32 v6, s0
	s_waitcnt lgkmcnt(0)
	s_barrier
	ds_read_b128 v[2:5], v6 offset:3072
	ds_read_b128 v[6:9], v6 offset:3088
	s_and_b32 s38, s50, 0xfe
	s_lshl_b32 s44, 3, s38
	s_not_b32 s39, s44
	s_waitcnt lgkmcnt(1)
	v_readfirstlane_b32 s13, v3
	v_readfirstlane_b32 s12, v2
	s_cmp_eq_u64 s[12:13], 1
	s_cselect_b64 s[0:1], -1, 0
	s_cmp_eq_u64 s[42:43], 1
	s_cselect_b64 s[2:3], -1, 0
	s_and_b64 s[18:19], s[0:1], s[2:3]
	v_readfirstlane_b32 s24, v4
	v_readfirstlane_b32 s25, v5
	s_waitcnt lgkmcnt(0)
	v_readfirstlane_b32 s14, v6
	v_readfirstlane_b32 s15, v7
	;; [unrolled: 1-line block ×4, first 2 shown]
	s_mov_b64 s[16:17], -1
	s_and_b64 vcc, exec, s[18:19]
	s_cbranch_vccz .LBB84_93
; %bb.79:                               ;   in Loop: Header=BB84_10 Depth=1
	ds_read_b64 v[2:3], v13 offset:5120
	s_waitcnt lgkmcnt(0)
	s_barrier
	v_readfirstlane_b32 s0, v2
	v_readfirstlane_b32 s1, v3
	s_mov_b64 s[2:3], exec
	v_readlane_b32 s8, v44, 14
	v_readlane_b32 s9, v44, 15
	s_and_b64 s[8:9], s[2:3], s[8:9]
	s_mov_b64 exec, s[8:9]
	s_cbranch_execz .LBB84_81
; %bb.80:                               ;   in Loop: Header=BB84_10 Depth=1
	ds_write_b8 v0, v1 offset:3072
.LBB84_81:                              ;   in Loop: Header=BB84_10 Depth=1
	s_or_b64 exec, exec, s[2:3]
	s_and_b32 s79, s79, s39
	s_or_b32 s78, s78, s44
	s_cmp_eq_u64 s[0:1], 0
	s_waitcnt lgkmcnt(0)
	s_barrier
	s_cbranch_scc1 .LBB84_94
; %bb.82:                               ;   in Loop: Header=BB84_10 Depth=1
	v_readlane_b32 s2, v44, 20
	s_add_u32 s10, s2, s0
	v_readlane_b32 s2, v44, 21
	s_addc_u32 s3, s2, s1
	s_mov_b32 s2, s69
	s_cmp_lg_u64 s[2:3], 0
	s_cbranch_scc0 .LBB84_139
; %bb.83:                               ;   in Loop: Header=BB84_10 Depth=1
	v_cvt_f32_u32_e32 v2, s33
	s_sub_u32 s2, 0, s33
	s_subb_u32 s8, 0, 0
	v_mac_f32_e32 v2, 0, v34
	v_rcp_f32_e32 v2, v2
	v_mul_f32_e32 v2, 0x5f7ffffc, v2
	v_mul_f32_e32 v3, 0x2f800000, v2
	v_trunc_f32_e32 v3, v3
	v_mac_f32_e32 v2, 0xcf800000, v3
	v_cvt_u32_f32_e32 v3, v3
	v_cvt_u32_f32_e32 v2, v2
	v_readfirstlane_b32 s9, v3
	v_readfirstlane_b32 s11, v2
	s_mul_i32 s20, s2, s9
	s_mul_hi_u32 s22, s2, s11
	s_mul_i32 s21, s8, s11
	s_add_i32 s20, s22, s20
	s_mul_i32 s23, s2, s11
	s_add_i32 s20, s20, s21
	s_mul_hi_u32 s22, s11, s23
	s_mul_hi_u32 s21, s11, s20
	s_mul_i32 s11, s11, s20
	s_add_u32 s11, s22, s11
	s_addc_u32 s21, 0, s21
	s_mul_hi_u32 s27, s9, s23
	s_mul_i32 s23, s9, s23
	s_add_u32 s11, s11, s23
	s_mul_hi_u32 s22, s9, s20
	s_addc_u32 s11, s21, s27
	s_addc_u32 s21, s22, 0
	s_mul_i32 s20, s9, s20
	s_add_u32 s11, s11, s20
	s_addc_u32 s20, 0, s21
	v_add_co_u32_e32 v2, vcc, s11, v2
	s_cmp_lg_u64 vcc, 0
	s_addc_u32 s9, s9, s20
	v_readfirstlane_b32 s20, v2
	s_mul_i32 s11, s2, s9
	s_mul_hi_u32 s21, s2, s20
	s_add_i32 s11, s21, s11
	s_mul_i32 s8, s8, s20
	s_add_i32 s11, s11, s8
	s_mul_i32 s2, s2, s20
	s_mul_hi_u32 s21, s9, s2
	s_mul_i32 s22, s9, s2
	s_mul_i32 s27, s20, s11
	s_mul_hi_u32 s2, s20, s2
	s_mul_hi_u32 s23, s20, s11
	s_add_u32 s2, s2, s27
	s_addc_u32 s20, 0, s23
	s_add_u32 s2, s2, s22
	s_mul_hi_u32 s8, s9, s11
	s_addc_u32 s2, s20, s21
	s_addc_u32 s8, s8, 0
	s_mul_i32 s11, s9, s11
	s_add_u32 s2, s2, s11
	s_addc_u32 s8, 0, s8
	v_add_co_u32_e32 v2, vcc, s2, v2
	s_cmp_lg_u64 vcc, 0
	s_addc_u32 s2, s9, s8
	v_readfirstlane_b32 s11, v2
	s_mul_i32 s9, s10, s2
	s_mul_hi_u32 s20, s10, s11
	s_mul_hi_u32 s8, s10, s2
	s_add_u32 s9, s20, s9
	s_addc_u32 s8, 0, s8
	s_mul_hi_u32 s21, s3, s11
	s_mul_i32 s11, s3, s11
	s_add_u32 s9, s9, s11
	s_mul_hi_u32 s20, s3, s2
	s_addc_u32 s8, s8, s21
	s_addc_u32 s9, s20, 0
	s_mul_i32 s2, s3, s2
	s_add_u32 s2, s8, s2
	s_addc_u32 s8, 0, s9
	s_mul_hi_u32 s9, s33, s2
	s_mul_i32 s2, s33, s2
	s_mul_i32 s8, s33, s8
	v_mov_b32_e32 v2, s2
	s_add_i32 s9, s9, s8
	v_sub_co_u32_e32 v2, vcc, s10, v2
	s_cmp_lg_u64 vcc, 0
	s_subb_u32 s2, s3, s9
	v_subrev_co_u32_e32 v3, vcc, s33, v2
	s_cmp_lg_u64 vcc, 0
	s_subb_u32 s8, s2, 0
	v_subrev_co_u32_e32 v4, vcc, s33, v3
	s_cmp_lg_u64 vcc, 0
	s_subb_u32 s9, s8, 0
	v_cmp_le_u32_e32 vcc, s33, v3
	s_cmp_eq_u32 s8, 0
	v_cndmask_b32_e64 v5, 0, -1, vcc
	s_cselect_b64 vcc, -1, 0
	v_cndmask_b32_e32 v5, -1, v5, vcc
	v_mov_b32_e32 v6, s8
	v_mov_b32_e32 v7, s9
	v_cmp_ne_u32_e32 vcc, 0, v5
	v_cndmask_b32_e32 v5, v6, v7, vcc
	v_cndmask_b32_e32 v4, v3, v4, vcc
	v_cmp_le_u32_e32 vcc, s33, v2
	s_cmp_eq_u32 s2, 0
	v_cndmask_b32_e64 v3, 0, -1, vcc
	s_cselect_b64 vcc, -1, 0
	v_cndmask_b32_e32 v3, -1, v3, vcc
	v_mov_b32_e32 v6, s2
	v_cmp_ne_u32_e32 vcc, 0, v3
	v_cndmask_b32_e32 v3, v6, v5, vcc
	v_cndmask_b32_e32 v2, v2, v4, vcc
	s_cbranch_execnz .LBB84_85
.LBB84_84:                              ;   in Loop: Header=BB84_10 Depth=1
	v_cvt_f32_u32_e32 v2, s33
	s_sub_i32 s2, 0, s33
	v_rcp_iflag_f32_e32 v2, v2
	v_mul_f32_e32 v2, 0x4f7ffffe, v2
	v_cvt_u32_f32_e32 v2, v2
	v_mul_lo_u32 v3, s2, v2
	v_mul_hi_u32 v3, v2, v3
	v_add_u32_e32 v2, v2, v3
	v_mul_hi_u32 v2, s10, v2
	v_mul_lo_u32 v2, v2, s33
	v_sub_u32_e32 v2, s10, v2
	v_subrev_u32_e32 v3, s33, v2
	v_cmp_le_u32_e32 vcc, s33, v2
	v_cndmask_b32_e32 v2, v2, v3, vcc
	v_subrev_u32_e32 v3, s33, v2
	v_cmp_le_u32_e32 vcc, s33, v2
	v_cndmask_b32_e32 v12, v2, v3, vcc
	v_pk_mov_b32 v[2:3], v[12:13], v[12:13] op_sel:[0,1]
.LBB84_85:                              ;   in Loop: Header=BB84_10 Depth=1
	v_mov_b32_e32 v4, s3
	v_sub_co_u32_e32 v2, vcc, s10, v2
	v_subb_co_u32_e32 v3, vcc, v4, v3, vcc
	v_cmp_gt_u64_e32 vcc, v[2:3], v[0:1]
	s_mov_b64 s[2:3], 0
                                        ; implicit-def: $vgpr35
	s_and_saveexec_b64 s[8:9], vcc
	s_cbranch_execz .LBB84_96
; %bb.86:                               ;   in Loop: Header=BB84_10 Depth=1
	v_mov_b32_e32 v6, v0
	v_pk_mov_b32 v[4:5], v[0:1], v[0:1] op_sel:[0,1]
                                        ; implicit-def: $sgpr10_sgpr11
	s_branch .LBB84_88
.LBB84_87:                              ;   in Loop: Header=BB84_88 Depth=2
	s_or_b64 exec, exec, s[20:21]
	s_waitcnt lgkmcnt(0)
	s_barrier
	ds_read_u16 v7, v13 offset:3072
	v_mov_b32_e32 v8, s74
	v_add_co_u32_e32 v4, vcc, s33, v4
	v_addc_co_u32_e32 v5, vcc, v5, v8, vcc
	s_waitcnt lgkmcnt(0)
	v_cmp_ne_u16_sdwa s[20:21], v7, v1 src0_sel:BYTE_0 src1_sel:DWORD
	v_cmp_ge_u64_e32 vcc, v[4:5], v[2:3]
	s_or_b64 s[22:23], vcc, s[20:21]
	s_and_b64 s[22:23], exec, s[22:23]
	s_or_b64 s[2:3], s[22:23], s[2:3]
	s_andn2_b64 s[10:11], s[10:11], exec
	s_and_b64 s[20:21], s[20:21], exec
	v_add_u32_e32 v6, s33, v6
	s_or_b64 s[10:11], s[10:11], s[20:21]
	s_barrier
	s_andn2_b64 exec, exec, s[2:3]
	s_cbranch_execz .LBB84_95
.LBB84_88:                              ;   Parent Loop BB84_10 Depth=1
                                        ; =>  This Inner Loop Header: Depth=2
	v_cmp_gt_u64_e32 vcc, s[0:1], v[4:5]
	v_mov_b32_e32 v7, 0
	s_and_saveexec_b64 s[20:21], vcc
	s_cbranch_execz .LBB84_90
; %bb.89:                               ;   in Loop: Header=BB84_88 Depth=2
	ds_read_u8 v7, v6
.LBB84_90:                              ;   in Loop: Header=BB84_88 Depth=2
	s_or_b64 exec, exec, s[20:21]
	s_and_saveexec_b64 s[20:21], vcc
	s_cbranch_execz .LBB84_87
; %bb.91:                               ;   in Loop: Header=BB84_88 Depth=2
	s_waitcnt lgkmcnt(0)
	v_add_u32_sdwa v8, sext(v7), s70 dst_sel:DWORD dst_unused:UNUSED_PAD src0_sel:BYTE_0 src1_sel:DWORD
	v_and_b32_e32 v8, s78, v8
	v_cmp_eq_u32_e32 vcc, s79, v8
	s_and_b64 exec, exec, vcc
	s_cbranch_execz .LBB84_87
; %bb.92:                               ;   in Loop: Header=BB84_88 Depth=2
	v_lshlrev_b16_e32 v7, 8, v7
	v_or_b32_e32 v7, 1, v7
	ds_write_b16 v13, v7 offset:3072
	s_branch .LBB84_87
.LBB84_93:                              ;   in Loop: Header=BB84_10 Depth=1
	s_mov_b64 s[2:3], -1
                                        ; implicit-def: $sgpr0_sgpr1
                                        ; implicit-def: $sgpr10_sgpr11
                                        ; implicit-def: $sgpr8_sgpr9
	s_branch .LBB84_110
.LBB84_94:                              ;   in Loop: Header=BB84_10 Depth=1
	s_mov_b64 s[0:1], -1
	s_mov_b64 s[2:3], 0
                                        ; implicit-def: $sgpr8_sgpr9
                                        ; implicit-def: $vgpr35
	s_mov_b64 s[10:11], s[0:1]
	s_cbranch_execnz .LBB84_97
	s_branch .LBB84_110
.LBB84_95:                              ;   in Loop: Header=BB84_10 Depth=1
	s_or_b64 exec, exec, s[2:3]
	v_lshrrev_b16_e32 v35, 8, v7
	s_and_b64 s[2:3], s[10:11], exec
.LBB84_96:                              ;   in Loop: Header=BB84_10 Depth=1
	s_or_b64 exec, exec, s[8:9]
	s_mov_b64 s[8:9], -1
	s_mov_b64 s[0:1], 0
	s_mov_b64 s[10:11], s[0:1]
	s_branch .LBB84_110
.LBB84_97:                              ;   in Loop: Header=BB84_10 Depth=1
	s_mov_b32 s54, s69
	s_cmp_lg_u64 s[54:55], 0
	s_cbranch_scc0 .LBB84_143
; %bb.98:                               ;   in Loop: Header=BB84_10 Depth=1
	v_cvt_f32_u32_e32 v2, s33
	s_sub_u32 s0, 0, s33
	s_subb_u32 s1, 0, 0
	v_mac_f32_e32 v2, 0, v34
	v_rcp_f32_e32 v2, v2
	v_mul_f32_e32 v2, 0x5f7ffffc, v2
	v_mul_f32_e32 v3, 0x2f800000, v2
	v_trunc_f32_e32 v3, v3
	v_mac_f32_e32 v2, 0xcf800000, v3
	v_cvt_u32_f32_e32 v3, v3
	v_cvt_u32_f32_e32 v2, v2
	v_readfirstlane_b32 s2, v3
	v_readfirstlane_b32 s3, v2
	s_mul_i32 s8, s0, s2
	s_mul_hi_u32 s10, s0, s3
	s_mul_i32 s9, s1, s3
	s_add_i32 s8, s10, s8
	s_mul_i32 s11, s0, s3
	s_add_i32 s8, s8, s9
	s_mul_hi_u32 s10, s3, s11
	s_mul_hi_u32 s9, s3, s8
	s_mul_i32 s3, s3, s8
	s_add_u32 s3, s10, s3
	s_addc_u32 s9, 0, s9
	s_mul_hi_u32 s20, s2, s11
	s_mul_i32 s11, s2, s11
	s_add_u32 s3, s3, s11
	s_mul_hi_u32 s10, s2, s8
	s_addc_u32 s3, s9, s20
	s_addc_u32 s9, s10, 0
	s_mul_i32 s8, s2, s8
	s_add_u32 s3, s3, s8
	s_addc_u32 s8, 0, s9
	v_add_co_u32_e32 v2, vcc, s3, v2
	s_cmp_lg_u64 vcc, 0
	s_addc_u32 s2, s2, s8
	v_readfirstlane_b32 s8, v2
	s_mul_i32 s3, s0, s2
	s_mul_hi_u32 s9, s0, s8
	s_add_i32 s3, s9, s3
	s_mul_i32 s1, s1, s8
	s_add_i32 s3, s3, s1
	s_mul_i32 s0, s0, s8
	s_mul_hi_u32 s9, s2, s0
	s_mul_i32 s10, s2, s0
	s_mul_i32 s20, s8, s3
	s_mul_hi_u32 s0, s8, s0
	s_mul_hi_u32 s11, s8, s3
	s_add_u32 s0, s0, s20
	s_addc_u32 s8, 0, s11
	s_add_u32 s0, s0, s10
	s_mul_hi_u32 s1, s2, s3
	s_addc_u32 s0, s8, s9
	s_addc_u32 s1, s1, 0
	s_mul_i32 s3, s2, s3
	s_add_u32 s0, s0, s3
	s_addc_u32 s1, 0, s1
	v_add_co_u32_e32 v2, vcc, s0, v2
	s_cmp_lg_u64 vcc, 0
	s_addc_u32 s0, s2, s1
	v_readfirstlane_b32 s3, v2
	s_mul_i32 s2, s85, s0
	s_mul_hi_u32 s8, s85, s3
	s_mul_hi_u32 s1, s85, s0
	s_add_u32 s2, s8, s2
	s_addc_u32 s1, 0, s1
	s_mul_hi_u32 s9, s55, s3
	s_mul_i32 s3, s55, s3
	s_add_u32 s2, s2, s3
	s_mul_hi_u32 s8, s55, s0
	s_addc_u32 s1, s1, s9
	s_addc_u32 s2, s8, 0
	s_mul_i32 s0, s55, s0
	s_add_u32 s0, s1, s0
	s_addc_u32 s1, 0, s2
	s_mul_hi_u32 s2, s33, s0
	s_mul_i32 s0, s33, s0
	s_mul_i32 s1, s33, s1
	v_mov_b32_e32 v2, s0
	s_add_i32 s2, s2, s1
	v_sub_co_u32_e32 v2, vcc, s85, v2
	s_cmp_lg_u64 vcc, 0
	s_subb_u32 s0, s55, s2
	v_subrev_co_u32_e32 v3, vcc, s33, v2
	s_cmp_lg_u64 vcc, 0
	s_subb_u32 s1, s0, 0
	v_subrev_co_u32_e32 v4, vcc, s33, v3
	s_cmp_lg_u64 vcc, 0
	s_subb_u32 s2, s1, 0
	v_cmp_le_u32_e32 vcc, s33, v3
	s_cmp_eq_u32 s1, 0
	v_cndmask_b32_e64 v5, 0, -1, vcc
	s_cselect_b64 vcc, -1, 0
	v_cndmask_b32_e32 v5, -1, v5, vcc
	v_mov_b32_e32 v6, s1
	v_mov_b32_e32 v7, s2
	v_cmp_ne_u32_e32 vcc, 0, v5
	v_cndmask_b32_e32 v5, v6, v7, vcc
	v_cndmask_b32_e32 v4, v3, v4, vcc
	v_cmp_le_u32_e32 vcc, s33, v2
	s_cmp_eq_u32 s0, 0
	v_cndmask_b32_e64 v3, 0, -1, vcc
	s_cselect_b64 vcc, -1, 0
	v_cndmask_b32_e32 v3, -1, v3, vcc
	v_mov_b32_e32 v6, s0
	v_cmp_ne_u32_e32 vcc, 0, v3
	v_cndmask_b32_e32 v3, v6, v5, vcc
	v_cndmask_b32_e32 v2, v2, v4, vcc
	s_cbranch_execnz .LBB84_100
.LBB84_99:                              ;   in Loop: Header=BB84_10 Depth=1
	v_cvt_f32_u32_e32 v2, s33
	s_sub_i32 s0, 0, s33
	v_rcp_iflag_f32_e32 v2, v2
	v_mul_f32_e32 v2, 0x4f7ffffe, v2
	v_cvt_u32_f32_e32 v2, v2
	v_mul_lo_u32 v3, s0, v2
	v_mul_hi_u32 v3, v2, v3
	v_add_u32_e32 v2, v2, v3
	v_mul_hi_u32 v2, s85, v2
	v_mul_lo_u32 v2, v2, s33
	v_sub_u32_e32 v2, s85, v2
	v_subrev_u32_e32 v3, s33, v2
	v_cmp_le_u32_e32 vcc, s33, v2
	v_cndmask_b32_e32 v2, v2, v3, vcc
	v_subrev_u32_e32 v3, s33, v2
	v_cmp_le_u32_e32 vcc, s33, v2
	v_cndmask_b32_e32 v12, v2, v3, vcc
	v_pk_mov_b32 v[2:3], v[12:13], v[12:13] op_sel:[0,1]
.LBB84_100:                             ;   in Loop: Header=BB84_10 Depth=1
	v_mov_b32_e32 v4, s55
	v_sub_co_u32_e32 v2, vcc, s85, v2
	v_subb_co_u32_e32 v3, vcc, v4, v3, vcc
	v_cmp_gt_u64_e32 vcc, v[2:3], v[0:1]
	s_mov_b64 s[2:3], 0
                                        ; implicit-def: $vgpr35
	s_and_saveexec_b64 s[0:1], vcc
	s_cbranch_execz .LBB84_109
; %bb.101:                              ;   in Loop: Header=BB84_10 Depth=1
	v_pk_mov_b32 v[4:5], v[10:11], v[10:11] op_sel:[0,1]
	v_pk_mov_b32 v[6:7], v[0:1], v[0:1] op_sel:[0,1]
                                        ; implicit-def: $sgpr8_sgpr9
	s_branch .LBB84_103
.LBB84_102:                             ;   in Loop: Header=BB84_103 Depth=2
	s_or_b64 exec, exec, s[10:11]
	s_waitcnt lgkmcnt(0)
	s_barrier
	s_waitcnt vmcnt(0)
	ds_read_u16 v8, v13 offset:3072
	v_mov_b32_e32 v9, s74
	v_add_co_u32_e32 v6, vcc, s33, v6
	v_addc_co_u32_e32 v7, vcc, v7, v9, vcc
	s_waitcnt lgkmcnt(0)
	v_cmp_ne_u16_sdwa s[10:11], v8, v1 src0_sel:BYTE_0 src1_sel:DWORD
	v_cmp_ge_u64_e32 vcc, v[6:7], v[2:3]
	s_or_b64 s[20:21], vcc, s[10:11]
	s_and_b64 s[20:21], exec, s[20:21]
	s_or_b64 s[2:3], s[20:21], s[2:3]
	v_mov_b32_e32 v9, s75
	v_add_co_u32_e32 v4, vcc, s26, v4
	s_andn2_b64 s[8:9], s[8:9], exec
	s_and_b64 s[10:11], s[10:11], exec
	v_addc_co_u32_e32 v5, vcc, v5, v9, vcc
	s_or_b64 s[8:9], s[8:9], s[10:11]
	s_barrier
	s_andn2_b64 exec, exec, s[2:3]
	s_cbranch_execz .LBB84_108
.LBB84_103:                             ;   Parent Loop BB84_10 Depth=1
                                        ; =>  This Inner Loop Header: Depth=2
	v_cmp_gt_u64_e32 vcc, s[52:53], v[6:7]
	v_mov_b32_e32 v8, 0
	s_and_saveexec_b64 s[10:11], vcc
	s_cbranch_execz .LBB84_105
; %bb.104:                              ;   in Loop: Header=BB84_103 Depth=2
	global_load_ubyte v8, v[4:5], off
.LBB84_105:                             ;   in Loop: Header=BB84_103 Depth=2
	s_or_b64 exec, exec, s[10:11]
	s_and_saveexec_b64 s[10:11], vcc
	s_cbranch_execz .LBB84_102
; %bb.106:                              ;   in Loop: Header=BB84_103 Depth=2
	s_waitcnt vmcnt(0)
	v_add_u32_sdwa v9, sext(v8), s70 dst_sel:DWORD dst_unused:UNUSED_PAD src0_sel:BYTE_0 src1_sel:DWORD
	v_and_b32_e32 v9, s78, v9
	v_cmp_eq_u32_e32 vcc, s79, v9
	s_and_b64 exec, exec, vcc
	s_cbranch_execz .LBB84_102
; %bb.107:                              ;   in Loop: Header=BB84_103 Depth=2
	v_lshlrev_b16_e32 v8, 8, v8
	v_or_b32_e32 v8, 1, v8
	ds_write_b16 v13, v8 offset:3072
	s_branch .LBB84_102
.LBB84_108:                             ;   in Loop: Header=BB84_10 Depth=1
	s_or_b64 exec, exec, s[2:3]
	v_lshrrev_b16_e32 v35, 8, v8
	s_and_b64 s[2:3], s[8:9], exec
.LBB84_109:                             ;   in Loop: Header=BB84_10 Depth=1
	s_or_b64 exec, exec, s[0:1]
	s_mov_b64 s[10:11], -1
	s_mov_b64 s[0:1], 0
	s_mov_b64 s[8:9], 0
.LBB84_110:                             ;   in Loop: Header=BB84_10 Depth=1
	s_andn2_b64 s[20:21], s[60:61], exec
	s_and_b64 s[0:1], s[0:1], exec
	s_or_b64 s[60:61], s[20:21], s[0:1]
	s_andn2_b64 s[0:1], s[58:59], exec
	s_and_b64 s[10:11], s[10:11], exec
	s_or_b64 s[58:59], s[0:1], s[10:11]
	;; [unrolled: 3-line block ×3, first 2 shown]
	s_and_saveexec_b64 s[10:11], s[2:3]
	s_cbranch_execz .LBB84_9
; %bb.111:                              ;   in Loop: Header=BB84_10 Depth=1
	s_xor_b64 s[0:1], s[18:19], -1
	s_andn2_b64 vcc, exec, s[0:1]
	s_mov_b32 s45, 1
	s_cbranch_vccnz .LBB84_122
; %bb.112:                              ;   in Loop: Header=BB84_10 Depth=1
	v_pk_mov_b32 v[2:3], s[12:13], s[12:13] op_sel:[0,1]
	v_cmp_gt_u64_e32 vcc, s[42:43], v[2:3]
	s_mov_b64 s[0:1], -1
                                        ; implicit-def: $sgpr45
                                        ; implicit-def: $sgpr2
                                        ; implicit-def: $sgpr3
	s_cbranch_vccnz .LBB84_118
; %bb.113:                              ;   in Loop: Header=BB84_10 Depth=1
	ds_read_b64 v[2:3], v13 offset:5120
	s_waitcnt lgkmcnt(0)
	v_cmp_ne_u64_e32 vcc, 0, v[2:3]
	s_cbranch_vccnz .LBB84_117
; %bb.114:                              ;   in Loop: Header=BB84_10 Depth=1
	s_mov_b64 s[0:1], exec
	v_readlane_b32 s2, v44, 0
	v_readlane_b32 s3, v44, 1
	s_and_b64 s[2:3], s[0:1], s[2:3]
	s_mov_b64 exec, s[2:3]
	s_cbranch_execz .LBB84_116
; %bb.115:                              ;   in Loop: Header=BB84_10 Depth=1
	v_pk_mov_b32 v[2:3], s[12:13], s[12:13] op_sel:[0,1]
	ds_write_b64 v13, v[2:3] offset:5128
.LBB84_116:                             ;   in Loop: Header=BB84_10 Depth=1
	s_or_b64 exec, exec, s[0:1]
	s_waitcnt lgkmcnt(0)
	s_barrier
.LBB84_117:                             ;   in Loop: Header=BB84_10 Depth=1
	s_and_b32 s2, s79, s39
	s_or_b32 s3, s78, s44
	s_mov_b64 s[0:1], 0
	s_mov_b32 s45, 8
.LBB84_118:                             ;   in Loop: Header=BB84_10 Depth=1
	s_andn2_b64 vcc, exec, s[0:1]
	s_cbranch_vccnz .LBB84_120
; %bb.119:                              ;   in Loop: Header=BB84_10 Depth=1
	s_sub_u32 s42, s42, s12
	s_subb_u32 s43, s43, s13
	s_mov_b64 s[0:1], -1
	s_mov_b32 s45, 0
	s_mov_b32 s2, s79
	;; [unrolled: 1-line block ×3, first 2 shown]
.LBB84_120:                             ;   in Loop: Header=BB84_10 Depth=1
	s_mov_b32 s78, s3
	s_mov_b32 s79, s2
	s_mov_b64 s[12:13], -1
	s_and_b64 vcc, exec, s[0:1]
	s_cbranch_vccnz .LBB84_123
.LBB84_121:                             ;   in Loop: Header=BB84_10 Depth=1
	s_mov_b64 s[0:1], -1
                                        ; implicit-def: $sgpr16_sgpr17
                                        ; implicit-def: $sgpr20_sgpr21
                                        ; implicit-def: $sgpr18_sgpr19
	s_and_saveexec_b64 s[2:3], s[0:1]
	s_xor_b64 s[0:1], exec, s[2:3]
	s_cbranch_execz .LBB84_8
	s_branch .LBB84_272
.LBB84_122:                             ;   in Loop: Header=BB84_10 Depth=1
	s_mov_b64 s[42:43], 1
	s_mov_b64 s[12:13], -1
	s_branch .LBB84_121
.LBB84_123:                             ;   in Loop: Header=BB84_10 Depth=1
	s_cmp_eq_u64 s[24:25], 1
	s_cselect_b64 s[0:1], -1, 0
	s_cmp_eq_u64 s[42:43], 1
	s_cselect_b64 s[2:3], -1, 0
	s_and_b64 s[28:29], s[0:1], s[2:3]
	s_mov_b64 s[2:3], -1
	s_and_b64 vcc, exec, s[28:29]
	s_cbranch_vccz .LBB84_138
; %bb.124:                              ;   in Loop: Header=BB84_10 Depth=1
	ds_read_b64 v[2:3], v13 offset:5120
	s_waitcnt lgkmcnt(0)
	s_barrier
	v_readfirstlane_b32 s0, v2
	v_readfirstlane_b32 s1, v3
	s_mov_b64 s[2:3], exec
	v_readlane_b32 s8, v44, 14
	v_readlane_b32 s9, v44, 15
	s_and_b64 s[8:9], s[2:3], s[8:9]
	s_mov_b64 exec, s[8:9]
	s_cbranch_execz .LBB84_126
; %bb.125:                              ;   in Loop: Header=BB84_10 Depth=1
	ds_write_b8 v0, v1 offset:3072
.LBB84_126:                             ;   in Loop: Header=BB84_10 Depth=1
	s_or_b64 exec, exec, s[2:3]
	s_lshl_b32 s2, 1, s38
	s_and_b32 s3, s79, s39
	s_or_b32 s79, s3, s2
	s_or_b32 s78, s78, s44
	s_cmp_eq_u64 s[0:1], 0
	s_waitcnt lgkmcnt(0)
	s_barrier
	s_cbranch_scc1 .LBB84_144
; %bb.127:                              ;   in Loop: Header=BB84_10 Depth=1
	v_readlane_b32 s2, v44, 20
	s_add_u32 s16, s2, s0
	v_readlane_b32 s2, v44, 21
	s_addc_u32 s3, s2, s1
	s_mov_b32 s2, s69
	s_cmp_lg_u64 s[2:3], 0
	s_cbranch_scc0 .LBB84_189
; %bb.128:                              ;   in Loop: Header=BB84_10 Depth=1
	v_cvt_f32_u32_e32 v2, s33
	s_sub_u32 s2, 0, s33
	s_subb_u32 s8, 0, 0
	v_mac_f32_e32 v2, 0, v34
	v_rcp_f32_e32 v2, v2
	v_mul_f32_e32 v2, 0x5f7ffffc, v2
	v_mul_f32_e32 v3, 0x2f800000, v2
	v_trunc_f32_e32 v3, v3
	v_mac_f32_e32 v2, 0xcf800000, v3
	v_cvt_u32_f32_e32 v3, v3
	v_cvt_u32_f32_e32 v2, v2
	v_readfirstlane_b32 s9, v3
	v_readfirstlane_b32 s17, v2
	s_mul_i32 s18, s2, s9
	s_mul_hi_u32 s20, s2, s17
	s_mul_i32 s19, s8, s17
	s_add_i32 s18, s20, s18
	s_mul_i32 s21, s2, s17
	s_add_i32 s18, s18, s19
	s_mul_hi_u32 s20, s17, s21
	s_mul_hi_u32 s19, s17, s18
	s_mul_i32 s17, s17, s18
	s_add_u32 s17, s20, s17
	s_addc_u32 s19, 0, s19
	s_mul_hi_u32 s22, s9, s21
	s_mul_i32 s21, s9, s21
	s_add_u32 s17, s17, s21
	s_mul_hi_u32 s20, s9, s18
	s_addc_u32 s17, s19, s22
	s_addc_u32 s19, s20, 0
	s_mul_i32 s18, s9, s18
	s_add_u32 s17, s17, s18
	s_addc_u32 s18, 0, s19
	v_add_co_u32_e32 v2, vcc, s17, v2
	s_cmp_lg_u64 vcc, 0
	s_addc_u32 s9, s9, s18
	v_readfirstlane_b32 s18, v2
	s_mul_i32 s17, s2, s9
	s_mul_hi_u32 s19, s2, s18
	s_add_i32 s17, s19, s17
	s_mul_i32 s8, s8, s18
	s_add_i32 s17, s17, s8
	s_mul_i32 s2, s2, s18
	s_mul_hi_u32 s19, s9, s2
	s_mul_i32 s20, s9, s2
	s_mul_i32 s22, s18, s17
	s_mul_hi_u32 s2, s18, s2
	s_mul_hi_u32 s21, s18, s17
	s_add_u32 s2, s2, s22
	s_addc_u32 s18, 0, s21
	s_add_u32 s2, s2, s20
	s_mul_hi_u32 s8, s9, s17
	s_addc_u32 s2, s18, s19
	s_addc_u32 s8, s8, 0
	s_mul_i32 s17, s9, s17
	s_add_u32 s2, s2, s17
	s_addc_u32 s8, 0, s8
	v_add_co_u32_e32 v2, vcc, s2, v2
	s_cmp_lg_u64 vcc, 0
	s_addc_u32 s2, s9, s8
	v_readfirstlane_b32 s17, v2
	s_mul_i32 s9, s16, s2
	s_mul_hi_u32 s18, s16, s17
	s_mul_hi_u32 s8, s16, s2
	s_add_u32 s9, s18, s9
	s_addc_u32 s8, 0, s8
	s_mul_hi_u32 s19, s3, s17
	s_mul_i32 s17, s3, s17
	s_add_u32 s9, s9, s17
	s_mul_hi_u32 s18, s3, s2
	s_addc_u32 s8, s8, s19
	s_addc_u32 s9, s18, 0
	s_mul_i32 s2, s3, s2
	s_add_u32 s2, s8, s2
	s_addc_u32 s8, 0, s9
	s_mul_hi_u32 s9, s33, s2
	s_mul_i32 s2, s33, s2
	s_mul_i32 s8, s33, s8
	v_mov_b32_e32 v2, s2
	s_add_i32 s9, s9, s8
	v_sub_co_u32_e32 v2, vcc, s16, v2
	s_cmp_lg_u64 vcc, 0
	s_subb_u32 s2, s3, s9
	v_subrev_co_u32_e32 v3, vcc, s33, v2
	s_cmp_lg_u64 vcc, 0
	s_subb_u32 s8, s2, 0
	v_subrev_co_u32_e32 v4, vcc, s33, v3
	s_cmp_lg_u64 vcc, 0
	s_subb_u32 s9, s8, 0
	v_cmp_le_u32_e32 vcc, s33, v3
	s_cmp_eq_u32 s8, 0
	v_cndmask_b32_e64 v5, 0, -1, vcc
	s_cselect_b64 vcc, -1, 0
	v_cndmask_b32_e32 v5, -1, v5, vcc
	v_mov_b32_e32 v6, s8
	v_mov_b32_e32 v7, s9
	v_cmp_ne_u32_e32 vcc, 0, v5
	v_cndmask_b32_e32 v5, v6, v7, vcc
	v_cndmask_b32_e32 v4, v3, v4, vcc
	v_cmp_le_u32_e32 vcc, s33, v2
	s_cmp_eq_u32 s2, 0
	v_cndmask_b32_e64 v3, 0, -1, vcc
	s_cselect_b64 vcc, -1, 0
	v_cndmask_b32_e32 v3, -1, v3, vcc
	v_mov_b32_e32 v6, s2
	v_cmp_ne_u32_e32 vcc, 0, v3
	v_cndmask_b32_e32 v3, v6, v5, vcc
	v_cndmask_b32_e32 v2, v2, v4, vcc
	s_cbranch_execnz .LBB84_130
.LBB84_129:                             ;   in Loop: Header=BB84_10 Depth=1
	v_cvt_f32_u32_e32 v2, s33
	s_sub_i32 s2, 0, s33
	v_rcp_iflag_f32_e32 v2, v2
	v_mul_f32_e32 v2, 0x4f7ffffe, v2
	v_cvt_u32_f32_e32 v2, v2
	v_mul_lo_u32 v3, s2, v2
	v_mul_hi_u32 v3, v2, v3
	v_add_u32_e32 v2, v2, v3
	v_mul_hi_u32 v2, s16, v2
	v_mul_lo_u32 v2, v2, s33
	v_sub_u32_e32 v2, s16, v2
	v_subrev_u32_e32 v3, s33, v2
	v_cmp_le_u32_e32 vcc, s33, v2
	v_cndmask_b32_e32 v2, v2, v3, vcc
	v_subrev_u32_e32 v3, s33, v2
	v_cmp_le_u32_e32 vcc, s33, v2
	v_cndmask_b32_e32 v12, v2, v3, vcc
	v_pk_mov_b32 v[2:3], v[12:13], v[12:13] op_sel:[0,1]
.LBB84_130:                             ;   in Loop: Header=BB84_10 Depth=1
	v_mov_b32_e32 v4, s3
	v_sub_co_u32_e32 v2, vcc, s16, v2
	v_subb_co_u32_e32 v3, vcc, v4, v3, vcc
	v_cmp_gt_u64_e32 vcc, v[2:3], v[0:1]
	s_mov_b64 s[2:3], 0
                                        ; implicit-def: $vgpr35
	s_and_saveexec_b64 s[8:9], vcc
	s_cbranch_execz .LBB84_146
; %bb.131:                              ;   in Loop: Header=BB84_10 Depth=1
	v_mov_b32_e32 v6, v0
	v_pk_mov_b32 v[4:5], v[0:1], v[0:1] op_sel:[0,1]
                                        ; implicit-def: $sgpr16_sgpr17
	s_branch .LBB84_133
.LBB84_132:                             ;   in Loop: Header=BB84_133 Depth=2
	s_or_b64 exec, exec, s[18:19]
	s_waitcnt lgkmcnt(0)
	s_barrier
	ds_read_u16 v7, v13 offset:3072
	v_mov_b32_e32 v8, s74
	v_add_co_u32_e32 v4, vcc, s33, v4
	v_addc_co_u32_e32 v5, vcc, v5, v8, vcc
	s_waitcnt lgkmcnt(0)
	v_cmp_ne_u16_sdwa s[18:19], v7, v1 src0_sel:BYTE_0 src1_sel:DWORD
	v_cmp_ge_u64_e32 vcc, v[4:5], v[2:3]
	s_or_b64 s[20:21], vcc, s[18:19]
	s_and_b64 s[20:21], exec, s[20:21]
	s_or_b64 s[2:3], s[20:21], s[2:3]
	s_andn2_b64 s[16:17], s[16:17], exec
	s_and_b64 s[18:19], s[18:19], exec
	v_add_u32_e32 v6, s33, v6
	s_or_b64 s[16:17], s[16:17], s[18:19]
	s_barrier
	s_andn2_b64 exec, exec, s[2:3]
	s_cbranch_execz .LBB84_145
.LBB84_133:                             ;   Parent Loop BB84_10 Depth=1
                                        ; =>  This Inner Loop Header: Depth=2
	v_cmp_gt_u64_e32 vcc, s[0:1], v[4:5]
	v_mov_b32_e32 v7, 0
	s_and_saveexec_b64 s[18:19], vcc
	s_cbranch_execz .LBB84_135
; %bb.134:                              ;   in Loop: Header=BB84_133 Depth=2
	ds_read_u8 v7, v6
.LBB84_135:                             ;   in Loop: Header=BB84_133 Depth=2
	s_or_b64 exec, exec, s[18:19]
	s_and_saveexec_b64 s[18:19], vcc
	s_cbranch_execz .LBB84_132
; %bb.136:                              ;   in Loop: Header=BB84_133 Depth=2
	s_waitcnt lgkmcnt(0)
	v_add_u32_sdwa v8, sext(v7), s70 dst_sel:DWORD dst_unused:UNUSED_PAD src0_sel:BYTE_0 src1_sel:DWORD
	v_and_b32_e32 v8, s78, v8
	v_cmp_eq_u32_e32 vcc, s79, v8
	s_and_b64 exec, exec, vcc
	s_cbranch_execz .LBB84_132
; %bb.137:                              ;   in Loop: Header=BB84_133 Depth=2
	v_lshlrev_b16_e32 v7, 8, v7
	v_or_b32_e32 v7, 1, v7
	ds_write_b16 v13, v7 offset:3072
	s_branch .LBB84_132
.LBB84_138:                             ;   in Loop: Header=BB84_10 Depth=1
                                        ; implicit-def: $sgpr18_sgpr19
                                        ; implicit-def: $sgpr20_sgpr21
                                        ; implicit-def: $sgpr16_sgpr17
	s_branch .LBB84_160
.LBB84_139:                             ;   in Loop: Header=BB84_10 Depth=1
                                        ; implicit-def: $vgpr2_vgpr3
	s_branch .LBB84_84
.LBB84_140:                             ;   in Loop: Header=BB84_10 Depth=1
	s_or_b64 exec, exec, s[0:1]
	s_waitcnt lgkmcnt(0)
	s_barrier
	s_mov_b64 s[0:1], exec
	v_readlane_b32 s2, v44, 0
	v_readlane_b32 s3, v44, 1
	s_and_b64 s[2:3], s[0:1], s[2:3]
	s_mov_b64 exec, s[2:3]
	s_cbranch_execz .LBB84_142
; %bb.141:                              ;   in Loop: Header=BB84_10 Depth=1
	ds_read_b32 v2, v13 offset:5144
	s_waitcnt lgkmcnt(0)
	v_ashrrev_i32_e32 v3, 31, v2
	ds_write_b64 v13, v[2:3] offset:5120
.LBB84_142:                             ;   in Loop: Header=BB84_10 Depth=1
	s_or_b64 exec, exec, s[0:1]
	s_waitcnt lgkmcnt(0)
	s_barrier
	s_mov_b64 s[0:1], -1
	s_and_b64 vcc, exec, s[62:63]
	s_cbranch_vccnz .LBB84_25
	s_branch .LBB84_35
.LBB84_143:                             ;   in Loop: Header=BB84_10 Depth=1
                                        ; implicit-def: $vgpr2_vgpr3
	s_branch .LBB84_99
.LBB84_144:                             ;   in Loop: Header=BB84_10 Depth=1
	s_mov_b64 s[18:19], -1
	s_mov_b64 s[2:3], 0
                                        ; implicit-def: $sgpr16_sgpr17
                                        ; implicit-def: $vgpr35
	s_mov_b64 s[20:21], s[18:19]
	s_cbranch_execnz .LBB84_147
	s_branch .LBB84_160
.LBB84_145:                             ;   in Loop: Header=BB84_10 Depth=1
	s_or_b64 exec, exec, s[2:3]
	v_lshrrev_b16_e32 v35, 8, v7
	s_and_b64 s[2:3], s[16:17], exec
.LBB84_146:                             ;   in Loop: Header=BB84_10 Depth=1
	s_or_b64 exec, exec, s[8:9]
	s_mov_b64 s[16:17], -1
	s_mov_b64 s[18:19], 0
	s_mov_b64 s[20:21], s[18:19]
	s_branch .LBB84_160
.LBB84_147:                             ;   in Loop: Header=BB84_10 Depth=1
	s_mov_b32 s54, s69
	s_cmp_lg_u64 s[54:55], 0
	s_cbranch_scc0 .LBB84_190
; %bb.148:                              ;   in Loop: Header=BB84_10 Depth=1
	v_cvt_f32_u32_e32 v2, s33
	s_sub_u32 s0, 0, s33
	s_subb_u32 s1, 0, 0
	v_mac_f32_e32 v2, 0, v34
	v_rcp_f32_e32 v2, v2
	v_mul_f32_e32 v2, 0x5f7ffffc, v2
	v_mul_f32_e32 v3, 0x2f800000, v2
	v_trunc_f32_e32 v3, v3
	v_mac_f32_e32 v2, 0xcf800000, v3
	v_cvt_u32_f32_e32 v3, v3
	v_cvt_u32_f32_e32 v2, v2
	v_readfirstlane_b32 s2, v3
	v_readfirstlane_b32 s3, v2
	s_mul_i32 s8, s0, s2
	s_mul_hi_u32 s16, s0, s3
	s_mul_i32 s9, s1, s3
	s_add_i32 s8, s16, s8
	s_mul_i32 s17, s0, s3
	s_add_i32 s8, s8, s9
	s_mul_hi_u32 s16, s3, s17
	s_mul_hi_u32 s9, s3, s8
	s_mul_i32 s3, s3, s8
	s_add_u32 s3, s16, s3
	s_addc_u32 s9, 0, s9
	s_mul_hi_u32 s18, s2, s17
	s_mul_i32 s17, s2, s17
	s_add_u32 s3, s3, s17
	s_mul_hi_u32 s16, s2, s8
	s_addc_u32 s3, s9, s18
	s_addc_u32 s9, s16, 0
	s_mul_i32 s8, s2, s8
	s_add_u32 s3, s3, s8
	s_addc_u32 s8, 0, s9
	v_add_co_u32_e32 v2, vcc, s3, v2
	s_cmp_lg_u64 vcc, 0
	s_addc_u32 s2, s2, s8
	v_readfirstlane_b32 s8, v2
	s_mul_i32 s3, s0, s2
	s_mul_hi_u32 s9, s0, s8
	s_add_i32 s3, s9, s3
	s_mul_i32 s1, s1, s8
	s_add_i32 s3, s3, s1
	s_mul_i32 s0, s0, s8
	s_mul_hi_u32 s9, s2, s0
	s_mul_i32 s16, s2, s0
	s_mul_i32 s18, s8, s3
	s_mul_hi_u32 s0, s8, s0
	s_mul_hi_u32 s17, s8, s3
	s_add_u32 s0, s0, s18
	s_addc_u32 s8, 0, s17
	s_add_u32 s0, s0, s16
	s_mul_hi_u32 s1, s2, s3
	s_addc_u32 s0, s8, s9
	s_addc_u32 s1, s1, 0
	s_mul_i32 s3, s2, s3
	s_add_u32 s0, s0, s3
	s_addc_u32 s1, 0, s1
	v_add_co_u32_e32 v2, vcc, s0, v2
	s_cmp_lg_u64 vcc, 0
	s_addc_u32 s0, s2, s1
	v_readfirstlane_b32 s3, v2
	s_mul_i32 s2, s85, s0
	s_mul_hi_u32 s8, s85, s3
	s_mul_hi_u32 s1, s85, s0
	s_add_u32 s2, s8, s2
	s_addc_u32 s1, 0, s1
	s_mul_hi_u32 s9, s55, s3
	s_mul_i32 s3, s55, s3
	s_add_u32 s2, s2, s3
	s_mul_hi_u32 s8, s55, s0
	s_addc_u32 s1, s1, s9
	s_addc_u32 s2, s8, 0
	s_mul_i32 s0, s55, s0
	s_add_u32 s0, s1, s0
	s_addc_u32 s1, 0, s2
	s_mul_hi_u32 s2, s33, s0
	s_mul_i32 s0, s33, s0
	s_mul_i32 s1, s33, s1
	v_mov_b32_e32 v2, s0
	s_add_i32 s2, s2, s1
	v_sub_co_u32_e32 v2, vcc, s85, v2
	s_cmp_lg_u64 vcc, 0
	s_subb_u32 s0, s55, s2
	v_subrev_co_u32_e32 v3, vcc, s33, v2
	s_cmp_lg_u64 vcc, 0
	s_subb_u32 s1, s0, 0
	v_subrev_co_u32_e32 v4, vcc, s33, v3
	s_cmp_lg_u64 vcc, 0
	s_subb_u32 s2, s1, 0
	v_cmp_le_u32_e32 vcc, s33, v3
	s_cmp_eq_u32 s1, 0
	v_cndmask_b32_e64 v5, 0, -1, vcc
	s_cselect_b64 vcc, -1, 0
	v_cndmask_b32_e32 v5, -1, v5, vcc
	v_mov_b32_e32 v6, s1
	v_mov_b32_e32 v7, s2
	v_cmp_ne_u32_e32 vcc, 0, v5
	v_cndmask_b32_e32 v5, v6, v7, vcc
	v_cndmask_b32_e32 v4, v3, v4, vcc
	v_cmp_le_u32_e32 vcc, s33, v2
	s_cmp_eq_u32 s0, 0
	v_cndmask_b32_e64 v3, 0, -1, vcc
	s_cselect_b64 vcc, -1, 0
	v_cndmask_b32_e32 v3, -1, v3, vcc
	v_mov_b32_e32 v6, s0
	v_cmp_ne_u32_e32 vcc, 0, v3
	v_cndmask_b32_e32 v3, v6, v5, vcc
	v_cndmask_b32_e32 v2, v2, v4, vcc
	s_cbranch_execnz .LBB84_150
.LBB84_149:                             ;   in Loop: Header=BB84_10 Depth=1
	v_cvt_f32_u32_e32 v2, s33
	s_sub_i32 s0, 0, s33
	v_rcp_iflag_f32_e32 v2, v2
	v_mul_f32_e32 v2, 0x4f7ffffe, v2
	v_cvt_u32_f32_e32 v2, v2
	v_mul_lo_u32 v3, s0, v2
	v_mul_hi_u32 v3, v2, v3
	v_add_u32_e32 v2, v2, v3
	v_mul_hi_u32 v2, s85, v2
	v_mul_lo_u32 v2, v2, s33
	v_sub_u32_e32 v2, s85, v2
	v_subrev_u32_e32 v3, s33, v2
	v_cmp_le_u32_e32 vcc, s33, v2
	v_cndmask_b32_e32 v2, v2, v3, vcc
	v_subrev_u32_e32 v3, s33, v2
	v_cmp_le_u32_e32 vcc, s33, v2
	v_cndmask_b32_e32 v12, v2, v3, vcc
	v_pk_mov_b32 v[2:3], v[12:13], v[12:13] op_sel:[0,1]
.LBB84_150:                             ;   in Loop: Header=BB84_10 Depth=1
	v_mov_b32_e32 v4, s55
	v_sub_co_u32_e32 v2, vcc, s85, v2
	v_subb_co_u32_e32 v3, vcc, v4, v3, vcc
	v_cmp_gt_u64_e32 vcc, v[2:3], v[0:1]
	s_mov_b64 s[2:3], 0
                                        ; implicit-def: $vgpr35
	s_and_saveexec_b64 s[0:1], vcc
	s_cbranch_execz .LBB84_159
; %bb.151:                              ;   in Loop: Header=BB84_10 Depth=1
	v_pk_mov_b32 v[4:5], v[10:11], v[10:11] op_sel:[0,1]
	v_pk_mov_b32 v[6:7], v[0:1], v[0:1] op_sel:[0,1]
                                        ; implicit-def: $sgpr8_sgpr9
	s_branch .LBB84_153
.LBB84_152:                             ;   in Loop: Header=BB84_153 Depth=2
	s_or_b64 exec, exec, s[16:17]
	s_waitcnt lgkmcnt(0)
	s_barrier
	s_waitcnt vmcnt(0)
	ds_read_u16 v8, v13 offset:3072
	v_mov_b32_e32 v9, s74
	v_add_co_u32_e32 v6, vcc, s33, v6
	v_addc_co_u32_e32 v7, vcc, v7, v9, vcc
	s_waitcnt lgkmcnt(0)
	v_cmp_ne_u16_sdwa s[16:17], v8, v1 src0_sel:BYTE_0 src1_sel:DWORD
	v_cmp_ge_u64_e32 vcc, v[6:7], v[2:3]
	s_or_b64 s[18:19], vcc, s[16:17]
	s_and_b64 s[18:19], exec, s[18:19]
	s_or_b64 s[2:3], s[18:19], s[2:3]
	v_mov_b32_e32 v9, s75
	v_add_co_u32_e32 v4, vcc, s26, v4
	s_andn2_b64 s[8:9], s[8:9], exec
	s_and_b64 s[16:17], s[16:17], exec
	v_addc_co_u32_e32 v5, vcc, v5, v9, vcc
	s_or_b64 s[8:9], s[8:9], s[16:17]
	s_barrier
	s_andn2_b64 exec, exec, s[2:3]
	s_cbranch_execz .LBB84_158
.LBB84_153:                             ;   Parent Loop BB84_10 Depth=1
                                        ; =>  This Inner Loop Header: Depth=2
	v_cmp_gt_u64_e32 vcc, s[52:53], v[6:7]
	v_mov_b32_e32 v8, 0
	s_and_saveexec_b64 s[16:17], vcc
	s_cbranch_execz .LBB84_155
; %bb.154:                              ;   in Loop: Header=BB84_153 Depth=2
	global_load_ubyte v8, v[4:5], off
.LBB84_155:                             ;   in Loop: Header=BB84_153 Depth=2
	s_or_b64 exec, exec, s[16:17]
	s_and_saveexec_b64 s[16:17], vcc
	s_cbranch_execz .LBB84_152
; %bb.156:                              ;   in Loop: Header=BB84_153 Depth=2
	s_waitcnt vmcnt(0)
	v_add_u32_sdwa v9, sext(v8), s70 dst_sel:DWORD dst_unused:UNUSED_PAD src0_sel:BYTE_0 src1_sel:DWORD
	v_and_b32_e32 v9, s78, v9
	v_cmp_eq_u32_e32 vcc, s79, v9
	s_and_b64 exec, exec, vcc
	s_cbranch_execz .LBB84_152
; %bb.157:                              ;   in Loop: Header=BB84_153 Depth=2
	v_lshlrev_b16_e32 v8, 8, v8
	v_or_b32_e32 v8, 1, v8
	ds_write_b16 v13, v8 offset:3072
	s_branch .LBB84_152
.LBB84_158:                             ;   in Loop: Header=BB84_10 Depth=1
	s_or_b64 exec, exec, s[2:3]
	v_lshrrev_b16_e32 v35, 8, v8
	s_and_b64 s[2:3], s[8:9], exec
.LBB84_159:                             ;   in Loop: Header=BB84_10 Depth=1
	s_or_b64 exec, exec, s[0:1]
	s_mov_b64 s[20:21], -1
	s_mov_b64 s[18:19], 0
	s_mov_b64 s[16:17], 0
.LBB84_160:                             ;   in Loop: Header=BB84_10 Depth=1
	s_mov_b64 s[0:1], 0
                                        ; implicit-def: $sgpr45
	s_and_saveexec_b64 s[22:23], s[2:3]
	s_cbranch_execz .LBB84_271
; %bb.161:                              ;   in Loop: Header=BB84_10 Depth=1
	s_xor_b64 s[0:1], s[28:29], -1
	s_andn2_b64 vcc, exec, s[0:1]
	s_mov_b32 s45, 1
	s_cbranch_vccnz .LBB84_172
; %bb.162:                              ;   in Loop: Header=BB84_10 Depth=1
	v_pk_mov_b32 v[2:3], s[24:25], s[24:25] op_sel:[0,1]
	v_cmp_gt_u64_e32 vcc, s[42:43], v[2:3]
	s_mov_b64 s[0:1], -1
                                        ; implicit-def: $sgpr45
                                        ; implicit-def: $sgpr2
                                        ; implicit-def: $sgpr3
	s_cbranch_vccnz .LBB84_168
; %bb.163:                              ;   in Loop: Header=BB84_10 Depth=1
	ds_read_b64 v[2:3], v13 offset:5120
	s_waitcnt lgkmcnt(0)
	v_cmp_ne_u64_e32 vcc, 0, v[2:3]
	s_cbranch_vccnz .LBB84_167
; %bb.164:                              ;   in Loop: Header=BB84_10 Depth=1
	s_mov_b64 s[0:1], exec
	v_readlane_b32 s2, v44, 0
	v_readlane_b32 s3, v44, 1
	s_and_b64 s[2:3], s[0:1], s[2:3]
	s_mov_b64 exec, s[2:3]
	s_cbranch_execz .LBB84_166
; %bb.165:                              ;   in Loop: Header=BB84_10 Depth=1
	v_pk_mov_b32 v[2:3], s[24:25], s[24:25] op_sel:[0,1]
	ds_write_b64 v13, v[2:3] offset:5128
.LBB84_166:                             ;   in Loop: Header=BB84_10 Depth=1
	s_or_b64 exec, exec, s[0:1]
	s_waitcnt lgkmcnt(0)
	s_barrier
.LBB84_167:                             ;   in Loop: Header=BB84_10 Depth=1
	s_lshl_b32 s0, 1, s38
	s_and_b32 s1, s79, s39
	s_or_b32 s2, s1, s0
	s_or_b32 s3, s78, s44
	s_mov_b64 s[0:1], 0
	s_mov_b32 s45, 8
.LBB84_168:                             ;   in Loop: Header=BB84_10 Depth=1
	s_andn2_b64 vcc, exec, s[0:1]
	s_cbranch_vccnz .LBB84_170
; %bb.169:                              ;   in Loop: Header=BB84_10 Depth=1
	s_sub_u32 s42, s42, s24
	s_subb_u32 s43, s43, s25
	s_mov_b64 s[0:1], -1
	s_mov_b32 s45, 0
	s_mov_b32 s2, s79
	;; [unrolled: 1-line block ×3, first 2 shown]
.LBB84_170:                             ;   in Loop: Header=BB84_10 Depth=1
	s_mov_b32 s78, s3
	s_mov_b32 s79, s2
	s_andn2_b64 vcc, exec, s[0:1]
	s_mov_b64 s[0:1], -1
	s_cbranch_vccz .LBB84_173
.LBB84_171:                             ;   in Loop: Header=BB84_10 Depth=1
                                        ; implicit-def: $sgpr28_sgpr29
                                        ; implicit-def: $sgpr30_sgpr31
                                        ; implicit-def: $sgpr24_sgpr25
	s_branch .LBB84_270
.LBB84_172:                             ;   in Loop: Header=BB84_10 Depth=1
	s_mov_b64 s[42:43], 1
	s_mov_b64 s[0:1], -1
	s_cbranch_execnz .LBB84_171
.LBB84_173:                             ;   in Loop: Header=BB84_10 Depth=1
	s_cmp_eq_u64 s[14:15], 1
	s_cselect_b64 s[0:1], -1, 0
	s_cmp_eq_u64 s[42:43], 1
	s_cselect_b64 s[2:3], -1, 0
	s_and_b64 s[36:37], s[0:1], s[2:3]
	s_mov_b64 s[2:3], -1
	s_and_b64 vcc, exec, s[36:37]
	s_cbranch_vccz .LBB84_188
; %bb.174:                              ;   in Loop: Header=BB84_10 Depth=1
	ds_read_b64 v[2:3], v13 offset:5120
	s_waitcnt lgkmcnt(0)
	s_barrier
	v_readfirstlane_b32 s0, v2
	v_readfirstlane_b32 s1, v3
	s_mov_b64 s[2:3], exec
	v_readlane_b32 s8, v44, 14
	v_readlane_b32 s9, v44, 15
	s_and_b64 s[8:9], s[2:3], s[8:9]
	s_mov_b64 exec, s[8:9]
	s_cbranch_execz .LBB84_176
; %bb.175:                              ;   in Loop: Header=BB84_10 Depth=1
	ds_write_b8 v0, v1 offset:3072
.LBB84_176:                             ;   in Loop: Header=BB84_10 Depth=1
	s_or_b64 exec, exec, s[2:3]
	s_lshl_b32 s2, 2, s38
	s_and_b32 s3, s79, s39
	s_or_b32 s79, s3, s2
	s_or_b32 s78, s78, s44
	s_cmp_eq_u64 s[0:1], 0
	s_waitcnt lgkmcnt(0)
	s_barrier
	s_cbranch_scc1 .LBB84_191
; %bb.177:                              ;   in Loop: Header=BB84_10 Depth=1
	v_readlane_b32 s2, v44, 20
	s_add_u32 s24, s2, s0
	v_readlane_b32 s2, v44, 21
	s_addc_u32 s3, s2, s1
	s_mov_b32 s2, s69
	s_cmp_lg_u64 s[2:3], 0
	s_cbranch_scc0 .LBB84_236
; %bb.178:                              ;   in Loop: Header=BB84_10 Depth=1
	v_cvt_f32_u32_e32 v2, s33
	s_sub_u32 s2, 0, s33
	s_subb_u32 s8, 0, 0
	v_mac_f32_e32 v2, 0, v34
	v_rcp_f32_e32 v2, v2
	v_mul_f32_e32 v2, 0x5f7ffffc, v2
	v_mul_f32_e32 v3, 0x2f800000, v2
	v_trunc_f32_e32 v3, v3
	v_mac_f32_e32 v2, 0xcf800000, v3
	v_cvt_u32_f32_e32 v3, v3
	v_cvt_u32_f32_e32 v2, v2
	v_readfirstlane_b32 s9, v3
	v_readfirstlane_b32 s25, v2
	s_mul_i32 s27, s2, s9
	s_mul_hi_u32 s29, s2, s25
	s_mul_i32 s28, s8, s25
	s_add_i32 s27, s29, s27
	s_mul_i32 s30, s2, s25
	s_add_i32 s27, s27, s28
	s_mul_hi_u32 s29, s25, s30
	s_mul_hi_u32 s28, s25, s27
	s_mul_i32 s25, s25, s27
	s_add_u32 s25, s29, s25
	s_addc_u32 s28, 0, s28
	s_mul_hi_u32 s31, s9, s30
	s_mul_i32 s30, s9, s30
	s_add_u32 s25, s25, s30
	s_mul_hi_u32 s29, s9, s27
	s_addc_u32 s25, s28, s31
	s_addc_u32 s28, s29, 0
	s_mul_i32 s27, s9, s27
	s_add_u32 s25, s25, s27
	s_addc_u32 s27, 0, s28
	v_add_co_u32_e32 v2, vcc, s25, v2
	s_cmp_lg_u64 vcc, 0
	s_addc_u32 s9, s9, s27
	v_readfirstlane_b32 s27, v2
	s_mul_i32 s25, s2, s9
	s_mul_hi_u32 s28, s2, s27
	s_add_i32 s25, s28, s25
	s_mul_i32 s8, s8, s27
	s_add_i32 s25, s25, s8
	s_mul_i32 s2, s2, s27
	s_mul_hi_u32 s28, s9, s2
	s_mul_i32 s29, s9, s2
	s_mul_i32 s31, s27, s25
	s_mul_hi_u32 s2, s27, s2
	s_mul_hi_u32 s30, s27, s25
	s_add_u32 s2, s2, s31
	s_addc_u32 s27, 0, s30
	s_add_u32 s2, s2, s29
	s_mul_hi_u32 s8, s9, s25
	s_addc_u32 s2, s27, s28
	s_addc_u32 s8, s8, 0
	s_mul_i32 s25, s9, s25
	s_add_u32 s2, s2, s25
	s_addc_u32 s8, 0, s8
	v_add_co_u32_e32 v2, vcc, s2, v2
	s_cmp_lg_u64 vcc, 0
	s_addc_u32 s2, s9, s8
	v_readfirstlane_b32 s25, v2
	s_mul_i32 s9, s24, s2
	s_mul_hi_u32 s27, s24, s25
	s_mul_hi_u32 s8, s24, s2
	s_add_u32 s9, s27, s9
	s_addc_u32 s8, 0, s8
	s_mul_hi_u32 s28, s3, s25
	s_mul_i32 s25, s3, s25
	s_add_u32 s9, s9, s25
	s_mul_hi_u32 s27, s3, s2
	s_addc_u32 s8, s8, s28
	s_addc_u32 s9, s27, 0
	s_mul_i32 s2, s3, s2
	s_add_u32 s2, s8, s2
	s_addc_u32 s8, 0, s9
	s_mul_hi_u32 s9, s33, s2
	s_mul_i32 s2, s33, s2
	s_mul_i32 s8, s33, s8
	v_mov_b32_e32 v2, s2
	s_add_i32 s9, s9, s8
	v_sub_co_u32_e32 v2, vcc, s24, v2
	s_cmp_lg_u64 vcc, 0
	s_subb_u32 s2, s3, s9
	v_subrev_co_u32_e32 v3, vcc, s33, v2
	s_cmp_lg_u64 vcc, 0
	s_subb_u32 s8, s2, 0
	v_subrev_co_u32_e32 v4, vcc, s33, v3
	s_cmp_lg_u64 vcc, 0
	s_subb_u32 s9, s8, 0
	v_cmp_le_u32_e32 vcc, s33, v3
	s_cmp_eq_u32 s8, 0
	v_cndmask_b32_e64 v5, 0, -1, vcc
	s_cselect_b64 vcc, -1, 0
	v_cndmask_b32_e32 v5, -1, v5, vcc
	v_mov_b32_e32 v6, s8
	v_mov_b32_e32 v7, s9
	v_cmp_ne_u32_e32 vcc, 0, v5
	v_cndmask_b32_e32 v5, v6, v7, vcc
	v_cndmask_b32_e32 v4, v3, v4, vcc
	v_cmp_le_u32_e32 vcc, s33, v2
	s_cmp_eq_u32 s2, 0
	v_cndmask_b32_e64 v3, 0, -1, vcc
	s_cselect_b64 vcc, -1, 0
	v_cndmask_b32_e32 v3, -1, v3, vcc
	v_mov_b32_e32 v6, s2
	v_cmp_ne_u32_e32 vcc, 0, v3
	v_cndmask_b32_e32 v3, v6, v5, vcc
	v_cndmask_b32_e32 v2, v2, v4, vcc
	s_cbranch_execnz .LBB84_180
.LBB84_179:                             ;   in Loop: Header=BB84_10 Depth=1
	v_cvt_f32_u32_e32 v2, s33
	s_sub_i32 s2, 0, s33
	v_rcp_iflag_f32_e32 v2, v2
	v_mul_f32_e32 v2, 0x4f7ffffe, v2
	v_cvt_u32_f32_e32 v2, v2
	v_mul_lo_u32 v3, s2, v2
	v_mul_hi_u32 v3, v2, v3
	v_add_u32_e32 v2, v2, v3
	v_mul_hi_u32 v2, s24, v2
	v_mul_lo_u32 v2, v2, s33
	v_sub_u32_e32 v2, s24, v2
	v_subrev_u32_e32 v3, s33, v2
	v_cmp_le_u32_e32 vcc, s33, v2
	v_cndmask_b32_e32 v2, v2, v3, vcc
	v_subrev_u32_e32 v3, s33, v2
	v_cmp_le_u32_e32 vcc, s33, v2
	v_cndmask_b32_e32 v12, v2, v3, vcc
	v_pk_mov_b32 v[2:3], v[12:13], v[12:13] op_sel:[0,1]
.LBB84_180:                             ;   in Loop: Header=BB84_10 Depth=1
	v_mov_b32_e32 v4, s3
	v_sub_co_u32_e32 v2, vcc, s24, v2
	v_subb_co_u32_e32 v3, vcc, v4, v3, vcc
	v_cmp_gt_u64_e32 vcc, v[2:3], v[0:1]
	s_mov_b64 s[2:3], 0
                                        ; implicit-def: $vgpr35
	s_and_saveexec_b64 s[8:9], vcc
	s_cbranch_execz .LBB84_193
; %bb.181:                              ;   in Loop: Header=BB84_10 Depth=1
	v_mov_b32_e32 v6, v0
	v_pk_mov_b32 v[4:5], v[0:1], v[0:1] op_sel:[0,1]
                                        ; implicit-def: $sgpr24_sgpr25
	s_branch .LBB84_183
.LBB84_182:                             ;   in Loop: Header=BB84_183 Depth=2
	s_or_b64 exec, exec, s[28:29]
	s_waitcnt lgkmcnt(0)
	s_barrier
	ds_read_u16 v7, v13 offset:3072
	v_mov_b32_e32 v8, s74
	v_add_co_u32_e32 v4, vcc, s33, v4
	v_addc_co_u32_e32 v5, vcc, v5, v8, vcc
	s_waitcnt lgkmcnt(0)
	v_cmp_ne_u16_sdwa s[28:29], v7, v1 src0_sel:BYTE_0 src1_sel:DWORD
	v_cmp_ge_u64_e32 vcc, v[4:5], v[2:3]
	s_or_b64 s[30:31], vcc, s[28:29]
	s_and_b64 s[30:31], exec, s[30:31]
	s_or_b64 s[2:3], s[30:31], s[2:3]
	s_andn2_b64 s[24:25], s[24:25], exec
	s_and_b64 s[28:29], s[28:29], exec
	v_add_u32_e32 v6, s33, v6
	s_or_b64 s[24:25], s[24:25], s[28:29]
	s_barrier
	s_andn2_b64 exec, exec, s[2:3]
	s_cbranch_execz .LBB84_192
.LBB84_183:                             ;   Parent Loop BB84_10 Depth=1
                                        ; =>  This Inner Loop Header: Depth=2
	v_cmp_gt_u64_e32 vcc, s[0:1], v[4:5]
	v_mov_b32_e32 v7, 0
	s_and_saveexec_b64 s[28:29], vcc
	s_cbranch_execz .LBB84_185
; %bb.184:                              ;   in Loop: Header=BB84_183 Depth=2
	ds_read_u8 v7, v6
.LBB84_185:                             ;   in Loop: Header=BB84_183 Depth=2
	s_or_b64 exec, exec, s[28:29]
	s_and_saveexec_b64 s[28:29], vcc
	s_cbranch_execz .LBB84_182
; %bb.186:                              ;   in Loop: Header=BB84_183 Depth=2
	s_waitcnt lgkmcnt(0)
	v_add_u32_sdwa v8, sext(v7), s70 dst_sel:DWORD dst_unused:UNUSED_PAD src0_sel:BYTE_0 src1_sel:DWORD
	v_and_b32_e32 v8, s78, v8
	v_cmp_eq_u32_e32 vcc, s79, v8
	s_and_b64 exec, exec, vcc
	s_cbranch_execz .LBB84_182
; %bb.187:                              ;   in Loop: Header=BB84_183 Depth=2
	v_lshlrev_b16_e32 v7, 8, v7
	v_or_b32_e32 v7, 1, v7
	ds_write_b16 v13, v7 offset:3072
	s_branch .LBB84_182
.LBB84_188:                             ;   in Loop: Header=BB84_10 Depth=1
                                        ; implicit-def: $sgpr24_sgpr25
                                        ; implicit-def: $sgpr30_sgpr31
                                        ; implicit-def: $sgpr28_sgpr29
	s_branch .LBB84_207
.LBB84_189:                             ;   in Loop: Header=BB84_10 Depth=1
                                        ; implicit-def: $vgpr2_vgpr3
	s_branch .LBB84_129
.LBB84_190:                             ;   in Loop: Header=BB84_10 Depth=1
                                        ; implicit-def: $vgpr2_vgpr3
	s_branch .LBB84_149
.LBB84_191:                             ;   in Loop: Header=BB84_10 Depth=1
	s_mov_b64 s[24:25], -1
	s_mov_b64 s[2:3], 0
                                        ; implicit-def: $sgpr28_sgpr29
                                        ; implicit-def: $vgpr35
	s_mov_b64 s[30:31], s[24:25]
	s_cbranch_execnz .LBB84_194
	s_branch .LBB84_207
.LBB84_192:                             ;   in Loop: Header=BB84_10 Depth=1
	s_or_b64 exec, exec, s[2:3]
	v_lshrrev_b16_e32 v35, 8, v7
	s_and_b64 s[2:3], s[24:25], exec
.LBB84_193:                             ;   in Loop: Header=BB84_10 Depth=1
	s_or_b64 exec, exec, s[8:9]
	s_mov_b64 s[28:29], -1
	s_mov_b64 s[24:25], 0
	s_mov_b64 s[30:31], s[24:25]
	s_branch .LBB84_207
.LBB84_194:                             ;   in Loop: Header=BB84_10 Depth=1
	s_mov_b32 s54, s69
	s_cmp_lg_u64 s[54:55], 0
	s_cbranch_scc0 .LBB84_237
; %bb.195:                              ;   in Loop: Header=BB84_10 Depth=1
	v_cvt_f32_u32_e32 v2, s33
	s_sub_u32 s0, 0, s33
	s_subb_u32 s1, 0, 0
	v_mac_f32_e32 v2, 0, v34
	v_rcp_f32_e32 v2, v2
	v_mul_f32_e32 v2, 0x5f7ffffc, v2
	v_mul_f32_e32 v3, 0x2f800000, v2
	v_trunc_f32_e32 v3, v3
	v_mac_f32_e32 v2, 0xcf800000, v3
	v_cvt_u32_f32_e32 v3, v3
	v_cvt_u32_f32_e32 v2, v2
	v_readfirstlane_b32 s2, v3
	v_readfirstlane_b32 s3, v2
	s_mul_i32 s8, s0, s2
	s_mul_hi_u32 s24, s0, s3
	s_mul_i32 s9, s1, s3
	s_add_i32 s8, s24, s8
	s_mul_i32 s25, s0, s3
	s_add_i32 s8, s8, s9
	s_mul_hi_u32 s24, s3, s25
	s_mul_hi_u32 s9, s3, s8
	s_mul_i32 s3, s3, s8
	s_add_u32 s3, s24, s3
	s_addc_u32 s9, 0, s9
	s_mul_hi_u32 s27, s2, s25
	s_mul_i32 s25, s2, s25
	s_add_u32 s3, s3, s25
	s_mul_hi_u32 s24, s2, s8
	s_addc_u32 s3, s9, s27
	s_addc_u32 s9, s24, 0
	s_mul_i32 s8, s2, s8
	s_add_u32 s3, s3, s8
	s_addc_u32 s8, 0, s9
	v_add_co_u32_e32 v2, vcc, s3, v2
	s_cmp_lg_u64 vcc, 0
	s_addc_u32 s2, s2, s8
	v_readfirstlane_b32 s8, v2
	s_mul_i32 s3, s0, s2
	s_mul_hi_u32 s9, s0, s8
	s_add_i32 s3, s9, s3
	s_mul_i32 s1, s1, s8
	s_add_i32 s3, s3, s1
	s_mul_i32 s0, s0, s8
	s_mul_hi_u32 s9, s2, s0
	s_mul_i32 s24, s2, s0
	s_mul_i32 s27, s8, s3
	s_mul_hi_u32 s0, s8, s0
	s_mul_hi_u32 s25, s8, s3
	s_add_u32 s0, s0, s27
	s_addc_u32 s8, 0, s25
	s_add_u32 s0, s0, s24
	s_mul_hi_u32 s1, s2, s3
	s_addc_u32 s0, s8, s9
	s_addc_u32 s1, s1, 0
	s_mul_i32 s3, s2, s3
	s_add_u32 s0, s0, s3
	s_addc_u32 s1, 0, s1
	v_add_co_u32_e32 v2, vcc, s0, v2
	s_cmp_lg_u64 vcc, 0
	s_addc_u32 s0, s2, s1
	v_readfirstlane_b32 s3, v2
	s_mul_i32 s2, s85, s0
	s_mul_hi_u32 s8, s85, s3
	s_mul_hi_u32 s1, s85, s0
	s_add_u32 s2, s8, s2
	s_addc_u32 s1, 0, s1
	s_mul_hi_u32 s9, s55, s3
	s_mul_i32 s3, s55, s3
	s_add_u32 s2, s2, s3
	s_mul_hi_u32 s8, s55, s0
	s_addc_u32 s1, s1, s9
	s_addc_u32 s2, s8, 0
	s_mul_i32 s0, s55, s0
	s_add_u32 s0, s1, s0
	s_addc_u32 s1, 0, s2
	s_mul_hi_u32 s2, s33, s0
	s_mul_i32 s0, s33, s0
	s_mul_i32 s1, s33, s1
	v_mov_b32_e32 v2, s0
	s_add_i32 s2, s2, s1
	v_sub_co_u32_e32 v2, vcc, s85, v2
	s_cmp_lg_u64 vcc, 0
	s_subb_u32 s0, s55, s2
	v_subrev_co_u32_e32 v3, vcc, s33, v2
	s_cmp_lg_u64 vcc, 0
	s_subb_u32 s1, s0, 0
	v_subrev_co_u32_e32 v4, vcc, s33, v3
	s_cmp_lg_u64 vcc, 0
	s_subb_u32 s2, s1, 0
	v_cmp_le_u32_e32 vcc, s33, v3
	s_cmp_eq_u32 s1, 0
	v_cndmask_b32_e64 v5, 0, -1, vcc
	s_cselect_b64 vcc, -1, 0
	v_cndmask_b32_e32 v5, -1, v5, vcc
	v_mov_b32_e32 v6, s1
	v_mov_b32_e32 v7, s2
	v_cmp_ne_u32_e32 vcc, 0, v5
	v_cndmask_b32_e32 v5, v6, v7, vcc
	v_cndmask_b32_e32 v4, v3, v4, vcc
	v_cmp_le_u32_e32 vcc, s33, v2
	s_cmp_eq_u32 s0, 0
	v_cndmask_b32_e64 v3, 0, -1, vcc
	s_cselect_b64 vcc, -1, 0
	v_cndmask_b32_e32 v3, -1, v3, vcc
	v_mov_b32_e32 v6, s0
	v_cmp_ne_u32_e32 vcc, 0, v3
	v_cndmask_b32_e32 v3, v6, v5, vcc
	v_cndmask_b32_e32 v2, v2, v4, vcc
	s_cbranch_execnz .LBB84_197
.LBB84_196:                             ;   in Loop: Header=BB84_10 Depth=1
	v_cvt_f32_u32_e32 v2, s33
	s_sub_i32 s0, 0, s33
	v_rcp_iflag_f32_e32 v2, v2
	v_mul_f32_e32 v2, 0x4f7ffffe, v2
	v_cvt_u32_f32_e32 v2, v2
	v_mul_lo_u32 v3, s0, v2
	v_mul_hi_u32 v3, v2, v3
	v_add_u32_e32 v2, v2, v3
	v_mul_hi_u32 v2, s85, v2
	v_mul_lo_u32 v2, v2, s33
	v_sub_u32_e32 v2, s85, v2
	v_subrev_u32_e32 v3, s33, v2
	v_cmp_le_u32_e32 vcc, s33, v2
	v_cndmask_b32_e32 v2, v2, v3, vcc
	v_subrev_u32_e32 v3, s33, v2
	v_cmp_le_u32_e32 vcc, s33, v2
	v_cndmask_b32_e32 v12, v2, v3, vcc
	v_pk_mov_b32 v[2:3], v[12:13], v[12:13] op_sel:[0,1]
.LBB84_197:                             ;   in Loop: Header=BB84_10 Depth=1
	v_mov_b32_e32 v4, s55
	v_sub_co_u32_e32 v2, vcc, s85, v2
	v_subb_co_u32_e32 v3, vcc, v4, v3, vcc
	v_cmp_gt_u64_e32 vcc, v[2:3], v[0:1]
	s_mov_b64 s[2:3], 0
                                        ; implicit-def: $vgpr35
	s_and_saveexec_b64 s[0:1], vcc
	s_cbranch_execz .LBB84_206
; %bb.198:                              ;   in Loop: Header=BB84_10 Depth=1
	v_pk_mov_b32 v[4:5], v[10:11], v[10:11] op_sel:[0,1]
	v_pk_mov_b32 v[6:7], v[0:1], v[0:1] op_sel:[0,1]
                                        ; implicit-def: $sgpr8_sgpr9
	s_branch .LBB84_200
.LBB84_199:                             ;   in Loop: Header=BB84_200 Depth=2
	s_or_b64 exec, exec, s[24:25]
	s_waitcnt lgkmcnt(0)
	s_barrier
	s_waitcnt vmcnt(0)
	ds_read_u16 v8, v13 offset:3072
	v_mov_b32_e32 v9, s74
	v_add_co_u32_e32 v6, vcc, s33, v6
	v_addc_co_u32_e32 v7, vcc, v7, v9, vcc
	s_waitcnt lgkmcnt(0)
	v_cmp_ne_u16_sdwa s[24:25], v8, v1 src0_sel:BYTE_0 src1_sel:DWORD
	v_cmp_ge_u64_e32 vcc, v[6:7], v[2:3]
	s_or_b64 s[28:29], vcc, s[24:25]
	s_and_b64 s[28:29], exec, s[28:29]
	s_or_b64 s[2:3], s[28:29], s[2:3]
	v_mov_b32_e32 v9, s75
	v_add_co_u32_e32 v4, vcc, s26, v4
	s_andn2_b64 s[8:9], s[8:9], exec
	s_and_b64 s[24:25], s[24:25], exec
	v_addc_co_u32_e32 v5, vcc, v5, v9, vcc
	s_or_b64 s[8:9], s[8:9], s[24:25]
	s_barrier
	s_andn2_b64 exec, exec, s[2:3]
	s_cbranch_execz .LBB84_205
.LBB84_200:                             ;   Parent Loop BB84_10 Depth=1
                                        ; =>  This Inner Loop Header: Depth=2
	v_cmp_gt_u64_e32 vcc, s[52:53], v[6:7]
	v_mov_b32_e32 v8, 0
	s_and_saveexec_b64 s[24:25], vcc
	s_cbranch_execz .LBB84_202
; %bb.201:                              ;   in Loop: Header=BB84_200 Depth=2
	global_load_ubyte v8, v[4:5], off
.LBB84_202:                             ;   in Loop: Header=BB84_200 Depth=2
	s_or_b64 exec, exec, s[24:25]
	s_and_saveexec_b64 s[24:25], vcc
	s_cbranch_execz .LBB84_199
; %bb.203:                              ;   in Loop: Header=BB84_200 Depth=2
	s_waitcnt vmcnt(0)
	v_add_u32_sdwa v9, sext(v8), s70 dst_sel:DWORD dst_unused:UNUSED_PAD src0_sel:BYTE_0 src1_sel:DWORD
	v_and_b32_e32 v9, s78, v9
	v_cmp_eq_u32_e32 vcc, s79, v9
	s_and_b64 exec, exec, vcc
	s_cbranch_execz .LBB84_199
; %bb.204:                              ;   in Loop: Header=BB84_200 Depth=2
	v_lshlrev_b16_e32 v8, 8, v8
	v_or_b32_e32 v8, 1, v8
	ds_write_b16 v13, v8 offset:3072
	s_branch .LBB84_199
.LBB84_205:                             ;   in Loop: Header=BB84_10 Depth=1
	s_or_b64 exec, exec, s[2:3]
	v_lshrrev_b16_e32 v35, 8, v8
	s_and_b64 s[2:3], s[8:9], exec
.LBB84_206:                             ;   in Loop: Header=BB84_10 Depth=1
	s_or_b64 exec, exec, s[0:1]
	s_mov_b64 s[30:31], -1
	s_mov_b64 s[24:25], 0
	s_mov_b64 s[28:29], 0
.LBB84_207:                             ;   in Loop: Header=BB84_10 Depth=1
	s_mov_b64 s[0:1], 0
                                        ; implicit-def: $sgpr45
	s_and_saveexec_b64 s[34:35], s[2:3]
	s_cbranch_execz .LBB84_269
; %bb.208:                              ;   in Loop: Header=BB84_10 Depth=1
	s_xor_b64 s[0:1], s[36:37], -1
	s_andn2_b64 vcc, exec, s[0:1]
	s_mov_b32 s45, 1
	s_cbranch_vccnz .LBB84_219
; %bb.209:                              ;   in Loop: Header=BB84_10 Depth=1
	v_pk_mov_b32 v[2:3], s[14:15], s[14:15] op_sel:[0,1]
	v_cmp_gt_u64_e32 vcc, s[42:43], v[2:3]
	s_mov_b64 s[0:1], -1
                                        ; implicit-def: $sgpr45
                                        ; implicit-def: $sgpr2
                                        ; implicit-def: $sgpr3
	s_cbranch_vccnz .LBB84_215
; %bb.210:                              ;   in Loop: Header=BB84_10 Depth=1
	ds_read_b64 v[2:3], v13 offset:5120
	s_waitcnt lgkmcnt(0)
	v_cmp_ne_u64_e32 vcc, 0, v[2:3]
	s_cbranch_vccnz .LBB84_214
; %bb.211:                              ;   in Loop: Header=BB84_10 Depth=1
	s_mov_b64 s[0:1], exec
	v_readlane_b32 s2, v44, 0
	v_readlane_b32 s3, v44, 1
	s_and_b64 s[2:3], s[0:1], s[2:3]
	s_mov_b64 exec, s[2:3]
	s_cbranch_execz .LBB84_213
; %bb.212:                              ;   in Loop: Header=BB84_10 Depth=1
	v_pk_mov_b32 v[2:3], s[14:15], s[14:15] op_sel:[0,1]
	ds_write_b64 v13, v[2:3] offset:5128
.LBB84_213:                             ;   in Loop: Header=BB84_10 Depth=1
	s_or_b64 exec, exec, s[0:1]
	s_waitcnt lgkmcnt(0)
	s_barrier
.LBB84_214:                             ;   in Loop: Header=BB84_10 Depth=1
	s_lshl_b32 s0, 2, s38
	s_and_b32 s1, s79, s39
	s_or_b32 s2, s1, s0
	s_or_b32 s3, s78, s44
	s_mov_b64 s[0:1], 0
	s_mov_b32 s45, 8
.LBB84_215:                             ;   in Loop: Header=BB84_10 Depth=1
	s_andn2_b64 vcc, exec, s[0:1]
	s_cbranch_vccnz .LBB84_217
; %bb.216:                              ;   in Loop: Header=BB84_10 Depth=1
	s_sub_u32 s42, s42, s14
	s_subb_u32 s43, s43, s15
	s_mov_b64 s[0:1], -1
	s_mov_b32 s45, 0
	s_mov_b32 s2, s79
	s_mov_b32 s3, s78
.LBB84_217:                             ;   in Loop: Header=BB84_10 Depth=1
	s_mov_b32 s78, s3
	s_mov_b32 s79, s2
	s_andn2_b64 vcc, exec, s[0:1]
	s_mov_b64 s[40:41], -1
	s_cbranch_vccz .LBB84_220
.LBB84_218:                             ;   in Loop: Header=BB84_10 Depth=1
                                        ; implicit-def: $sgpr0_sgpr1
                                        ; implicit-def: $sgpr8_sgpr9
                                        ; implicit-def: $sgpr2_sgpr3
	s_branch .LBB84_268
.LBB84_219:                             ;   in Loop: Header=BB84_10 Depth=1
	s_mov_b64 s[42:43], 1
	s_mov_b64 s[40:41], -1
	s_cbranch_execnz .LBB84_218
.LBB84_220:                             ;   in Loop: Header=BB84_10 Depth=1
	s_cmp_eq_u64 s[6:7], 1
	s_cselect_b64 s[0:1], -1, 0
	s_cmp_eq_u64 s[42:43], 1
	s_cselect_b64 s[2:3], -1, 0
	s_and_b64 s[14:15], s[0:1], s[2:3]
	s_mov_b64 s[36:37], -1
	s_and_b64 vcc, exec, s[14:15]
	s_cbranch_vccz .LBB84_235
; %bb.221:                              ;   in Loop: Header=BB84_10 Depth=1
	ds_read_b64 v[2:3], v13 offset:5120
	s_waitcnt lgkmcnt(0)
	s_barrier
	v_readfirstlane_b32 s0, v2
	v_readfirstlane_b32 s1, v3
	s_mov_b64 s[2:3], exec
	v_readlane_b32 s8, v44, 14
	v_readlane_b32 s9, v44, 15
	s_and_b64 s[8:9], s[2:3], s[8:9]
	s_mov_b64 exec, s[8:9]
	s_cbranch_execz .LBB84_223
; %bb.222:                              ;   in Loop: Header=BB84_10 Depth=1
	ds_write_b8 v0, v1 offset:3072
.LBB84_223:                             ;   in Loop: Header=BB84_10 Depth=1
	s_or_b64 exec, exec, s[2:3]
	s_or_b32 s79, s79, s44
	s_or_b32 s78, s78, s44
	s_cmp_eq_u64 s[0:1], 0
	s_waitcnt lgkmcnt(0)
	s_barrier
	s_cbranch_scc1 .LBB84_238
; %bb.224:                              ;   in Loop: Header=BB84_10 Depth=1
	v_readlane_b32 s2, v44, 20
	s_add_u32 s27, s2, s0
	v_readlane_b32 s2, v44, 21
	s_addc_u32 s3, s2, s1
	s_mov_b32 s2, s69
	s_cmp_lg_u64 s[2:3], 0
	s_cbranch_scc0 .LBB84_274
; %bb.225:                              ;   in Loop: Header=BB84_10 Depth=1
	v_cvt_f32_u32_e32 v2, s33
	s_sub_u32 s2, 0, s33
	s_subb_u32 s8, 0, 0
	v_mac_f32_e32 v2, 0, v34
	v_rcp_f32_e32 v2, v2
	v_mul_f32_e32 v2, 0x5f7ffffc, v2
	v_mul_f32_e32 v3, 0x2f800000, v2
	v_trunc_f32_e32 v3, v3
	v_mac_f32_e32 v2, 0xcf800000, v3
	v_cvt_u32_f32_e32 v3, v3
	v_cvt_u32_f32_e32 v2, v2
	v_readfirstlane_b32 s9, v3
	v_readfirstlane_b32 s36, v2
	s_mul_i32 s37, s2, s9
	s_mul_hi_u32 s39, s2, s36
	s_mul_i32 s38, s8, s36
	s_add_i32 s37, s39, s37
	s_mul_i32 s40, s2, s36
	s_add_i32 s37, s37, s38
	s_mul_hi_u32 s39, s36, s40
	s_mul_hi_u32 s38, s36, s37
	s_mul_i32 s36, s36, s37
	s_add_u32 s36, s39, s36
	s_addc_u32 s38, 0, s38
	s_mul_hi_u32 s41, s9, s40
	s_mul_i32 s40, s9, s40
	s_add_u32 s36, s36, s40
	s_mul_hi_u32 s39, s9, s37
	s_addc_u32 s36, s38, s41
	s_addc_u32 s38, s39, 0
	s_mul_i32 s37, s9, s37
	s_add_u32 s36, s36, s37
	s_addc_u32 s37, 0, s38
	v_add_co_u32_e32 v2, vcc, s36, v2
	s_cmp_lg_u64 vcc, 0
	s_addc_u32 s9, s9, s37
	v_readfirstlane_b32 s37, v2
	s_mul_i32 s36, s2, s9
	s_mul_hi_u32 s38, s2, s37
	s_add_i32 s36, s38, s36
	s_mul_i32 s8, s8, s37
	s_add_i32 s36, s36, s8
	s_mul_i32 s2, s2, s37
	s_mul_hi_u32 s38, s9, s2
	s_mul_i32 s39, s9, s2
	s_mul_i32 s41, s37, s36
	s_mul_hi_u32 s2, s37, s2
	s_mul_hi_u32 s40, s37, s36
	s_add_u32 s2, s2, s41
	s_addc_u32 s37, 0, s40
	s_add_u32 s2, s2, s39
	s_mul_hi_u32 s8, s9, s36
	s_addc_u32 s2, s37, s38
	s_addc_u32 s8, s8, 0
	s_mul_i32 s36, s9, s36
	s_add_u32 s2, s2, s36
	s_addc_u32 s8, 0, s8
	v_add_co_u32_e32 v2, vcc, s2, v2
	s_cmp_lg_u64 vcc, 0
	s_addc_u32 s2, s9, s8
	v_readfirstlane_b32 s36, v2
	s_mul_i32 s9, s27, s2
	s_mul_hi_u32 s37, s27, s36
	s_mul_hi_u32 s8, s27, s2
	s_add_u32 s9, s37, s9
	s_addc_u32 s8, 0, s8
	s_mul_hi_u32 s38, s3, s36
	s_mul_i32 s36, s3, s36
	s_add_u32 s9, s9, s36
	s_mul_hi_u32 s37, s3, s2
	s_addc_u32 s8, s8, s38
	s_addc_u32 s9, s37, 0
	s_mul_i32 s2, s3, s2
	s_add_u32 s2, s8, s2
	s_addc_u32 s8, 0, s9
	s_mul_hi_u32 s9, s33, s2
	s_mul_i32 s2, s33, s2
	s_mul_i32 s8, s33, s8
	v_mov_b32_e32 v2, s2
	s_add_i32 s9, s9, s8
	v_sub_co_u32_e32 v2, vcc, s27, v2
	s_cmp_lg_u64 vcc, 0
	s_subb_u32 s2, s3, s9
	v_subrev_co_u32_e32 v3, vcc, s33, v2
	s_cmp_lg_u64 vcc, 0
	s_subb_u32 s8, s2, 0
	v_subrev_co_u32_e32 v4, vcc, s33, v3
	s_cmp_lg_u64 vcc, 0
	s_subb_u32 s9, s8, 0
	v_cmp_le_u32_e32 vcc, s33, v3
	s_cmp_eq_u32 s8, 0
	v_cndmask_b32_e64 v5, 0, -1, vcc
	s_cselect_b64 vcc, -1, 0
	v_cndmask_b32_e32 v5, -1, v5, vcc
	v_mov_b32_e32 v6, s8
	v_mov_b32_e32 v7, s9
	v_cmp_ne_u32_e32 vcc, 0, v5
	v_cndmask_b32_e32 v5, v6, v7, vcc
	v_cndmask_b32_e32 v4, v3, v4, vcc
	v_cmp_le_u32_e32 vcc, s33, v2
	s_cmp_eq_u32 s2, 0
	v_cndmask_b32_e64 v3, 0, -1, vcc
	s_cselect_b64 vcc, -1, 0
	v_cndmask_b32_e32 v3, -1, v3, vcc
	v_mov_b32_e32 v6, s2
	v_cmp_ne_u32_e32 vcc, 0, v3
	v_cndmask_b32_e32 v3, v6, v5, vcc
	v_cndmask_b32_e32 v2, v2, v4, vcc
	s_cbranch_execnz .LBB84_227
.LBB84_226:                             ;   in Loop: Header=BB84_10 Depth=1
	v_cvt_f32_u32_e32 v2, s33
	s_sub_i32 s2, 0, s33
	v_rcp_iflag_f32_e32 v2, v2
	v_mul_f32_e32 v2, 0x4f7ffffe, v2
	v_cvt_u32_f32_e32 v2, v2
	v_mul_lo_u32 v3, s2, v2
	v_mul_hi_u32 v3, v2, v3
	v_add_u32_e32 v2, v2, v3
	v_mul_hi_u32 v2, s27, v2
	v_mul_lo_u32 v2, v2, s33
	v_sub_u32_e32 v2, s27, v2
	v_subrev_u32_e32 v3, s33, v2
	v_cmp_le_u32_e32 vcc, s33, v2
	v_cndmask_b32_e32 v2, v2, v3, vcc
	v_subrev_u32_e32 v3, s33, v2
	v_cmp_le_u32_e32 vcc, s33, v2
	v_cndmask_b32_e32 v12, v2, v3, vcc
	v_pk_mov_b32 v[2:3], v[12:13], v[12:13] op_sel:[0,1]
.LBB84_227:                             ;   in Loop: Header=BB84_10 Depth=1
	v_mov_b32_e32 v4, s3
	v_sub_co_u32_e32 v2, vcc, s27, v2
	v_subb_co_u32_e32 v3, vcc, v4, v3, vcc
	v_cmp_gt_u64_e32 vcc, v[2:3], v[0:1]
	s_mov_b64 s[36:37], 0
                                        ; implicit-def: $vgpr35
	s_and_saveexec_b64 s[2:3], vcc
	s_cbranch_execz .LBB84_240
; %bb.228:                              ;   in Loop: Header=BB84_10 Depth=1
	s_mov_b64 s[8:9], 0
	v_mov_b32_e32 v6, v0
	v_pk_mov_b32 v[4:5], v[0:1], v[0:1] op_sel:[0,1]
                                        ; implicit-def: $sgpr36_sgpr37
	s_branch .LBB84_230
.LBB84_229:                             ;   in Loop: Header=BB84_230 Depth=2
	s_or_b64 exec, exec, s[38:39]
	s_waitcnt lgkmcnt(0)
	s_barrier
	ds_read_u16 v7, v13 offset:3072
	v_mov_b32_e32 v8, s74
	v_add_co_u32_e32 v4, vcc, s33, v4
	v_addc_co_u32_e32 v5, vcc, v5, v8, vcc
	s_waitcnt lgkmcnt(0)
	v_cmp_ne_u16_sdwa s[38:39], v7, v1 src0_sel:BYTE_0 src1_sel:DWORD
	v_cmp_ge_u64_e32 vcc, v[4:5], v[2:3]
	s_or_b64 s[40:41], vcc, s[38:39]
	s_and_b64 s[40:41], exec, s[40:41]
	s_or_b64 s[8:9], s[40:41], s[8:9]
	s_andn2_b64 s[36:37], s[36:37], exec
	s_and_b64 s[38:39], s[38:39], exec
	v_add_u32_e32 v6, s33, v6
	s_or_b64 s[36:37], s[36:37], s[38:39]
	s_barrier
	s_andn2_b64 exec, exec, s[8:9]
	s_cbranch_execz .LBB84_239
.LBB84_230:                             ;   Parent Loop BB84_10 Depth=1
                                        ; =>  This Inner Loop Header: Depth=2
	v_cmp_gt_u64_e32 vcc, s[0:1], v[4:5]
	v_mov_b32_e32 v7, 0
	s_and_saveexec_b64 s[38:39], vcc
	s_cbranch_execz .LBB84_232
; %bb.231:                              ;   in Loop: Header=BB84_230 Depth=2
	ds_read_u8 v7, v6
.LBB84_232:                             ;   in Loop: Header=BB84_230 Depth=2
	s_or_b64 exec, exec, s[38:39]
	s_and_saveexec_b64 s[38:39], vcc
	s_cbranch_execz .LBB84_229
; %bb.233:                              ;   in Loop: Header=BB84_230 Depth=2
	s_waitcnt lgkmcnt(0)
	v_add_u32_sdwa v8, sext(v7), s70 dst_sel:DWORD dst_unused:UNUSED_PAD src0_sel:BYTE_0 src1_sel:DWORD
	v_and_b32_e32 v8, s78, v8
	v_cmp_eq_u32_e32 vcc, s79, v8
	s_and_b64 exec, exec, vcc
	s_cbranch_execz .LBB84_229
; %bb.234:                              ;   in Loop: Header=BB84_230 Depth=2
	v_lshlrev_b16_e32 v7, 8, v7
	v_or_b32_e32 v7, 1, v7
	ds_write_b16 v13, v7 offset:3072
	s_branch .LBB84_229
.LBB84_235:                             ;   in Loop: Header=BB84_10 Depth=1
	s_mov_b64 s[4:5], s[42:43]
                                        ; implicit-def: $sgpr0_sgpr1
                                        ; implicit-def: $sgpr8_sgpr9
                                        ; implicit-def: $sgpr2_sgpr3
	s_branch .LBB84_254
.LBB84_236:                             ;   in Loop: Header=BB84_10 Depth=1
                                        ; implicit-def: $vgpr2_vgpr3
	s_branch .LBB84_179
.LBB84_237:                             ;   in Loop: Header=BB84_10 Depth=1
                                        ; implicit-def: $vgpr2_vgpr3
	s_branch .LBB84_196
.LBB84_238:                             ;   in Loop: Header=BB84_10 Depth=1
	s_mov_b64 s[0:1], -1
	s_mov_b64 s[36:37], 0
                                        ; implicit-def: $sgpr2_sgpr3
                                        ; implicit-def: $vgpr35
	s_mov_b64 s[4:5], s[42:43]
	s_mov_b64 s[8:9], s[0:1]
	s_cbranch_execnz .LBB84_241
	s_branch .LBB84_254
.LBB84_239:                             ;   in Loop: Header=BB84_10 Depth=1
	s_or_b64 exec, exec, s[8:9]
	v_lshrrev_b16_e32 v35, 8, v7
	s_and_b64 s[36:37], s[36:37], exec
.LBB84_240:                             ;   in Loop: Header=BB84_10 Depth=1
	s_or_b64 exec, exec, s[2:3]
	s_mov_b64 s[2:3], -1
	s_mov_b64 s[0:1], 0
	s_mov_b64 s[4:5], s[42:43]
	;; [unrolled: 1-line block ×3, first 2 shown]
	s_branch .LBB84_254
.LBB84_241:                             ;   in Loop: Header=BB84_10 Depth=1
	s_mov_b32 s54, s69
	s_cmp_lg_u64 s[54:55], 0
	s_cbranch_scc0 .LBB84_275
; %bb.242:                              ;   in Loop: Header=BB84_10 Depth=1
	v_cvt_f32_u32_e32 v2, s33
	s_sub_u32 s0, 0, s33
	s_subb_u32 s1, 0, 0
	v_mac_f32_e32 v2, 0, v34
	v_rcp_f32_e32 v2, v2
	v_mul_f32_e32 v2, 0x5f7ffffc, v2
	v_mul_f32_e32 v3, 0x2f800000, v2
	v_trunc_f32_e32 v3, v3
	v_mac_f32_e32 v2, 0xcf800000, v3
	v_cvt_u32_f32_e32 v3, v3
	v_cvt_u32_f32_e32 v2, v2
	v_readfirstlane_b32 s2, v3
	v_readfirstlane_b32 s3, v2
	s_mul_i32 s8, s0, s2
	s_mul_hi_u32 s27, s0, s3
	s_mul_i32 s9, s1, s3
	s_add_i32 s8, s27, s8
	s_mul_i32 s36, s0, s3
	s_add_i32 s8, s8, s9
	s_mul_hi_u32 s27, s3, s36
	s_mul_hi_u32 s9, s3, s8
	s_mul_i32 s3, s3, s8
	s_add_u32 s3, s27, s3
	s_addc_u32 s9, 0, s9
	s_mul_hi_u32 s37, s2, s36
	s_mul_i32 s36, s2, s36
	s_add_u32 s3, s3, s36
	s_mul_hi_u32 s27, s2, s8
	s_addc_u32 s3, s9, s37
	s_addc_u32 s9, s27, 0
	s_mul_i32 s8, s2, s8
	s_add_u32 s3, s3, s8
	s_addc_u32 s8, 0, s9
	v_add_co_u32_e32 v2, vcc, s3, v2
	s_cmp_lg_u64 vcc, 0
	s_addc_u32 s2, s2, s8
	v_readfirstlane_b32 s8, v2
	s_mul_i32 s3, s0, s2
	s_mul_hi_u32 s9, s0, s8
	s_add_i32 s3, s9, s3
	s_mul_i32 s1, s1, s8
	s_add_i32 s3, s3, s1
	s_mul_i32 s0, s0, s8
	s_mul_hi_u32 s9, s2, s0
	s_mul_i32 s27, s2, s0
	s_mul_i32 s37, s8, s3
	s_mul_hi_u32 s0, s8, s0
	s_mul_hi_u32 s36, s8, s3
	s_add_u32 s0, s0, s37
	s_addc_u32 s8, 0, s36
	s_add_u32 s0, s0, s27
	s_mul_hi_u32 s1, s2, s3
	s_addc_u32 s0, s8, s9
	s_addc_u32 s1, s1, 0
	s_mul_i32 s3, s2, s3
	s_add_u32 s0, s0, s3
	s_addc_u32 s1, 0, s1
	v_add_co_u32_e32 v2, vcc, s0, v2
	s_cmp_lg_u64 vcc, 0
	s_addc_u32 s0, s2, s1
	v_readfirstlane_b32 s3, v2
	s_mul_i32 s2, s85, s0
	s_mul_hi_u32 s8, s85, s3
	s_mul_hi_u32 s1, s85, s0
	s_add_u32 s2, s8, s2
	s_addc_u32 s1, 0, s1
	s_mul_hi_u32 s9, s55, s3
	s_mul_i32 s3, s55, s3
	s_add_u32 s2, s2, s3
	s_mul_hi_u32 s8, s55, s0
	s_addc_u32 s1, s1, s9
	s_addc_u32 s2, s8, 0
	s_mul_i32 s0, s55, s0
	s_add_u32 s0, s1, s0
	s_addc_u32 s1, 0, s2
	s_mul_hi_u32 s2, s33, s0
	s_mul_i32 s0, s33, s0
	s_mul_i32 s1, s33, s1
	v_mov_b32_e32 v2, s0
	s_add_i32 s2, s2, s1
	v_sub_co_u32_e32 v2, vcc, s85, v2
	s_cmp_lg_u64 vcc, 0
	s_subb_u32 s0, s55, s2
	v_subrev_co_u32_e32 v3, vcc, s33, v2
	s_cmp_lg_u64 vcc, 0
	s_subb_u32 s1, s0, 0
	v_subrev_co_u32_e32 v4, vcc, s33, v3
	s_cmp_lg_u64 vcc, 0
	s_subb_u32 s2, s1, 0
	v_cmp_le_u32_e32 vcc, s33, v3
	s_cmp_eq_u32 s1, 0
	v_cndmask_b32_e64 v5, 0, -1, vcc
	s_cselect_b64 vcc, -1, 0
	v_cndmask_b32_e32 v5, -1, v5, vcc
	v_mov_b32_e32 v6, s1
	v_mov_b32_e32 v7, s2
	v_cmp_ne_u32_e32 vcc, 0, v5
	v_cndmask_b32_e32 v5, v6, v7, vcc
	v_cndmask_b32_e32 v4, v3, v4, vcc
	v_cmp_le_u32_e32 vcc, s33, v2
	s_cmp_eq_u32 s0, 0
	v_cndmask_b32_e64 v3, 0, -1, vcc
	s_cselect_b64 vcc, -1, 0
	v_cndmask_b32_e32 v3, -1, v3, vcc
	v_mov_b32_e32 v6, s0
	v_cmp_ne_u32_e32 vcc, 0, v3
	v_cndmask_b32_e32 v3, v6, v5, vcc
	v_cndmask_b32_e32 v2, v2, v4, vcc
	s_cbranch_execnz .LBB84_244
.LBB84_243:                             ;   in Loop: Header=BB84_10 Depth=1
	v_cvt_f32_u32_e32 v2, s33
	s_sub_i32 s0, 0, s33
	v_rcp_iflag_f32_e32 v2, v2
	v_mul_f32_e32 v2, 0x4f7ffffe, v2
	v_cvt_u32_f32_e32 v2, v2
	v_mul_lo_u32 v3, s0, v2
	v_mul_hi_u32 v3, v2, v3
	v_add_u32_e32 v2, v2, v3
	v_mul_hi_u32 v2, s85, v2
	v_mul_lo_u32 v2, v2, s33
	v_sub_u32_e32 v2, s85, v2
	v_subrev_u32_e32 v3, s33, v2
	v_cmp_le_u32_e32 vcc, s33, v2
	v_cndmask_b32_e32 v2, v2, v3, vcc
	v_subrev_u32_e32 v3, s33, v2
	v_cmp_le_u32_e32 vcc, s33, v2
	v_cndmask_b32_e32 v12, v2, v3, vcc
	v_pk_mov_b32 v[2:3], v[12:13], v[12:13] op_sel:[0,1]
.LBB84_244:                             ;   in Loop: Header=BB84_10 Depth=1
	v_mov_b32_e32 v4, s55
	v_sub_co_u32_e32 v2, vcc, s85, v2
	v_subb_co_u32_e32 v3, vcc, v4, v3, vcc
	v_cmp_gt_u64_e32 vcc, v[2:3], v[0:1]
	s_mov_b64 s[36:37], 0
                                        ; implicit-def: $vgpr35
	s_and_saveexec_b64 s[0:1], vcc
	s_cbranch_execz .LBB84_253
; %bb.245:                              ;   in Loop: Header=BB84_10 Depth=1
	s_mov_b64 s[2:3], 0
	v_pk_mov_b32 v[4:5], v[10:11], v[10:11] op_sel:[0,1]
	v_pk_mov_b32 v[6:7], v[0:1], v[0:1] op_sel:[0,1]
                                        ; implicit-def: $sgpr8_sgpr9
	s_branch .LBB84_247
.LBB84_246:                             ;   in Loop: Header=BB84_247 Depth=2
	s_or_b64 exec, exec, s[36:37]
	s_waitcnt lgkmcnt(0)
	s_barrier
	s_waitcnt vmcnt(0)
	ds_read_u16 v8, v13 offset:3072
	v_mov_b32_e32 v9, s74
	v_add_co_u32_e32 v6, vcc, s33, v6
	v_addc_co_u32_e32 v7, vcc, v7, v9, vcc
	s_waitcnt lgkmcnt(0)
	v_cmp_ne_u16_sdwa s[36:37], v8, v1 src0_sel:BYTE_0 src1_sel:DWORD
	v_cmp_ge_u64_e32 vcc, v[6:7], v[2:3]
	s_or_b64 s[38:39], vcc, s[36:37]
	s_and_b64 s[38:39], exec, s[38:39]
	s_or_b64 s[2:3], s[38:39], s[2:3]
	v_mov_b32_e32 v9, s75
	v_add_co_u32_e32 v4, vcc, s26, v4
	s_andn2_b64 s[8:9], s[8:9], exec
	s_and_b64 s[36:37], s[36:37], exec
	v_addc_co_u32_e32 v5, vcc, v5, v9, vcc
	s_or_b64 s[8:9], s[8:9], s[36:37]
	s_barrier
	s_andn2_b64 exec, exec, s[2:3]
	s_cbranch_execz .LBB84_252
.LBB84_247:                             ;   Parent Loop BB84_10 Depth=1
                                        ; =>  This Inner Loop Header: Depth=2
	v_cmp_gt_u64_e32 vcc, s[52:53], v[6:7]
	v_mov_b32_e32 v8, 0
	s_and_saveexec_b64 s[36:37], vcc
	s_cbranch_execz .LBB84_249
; %bb.248:                              ;   in Loop: Header=BB84_247 Depth=2
	global_load_ubyte v8, v[4:5], off
.LBB84_249:                             ;   in Loop: Header=BB84_247 Depth=2
	s_or_b64 exec, exec, s[36:37]
	s_and_saveexec_b64 s[36:37], vcc
	s_cbranch_execz .LBB84_246
; %bb.250:                              ;   in Loop: Header=BB84_247 Depth=2
	s_waitcnt vmcnt(0)
	v_add_u32_sdwa v9, sext(v8), s70 dst_sel:DWORD dst_unused:UNUSED_PAD src0_sel:BYTE_0 src1_sel:DWORD
	v_and_b32_e32 v9, s78, v9
	v_cmp_eq_u32_e32 vcc, s79, v9
	s_and_b64 exec, exec, vcc
	s_cbranch_execz .LBB84_246
; %bb.251:                              ;   in Loop: Header=BB84_247 Depth=2
	v_lshlrev_b16_e32 v8, 8, v8
	v_or_b32_e32 v8, 1, v8
	ds_write_b16 v13, v8 offset:3072
	s_branch .LBB84_246
.LBB84_252:                             ;   in Loop: Header=BB84_10 Depth=1
	s_or_b64 exec, exec, s[2:3]
	v_lshrrev_b16_e32 v35, 8, v8
	s_and_b64 s[36:37], s[8:9], exec
.LBB84_253:                             ;   in Loop: Header=BB84_10 Depth=1
	s_or_b64 exec, exec, s[0:1]
	s_mov_b64 s[8:9], -1
	s_mov_b64 s[0:1], 0
	s_mov_b64 s[2:3], 0
.LBB84_254:                             ;   in Loop: Header=BB84_10 Depth=1
	s_mov_b64 s[40:41], 0
                                        ; implicit-def: $sgpr45
                                        ; implicit-def: $sgpr42_sgpr43
	s_and_saveexec_b64 s[38:39], s[36:37]
	s_cbranch_execz .LBB84_267
; %bb.255:                              ;   in Loop: Header=BB84_10 Depth=1
	s_xor_b64 s[14:15], s[14:15], -1
	s_mov_b64 s[42:43], 1
	s_andn2_b64 vcc, exec, s[14:15]
	s_mov_b32 s45, 1
	s_cbranch_vccnz .LBB84_266
; %bb.256:                              ;   in Loop: Header=BB84_10 Depth=1
	v_pk_mov_b32 v[2:3], s[6:7], s[6:7] op_sel:[0,1]
	s_mov_b64 s[42:43], s[4:5]
	v_cmp_gt_u64_e32 vcc, s[42:43], v[2:3]
	s_cbranch_vccnz .LBB84_262
; %bb.257:                              ;   in Loop: Header=BB84_10 Depth=1
	ds_read_b64 v[2:3], v13 offset:5120
	s_waitcnt lgkmcnt(0)
	v_cmp_ne_u64_e32 vcc, 0, v[2:3]
	s_cbranch_vccnz .LBB84_261
; %bb.258:                              ;   in Loop: Header=BB84_10 Depth=1
	s_mov_b64 s[14:15], exec
	v_readlane_b32 s36, v44, 0
	v_readlane_b32 s37, v44, 1
	s_and_b64 s[36:37], s[14:15], s[36:37]
	s_mov_b64 exec, s[36:37]
	s_cbranch_execz .LBB84_260
; %bb.259:                              ;   in Loop: Header=BB84_10 Depth=1
	v_pk_mov_b32 v[2:3], s[6:7], s[6:7] op_sel:[0,1]
	ds_write_b64 v13, v[2:3] offset:5128
.LBB84_260:                             ;   in Loop: Header=BB84_10 Depth=1
	s_or_b64 exec, exec, s[14:15]
	s_waitcnt lgkmcnt(0)
	s_barrier
.LBB84_261:                             ;   in Loop: Header=BB84_10 Depth=1
	s_or_b32 s27, s79, s44
	s_or_b32 s36, s78, s44
	s_mov_b64 s[14:15], 0
	s_mov_b32 s45, 8
	s_branch .LBB84_263
.LBB84_262:                             ;   in Loop: Header=BB84_10 Depth=1
	s_mov_b64 s[14:15], -1
                                        ; implicit-def: $sgpr45
                                        ; implicit-def: $sgpr27
                                        ; implicit-def: $sgpr36
.LBB84_263:                             ;   in Loop: Header=BB84_10 Depth=1
	s_andn2_b64 vcc, exec, s[14:15]
	s_cbranch_vccnz .LBB84_265
; %bb.264:                              ;   in Loop: Header=BB84_10 Depth=1
	s_sub_u32 s42, s42, s6
	s_subb_u32 s43, s43, s7
	s_mov_b32 s45, 8
	s_mov_b32 s27, s79
	;; [unrolled: 1-line block ×3, first 2 shown]
.LBB84_265:                             ;   in Loop: Header=BB84_10 Depth=1
	s_mov_b32 s79, s27
	s_mov_b32 s78, s36
.LBB84_266:                             ;   in Loop: Header=BB84_10 Depth=1
	s_mov_b64 s[40:41], exec
.LBB84_267:                             ;   in Loop: Header=BB84_10 Depth=1
	s_or_b64 exec, exec, s[38:39]
.LBB84_268:                             ;   in Loop: Header=BB84_10 Depth=1
	s_andn2_b64 s[6:7], s[24:25], exec
	s_and_b64 s[0:1], s[0:1], exec
	s_or_b64 s[24:25], s[6:7], s[0:1]
	s_andn2_b64 s[0:1], s[30:31], exec
	s_and_b64 s[6:7], s[8:9], exec
	s_or_b64 s[30:31], s[0:1], s[6:7]
	s_andn2_b64 s[0:1], s[28:29], exec
	s_and_b64 s[2:3], s[2:3], exec
	v_readlane_b32 s4, v44, 33
	s_or_b64 s[28:29], s[0:1], s[2:3]
	s_and_b64 s[0:1], s[40:41], exec
	v_readlane_b32 s5, v44, 34
.LBB84_269:                             ;   in Loop: Header=BB84_10 Depth=1
	s_or_b64 exec, exec, s[34:35]
.LBB84_270:                             ;   in Loop: Header=BB84_10 Depth=1
	s_andn2_b64 s[2:3], s[18:19], exec
	s_and_b64 s[6:7], s[24:25], exec
	s_or_b64 s[18:19], s[2:3], s[6:7]
	s_andn2_b64 s[2:3], s[20:21], exec
	s_and_b64 s[6:7], s[30:31], exec
	s_or_b64 s[20:21], s[2:3], s[6:7]
	;; [unrolled: 3-line block ×3, first 2 shown]
	s_and_b64 s[0:1], s[0:1], exec
.LBB84_271:                             ;   in Loop: Header=BB84_10 Depth=1
	s_or_b64 exec, exec, s[22:23]
	s_and_saveexec_b64 s[2:3], s[0:1]
	s_xor_b64 s[0:1], exec, s[2:3]
	s_cbranch_execz .LBB84_8
.LBB84_272:                             ;   in Loop: Header=BB84_10 Depth=1
	s_and_b32 s2, s45, -9
	s_cmp_eq_u32 s2, 0
	s_cbranch_scc1 .LBB84_6
; %bb.273:                              ;   in Loop: Header=BB84_10 Depth=1
	s_mov_b64 s[2:3], -1
                                        ; implicit-def: $sgpr78
                                        ; implicit-def: $sgpr42_sgpr43
                                        ; implicit-def: $sgpr50
                                        ; implicit-def: $sgpr72
	s_mov_b64 s[6:7], -1
	s_branch .LBB84_7
.LBB84_274:                             ;   in Loop: Header=BB84_10 Depth=1
                                        ; implicit-def: $vgpr2_vgpr3
	s_branch .LBB84_226
.LBB84_275:                             ;   in Loop: Header=BB84_10 Depth=1
                                        ; implicit-def: $vgpr2_vgpr3
	s_branch .LBB84_243
.LBB84_276:
	s_or_b64 exec, exec, s[86:87]
	s_xor_b64 s[6:7], s[94:95], -1
	s_xor_b64 s[0:1], s[90:91], -1
	;; [unrolled: 1-line block ×3, first 2 shown]
	s_mov_b64 s[2:3], 0
	s_and_saveexec_b64 s[8:9], s[0:1]
	s_xor_b64 s[0:1], exec, s[8:9]
	s_cbranch_execnz .LBB84_281
; %bb.277:
	s_andn2_saveexec_b64 s[0:1], s[0:1]
	s_cbranch_execnz .LBB84_294
.LBB84_278:
	s_or_b64 exec, exec, s[0:1]
	s_and_saveexec_b64 s[0:1], s[2:3]
.LBB84_279:
	; divergent unreachable
.LBB84_280:
	s_endpgm
.LBB84_281:
	s_and_saveexec_b64 s[2:3], s[6:7]
	s_xor_b64 s[2:3], exec, s[2:3]
	s_cbranch_execz .LBB84_292
; %bb.282:
	s_and_saveexec_b64 s[6:7], s[4:5]
	s_xor_b64 s[4:5], exec, s[6:7]
; %bb.283:
	v_xor_b32_e32 v35, 0xffffff80, v2
; %bb.284:
	s_or_b64 exec, exec, s[4:5]
	v_readlane_b32 s6, v44, 6
	v_readlane_b32 s18, v44, 10
	;; [unrolled: 1-line block ×3, first 2 shown]
	s_mul_i32 s4, s7, s18
	s_mul_hi_u32 s5, s6, s18
	s_add_i32 s5, s5, s4
	s_mul_i32 s4, s6, s18
	v_readlane_b32 s6, v44, 8
	v_readlane_b32 s7, v44, 9
	s_add_u32 s4, s6, s4
	s_addc_u32 s5, s7, s5
	v_mov_b32_e32 v2, 0
	v_readlane_b32 s19, v44, 11
	global_store_byte v2, v35, s[4:5]
	s_mov_b64 s[4:5], exec
	v_readlane_b32 s6, v44, 12
	v_readlane_b32 s7, v44, 13
	s_and_b64 s[6:7], s[4:5], s[6:7]
	s_mov_b64 exec, s[6:7]
	s_cbranch_execz .LBB84_291
; %bb.285:
	s_mov_b64 s[6:7], 0
                                        ; implicit-def: $sgpr8_sgpr9
                                        ; implicit-def: $sgpr12_sgpr13
                                        ; implicit-def: $sgpr10_sgpr11
	s_branch .LBB84_287
.LBB84_286:                             ;   in Loop: Header=BB84_287 Depth=1
	s_or_b64 exec, exec, s[14:15]
	s_and_b64 s[14:15], exec, s[12:13]
	s_or_b64 s[6:7], s[14:15], s[6:7]
	s_andn2_b64 s[8:9], s[8:9], exec
	s_and_b64 s[14:15], s[10:11], exec
	s_or_b64 s[8:9], s[8:9], s[14:15]
	s_andn2_b64 exec, exec, s[6:7]
	s_cbranch_execz .LBB84_289
.LBB84_287:                             ; =>This Inner Loop Header: Depth=1
	global_load_ubyte v4, v[10:11], off
	v_pk_mov_b32 v[2:3], v[0:1], v[0:1] op_sel:[0,1]
	s_or_b64 s[10:11], s[10:11], exec
	s_or_b64 s[12:13], s[12:13], exec
                                        ; implicit-def: $vgpr0_vgpr1
	s_waitcnt vmcnt(0)
	v_cmp_ne_u16_sdwa s[16:17], v4, v35 src0_sel:DWORD src1_sel:BYTE_0
	s_and_saveexec_b64 s[14:15], s[16:17]
	s_cbranch_execz .LBB84_286
; %bb.288:                              ;   in Loop: Header=BB84_287 Depth=1
	v_mov_b32_e32 v1, s74
	v_add_co_u32_e32 v0, vcc, s33, v2
	v_addc_co_u32_e32 v1, vcc, v3, v1, vcc
	v_mov_b32_e32 v4, s75
	v_add_co_u32_e32 v10, vcc, s26, v10
	v_addc_co_u32_e32 v11, vcc, v11, v4, vcc
	v_cmp_le_u64_e32 vcc, s[52:53], v[0:1]
	s_andn2_b64 s[12:13], s[12:13], exec
	s_and_b64 s[16:17], vcc, exec
	s_andn2_b64 s[10:11], s[10:11], exec
	s_or_b64 s[12:13], s[12:13], s[16:17]
	s_branch .LBB84_286
.LBB84_289:
	s_or_b64 exec, exec, s[6:7]
	s_and_saveexec_b64 s[6:7], s[8:9]
	s_xor_b64 s[6:7], exec, s[6:7]
	s_cbranch_execz .LBB84_291
; %bb.290:
	v_readlane_b32 s8, v44, 2
	v_readlane_b32 s9, v44, 3
	s_mul_i32 s6, s9, s18
	s_mul_hi_u32 s7, s8, s18
	s_add_i32 s7, s7, s6
	s_mul_i32 s6, s8, s18
	s_lshl_b64 s[6:7], s[6:7], 3
	v_readlane_b32 s8, v44, 4
	v_readlane_b32 s9, v44, 5
	s_add_u32 s6, s8, s6
	s_addc_u32 s7, s9, s7
	v_mov_b32_e32 v0, 0
	global_store_dwordx2 v0, v[2:3], s[6:7]
.LBB84_291:
	s_or_b64 exec, exec, s[4:5]
.LBB84_292:
	s_or_saveexec_b64 s[2:3], s[2:3]
	s_mov_b64 s[4:5], 0
	s_xor_b64 exec, exec, s[2:3]
	s_cbranch_execnz .LBB84_295
.LBB84_293:
	s_or_b64 exec, exec, s[2:3]
	s_and_b64 s[2:3], s[4:5], exec
	s_andn2_saveexec_b64 s[0:1], s[0:1]
	s_cbranch_execz .LBB84_278
.LBB84_294:
	s_or_b64 s[2:3], s[2:3], exec
	s_trap 2
	s_or_b64 exec, exec, s[0:1]
	s_and_saveexec_b64 s[0:1], s[2:3]
	s_cbranch_execnz .LBB84_279
	s_branch .LBB84_280
.LBB84_295:
	s_mov_b64 s[4:5], exec
	s_trap 2
	s_branch .LBB84_293
	.section	.rodata,"a",@progbits
	.p2align	6, 0x0
	.amdhsa_kernel _ZN2at6native12_GLOBAL__N_112gatherMedianIamLi1EEEvNS_4cuda6detail10TensorInfoIT_T0_EENS5_IlS7_EENS5_IKS6_S7_EES7_S7_S7_b
		.amdhsa_group_segment_fixed_size 5152
		.amdhsa_private_segment_fixed_size 0
		.amdhsa_kernarg_size 1536
		.amdhsa_user_sgpr_count 6
		.amdhsa_user_sgpr_private_segment_buffer 1
		.amdhsa_user_sgpr_dispatch_ptr 0
		.amdhsa_user_sgpr_queue_ptr 0
		.amdhsa_user_sgpr_kernarg_segment_ptr 1
		.amdhsa_user_sgpr_dispatch_id 0
		.amdhsa_user_sgpr_flat_scratch_init 0
		.amdhsa_user_sgpr_kernarg_preload_length 0
		.amdhsa_user_sgpr_kernarg_preload_offset 0
		.amdhsa_user_sgpr_private_segment_size 0
		.amdhsa_uses_dynamic_stack 0
		.amdhsa_system_sgpr_private_segment_wavefront_offset 0
		.amdhsa_system_sgpr_workgroup_id_x 1
		.amdhsa_system_sgpr_workgroup_id_y 1
		.amdhsa_system_sgpr_workgroup_id_z 1
		.amdhsa_system_sgpr_workgroup_info 0
		.amdhsa_system_vgpr_workitem_id 0
		.amdhsa_next_free_vgpr 45
		.amdhsa_next_free_sgpr 96
		.amdhsa_accum_offset 48
		.amdhsa_reserve_vcc 1
		.amdhsa_reserve_flat_scratch 0
		.amdhsa_float_round_mode_32 0
		.amdhsa_float_round_mode_16_64 0
		.amdhsa_float_denorm_mode_32 3
		.amdhsa_float_denorm_mode_16_64 3
		.amdhsa_dx10_clamp 1
		.amdhsa_ieee_mode 1
		.amdhsa_fp16_overflow 0
		.amdhsa_tg_split 0
		.amdhsa_exception_fp_ieee_invalid_op 0
		.amdhsa_exception_fp_denorm_src 0
		.amdhsa_exception_fp_ieee_div_zero 0
		.amdhsa_exception_fp_ieee_overflow 0
		.amdhsa_exception_fp_ieee_underflow 0
		.amdhsa_exception_fp_ieee_inexact 0
		.amdhsa_exception_int_div_zero 0
	.end_amdhsa_kernel
	.section	.text._ZN2at6native12_GLOBAL__N_112gatherMedianIamLi1EEEvNS_4cuda6detail10TensorInfoIT_T0_EENS5_IlS7_EENS5_IKS6_S7_EES7_S7_S7_b,"axG",@progbits,_ZN2at6native12_GLOBAL__N_112gatherMedianIamLi1EEEvNS_4cuda6detail10TensorInfoIT_T0_EENS5_IlS7_EENS5_IKS6_S7_EES7_S7_S7_b,comdat
.Lfunc_end84:
	.size	_ZN2at6native12_GLOBAL__N_112gatherMedianIamLi1EEEvNS_4cuda6detail10TensorInfoIT_T0_EENS5_IlS7_EENS5_IKS6_S7_EES7_S7_S7_b, .Lfunc_end84-_ZN2at6native12_GLOBAL__N_112gatherMedianIamLi1EEEvNS_4cuda6detail10TensorInfoIT_T0_EENS5_IlS7_EENS5_IKS6_S7_EES7_S7_S7_b
                                        ; -- End function
	.section	.AMDGPU.csdata,"",@progbits
; Kernel info:
; codeLenInByte = 15148
; NumSgprs: 100
; NumVgprs: 45
; NumAgprs: 0
; TotalNumVgprs: 45
; ScratchSize: 0
; MemoryBound: 0
; FloatMode: 240
; IeeeMode: 1
; LDSByteSize: 5152 bytes/workgroup (compile time only)
; SGPRBlocks: 12
; VGPRBlocks: 5
; NumSGPRsForWavesPerEU: 100
; NumVGPRsForWavesPerEU: 45
; AccumOffset: 48
; Occupancy: 8
; WaveLimiterHint : 1
; COMPUTE_PGM_RSRC2:SCRATCH_EN: 0
; COMPUTE_PGM_RSRC2:USER_SGPR: 6
; COMPUTE_PGM_RSRC2:TRAP_HANDLER: 0
; COMPUTE_PGM_RSRC2:TGID_X_EN: 1
; COMPUTE_PGM_RSRC2:TGID_Y_EN: 1
; COMPUTE_PGM_RSRC2:TGID_Z_EN: 1
; COMPUTE_PGM_RSRC2:TIDIG_COMP_CNT: 0
; COMPUTE_PGM_RSRC3_GFX90A:ACCUM_OFFSET: 11
; COMPUTE_PGM_RSRC3_GFX90A:TG_SPLIT: 0
	.section	.text._ZN2at6native12_GLOBAL__N_112gatherMedianIamLi2EEEvNS_4cuda6detail10TensorInfoIT_T0_EENS5_IlS7_EENS5_IKS6_S7_EES7_S7_S7_b,"axG",@progbits,_ZN2at6native12_GLOBAL__N_112gatherMedianIamLi2EEEvNS_4cuda6detail10TensorInfoIT_T0_EENS5_IlS7_EENS5_IKS6_S7_EES7_S7_S7_b,comdat
	.globl	_ZN2at6native12_GLOBAL__N_112gatherMedianIamLi2EEEvNS_4cuda6detail10TensorInfoIT_T0_EENS5_IlS7_EENS5_IKS6_S7_EES7_S7_S7_b ; -- Begin function _ZN2at6native12_GLOBAL__N_112gatherMedianIamLi2EEEvNS_4cuda6detail10TensorInfoIT_T0_EENS5_IlS7_EENS5_IKS6_S7_EES7_S7_S7_b
	.p2align	8
	.type	_ZN2at6native12_GLOBAL__N_112gatherMedianIamLi2EEEvNS_4cuda6detail10TensorInfoIT_T0_EENS5_IlS7_EENS5_IKS6_S7_EES7_S7_S7_b,@function
_ZN2at6native12_GLOBAL__N_112gatherMedianIamLi2EEEvNS_4cuda6detail10TensorInfoIT_T0_EENS5_IlS7_EENS5_IKS6_S7_EES7_S7_S7_b: ; @_ZN2at6native12_GLOBAL__N_112gatherMedianIamLi2EEEvNS_4cuda6detail10TensorInfoIT_T0_EENS5_IlS7_EENS5_IKS6_S7_EES7_S7_S7_b
; %bb.0:
	s_load_dwordx4 s[52:55], s[4:5], 0x4e0
	s_load_dwordx2 s[2:3], s[4:5], 0x500
	s_add_u32 s12, s4, 0x500
	s_addc_u32 s13, s5, 0
	s_mov_b32 s25, 0
	s_waitcnt lgkmcnt(0)
	v_mov_b32_e32 v2, s54
	s_mul_i32 s0, s3, s8
	s_add_i32 s0, s0, s7
	s_mul_i32 s0, s0, s2
	v_mov_b32_e32 v3, s55
	s_add_i32 s24, s0, s6
	v_cmp_ge_u64_e32 vcc, s[24:25], v[2:3]
	s_cbranch_vccnz .LBB85_286
; %bb.1:
	s_load_dwordx2 s[16:17], s[4:5], 0x10
	s_load_dwordx2 s[14:15], s[4:5], 0x350
	;; [unrolled: 1-line block ×3, first 2 shown]
	s_mov_b64 s[10:11], 0
	s_mov_b64 s[0:1], 0
	s_waitcnt lgkmcnt(0)
	v_pk_mov_b32 v[2:3], s[16:17], s[16:17] op_sel:[0,1]
	v_cmp_lt_u64_e32 vcc, s[24:25], v[2:3]
	s_cbranch_vccnz .LBB85_3
; %bb.2:
	v_cvt_f32_u32_e32 v1, s16
	s_sub_i32 s0, 0, s16
	v_rcp_iflag_f32_e32 v1, v1
	v_mul_f32_e32 v1, 0x4f7ffffe, v1
	v_cvt_u32_f32_e32 v1, v1
	v_readfirstlane_b32 s1, v1
	s_mul_i32 s0, s0, s1
	s_mul_hi_u32 s0, s1, s0
	s_add_i32 s1, s1, s0
	s_mul_hi_u32 s0, s24, s1
	s_mul_i32 s3, s0, s16
	s_sub_i32 s3, s24, s3
	s_add_i32 s1, s0, 1
	s_sub_i32 s7, s3, s16
	s_cmp_ge_u32 s3, s16
	s_cselect_b32 s0, s1, s0
	s_cselect_b32 s3, s7, s3
	s_add_i32 s1, s0, 1
	s_cmp_ge_u32 s3, s16
	s_cselect_b32 s0, s1, s0
.LBB85_3:
	s_load_dwordx2 s[68:69], s[4:5], 0x4f0
                                        ; implicit-def: $vgpr38 : SGPR spill to VGPR lane
	v_pk_mov_b32 v[2:3], s[8:9], s[8:9] op_sel:[0,1]
	v_writelane_b32 v38, s0, 0
	v_writelane_b32 v38, s1, 1
	v_cmp_lt_u64_e32 vcc, s[24:25], v[2:3]
	v_writelane_b32 v38, s16, 2
	v_writelane_b32 v38, s17, 3
	s_cbranch_vccnz .LBB85_5
; %bb.4:
	v_cvt_f32_u32_e32 v1, s8
	s_sub_i32 s0, 0, s8
	v_rcp_iflag_f32_e32 v1, v1
	v_mul_f32_e32 v1, 0x4f7ffffe, v1
	v_cvt_u32_f32_e32 v1, v1
	v_readfirstlane_b32 s1, v1
	s_mul_i32 s0, s0, s1
	s_mul_hi_u32 s0, s1, s0
	s_add_i32 s1, s1, s0
	s_mul_hi_u32 s0, s24, s1
	s_mul_i32 s3, s0, s8
	s_sub_i32 s3, s24, s3
	s_add_i32 s1, s0, 1
	s_sub_i32 s7, s3, s8
	s_cmp_ge_u32 s3, s8
	s_cselect_b32 s0, s1, s0
	s_cselect_b32 s3, s7, s3
	s_add_i32 s1, s0, 1
	s_cmp_ge_u32 s3, s8
	s_cselect_b32 s10, s1, s0
.LBB85_5:
	v_writelane_b32 v38, s10, 4
	v_pk_mov_b32 v[2:3], s[14:15], s[14:15] op_sel:[0,1]
	v_writelane_b32 v38, s11, 5
	v_cmp_lt_u64_e32 vcc, s[24:25], v[2:3]
	v_writelane_b32 v38, s8, 6
	s_mov_b64 s[16:17], 0
	v_writelane_b32 v38, s9, 7
	s_cbranch_vccnz .LBB85_7
; %bb.6:
	v_cvt_f32_u32_e32 v1, s14
	s_sub_i32 s0, 0, s14
	v_rcp_iflag_f32_e32 v1, v1
	v_mul_f32_e32 v1, 0x4f7ffffe, v1
	v_cvt_u32_f32_e32 v1, v1
	v_readfirstlane_b32 s1, v1
	s_mul_i32 s0, s0, s1
	s_mul_hi_u32 s0, s1, s0
	s_add_i32 s1, s1, s0
	s_mul_hi_u32 s0, s24, s1
	s_mul_i32 s3, s0, s14
	s_sub_i32 s3, s24, s3
	s_add_i32 s1, s0, 1
	s_sub_i32 s7, s3, s14
	s_cmp_ge_u32 s3, s14
	s_cselect_b32 s0, s1, s0
	s_cselect_b32 s3, s7, s3
	s_add_i32 s1, s0, 1
	s_cmp_ge_u32 s3, s14
	s_cselect_b32 s16, s1, s0
.LBB85_7:
	s_load_dwordx2 s[18:19], s[4:5], 0x340
	v_cmp_eq_u32_e64 s[0:1], 0, v0
	s_mov_b64 s[8:9], exec
	v_writelane_b32 v38, s0, 8
	v_writelane_b32 v38, s1, 9
	s_and_b64 s[0:1], s[8:9], s[0:1]
	s_mov_b64 exec, s[0:1]
	s_cbranch_execz .LBB85_9
; %bb.8:
	v_mov_b32_e32 v2, 0
	v_mov_b32_e32 v3, v2
	ds_write_b64 v2, v[2:3] offset:5136
.LBB85_9:
	s_or_b64 exec, exec, s[8:9]
	s_load_dwordx2 s[0:1], s[4:5], 0x1a0
	v_mov_b32_e32 v11, 0
	s_waitcnt lgkmcnt(0)
	s_barrier
	v_writelane_b32 v38, s0, 10
	s_barrier
	ds_read_b64 v[2:3], v11 offset:5136
	v_writelane_b32 v38, s1, 11
	s_load_dwordx2 s[0:1], s[4:5], 0x0
	s_load_dwordx4 s[8:11], s[4:5], 0x410
	s_waitcnt lgkmcnt(0)
	v_readfirstlane_b32 s20, v2
	v_readfirstlane_b32 s21, v3
	v_writelane_b32 v38, s0, 12
	v_writelane_b32 v38, s1, 13
	s_mov_b64 s[22:23], exec
	v_readlane_b32 s0, v38, 8
	v_readlane_b32 s1, v38, 9
	s_and_b64 s[0:1], s[22:23], s[0:1]
	s_mov_b64 exec, s[0:1]
	s_cbranch_execz .LBB85_11
; %bb.10:
	v_mov_b32_e32 v2, 0
	v_mov_b32_e32 v4, s52
	;; [unrolled: 1-line block ×4, first 2 shown]
	ds_write_b32 v2, v2 offset:5144
	ds_write_b128 v2, v[2:5] offset:5120
.LBB85_11:
	s_or_b64 exec, exec, s[22:23]
	s_load_dword s3, s[4:5], 0x4f8
	s_load_dwordx4 s[28:31], s[4:5], 0x270
                                        ; kill: killed $sgpr4 killed $sgpr5
	v_cmp_lt_i64_e64 s[0:1], s[20:21], 1
	v_mov_b32_e32 v1, 0
	v_mbcnt_lo_u32_b32 v2, -1, 0
	s_waitcnt lgkmcnt(0)
	s_bitcmp1_b32 s3, 0
	v_writelane_b32 v38, s28, 14
	v_writelane_b32 v38, s29, 15
	v_writelane_b32 v38, s30, 16
	v_writelane_b32 v38, s31, 17
	s_load_dwordx4 s[28:31], s[4:5], 0xd0
	s_cselect_b64 s[4:5], -1, 0
	s_not_b64 s[20:21], s[20:21]
	s_or_b64 s[0:1], s[4:5], s[0:1]
	s_add_u32 s4, s20, s52
	s_addc_u32 s5, s21, s53
	s_lshr_b64 s[4:5], s[4:5], 1
	s_add_u32 s3, s4, 1
	s_waitcnt lgkmcnt(0)
	v_writelane_b32 v38, s28, 18
	s_addc_u32 s4, s5, 0
	v_writelane_b32 v38, s29, 19
	s_and_b64 s[0:1], s[0:1], exec
	v_writelane_b32 v38, s30, 20
	s_mul_i32 s0, s16, s15
	s_mul_hi_u32 s1, s16, s14
	v_writelane_b32 v38, s31, 21
	s_cselect_b32 s85, s4, s53
	s_cselect_b32 s84, s3, s52
	s_add_i32 s1, s1, s0
	s_mul_i32 s0, s16, s14
	s_mov_b32 s4, s24
	v_writelane_b32 v38, s4, 22
	s_sub_u32 s0, s24, s0
	v_writelane_b32 v38, s5, 23
	s_subb_u32 s1, 0, s1
	s_mul_i32 s3, s0, s11
	s_mul_hi_u32 s4, s0, s10
	s_add_i32 s3, s4, s3
	s_mul_i32 s1, s1, s10
	s_add_i32 s3, s3, s1
	s_mul_i32 s1, s16, s9
	s_mul_hi_u32 s4, s16, s8
	s_add_i32 s4, s4, s1
	s_mul_i32 s1, s16, s8
	s_add_u32 s1, s18, s1
	s_mul_i32 s0, s0, s10
	s_addc_u32 s4, s19, s4
	s_add_u32 s78, s1, s0
	v_cmp_gt_u64_e64 s[0:1], s[52:53], v[0:1]
	v_writelane_b32 v38, s0, 24
	v_writelane_b32 v38, s1, 25
	v_mbcnt_hi_u32_b32 v24, -1, v2
	v_cmp_gt_u32_e64 s[0:1], 2, v0
	v_mov_b32_e32 v2, 0xc00
	v_writelane_b32 v38, s0, 26
	v_mov_b32_e32 v3, 0
	s_addc_u32 s79, s4, s3
	v_writelane_b32 v38, s1, 27
	v_cmp_gt_u64_e64 s[0:1], s[52:53], v[2:3]
	v_writelane_b32 v38, s0, 28
	v_pk_mov_b32 v[12:13], s[78:79], s[78:79] op_sel:[0,1]
	v_writelane_b32 v38, s1, 29
	v_mad_u64_u32 v[14:15], s[0:1], v0, s68, v[12:13]
	v_mov_b32_e32 v2, v15
	v_mad_u64_u32 v[2:3], s[0:1], v0, s69, v[2:3]
	s_barrier
	s_load_dword s0, s[12:13], 0xc
	v_cmp_gt_u32_e32 vcc, 64, v0
	v_cmp_gt_i32_e64 s[8:9], 4, v24
	s_and_b64 s[82:83], vcc, s[8:9]
	v_mov_b32_e32 v15, v2
	s_waitcnt lgkmcnt(0)
	s_and_b32 s33, s0, 0xffff
	s_bfe_u32 s1, s0, 0xa0006
	v_cmp_gt_u16_e64 s[8:9], s0, 63
	s_add_u32 s0, s33, -1
	s_addc_u32 s3, 0, -1
	s_add_u32 s54, s0, s52
	v_writelane_b32 v38, s8, 30
	s_addc_u32 s89, s3, s53
	v_writelane_b32 v38, s9, 31
	s_cmp_lt_u32 s6, s2
	v_writelane_b32 v38, s0, 32
	s_cselect_b32 s0, 12, 18
	s_add_u32 s90, s12, s0
	s_addc_u32 s91, s13, 0
	s_add_i32 s0, s1, -1
	s_bfe_u32 s2, s33, 0x30006
	s_cmp_gt_u32 s0, 6
	v_lshrrev_b32_e32 v2, 4, v0
	v_writelane_b32 v38, s3, 33
	s_cselect_b64 s[6:7], -1, 0
	v_and_b32_e32 v25, 60, v2
	v_lshlrev_b32_e32 v2, 2, v24
	v_writelane_b32 v38, s6, 34
	s_and_b32 s0, s1, 0x3f8
	v_and_b32_e32 v26, 0x100, v2
	v_lshlrev_b64 v[2:3], v24, -1
	v_writelane_b32 v38, s7, 35
	s_cmp_lg_u32 s2, 0
	s_mov_b32 s81, 0
	v_not_b32_e32 v18, v2
	v_writelane_b32 v38, s2, 36
	s_cselect_b64 s[2:3], -1, 0
	v_mov_b32_e32 v2, 0xc00
	v_cmp_eq_u32_e64 s[4:5], 0, v24
	v_lshlrev_b32_e32 v16, 2, v0
	v_mov_b32_e32 v17, v1
	v_not_b32_e32 v19, v3
	s_mov_b32 s55, s81
	s_mov_b32 s86, 6
	v_writelane_b32 v38, s2, 37
	v_lshl_or_b32 v27, v24, 3, v2
	s_mov_b64 s[72:73], 0
	s_movk_i32 s1, 0x80
	v_mov_b32_e32 v28, 0x4f800000
	v_mov_b32_e32 v29, 0
	s_mov_b32 s87, 0
	s_mov_b32 s27, 0
	;; [unrolled: 1-line block ×3, first 2 shown]
	v_writelane_b32 v38, s3, 38
                                        ; implicit-def: $sgpr58_sgpr59
                                        ; implicit-def: $sgpr60_sgpr61
                                        ; implicit-def: $sgpr76_sgpr77
                                        ; implicit-def: $sgpr62_sgpr63
                                        ; implicit-def: $sgpr66_sgpr67
                                        ; implicit-def: $sgpr64_sgpr65
	s_branch .LBB85_16
.LBB85_12:                              ;   in Loop: Header=BB85_16 Depth=1
	s_xor_b32 s87, s87, 1
	s_add_i32 s12, s86, -2
	s_cmp_eq_u32 s86, 0
	s_mov_b64 s[6:7], 0
	s_cselect_b64 s[8:9], -1, 0
	s_mov_b32 s86, s12
.LBB85_13:                              ;   in Loop: Header=BB85_16 Depth=1
	s_andn2_b64 s[12:13], s[18:19], exec
	s_and_b64 s[6:7], s[6:7], exec
	s_or_b64 s[18:19], s[12:13], s[6:7]
	s_andn2_b64 s[20:21], s[20:21], exec
	s_andn2_b64 s[16:17], s[16:17], exec
	s_orn2_b64 s[12:13], s[8:9], exec
.LBB85_14:                              ;   in Loop: Header=BB85_16 Depth=1
	s_or_b64 exec, exec, s[2:3]
	s_andn2_b64 s[2:3], s[64:65], exec
	s_and_b64 s[6:7], s[18:19], exec
	s_or_b64 s[64:65], s[2:3], s[6:7]
	s_andn2_b64 s[2:3], s[66:67], exec
	s_and_b64 s[6:7], s[20:21], exec
	s_or_b64 s[66:67], s[2:3], s[6:7]
	;; [unrolled: 3-line block ×3, first 2 shown]
	s_orn2_b64 s[16:17], s[12:13], exec
.LBB85_15:                              ;   in Loop: Header=BB85_16 Depth=1
	s_or_b64 exec, exec, s[10:11]
	s_and_b64 s[2:3], exec, s[16:17]
	s_or_b64 s[72:73], s[2:3], s[72:73]
	s_andn2_b64 s[2:3], s[76:77], exec
	s_and_b64 s[6:7], s[64:65], exec
	s_or_b64 s[76:77], s[2:3], s[6:7]
	s_andn2_b64 s[2:3], s[60:61], exec
	s_and_b64 s[6:7], s[66:67], exec
	;; [unrolled: 3-line block ×3, first 2 shown]
	v_mov_b32_e32 v2, s27
	s_or_b64 s[58:59], s[2:3], s[6:7]
	s_andn2_b64 exec, exec, s[72:73]
	s_cbranch_execz .LBB85_282
.LBB85_16:                              ; =>This Loop Header: Depth=1
                                        ;     Child Loop BB85_21 Depth 2
                                        ;     Child Loop BB85_36 Depth 2
	;; [unrolled: 1-line block ×16, first 2 shown]
	ds_read_b128 v[2:5], v11 offset:5120
	s_waitcnt lgkmcnt(0)
	v_readfirstlane_b32 s71, v3
	v_readfirstlane_b32 s70, v2
	s_cmp_lg_u64 s[70:71], 0
	s_cbranch_scc1 .LBB85_43
; %bb.17:                               ;   in Loop: Header=BB85_16 Depth=1
	v_readlane_b32 s2, v38, 28
	v_readlane_b32 s3, v38, 29
	s_and_b64 vcc, exec, s[2:3]
	s_cbranch_vccz .LBB85_29
; %bb.18:                               ;   in Loop: Header=BB85_16 Depth=1
	s_mov_b64 s[2:3], 0xc01
	v_cmp_gt_u64_e32 vcc, s[2:3], v[4:5]
	s_mov_b64 s[70:71], 0
	s_mov_b64 s[2:3], 0
	s_cbranch_vccz .LBB85_30
; %bb.19:                               ;   in Loop: Header=BB85_16 Depth=1
	global_load_ubyte v5, v[14:15], off
	global_load_ushort v4, v11, s[90:91]
	v_pk_mov_b32 v[2:3], v[0:1], v[0:1] op_sel:[0,1]
	s_branch .LBB85_21
.LBB85_20:                              ;   in Loop: Header=BB85_21 Depth=2
	s_or_b64 exec, exec, s[6:7]
	s_waitcnt vmcnt(0)
	v_mov_b32_e32 v5, v6
	s_andn2_b64 exec, exec, s[2:3]
	s_cbranch_execz .LBB85_146
.LBB85_21:                              ;   Parent Loop BB85_16 Depth=1
                                        ; =>  This Inner Loop Header: Depth=2
	s_waitcnt vmcnt(0)
	v_add_co_u32_sdwa v2, vcc, v2, v4 dst_sel:DWORD dst_unused:UNUSED_PAD src0_sel:DWORD src1_sel:WORD_0
	v_addc_co_u32_e32 v3, vcc, 0, v3, vcc
	v_cmp_gt_u64_e64 s[6:7], s[52:53], v[2:3]
	v_cmp_le_u64_e32 vcc, s[52:53], v[2:3]
	s_waitcnt lgkmcnt(0)
	v_mov_b32_e32 v7, 0
	v_mov_b32_e32 v6, 0
	s_and_saveexec_b64 s[8:9], s[6:7]
	s_cbranch_execz .LBB85_23
; %bb.22:                               ;   in Loop: Header=BB85_21 Depth=2
	v_mad_u64_u32 v[8:9], s[6:7], v2, s68, v[12:13]
	v_mul_lo_u32 v6, v2, s69
	v_mul_lo_u32 v10, v3, s68
	v_add3_u32 v9, v10, v9, v6
	global_load_ubyte v6, v[8:9], off
.LBB85_23:                              ;   in Loop: Header=BB85_21 Depth=2
	s_or_b64 exec, exec, s[8:9]
	v_add_u32_sdwa v8, sext(v5), s1 dst_sel:DWORD dst_unused:UNUSED_PAD src0_sel:BYTE_0 src1_sel:DWORD
	v_and_b32_e32 v8, s26, v8
	v_cmp_eq_u32_e64 s[10:11], s27, v8
	s_cmp_lg_u64 s[10:11], 0
	s_cselect_b64 s[6:7], -1, 0
	s_and_b64 s[6:7], s[4:5], s[6:7]
	s_and_saveexec_b64 s[8:9], s[6:7]
	s_cbranch_execz .LBB85_27
; %bb.24:                               ;   in Loop: Header=BB85_21 Depth=2
	s_mov_b64 s[14:15], exec
	v_mbcnt_lo_u32_b32 v7, s14, 0
	v_mbcnt_hi_u32_b32 v7, s15, v7
	s_bcnt1_i32_b64 s16, s[10:11]
	v_cmp_eq_u32_e64 s[6:7], 0, v7
                                        ; implicit-def: $vgpr8
	s_and_saveexec_b64 s[12:13], s[6:7]
	s_cbranch_execz .LBB85_26
; %bb.25:                               ;   in Loop: Header=BB85_21 Depth=2
	s_bcnt1_i32_b64 s6, s[14:15]
	s_mul_i32 s6, s16, s6
	v_mov_b32_e32 v8, s6
	ds_add_rtn_u32 v8, v11, v8 offset:5144
.LBB85_26:                              ;   in Loop: Header=BB85_21 Depth=2
	s_or_b64 exec, exec, s[12:13]
	s_waitcnt lgkmcnt(0)
	v_readfirstlane_b32 s6, v8
	v_mov_b32_e32 v8, s6
	v_mad_u32_u24 v7, s16, v7, v8
.LBB85_27:                              ;   in Loop: Header=BB85_21 Depth=2
	s_or_b64 exec, exec, s[8:9]
	ds_bpermute_b32 v7, v26, v7
	s_and_b64 s[6:7], exec, vcc
	s_or_b64 s[2:3], s[6:7], s[2:3]
	s_and_saveexec_b64 s[6:7], s[10:11]
	s_cbranch_execz .LBB85_20
; %bb.28:                               ;   in Loop: Header=BB85_21 Depth=2
	v_and_b32_e32 v9, s10, v18
	v_and_b32_e32 v8, s11, v19
	v_bcnt_u32_b32 v9, v9, 0
	v_bcnt_u32_b32 v8, v8, v9
	s_waitcnt lgkmcnt(0)
	v_add_u32_e32 v7, v7, v8
	ds_write_b8 v7, v5
	s_branch .LBB85_20
.LBB85_29:                              ;   in Loop: Header=BB85_16 Depth=1
	s_mov_b64 s[70:71], -1
	s_mov_b64 s[2:3], 0
.LBB85_30:                              ;   in Loop: Header=BB85_16 Depth=1
	s_and_b64 vcc, exec, s[70:71]
	s_cbranch_vccz .LBB85_41
.LBB85_31:                              ;   in Loop: Header=BB85_16 Depth=1
	v_mov_b32_e32 v4, 0
	s_mov_b64 s[2:3], exec
	v_readlane_b32 s6, v38, 24
	v_readlane_b32 s7, v38, 25
	s_and_b64 s[6:7], s[2:3], s[6:7]
	s_mov_b64 exec, s[6:7]
	s_cbranch_execz .LBB85_33
; %bb.32:                               ;   in Loop: Header=BB85_16 Depth=1
	global_load_ubyte v4, v[14:15], off
.LBB85_33:                              ;   in Loop: Header=BB85_16 Depth=1
	s_or_b64 exec, exec, s[2:3]
	s_mov_b64 s[2:3], exec
	v_readlane_b32 s6, v38, 24
	v_readlane_b32 s7, v38, 25
	s_and_b64 s[6:7], s[2:3], s[6:7]
	s_mov_b64 exec, s[6:7]
	s_cbranch_execz .LBB85_38
; %bb.34:                               ;   in Loop: Header=BB85_16 Depth=1
	global_load_ushort v2, v11, s[90:91]
	s_mov_b64 s[8:9], 0
	v_mov_b32_e32 v5, v0
	s_waitcnt vmcnt(0)
	v_and_b32_e32 v6, 0xffff, v2
	v_pk_mov_b32 v[2:3], v[0:1], v[0:1] op_sel:[0,1]
	s_branch .LBB85_36
.LBB85_35:                              ;   in Loop: Header=BB85_36 Depth=2
	s_or_b64 exec, exec, s[10:11]
	s_and_b64 s[6:7], exec, vcc
	s_or_b64 s[8:9], s[6:7], s[8:9]
	ds_write_b8 v5, v4
	v_add_u32_e32 v5, v5, v6
	s_waitcnt vmcnt(0)
	v_mov_b32_e32 v4, v7
	s_andn2_b64 exec, exec, s[8:9]
	s_cbranch_execz .LBB85_38
.LBB85_36:                              ;   Parent Loop BB85_16 Depth=1
                                        ; =>  This Inner Loop Header: Depth=2
	v_add_co_u32_e32 v2, vcc, v2, v6
	v_addc_co_u32_e32 v3, vcc, 0, v3, vcc
	v_cmp_gt_u64_e64 s[6:7], s[52:53], v[2:3]
	v_cmp_le_u64_e32 vcc, s[52:53], v[2:3]
	v_mov_b32_e32 v7, 0
	s_and_saveexec_b64 s[10:11], s[6:7]
	s_cbranch_execz .LBB85_35
; %bb.37:                               ;   in Loop: Header=BB85_36 Depth=2
	v_pk_mov_b32 v[8:9], s[78:79], s[78:79] op_sel:[0,1]
	v_mad_u64_u32 v[8:9], s[6:7], v2, s68, v[8:9]
	v_mul_lo_u32 v7, v2, s69
	v_mul_lo_u32 v10, v3, s68
	v_add3_u32 v9, v10, v9, v7
	global_load_ubyte v7, v[8:9], off
	s_branch .LBB85_35
.LBB85_38:                              ;   in Loop: Header=BB85_16 Depth=1
	s_or_b64 exec, exec, s[2:3]
	s_waitcnt lgkmcnt(0)
	s_barrier
	s_mov_b64 s[2:3], exec
	v_readlane_b32 s6, v38, 8
	v_readlane_b32 s7, v38, 9
	s_and_b64 s[6:7], s[2:3], s[6:7]
	s_mov_b64 exec, s[6:7]
	s_cbranch_execz .LBB85_40
; %bb.39:                               ;   in Loop: Header=BB85_16 Depth=1
	v_pk_mov_b32 v[2:3], s[52:53], s[52:53] op_sel:[0,1]
	ds_write_b64 v11, v[2:3] offset:5120
.LBB85_40:                              ;   in Loop: Header=BB85_16 Depth=1
	s_or_b64 exec, exec, s[2:3]
	s_mov_b64 s[2:3], -1
	s_waitcnt lgkmcnt(0)
	s_barrier
                                        ; implicit-def: $sgpr70_sgpr71
.LBB85_41:                              ;   in Loop: Header=BB85_16 Depth=1
	s_and_b64 vcc, exec, s[2:3]
	s_cbranch_vccz .LBB85_43
; %bb.42:                               ;   in Loop: Header=BB85_16 Depth=1
	ds_read_b64 v[2:3], v11 offset:5120
	s_waitcnt lgkmcnt(0)
	v_readfirstlane_b32 s70, v2
.LBB85_43:                              ;   in Loop: Header=BB85_16 Depth=1
	s_cmp_lt_i32 s70, 1
	s_cbranch_scc0 .LBB85_58
; %bb.44:                               ;   in Loop: Header=BB85_16 Depth=1
	global_load_ushort v30, v11, s[90:91]
	s_mov_b32 s2, s81
	s_waitcnt vmcnt(0)
	v_readfirstlane_b32 s3, v30
	s_and_b32 s3, 0xffff, s3
	s_lshl_b32 s71, s3, 2
	s_mov_b32 s3, s53
	s_cmp_lg_u64 s[2:3], 0
	s_cbranch_scc0 .LBB85_78
; %bb.45:                               ;   in Loop: Header=BB85_16 Depth=1
	v_cvt_f32_u32_e32 v2, s71
	s_sub_u32 s2, 0, s71
	s_subb_u32 s3, 0, 0
	v_mac_f32_e32 v2, 0, v28
	v_rcp_f32_e32 v2, v2
	v_mul_f32_e32 v2, 0x5f7ffffc, v2
	v_mul_f32_e32 v3, 0x2f800000, v2
	v_trunc_f32_e32 v3, v3
	v_mac_f32_e32 v2, 0xcf800000, v3
	v_cvt_u32_f32_e32 v3, v3
	v_cvt_u32_f32_e32 v2, v2
	v_readfirstlane_b32 s6, v3
	v_readfirstlane_b32 s7, v2
	s_mul_i32 s8, s2, s6
	s_mul_hi_u32 s10, s2, s7
	s_mul_i32 s9, s3, s7
	s_add_i32 s8, s10, s8
	s_mul_i32 s11, s2, s7
	s_add_i32 s8, s8, s9
	s_mul_hi_u32 s10, s7, s11
	s_mul_hi_u32 s9, s7, s8
	s_mul_i32 s7, s7, s8
	s_add_u32 s7, s10, s7
	s_addc_u32 s9, 0, s9
	s_mul_hi_u32 s12, s6, s11
	s_mul_i32 s11, s6, s11
	s_add_u32 s7, s7, s11
	s_mul_hi_u32 s10, s6, s8
	s_addc_u32 s7, s9, s12
	s_addc_u32 s9, s10, 0
	s_mul_i32 s8, s6, s8
	s_add_u32 s7, s7, s8
	s_addc_u32 s8, 0, s9
	v_add_co_u32_e32 v2, vcc, s7, v2
	s_cmp_lg_u64 vcc, 0
	s_addc_u32 s6, s6, s8
	v_readfirstlane_b32 s8, v2
	s_mul_i32 s7, s2, s6
	s_mul_hi_u32 s9, s2, s8
	s_add_i32 s7, s9, s7
	s_mul_i32 s3, s3, s8
	s_add_i32 s7, s7, s3
	s_mul_i32 s2, s2, s8
	s_mul_hi_u32 s9, s6, s2
	s_mul_i32 s10, s6, s2
	s_mul_i32 s12, s8, s7
	s_mul_hi_u32 s2, s8, s2
	s_mul_hi_u32 s11, s8, s7
	s_add_u32 s2, s2, s12
	s_addc_u32 s8, 0, s11
	s_add_u32 s2, s2, s10
	s_mul_hi_u32 s3, s6, s7
	s_addc_u32 s2, s8, s9
	s_addc_u32 s3, s3, 0
	s_mul_i32 s7, s6, s7
	s_add_u32 s2, s2, s7
	s_addc_u32 s3, 0, s3
	v_add_co_u32_e32 v2, vcc, s2, v2
	s_cmp_lg_u64 vcc, 0
	s_addc_u32 s2, s6, s3
	v_readfirstlane_b32 s7, v2
	s_mul_i32 s6, s52, s2
	s_mul_hi_u32 s8, s52, s7
	s_mul_hi_u32 s3, s52, s2
	s_add_u32 s6, s8, s6
	s_addc_u32 s3, 0, s3
	s_mul_hi_u32 s9, s53, s7
	s_mul_i32 s7, s53, s7
	s_add_u32 s6, s6, s7
	s_mul_hi_u32 s8, s53, s2
	s_addc_u32 s3, s3, s9
	s_addc_u32 s6, s8, 0
	s_mul_i32 s2, s53, s2
	s_add_u32 s2, s3, s2
	s_addc_u32 s3, 0, s6
	s_mul_hi_u32 s6, s71, s2
	s_mul_i32 s2, s71, s2
	s_mul_i32 s3, s71, s3
	v_mov_b32_e32 v2, s2
	s_add_i32 s6, s6, s3
	v_sub_co_u32_e32 v2, vcc, s52, v2
	s_cmp_lg_u64 vcc, 0
	s_subb_u32 s2, s53, s6
	v_subrev_co_u32_e32 v3, vcc, s71, v2
	s_cmp_lg_u64 vcc, 0
	s_subb_u32 s3, s2, 0
	v_subrev_co_u32_e32 v4, vcc, s71, v3
	s_cmp_lg_u64 vcc, 0
	s_subb_u32 s6, s3, 0
	v_cmp_le_u32_e32 vcc, s71, v3
	s_cmp_eq_u32 s3, 0
	v_cndmask_b32_e64 v5, 0, -1, vcc
	s_cselect_b64 vcc, -1, 0
	v_cndmask_b32_e32 v5, -1, v5, vcc
	v_mov_b32_e32 v6, s3
	v_mov_b32_e32 v7, s6
	v_cmp_ne_u32_e32 vcc, 0, v5
	v_cndmask_b32_e32 v5, v6, v7, vcc
	v_cndmask_b32_e32 v4, v3, v4, vcc
	v_cmp_le_u32_e32 vcc, s71, v2
	s_cmp_eq_u32 s2, 0
	v_cndmask_b32_e64 v3, 0, -1, vcc
	s_cselect_b64 vcc, -1, 0
	v_cndmask_b32_e32 v3, -1, v3, vcc
	v_mov_b32_e32 v6, s2
	v_cmp_ne_u32_e32 vcc, 0, v3
	v_cndmask_b32_e32 v3, v6, v5, vcc
	v_cndmask_b32_e32 v2, v2, v4, vcc
	s_cbranch_execnz .LBB85_47
.LBB85_46:                              ;   in Loop: Header=BB85_16 Depth=1
	v_cvt_f32_u32_e32 v2, s71
	s_sub_i32 s2, 0, s71
	v_rcp_iflag_f32_e32 v2, v2
	v_mul_f32_e32 v2, 0x4f7ffffe, v2
	v_cvt_u32_f32_e32 v2, v2
	v_mul_lo_u32 v3, s2, v2
	v_mul_hi_u32 v3, v2, v3
	v_add_u32_e32 v2, v2, v3
	v_mul_hi_u32 v2, s52, v2
	v_mul_lo_u32 v2, v2, s71
	v_sub_u32_e32 v2, s52, v2
	v_subrev_u32_e32 v3, s71, v2
	v_cmp_le_u32_e32 vcc, s71, v2
	v_cndmask_b32_e32 v2, v2, v3, vcc
	v_subrev_u32_e32 v3, s71, v2
	v_cmp_le_u32_e32 vcc, s71, v2
	v_cndmask_b32_e32 v10, v2, v3, vcc
	v_pk_mov_b32 v[2:3], v[10:11], v[10:11] op_sel:[0,1]
.LBB85_47:                              ;   in Loop: Header=BB85_16 Depth=1
	v_mov_b32_e32 v4, s53
	v_sub_co_u32_e32 v20, vcc, s52, v2
	v_subb_co_u32_e32 v21, vcc, v4, v3, vcc
	v_pk_mov_b32 v[2:3], 0, 0
	v_cmp_gt_u64_e32 vcc, v[20:21], v[16:17]
	s_mov_b64 s[74:75], 0
	v_pk_mov_b32 v[4:5], v[2:3], v[2:3] op_sel:[0,1]
	v_pk_mov_b32 v[6:7], v[2:3], v[2:3] op_sel:[0,1]
	;; [unrolled: 1-line block ×3, first 2 shown]
	s_and_saveexec_b64 s[50:51], vcc
	s_cbranch_execz .LBB85_51
; %bb.48:                               ;   in Loop: Header=BB85_16 Depth=1
	s_and_b32 s2, s86, 0xfe
	s_mov_b64 s[56:57], 0
	s_mov_b64 s[92:93], 0
	;; [unrolled: 1-line block ×4, first 2 shown]
	v_pk_mov_b32 v[22:23], v[16:17], v[16:17] op_sel:[0,1]
.LBB85_49:                              ;   Parent Loop BB85_16 Depth=1
                                        ; =>  This Inner Loop Header: Depth=2
	v_pk_mov_b32 v[2:3], s[78:79], s[78:79] op_sel:[0,1]
	v_mul_lo_u32 v4, v22, s69
	v_mul_lo_u32 v5, v23, s68
	v_mad_u64_u32 v[2:3], s[6:7], v22, s68, v[2:3]
	v_mov_b32_e32 v6, s69
	v_add3_u32 v3, v5, v3, v4
	v_add_co_u32_e64 v4, s[6:7], s68, v2
	v_addc_co_u32_e64 v5, s[6:7], v3, v6, s[6:7]
	v_mov_b32_e32 v7, s69
	global_load_sbyte v9, v[2:3], off
	global_load_sbyte v6, v[4:5], off
	v_add_co_u32_e64 v2, s[6:7], s68, v4
	v_addc_co_u32_e64 v3, s[6:7], v5, v7, s[6:7]
	v_mov_b32_e32 v8, s69
	v_add_co_u32_e64 v4, s[6:7], s68, v2
	global_load_sbyte v2, v[2:3], off
	v_addc_co_u32_e64 v5, s[6:7], v3, v8, s[6:7]
	global_load_sbyte v3, v[4:5], off
	v_add_co_u32_e32 v22, vcc, s71, v22
	v_addc_co_u32_e32 v23, vcc, 0, v23, vcc
	v_cmp_ge_u64_e32 vcc, v[22:23], v[20:21]
	s_waitcnt vmcnt(3)
	v_add_u32_e32 v4, 0x80, v9
	s_waitcnt vmcnt(2)
	v_add_u32_e32 v5, 0x80, v6
	v_and_b32_e32 v6, s26, v4
	v_bfe_u32 v4, v4, s2, 2
	v_cmp_eq_u32_e64 s[10:11], s27, v6
	v_and_b32_e32 v6, s26, v5
	v_bfe_u32 v5, v5, s2, 2
	v_cmp_eq_u32_e64 s[6:7], 0, v4
	v_cmp_eq_u32_e64 s[12:13], s27, v6
	s_waitcnt vmcnt(1)
	v_add_u32_e32 v2, 0x80, v2
	v_cmp_eq_u32_e64 s[22:23], 0, v5
	s_and_b64 s[6:7], s[10:11], s[6:7]
	v_cmp_eq_u32_e64 s[28:29], 1, v4
	v_cmp_eq_u32_e64 s[30:31], 2, v4
	;; [unrolled: 1-line block ×3, first 2 shown]
	s_waitcnt vmcnt(0)
	v_add_u32_e32 v3, 0x80, v3
	v_and_b32_e32 v4, s26, v2
	v_bfe_u32 v2, v2, s2, 2
	v_cmp_eq_u32_e64 s[34:35], 1, v5
	v_cmp_eq_u32_e64 s[36:37], 2, v5
	;; [unrolled: 1-line block ×3, first 2 shown]
	v_cndmask_b32_e64 v5, 0, 1, s[6:7]
	s_and_b64 s[22:23], s[12:13], s[22:23]
	v_cmp_eq_u32_e64 s[18:19], s27, v4
	v_and_b32_e32 v4, s26, v3
	v_bfe_u32 v3, v3, s2, 2
	v_cmp_eq_u32_e64 s[6:7], 0, v2
	v_cmp_eq_u32_e64 s[38:39], 1, v2
	;; [unrolled: 1-line block ×4, first 2 shown]
	v_cmp_ne_u32_e64 s[42:43], 0, v5
	v_cndmask_b32_e64 v2, 0, 1, s[22:23]
	v_cmp_eq_u32_e64 s[22:23], s27, v4
	v_cmp_eq_u32_e64 s[44:45], 0, v3
	s_bcnt1_i32_b64 s3, s[42:43]
	v_cmp_ne_u32_e64 s[42:43], 0, v2
	s_and_b64 s[6:7], s[18:19], s[6:7]
	v_cndmask_b32_e64 v2, 0, 1, s[6:7]
	s_bcnt1_i32_b64 s80, s[42:43]
	s_and_b64 s[42:43], s[22:23], s[44:45]
	v_cmp_ne_u32_e64 s[6:7], 0, v2
	v_cndmask_b32_e64 v2, 0, 1, s[42:43]
	s_bcnt1_i32_b64 s42, s[6:7]
	v_cmp_ne_u32_e64 s[6:7], 0, v2
	s_bcnt1_i32_b64 s6, s[6:7]
	s_add_u32 s3, s3, s8
	s_addc_u32 s7, 0, s9
	s_add_u32 s3, s3, s80
	s_addc_u32 s7, s7, 0
	s_add_u32 s3, s3, s42
	s_addc_u32 s7, s7, 0
	s_add_u32 s8, s3, s6
	s_addc_u32 s9, s7, 0
	s_and_b64 s[6:7], s[10:11], s[28:29]
	v_cndmask_b32_e64 v4, 0, 1, s[6:7]
	s_and_b64 s[6:7], s[12:13], s[34:35]
	v_cmp_eq_u32_e64 s[46:47], 1, v3
	v_cndmask_b32_e64 v5, 0, 1, s[6:7]
	s_and_b64 s[6:7], s[18:19], s[38:39]
	v_cndmask_b32_e64 v6, 0, 1, s[6:7]
	s_and_b64 s[6:7], s[22:23], s[46:47]
	v_cndmask_b32_e64 v7, 0, 1, s[6:7]
	v_cmp_ne_u32_e64 s[6:7], 0, v4
	v_cmp_ne_u32_e64 s[28:29], 0, v5
	v_cmp_ne_u32_e64 s[34:35], 0, v6
	v_cmp_ne_u32_e64 s[38:39], 0, v7
	s_bcnt1_i32_b64 s3, s[6:7]
	s_bcnt1_i32_b64 s6, s[28:29]
	s_bcnt1_i32_b64 s7, s[34:35]
	s_bcnt1_i32_b64 s28, s[38:39]
	s_add_u32 s3, s3, s94
	s_addc_u32 s29, 0, s95
	s_add_u32 s3, s3, s6
	s_addc_u32 s6, s29, 0
	s_add_u32 s3, s3, s7
	s_addc_u32 s6, s6, 0
	s_add_u32 s94, s3, s28
	s_addc_u32 s95, s6, 0
	s_and_b64 s[6:7], s[10:11], s[30:31]
	v_cndmask_b32_e64 v6, 0, 1, s[6:7]
	s_and_b64 s[6:7], s[12:13], s[36:37]
	v_cmp_eq_u32_e64 s[48:49], 2, v3
	v_cndmask_b32_e64 v7, 0, 1, s[6:7]
	s_and_b64 s[6:7], s[18:19], s[40:41]
	v_cndmask_b32_e64 v8, 0, 1, s[6:7]
	s_and_b64 s[6:7], s[22:23], s[48:49]
	v_cndmask_b32_e64 v9, 0, 1, s[6:7]
	v_cmp_ne_u32_e64 s[6:7], 0, v6
	v_cmp_ne_u32_e64 s[28:29], 0, v7
	v_cmp_ne_u32_e64 s[30:31], 0, v8
	v_cmp_ne_u32_e64 s[34:35], 0, v9
	s_bcnt1_i32_b64 s3, s[6:7]
	s_bcnt1_i32_b64 s6, s[28:29]
	s_bcnt1_i32_b64 s7, s[30:31]
	s_bcnt1_i32_b64 s28, s[34:35]
	s_add_u32 s3, s3, s92
	s_addc_u32 s29, 0, s93
	s_add_u32 s3, s3, s6
	s_addc_u32 s6, s29, 0
	s_add_u32 s3, s3, s7
	s_addc_u32 s6, s6, 0
	s_add_u32 s92, s3, s28
	s_addc_u32 s93, s6, 0
	s_and_b64 s[6:7], s[10:11], s[14:15]
	v_cndmask_b32_e64 v8, 0, 1, s[6:7]
	s_and_b64 s[6:7], s[12:13], s[16:17]
	v_cmp_eq_u32_e64 s[24:25], 3, v3
	v_cndmask_b32_e64 v9, 0, 1, s[6:7]
	s_and_b64 s[6:7], s[18:19], s[20:21]
	v_cndmask_b32_e64 v10, 0, 1, s[6:7]
	s_and_b64 s[6:7], s[22:23], s[24:25]
	v_cndmask_b32_e64 v31, 0, 1, s[6:7]
	v_cmp_ne_u32_e64 s[6:7], 0, v8
	v_cmp_ne_u32_e64 s[10:11], 0, v9
	v_cmp_ne_u32_e64 s[12:13], 0, v10
	v_cmp_ne_u32_e64 s[14:15], 0, v31
	s_bcnt1_i32_b64 s3, s[6:7]
	s_bcnt1_i32_b64 s6, s[10:11]
	s_bcnt1_i32_b64 s7, s[12:13]
	s_bcnt1_i32_b64 s10, s[14:15]
	s_add_u32 s3, s3, s56
	s_addc_u32 s11, 0, s57
	s_add_u32 s3, s3, s6
	s_addc_u32 s6, s11, 0
	;; [unrolled: 2-line block ×4, first 2 shown]
	v_pk_mov_b32 v[2:3], s[8:9], s[8:9] op_sel:[0,1]
	v_pk_mov_b32 v[4:5], s[94:95], s[94:95] op_sel:[0,1]
	;; [unrolled: 1-line block ×3, first 2 shown]
	s_or_b64 s[74:75], vcc, s[74:75]
	v_pk_mov_b32 v[8:9], s[56:57], s[56:57] op_sel:[0,1]
	s_andn2_b64 exec, exec, s[74:75]
	s_cbranch_execnz .LBB85_49
; %bb.50:                               ;   in Loop: Header=BB85_16 Depth=1
	s_or_b64 exec, exec, s[74:75]
.LBB85_51:                              ;   in Loop: Header=BB85_16 Depth=1
	s_or_b64 exec, exec, s[50:51]
	v_add_co_u32_e32 v20, vcc, v20, v0
	v_addc_co_u32_e32 v21, vcc, 0, v21, vcc
	v_cmp_gt_u64_e32 vcc, s[52:53], v[20:21]
	v_mov_b32_e32 v10, 0
	s_and_saveexec_b64 s[2:3], vcc
	s_cbranch_execz .LBB85_53
; %bb.52:                               ;   in Loop: Header=BB85_16 Depth=1
	v_pk_mov_b32 v[22:23], s[78:79], s[78:79] op_sel:[0,1]
	v_mad_u64_u32 v[22:23], s[6:7], v20, s68, v[22:23]
	v_mul_lo_u32 v10, v20, s69
	v_mul_lo_u32 v31, v21, s68
	v_add3_u32 v23, v31, v23, v10
	global_load_ubyte v10, v[22:23], off
.LBB85_53:                              ;   in Loop: Header=BB85_16 Depth=1
	s_or_b64 exec, exec, s[2:3]
	s_and_saveexec_b64 s[2:3], vcc
	s_cbranch_execz .LBB85_60
; %bb.54:                               ;   in Loop: Header=BB85_16 Depth=1
	s_and_b32 s12, s86, 0xfe
	s_mov_b64 s[8:9], 0
	s_branch .LBB85_56
.LBB85_55:                              ;   in Loop: Header=BB85_56 Depth=2
	s_or_b64 exec, exec, s[10:11]
	s_waitcnt vmcnt(0)
	v_add_u32_sdwa v10, sext(v10), s1 dst_sel:DWORD dst_unused:UNUSED_PAD src0_sel:BYTE_0 src1_sel:DWORD
	s_and_b64 s[6:7], exec, vcc
	v_and_b32_e32 v23, s26, v10
	v_bfe_u32 v10, v10, s12, 2
	s_or_b64 s[8:9], s[6:7], s[8:9]
	v_cmp_eq_u32_e32 vcc, s27, v23
	v_cmp_eq_u32_e64 s[6:7], 0, v10
	s_and_b64 s[6:7], vcc, s[6:7]
	v_cndmask_b32_e64 v23, 0, 1, s[6:7]
	v_cmp_ne_u32_e64 s[6:7], 0, v23
	s_bcnt1_i32_b64 s6, s[6:7]
	v_add_co_u32_e64 v2, s[6:7], s6, v2
	v_addc_co_u32_e64 v3, s[6:7], 0, v3, s[6:7]
	v_cmp_eq_u32_e64 s[6:7], 1, v10
	s_and_b64 s[6:7], vcc, s[6:7]
	v_cndmask_b32_e64 v23, 0, 1, s[6:7]
	v_cmp_ne_u32_e64 s[6:7], 0, v23
	s_bcnt1_i32_b64 s6, s[6:7]
	v_add_co_u32_e64 v4, s[6:7], s6, v4
	v_addc_co_u32_e64 v5, s[6:7], 0, v5, s[6:7]
	v_cmp_eq_u32_e64 s[6:7], 2, v10
	s_and_b64 s[6:7], vcc, s[6:7]
	v_cndmask_b32_e64 v23, 0, 1, s[6:7]
	v_cmp_ne_u32_e64 s[6:7], 0, v23
	s_bcnt1_i32_b64 s6, s[6:7]
	v_add_co_u32_e64 v6, s[6:7], s6, v6
	v_addc_co_u32_e64 v7, s[6:7], 0, v7, s[6:7]
	v_cmp_eq_u32_e64 s[6:7], 3, v10
	s_and_b64 s[6:7], vcc, s[6:7]
	v_cndmask_b32_e64 v10, 0, 1, s[6:7]
	v_cmp_ne_u32_e32 vcc, 0, v10
	s_bcnt1_i32_b64 s6, vcc
	v_add_co_u32_e32 v8, vcc, s6, v8
	v_addc_co_u32_e32 v9, vcc, 0, v9, vcc
	v_mov_b32_e32 v10, v22
	s_andn2_b64 exec, exec, s[8:9]
	s_cbranch_execz .LBB85_59
.LBB85_56:                              ;   Parent Loop BB85_16 Depth=1
                                        ; =>  This Inner Loop Header: Depth=2
	v_add_co_u32_sdwa v20, vcc, v20, v30 dst_sel:DWORD dst_unused:UNUSED_PAD src0_sel:DWORD src1_sel:WORD_0
	v_addc_co_u32_e32 v21, vcc, 0, v21, vcc
	v_cmp_gt_u64_e64 s[6:7], s[52:53], v[20:21]
	v_cmp_le_u64_e32 vcc, s[52:53], v[20:21]
	v_mov_b32_e32 v22, 0
	s_and_saveexec_b64 s[10:11], s[6:7]
	s_cbranch_execz .LBB85_55
; %bb.57:                               ;   in Loop: Header=BB85_56 Depth=2
	v_pk_mov_b32 v[22:23], s[78:79], s[78:79] op_sel:[0,1]
	v_mad_u64_u32 v[22:23], s[6:7], v20, s68, v[22:23]
	v_mul_lo_u32 v31, v20, s69
	v_mul_lo_u32 v32, v21, s68
	v_add3_u32 v23, v32, v23, v31
	global_load_ubyte v22, v[22:23], off
	s_branch .LBB85_55
.LBB85_58:                              ;   in Loop: Header=BB85_16 Depth=1
                                        ; implicit-def: $vgpr8_vgpr9
                                        ; implicit-def: $vgpr4_vgpr5
	s_cbranch_execnz .LBB85_61
	s_branch .LBB85_70
.LBB85_59:                              ;   in Loop: Header=BB85_16 Depth=1
	s_or_b64 exec, exec, s[8:9]
.LBB85_60:                              ;   in Loop: Header=BB85_16 Depth=1
	s_or_b64 exec, exec, s[2:3]
	s_branch .LBB85_70
.LBB85_61:                              ;   in Loop: Header=BB85_16 Depth=1
	global_load_ushort v10, v11, s[90:91]
	s_mov_b64 s[56:57], 0
	s_waitcnt vmcnt(0)
	v_readfirstlane_b32 s2, v10
	s_and_b32 s2, 0xffff, s2
	s_lshl_b32 s71, s2, 2
	v_cvt_f32_u32_e32 v2, s71
	s_sub_i32 s2, 0, s71
	v_rcp_iflag_f32_e32 v4, v2
	v_pk_mov_b32 v[2:3], 0, 0
	v_pk_mov_b32 v[6:7], v[2:3], v[2:3] op_sel:[0,1]
	v_mul_f32_e32 v4, 0x4f7ffffe, v4
	v_cvt_u32_f32_e32 v8, v4
	v_pk_mov_b32 v[4:5], v[2:3], v[2:3] op_sel:[0,1]
	v_readfirstlane_b32 s3, v8
	s_mul_i32 s2, s2, s3
	s_mul_hi_u32 s2, s3, s2
	s_add_i32 s3, s3, s2
	s_mul_hi_u32 s2, s70, s3
	s_mul_i32 s2, s2, s71
	s_sub_i32 s2, s70, s2
	s_sub_i32 s3, s2, s71
	s_cmp_ge_u32 s2, s71
	s_cselect_b32 s2, s3, s2
	s_sub_i32 s3, s2, s71
	s_cmp_ge_u32 s2, s71
	s_cselect_b32 s2, s3, s2
	s_sub_i32 s80, s70, s2
	v_cmp_gt_u32_e32 vcc, s80, v16
	v_pk_mov_b32 v[8:9], v[2:3], v[2:3] op_sel:[0,1]
	s_and_saveexec_b64 s[8:9], vcc
	s_cbranch_execz .LBB85_65
; %bb.62:                               ;   in Loop: Header=BB85_16 Depth=1
	s_and_b32 s88, s86, 0xfe
	v_mov_b32_e32 v22, v16
	s_mov_b64 s[74:75], 0
	s_mov_b64 s[92:93], 0
	s_mov_b64 s[94:95], 0
	s_mov_b64 s[2:3], 0
	v_pk_mov_b32 v[20:21], v[16:17], v[16:17] op_sel:[0,1]
.LBB85_63:                              ;   Parent Loop BB85_16 Depth=1
                                        ; =>  This Inner Loop Header: Depth=2
	ds_read_b32 v2, v22
	v_add_co_u32_e32 v20, vcc, s71, v20
	v_addc_co_u32_e32 v21, vcc, 0, v21, vcc
	s_waitcnt lgkmcnt(0)
	v_add_u32_sdwa v3, sext(v2), s1 dst_sel:DWORD dst_unused:UNUSED_PAD src0_sel:BYTE_0 src1_sel:DWORD
	v_add_u32_sdwa v4, sext(v2), s1 dst_sel:DWORD dst_unused:UNUSED_PAD src0_sel:BYTE_1 src1_sel:DWORD
	v_and_b32_e32 v6, s26, v3
	v_bfe_u32 v3, v3, s88, 2
	v_add_u32_sdwa v5, sext(v2), s1 dst_sel:DWORD dst_unused:UNUSED_PAD src0_sel:BYTE_2 src1_sel:DWORD
	v_add_u32_sdwa v2, sext(v2), s1 dst_sel:DWORD dst_unused:UNUSED_PAD src0_sel:BYTE_3 src1_sel:DWORD
	v_and_b32_e32 v7, s26, v4
	v_bfe_u32 v4, v4, s88, 2
	v_cmp_eq_u32_e64 s[16:17], s27, v6
	v_cmp_eq_u32_e64 s[6:7], 0, v3
	v_and_b32_e32 v8, s26, v5
	v_and_b32_e32 v9, s26, v2
	v_bfe_u32 v5, v5, s88, 2
	v_bfe_u32 v2, v2, s88, 2
	v_cmp_eq_u32_e64 s[14:15], s27, v7
	v_cmp_eq_u32_e64 s[28:29], 0, v4
	s_and_b64 s[6:7], s[16:17], s[6:7]
	v_cmp_eq_u32_e64 s[12:13], s27, v8
	v_cmp_eq_u32_e64 s[30:31], 0, v5
	v_cmp_eq_u32_e64 s[34:35], 0, v2
	v_cmp_eq_u32_e64 s[42:43], 1, v2
	v_cmp_eq_u32_e64 s[50:51], 2, v2
	v_cmp_eq_u32_e64 s[18:19], 3, v2
	v_cndmask_b32_e64 v2, 0, 1, s[6:7]
	s_and_b64 s[6:7], s[14:15], s[28:29]
	v_cmp_eq_u32_e64 s[10:11], s27, v9
	v_cmp_eq_u32_e64 s[36:37], 1, v3
	;; [unrolled: 1-line block ×4, first 2 shown]
	v_cndmask_b32_e64 v3, 0, 1, s[6:7]
	s_and_b64 s[6:7], s[12:13], s[30:31]
	v_cmp_eq_u32_e64 s[38:39], 1, v4
	v_cmp_eq_u32_e64 s[46:47], 2, v4
	;; [unrolled: 1-line block ×3, first 2 shown]
	v_cndmask_b32_e64 v4, 0, 1, s[6:7]
	s_and_b64 s[6:7], s[10:11], s[34:35]
	v_cmp_eq_u32_e64 s[40:41], 1, v5
	v_cmp_eq_u32_e64 s[48:49], 2, v5
	;; [unrolled: 1-line block ×3, first 2 shown]
	v_cndmask_b32_e64 v5, 0, 1, s[6:7]
	v_cmp_ne_u32_e64 s[6:7], 0, v2
	v_cmp_ne_u32_e64 s[28:29], 0, v3
	v_cmp_ne_u32_e64 s[30:31], 0, v4
	v_cmp_ne_u32_e64 s[34:35], 0, v5
	s_bcnt1_i32_b64 s6, s[6:7]
	s_bcnt1_i32_b64 s7, s[28:29]
	s_bcnt1_i32_b64 s28, s[30:31]
	s_bcnt1_i32_b64 s29, s[34:35]
	s_add_u32 s2, s6, s2
	s_addc_u32 s3, 0, s3
	s_add_u32 s2, s2, s7
	s_addc_u32 s3, s3, 0
	s_add_u32 s2, s2, s28
	s_addc_u32 s3, s3, 0
	s_add_u32 s2, s2, s29
	s_addc_u32 s3, s3, 0
	s_and_b64 s[6:7], s[16:17], s[36:37]
	v_cndmask_b32_e64 v4, 0, 1, s[6:7]
	s_and_b64 s[6:7], s[14:15], s[38:39]
	v_cndmask_b32_e64 v5, 0, 1, s[6:7]
	s_and_b64 s[6:7], s[12:13], s[40:41]
	v_cndmask_b32_e64 v6, 0, 1, s[6:7]
	s_and_b64 s[6:7], s[10:11], s[42:43]
	v_cndmask_b32_e64 v7, 0, 1, s[6:7]
	v_cmp_ne_u32_e64 s[6:7], 0, v4
	v_cmp_ne_u32_e64 s[28:29], 0, v5
	v_cmp_ne_u32_e64 s[30:31], 0, v6
	v_cmp_ne_u32_e64 s[34:35], 0, v7
	s_bcnt1_i32_b64 s6, s[6:7]
	s_bcnt1_i32_b64 s7, s[28:29]
	s_bcnt1_i32_b64 s28, s[30:31]
	s_bcnt1_i32_b64 s29, s[34:35]
	s_add_u32 s6, s6, s94
	s_addc_u32 s30, 0, s95
	s_add_u32 s6, s6, s7
	s_addc_u32 s7, s30, 0
	s_add_u32 s6, s6, s28
	s_addc_u32 s7, s7, 0
	s_add_u32 s94, s6, s29
	s_addc_u32 s95, s7, 0
	s_and_b64 s[6:7], s[16:17], s[44:45]
	v_cndmask_b32_e64 v6, 0, 1, s[6:7]
	s_and_b64 s[6:7], s[14:15], s[46:47]
	v_cndmask_b32_e64 v7, 0, 1, s[6:7]
	s_and_b64 s[6:7], s[12:13], s[48:49]
	v_cndmask_b32_e64 v8, 0, 1, s[6:7]
	s_and_b64 s[6:7], s[10:11], s[50:51]
	;; [unrolled: 24-line block ×3, first 2 shown]
	v_cndmask_b32_e64 v30, 0, 1, s[6:7]
	v_cmp_ne_u32_e64 s[6:7], 0, v8
	v_cmp_ne_u32_e64 s[10:11], 0, v9
	;; [unrolled: 1-line block ×4, first 2 shown]
	s_bcnt1_i32_b64 s6, s[6:7]
	s_bcnt1_i32_b64 s7, s[10:11]
	;; [unrolled: 1-line block ×4, first 2 shown]
	s_add_u32 s6, s6, s74
	s_addc_u32 s12, 0, s75
	s_add_u32 s6, s6, s7
	s_addc_u32 s7, s12, 0
	;; [unrolled: 2-line block ×3, first 2 shown]
	s_add_u32 s74, s6, s11
	v_cmp_le_u64_e32 vcc, s[80:81], v[20:21]
	s_addc_u32 s75, s7, 0
	v_add_u32_e32 v22, s71, v22
	v_pk_mov_b32 v[2:3], s[2:3], s[2:3] op_sel:[0,1]
	v_pk_mov_b32 v[4:5], s[94:95], s[94:95] op_sel:[0,1]
	;; [unrolled: 1-line block ×3, first 2 shown]
	s_or_b64 s[56:57], vcc, s[56:57]
	v_pk_mov_b32 v[8:9], s[74:75], s[74:75] op_sel:[0,1]
	s_andn2_b64 exec, exec, s[56:57]
	s_cbranch_execnz .LBB85_63
; %bb.64:                               ;   in Loop: Header=BB85_16 Depth=1
	s_or_b64 exec, exec, s[56:57]
.LBB85_65:                              ;   in Loop: Header=BB85_16 Depth=1
	s_or_b64 exec, exec, s[8:9]
	v_and_b32_e32 v22, 0xffff, v10
	v_add_u32_e32 v10, s80, v0
	v_cmp_gt_u32_e32 vcc, s70, v10
	s_and_saveexec_b64 s[2:3], vcc
	s_cbranch_execz .LBB85_69
; %bb.66:                               ;   in Loop: Header=BB85_16 Depth=1
	s_and_b32 s8, s70, 0x7fffffff
	s_mov_b32 s9, s81
	s_and_b32 s20, s86, 0xfe
	v_add_u32_e32 v23, s80, v0
	s_mov_b64 s[18:19], 0
	v_pk_mov_b32 v[20:21], v[10:11], v[10:11] op_sel:[0,1]
.LBB85_67:                              ;   Parent Loop BB85_16 Depth=1
                                        ; =>  This Inner Loop Header: Depth=2
	ds_read_i8 v10, v23
	v_add_co_u32_e32 v20, vcc, v20, v22
	v_addc_co_u32_e32 v21, vcc, 0, v21, vcc
	s_waitcnt lgkmcnt(0)
	v_add_u32_e32 v10, 0x80, v10
	v_and_b32_e32 v30, s26, v10
	v_bfe_u32 v10, v10, s20, 2
	v_cmp_eq_u32_e64 s[6:7], s27, v30
	v_cmp_eq_u32_e64 s[10:11], 0, v10
	;; [unrolled: 1-line block ×3, first 2 shown]
	s_and_b64 s[10:11], s[6:7], s[10:11]
	v_cmp_eq_u32_e64 s[14:15], 2, v10
	v_cmp_eq_u32_e64 s[16:17], 3, v10
	v_cndmask_b32_e64 v10, 0, 1, s[10:11]
	s_and_b64 s[10:11], s[6:7], s[12:13]
	v_cndmask_b32_e64 v30, 0, 1, s[10:11]
	s_and_b64 s[10:11], s[6:7], s[14:15]
	s_and_b64 s[6:7], s[6:7], s[16:17]
	v_cndmask_b32_e64 v32, 0, 1, s[6:7]
	v_cmp_ne_u32_e64 s[6:7], 0, v10
	s_bcnt1_i32_b64 s6, s[6:7]
	v_cndmask_b32_e64 v31, 0, 1, s[10:11]
	v_cmp_ne_u32_e64 s[10:11], 0, v30
	v_add_co_u32_e64 v2, s[6:7], s6, v2
	s_bcnt1_i32_b64 s10, s[10:11]
	v_addc_co_u32_e64 v3, s[6:7], 0, v3, s[6:7]
	v_cmp_ne_u32_e64 s[12:13], 0, v31
	v_cmp_ne_u32_e64 s[14:15], 0, v32
	v_add_co_u32_e64 v4, s[6:7], s10, v4
	v_cmp_le_u64_e32 vcc, s[8:9], v[20:21]
	s_bcnt1_i32_b64 s11, s[12:13]
	s_bcnt1_i32_b64 s12, s[14:15]
	v_addc_co_u32_e64 v5, s[6:7], 0, v5, s[6:7]
	v_add_co_u32_e64 v6, s[6:7], s11, v6
	s_or_b64 s[18:19], vcc, s[18:19]
	v_add_co_u32_e32 v8, vcc, s12, v8
	v_add_u32_e32 v23, v23, v22
	v_addc_co_u32_e64 v7, s[6:7], 0, v7, s[6:7]
	v_addc_co_u32_e32 v9, vcc, 0, v9, vcc
	s_andn2_b64 exec, exec, s[18:19]
	s_cbranch_execnz .LBB85_67
; %bb.68:                               ;   in Loop: Header=BB85_16 Depth=1
	s_or_b64 exec, exec, s[18:19]
.LBB85_69:                              ;   in Loop: Header=BB85_16 Depth=1
	s_or_b64 exec, exec, s[2:3]
.LBB85_70:                              ;   in Loop: Header=BB85_16 Depth=1
	s_lshl_b32 s6, s87, 6
	s_and_saveexec_b64 s[2:3], s[4:5]
	s_cbranch_execz .LBB85_72
; %bb.71:                               ;   in Loop: Header=BB85_16 Depth=1
	s_waitcnt vmcnt(0)
	v_or_b32_e32 v10, s6, v25
	v_lshlrev_b32_e32 v10, 3, v10
	ds_write_b128 v10, v[2:5] offset:3072
	ds_write_b128 v10, v[6:9] offset:3088
.LBB85_72:                              ;   in Loop: Header=BB85_16 Depth=1
	s_or_b64 exec, exec, s[2:3]
	s_waitcnt lgkmcnt(0)
	s_barrier
	s_and_saveexec_b64 s[2:3], s[82:83]
	s_cbranch_execz .LBB85_84
; %bb.73:                               ;   in Loop: Header=BB85_16 Depth=1
	v_readlane_b32 s8, v38, 30
	v_readlane_b32 s9, v38, 31
	s_andn2_b64 vcc, exec, s[8:9]
	v_pk_mov_b32 v[2:3], 0, 0
	s_cbranch_vccnz .LBB85_83
; %bb.74:                               ;   in Loop: Header=BB85_16 Depth=1
	v_readlane_b32 s8, v38, 34
	v_readlane_b32 s9, v38, 35
	s_andn2_b64 vcc, exec, s[8:9]
	s_cbranch_vccnz .LBB85_79
; %bb.75:                               ;   in Loop: Header=BB85_16 Depth=1
	s_waitcnt vmcnt(0)
	v_lshl_add_u32 v4, s87, 9, v27
	s_mov_b32 s7, 0
	v_pk_mov_b32 v[2:3], 0, 0
.LBB85_76:                              ;   Parent Loop BB85_16 Depth=1
                                        ; =>  This Inner Loop Header: Depth=2
	ds_read2_b64 v[6:9], v4 offset1:4
	ds_read2_b64 v[20:23], v4 offset0:8 offset1:12
	ds_read2_b64 v[30:33], v4 offset0:16 offset1:20
	;; [unrolled: 1-line block ×3, first 2 shown]
	s_add_i32 s7, s7, 8
	s_waitcnt lgkmcnt(3)
	v_add_co_u32_e32 v2, vcc, v6, v2
	v_addc_co_u32_e32 v3, vcc, v7, v3, vcc
	v_add_co_u32_e32 v2, vcc, v8, v2
	v_addc_co_u32_e32 v3, vcc, v9, v3, vcc
	s_waitcnt lgkmcnt(2)
	v_add_co_u32_e32 v2, vcc, v20, v2
	v_addc_co_u32_e32 v3, vcc, v21, v3, vcc
	v_add_co_u32_e32 v2, vcc, v22, v2
	v_addc_co_u32_e32 v3, vcc, v23, v3, vcc
	;; [unrolled: 5-line block ×3, first 2 shown]
	s_waitcnt lgkmcnt(0)
	v_add_co_u32_e32 v2, vcc, v34, v2
	v_addc_co_u32_e32 v3, vcc, v35, v3, vcc
	v_add_co_u32_e32 v2, vcc, v36, v2
	v_add_u32_e32 v4, 0x100, v4
	s_cmp_eq_u32 s0, s7
	v_addc_co_u32_e32 v3, vcc, v37, v3, vcc
	s_cbranch_scc0 .LBB85_76
; %bb.77:                               ;   in Loop: Header=BB85_16 Depth=1
	s_mov_b32 s7, s0
	s_branch .LBB85_80
.LBB85_78:                              ;   in Loop: Header=BB85_16 Depth=1
                                        ; implicit-def: $vgpr2_vgpr3
	s_branch .LBB85_46
.LBB85_79:                              ;   in Loop: Header=BB85_16 Depth=1
	s_mov_b32 s7, 0
	v_pk_mov_b32 v[2:3], 0, 0
.LBB85_80:                              ;   in Loop: Header=BB85_16 Depth=1
	v_readlane_b32 s8, v38, 37
	v_readlane_b32 s9, v38, 38
	s_andn2_b64 vcc, exec, s[8:9]
	s_cbranch_vccnz .LBB85_83
; %bb.81:                               ;   in Loop: Header=BB85_16 Depth=1
	s_lshl_b32 s8, s87, 9
	s_lshl_b32 s7, s7, 5
	s_add_i32 s8, s8, s7
	s_waitcnt vmcnt(0)
	v_add_u32_e32 v4, s8, v27
	v_readlane_b32 s7, v38, 36
.LBB85_82:                              ;   Parent Loop BB85_16 Depth=1
                                        ; =>  This Inner Loop Header: Depth=2
	ds_read_b64 v[6:7], v4
	s_add_i32 s7, s7, -1
	v_add_u32_e32 v4, 32, v4
	s_cmp_lg_u32 s7, 0
	s_waitcnt lgkmcnt(0)
	v_add_co_u32_e32 v2, vcc, v6, v2
	v_addc_co_u32_e32 v3, vcc, v7, v3, vcc
	s_cbranch_scc1 .LBB85_82
.LBB85_83:                              ;   in Loop: Header=BB85_16 Depth=1
	s_waitcnt vmcnt(0)
	v_add_lshl_u32 v4, s6, v24, 3
	ds_write_b64 v4, v[2:3] offset:3072
.LBB85_84:                              ;   in Loop: Header=BB85_16 Depth=1
	s_or_b64 exec, exec, s[2:3]
	s_lshl_b32 s2, s6, 3
	v_mov_b32_e32 v6, s2
	s_waitcnt lgkmcnt(0)
	s_barrier
	s_waitcnt vmcnt(0)
	ds_read_b128 v[2:5], v6 offset:3072
	ds_read_b128 v[6:9], v6 offset:3088
	s_and_b32 s38, s86, 0xfe
	s_lshl_b32 s46, 3, s38
	s_not_b32 s39, s46
	s_waitcnt lgkmcnt(1)
	v_readfirstlane_b32 s13, v3
	v_readfirstlane_b32 s12, v2
	s_cmp_eq_u64 s[12:13], 1
	s_cselect_b64 s[2:3], -1, 0
	s_cmp_eq_u64 s[84:85], 1
	s_cselect_b64 s[8:9], -1, 0
	s_and_b64 s[18:19], s[2:3], s[8:9]
	v_readfirstlane_b32 s24, v4
	v_readfirstlane_b32 s25, v5
	s_waitcnt lgkmcnt(0)
	v_readfirstlane_b32 s14, v6
	v_readfirstlane_b32 s15, v7
	;; [unrolled: 1-line block ×4, first 2 shown]
	s_mov_b64 s[16:17], -1
	s_and_b64 vcc, exec, s[18:19]
	s_cbranch_vccz .LBB85_99
; %bb.85:                               ;   in Loop: Header=BB85_16 Depth=1
	ds_read_b64 v[2:3], v11 offset:5120
	s_waitcnt lgkmcnt(0)
	s_barrier
	v_readfirstlane_b32 s2, v2
	v_readfirstlane_b32 s3, v3
	s_mov_b64 s[8:9], exec
	v_readlane_b32 s10, v38, 26
	v_readlane_b32 s11, v38, 27
	s_and_b64 s[10:11], s[8:9], s[10:11]
	s_mov_b64 exec, s[10:11]
	s_cbranch_execz .LBB85_87
; %bb.86:                               ;   in Loop: Header=BB85_16 Depth=1
	ds_write_b8 v0, v1 offset:3072
.LBB85_87:                              ;   in Loop: Header=BB85_16 Depth=1
	s_or_b64 exec, exec, s[8:9]
	s_and_b32 s27, s27, s39
	s_or_b32 s26, s26, s46
	s_cmp_eq_u64 s[2:3], 0
	s_waitcnt lgkmcnt(0)
	s_barrier
	s_cbranch_scc1 .LBB85_100
; %bb.88:                               ;   in Loop: Header=BB85_16 Depth=1
	v_readlane_b32 s8, v38, 32
	s_add_u32 s20, s8, s2
	v_readlane_b32 s8, v38, 33
	s_addc_u32 s9, s8, s3
	s_mov_b32 s8, s81
	s_cmp_lg_u64 s[8:9], 0
	s_cbranch_scc0 .LBB85_145
; %bb.89:                               ;   in Loop: Header=BB85_16 Depth=1
	v_cvt_f32_u32_e32 v2, s33
	s_sub_u32 s8, 0, s33
	s_subb_u32 s10, 0, 0
	v_mac_f32_e32 v2, 0, v28
	v_rcp_f32_e32 v2, v2
	v_mul_f32_e32 v2, 0x5f7ffffc, v2
	v_mul_f32_e32 v3, 0x2f800000, v2
	v_trunc_f32_e32 v3, v3
	v_mac_f32_e32 v2, 0xcf800000, v3
	v_cvt_u32_f32_e32 v3, v3
	v_cvt_u32_f32_e32 v2, v2
	v_readfirstlane_b32 s11, v3
	v_readfirstlane_b32 s21, v2
	s_mul_i32 s22, s8, s11
	s_mul_hi_u32 s28, s8, s21
	s_mul_i32 s23, s10, s21
	s_add_i32 s22, s28, s22
	s_mul_i32 s29, s8, s21
	s_add_i32 s22, s22, s23
	s_mul_hi_u32 s28, s21, s29
	s_mul_hi_u32 s23, s21, s22
	s_mul_i32 s21, s21, s22
	s_add_u32 s21, s28, s21
	s_addc_u32 s23, 0, s23
	s_mul_hi_u32 s30, s11, s29
	s_mul_i32 s29, s11, s29
	s_add_u32 s21, s21, s29
	s_mul_hi_u32 s28, s11, s22
	s_addc_u32 s21, s23, s30
	s_addc_u32 s23, s28, 0
	s_mul_i32 s22, s11, s22
	s_add_u32 s21, s21, s22
	s_addc_u32 s22, 0, s23
	v_add_co_u32_e32 v2, vcc, s21, v2
	s_cmp_lg_u64 vcc, 0
	s_addc_u32 s11, s11, s22
	v_readfirstlane_b32 s22, v2
	s_mul_i32 s21, s8, s11
	s_mul_hi_u32 s23, s8, s22
	s_add_i32 s21, s23, s21
	s_mul_i32 s10, s10, s22
	s_add_i32 s21, s21, s10
	s_mul_i32 s8, s8, s22
	s_mul_hi_u32 s23, s11, s8
	s_mul_i32 s28, s11, s8
	s_mul_i32 s30, s22, s21
	s_mul_hi_u32 s8, s22, s8
	s_mul_hi_u32 s29, s22, s21
	s_add_u32 s8, s8, s30
	s_addc_u32 s22, 0, s29
	s_add_u32 s8, s8, s28
	s_mul_hi_u32 s10, s11, s21
	s_addc_u32 s8, s22, s23
	s_addc_u32 s10, s10, 0
	s_mul_i32 s21, s11, s21
	s_add_u32 s8, s8, s21
	s_addc_u32 s10, 0, s10
	v_add_co_u32_e32 v2, vcc, s8, v2
	s_cmp_lg_u64 vcc, 0
	s_addc_u32 s8, s11, s10
	v_readfirstlane_b32 s21, v2
	s_mul_i32 s11, s20, s8
	s_mul_hi_u32 s22, s20, s21
	s_mul_hi_u32 s10, s20, s8
	s_add_u32 s11, s22, s11
	s_addc_u32 s10, 0, s10
	s_mul_hi_u32 s23, s9, s21
	s_mul_i32 s21, s9, s21
	s_add_u32 s11, s11, s21
	s_mul_hi_u32 s22, s9, s8
	s_addc_u32 s10, s10, s23
	s_addc_u32 s11, s22, 0
	s_mul_i32 s8, s9, s8
	s_add_u32 s8, s10, s8
	s_addc_u32 s10, 0, s11
	s_mul_hi_u32 s11, s33, s8
	s_mul_i32 s8, s33, s8
	s_mul_i32 s10, s33, s10
	v_mov_b32_e32 v2, s8
	s_add_i32 s11, s11, s10
	v_sub_co_u32_e32 v2, vcc, s20, v2
	s_cmp_lg_u64 vcc, 0
	s_subb_u32 s8, s9, s11
	v_subrev_co_u32_e32 v3, vcc, s33, v2
	s_cmp_lg_u64 vcc, 0
	s_subb_u32 s10, s8, 0
	v_subrev_co_u32_e32 v4, vcc, s33, v3
	s_cmp_lg_u64 vcc, 0
	s_subb_u32 s11, s10, 0
	v_cmp_le_u32_e32 vcc, s33, v3
	s_cmp_eq_u32 s10, 0
	v_cndmask_b32_e64 v5, 0, -1, vcc
	s_cselect_b64 vcc, -1, 0
	v_cndmask_b32_e32 v5, -1, v5, vcc
	v_mov_b32_e32 v6, s10
	v_mov_b32_e32 v7, s11
	v_cmp_ne_u32_e32 vcc, 0, v5
	v_cndmask_b32_e32 v5, v6, v7, vcc
	v_cndmask_b32_e32 v4, v3, v4, vcc
	v_cmp_le_u32_e32 vcc, s33, v2
	s_cmp_eq_u32 s8, 0
	v_cndmask_b32_e64 v3, 0, -1, vcc
	s_cselect_b64 vcc, -1, 0
	v_cndmask_b32_e32 v3, -1, v3, vcc
	v_mov_b32_e32 v6, s8
	v_cmp_ne_u32_e32 vcc, 0, v3
	v_cndmask_b32_e32 v3, v6, v5, vcc
	v_cndmask_b32_e32 v2, v2, v4, vcc
	s_cbranch_execnz .LBB85_91
.LBB85_90:                              ;   in Loop: Header=BB85_16 Depth=1
	v_cvt_f32_u32_e32 v2, s33
	s_sub_i32 s8, 0, s33
	v_rcp_iflag_f32_e32 v2, v2
	v_mul_f32_e32 v2, 0x4f7ffffe, v2
	v_cvt_u32_f32_e32 v2, v2
	v_mul_lo_u32 v3, s8, v2
	v_mul_hi_u32 v3, v2, v3
	v_add_u32_e32 v2, v2, v3
	v_mul_hi_u32 v2, s20, v2
	v_mul_lo_u32 v2, v2, s33
	v_sub_u32_e32 v2, s20, v2
	v_subrev_u32_e32 v3, s33, v2
	v_cmp_le_u32_e32 vcc, s33, v2
	v_cndmask_b32_e32 v2, v2, v3, vcc
	v_subrev_u32_e32 v3, s33, v2
	v_cmp_le_u32_e32 vcc, s33, v2
	v_cndmask_b32_e32 v10, v2, v3, vcc
	v_pk_mov_b32 v[2:3], v[10:11], v[10:11] op_sel:[0,1]
.LBB85_91:                              ;   in Loop: Header=BB85_16 Depth=1
	v_mov_b32_e32 v4, s9
	v_sub_co_u32_e32 v2, vcc, s20, v2
	v_subb_co_u32_e32 v3, vcc, v4, v3, vcc
	v_cmp_gt_u64_e32 vcc, v[2:3], v[0:1]
	s_mov_b64 s[8:9], 0
                                        ; implicit-def: $vgpr29
	s_and_saveexec_b64 s[10:11], vcc
	s_cbranch_execz .LBB85_102
; %bb.92:                               ;   in Loop: Header=BB85_16 Depth=1
	v_mov_b32_e32 v6, v0
	v_pk_mov_b32 v[4:5], v[0:1], v[0:1] op_sel:[0,1]
                                        ; implicit-def: $sgpr20_sgpr21
	s_branch .LBB85_94
.LBB85_93:                              ;   in Loop: Header=BB85_94 Depth=2
	s_or_b64 exec, exec, s[22:23]
	s_waitcnt lgkmcnt(0)
	s_barrier
	ds_read_u16 v7, v11 offset:3072
	v_mov_b32_e32 v8, s55
	v_add_co_u32_e32 v4, vcc, s33, v4
	v_addc_co_u32_e32 v5, vcc, v5, v8, vcc
	s_waitcnt lgkmcnt(0)
	v_cmp_ne_u16_sdwa s[22:23], v7, v1 src0_sel:BYTE_0 src1_sel:DWORD
	v_cmp_ge_u64_e32 vcc, v[4:5], v[2:3]
	s_or_b64 s[28:29], vcc, s[22:23]
	s_and_b64 s[28:29], exec, s[28:29]
	s_or_b64 s[8:9], s[28:29], s[8:9]
	s_andn2_b64 s[20:21], s[20:21], exec
	s_and_b64 s[22:23], s[22:23], exec
	v_add_u32_e32 v6, s33, v6
	s_or_b64 s[20:21], s[20:21], s[22:23]
	s_barrier
	s_andn2_b64 exec, exec, s[8:9]
	s_cbranch_execz .LBB85_101
.LBB85_94:                              ;   Parent Loop BB85_16 Depth=1
                                        ; =>  This Inner Loop Header: Depth=2
	v_cmp_gt_u64_e32 vcc, s[2:3], v[4:5]
	v_mov_b32_e32 v7, 0
	s_and_saveexec_b64 s[22:23], vcc
	s_cbranch_execz .LBB85_96
; %bb.95:                               ;   in Loop: Header=BB85_94 Depth=2
	ds_read_u8 v7, v6
.LBB85_96:                              ;   in Loop: Header=BB85_94 Depth=2
	s_or_b64 exec, exec, s[22:23]
	s_and_saveexec_b64 s[22:23], vcc
	s_cbranch_execz .LBB85_93
; %bb.97:                               ;   in Loop: Header=BB85_94 Depth=2
	s_waitcnt lgkmcnt(0)
	v_add_u32_sdwa v8, sext(v7), s1 dst_sel:DWORD dst_unused:UNUSED_PAD src0_sel:BYTE_0 src1_sel:DWORD
	v_and_b32_e32 v8, s26, v8
	v_cmp_eq_u32_e32 vcc, s27, v8
	s_and_b64 exec, exec, vcc
	s_cbranch_execz .LBB85_93
; %bb.98:                               ;   in Loop: Header=BB85_94 Depth=2
	v_lshlrev_b16_e32 v7, 8, v7
	v_or_b32_e32 v7, 1, v7
	ds_write_b16 v11, v7 offset:3072
	s_branch .LBB85_93
.LBB85_99:                              ;   in Loop: Header=BB85_16 Depth=1
	s_mov_b64 s[8:9], -1
                                        ; implicit-def: $sgpr2_sgpr3
                                        ; implicit-def: $sgpr20_sgpr21
                                        ; implicit-def: $sgpr10_sgpr11
	s_branch .LBB85_116
.LBB85_100:                             ;   in Loop: Header=BB85_16 Depth=1
	s_mov_b64 s[2:3], -1
	s_mov_b64 s[8:9], 0
                                        ; implicit-def: $sgpr10_sgpr11
                                        ; implicit-def: $vgpr29
	s_mov_b64 s[20:21], s[2:3]
	s_cbranch_execnz .LBB85_103
	s_branch .LBB85_116
.LBB85_101:                             ;   in Loop: Header=BB85_16 Depth=1
	s_or_b64 exec, exec, s[8:9]
	v_lshrrev_b16_e32 v29, 8, v7
	s_and_b64 s[8:9], s[20:21], exec
.LBB85_102:                             ;   in Loop: Header=BB85_16 Depth=1
	s_or_b64 exec, exec, s[10:11]
	s_mov_b64 s[10:11], -1
	s_mov_b64 s[2:3], 0
	s_mov_b64 s[20:21], s[2:3]
	s_branch .LBB85_116
.LBB85_103:                             ;   in Loop: Header=BB85_16 Depth=1
	s_mov_b32 s88, s81
	s_cmp_lg_u64 s[88:89], 0
	s_cbranch_scc0 .LBB85_149
; %bb.104:                              ;   in Loop: Header=BB85_16 Depth=1
	v_cvt_f32_u32_e32 v2, s33
	s_sub_u32 s2, 0, s33
	s_subb_u32 s3, 0, 0
	v_mac_f32_e32 v2, 0, v28
	v_rcp_f32_e32 v2, v2
	v_mul_f32_e32 v2, 0x5f7ffffc, v2
	v_mul_f32_e32 v3, 0x2f800000, v2
	v_trunc_f32_e32 v3, v3
	v_mac_f32_e32 v2, 0xcf800000, v3
	v_cvt_u32_f32_e32 v3, v3
	v_cvt_u32_f32_e32 v2, v2
	v_readfirstlane_b32 s8, v3
	v_readfirstlane_b32 s9, v2
	s_mul_i32 s10, s2, s8
	s_mul_hi_u32 s20, s2, s9
	s_mul_i32 s11, s3, s9
	s_add_i32 s10, s20, s10
	s_mul_i32 s21, s2, s9
	s_add_i32 s10, s10, s11
	s_mul_hi_u32 s20, s9, s21
	s_mul_hi_u32 s11, s9, s10
	s_mul_i32 s9, s9, s10
	s_add_u32 s9, s20, s9
	s_addc_u32 s11, 0, s11
	s_mul_hi_u32 s22, s8, s21
	s_mul_i32 s21, s8, s21
	s_add_u32 s9, s9, s21
	s_mul_hi_u32 s20, s8, s10
	s_addc_u32 s9, s11, s22
	s_addc_u32 s11, s20, 0
	s_mul_i32 s10, s8, s10
	s_add_u32 s9, s9, s10
	s_addc_u32 s10, 0, s11
	v_add_co_u32_e32 v2, vcc, s9, v2
	s_cmp_lg_u64 vcc, 0
	s_addc_u32 s8, s8, s10
	v_readfirstlane_b32 s10, v2
	s_mul_i32 s9, s2, s8
	s_mul_hi_u32 s11, s2, s10
	s_add_i32 s9, s11, s9
	s_mul_i32 s3, s3, s10
	s_add_i32 s9, s9, s3
	s_mul_i32 s2, s2, s10
	s_mul_hi_u32 s11, s8, s2
	s_mul_i32 s20, s8, s2
	s_mul_i32 s22, s10, s9
	s_mul_hi_u32 s2, s10, s2
	s_mul_hi_u32 s21, s10, s9
	s_add_u32 s2, s2, s22
	s_addc_u32 s10, 0, s21
	s_add_u32 s2, s2, s20
	s_mul_hi_u32 s3, s8, s9
	s_addc_u32 s2, s10, s11
	s_addc_u32 s3, s3, 0
	s_mul_i32 s9, s8, s9
	s_add_u32 s2, s2, s9
	s_addc_u32 s3, 0, s3
	v_add_co_u32_e32 v2, vcc, s2, v2
	s_cmp_lg_u64 vcc, 0
	s_addc_u32 s2, s8, s3
	v_readfirstlane_b32 s9, v2
	s_mul_i32 s8, s54, s2
	s_mul_hi_u32 s10, s54, s9
	s_mul_hi_u32 s3, s54, s2
	s_add_u32 s8, s10, s8
	s_addc_u32 s3, 0, s3
	s_mul_hi_u32 s11, s89, s9
	s_mul_i32 s9, s89, s9
	s_add_u32 s8, s8, s9
	s_mul_hi_u32 s10, s89, s2
	s_addc_u32 s3, s3, s11
	s_addc_u32 s8, s10, 0
	s_mul_i32 s2, s89, s2
	s_add_u32 s2, s3, s2
	s_addc_u32 s3, 0, s8
	s_mul_hi_u32 s8, s33, s2
	s_mul_i32 s2, s33, s2
	s_mul_i32 s3, s33, s3
	v_mov_b32_e32 v2, s2
	s_add_i32 s8, s8, s3
	v_sub_co_u32_e32 v2, vcc, s54, v2
	s_cmp_lg_u64 vcc, 0
	s_subb_u32 s2, s89, s8
	v_subrev_co_u32_e32 v3, vcc, s33, v2
	s_cmp_lg_u64 vcc, 0
	s_subb_u32 s3, s2, 0
	v_subrev_co_u32_e32 v4, vcc, s33, v3
	s_cmp_lg_u64 vcc, 0
	s_subb_u32 s8, s3, 0
	v_cmp_le_u32_e32 vcc, s33, v3
	s_cmp_eq_u32 s3, 0
	v_cndmask_b32_e64 v5, 0, -1, vcc
	s_cselect_b64 vcc, -1, 0
	v_cndmask_b32_e32 v5, -1, v5, vcc
	v_mov_b32_e32 v6, s3
	v_mov_b32_e32 v7, s8
	v_cmp_ne_u32_e32 vcc, 0, v5
	v_cndmask_b32_e32 v5, v6, v7, vcc
	v_cndmask_b32_e32 v4, v3, v4, vcc
	v_cmp_le_u32_e32 vcc, s33, v2
	s_cmp_eq_u32 s2, 0
	v_cndmask_b32_e64 v3, 0, -1, vcc
	s_cselect_b64 vcc, -1, 0
	v_cndmask_b32_e32 v3, -1, v3, vcc
	v_mov_b32_e32 v6, s2
	v_cmp_ne_u32_e32 vcc, 0, v3
	v_cndmask_b32_e32 v3, v6, v5, vcc
	v_cndmask_b32_e32 v2, v2, v4, vcc
	s_cbranch_execnz .LBB85_106
.LBB85_105:                             ;   in Loop: Header=BB85_16 Depth=1
	v_cvt_f32_u32_e32 v2, s33
	s_sub_i32 s2, 0, s33
	v_rcp_iflag_f32_e32 v2, v2
	v_mul_f32_e32 v2, 0x4f7ffffe, v2
	v_cvt_u32_f32_e32 v2, v2
	v_mul_lo_u32 v3, s2, v2
	v_mul_hi_u32 v3, v2, v3
	v_add_u32_e32 v2, v2, v3
	v_mul_hi_u32 v2, s54, v2
	v_mul_lo_u32 v2, v2, s33
	v_sub_u32_e32 v2, s54, v2
	v_subrev_u32_e32 v3, s33, v2
	v_cmp_le_u32_e32 vcc, s33, v2
	v_cndmask_b32_e32 v2, v2, v3, vcc
	v_subrev_u32_e32 v3, s33, v2
	v_cmp_le_u32_e32 vcc, s33, v2
	v_cndmask_b32_e32 v10, v2, v3, vcc
	v_pk_mov_b32 v[2:3], v[10:11], v[10:11] op_sel:[0,1]
.LBB85_106:                             ;   in Loop: Header=BB85_16 Depth=1
	v_mov_b32_e32 v4, s89
	v_sub_co_u32_e32 v2, vcc, s54, v2
	v_subb_co_u32_e32 v3, vcc, v4, v3, vcc
	v_cmp_gt_u64_e32 vcc, v[2:3], v[0:1]
	s_mov_b64 s[8:9], 0
                                        ; implicit-def: $vgpr29
	s_and_saveexec_b64 s[2:3], vcc
	s_cbranch_execz .LBB85_115
; %bb.107:                              ;   in Loop: Header=BB85_16 Depth=1
	v_pk_mov_b32 v[4:5], v[0:1], v[0:1] op_sel:[0,1]
                                        ; implicit-def: $sgpr10_sgpr11
	s_branch .LBB85_109
.LBB85_108:                             ;   in Loop: Header=BB85_109 Depth=2
	s_or_b64 exec, exec, s[20:21]
	s_waitcnt lgkmcnt(0)
	s_barrier
	s_waitcnt vmcnt(0)
	ds_read_u16 v6, v11 offset:3072
	v_mov_b32_e32 v7, s55
	v_add_co_u32_e32 v4, vcc, s33, v4
	v_addc_co_u32_e32 v5, vcc, v5, v7, vcc
	s_waitcnt lgkmcnt(0)
	v_cmp_ne_u16_sdwa s[20:21], v6, v1 src0_sel:BYTE_0 src1_sel:DWORD
	v_cmp_ge_u64_e32 vcc, v[4:5], v[2:3]
	s_or_b64 s[22:23], vcc, s[20:21]
	s_and_b64 s[22:23], exec, s[22:23]
	s_or_b64 s[8:9], s[22:23], s[8:9]
	s_andn2_b64 s[10:11], s[10:11], exec
	s_and_b64 s[20:21], s[20:21], exec
	s_or_b64 s[10:11], s[10:11], s[20:21]
	s_barrier
	s_andn2_b64 exec, exec, s[8:9]
	s_cbranch_execz .LBB85_114
.LBB85_109:                             ;   Parent Loop BB85_16 Depth=1
                                        ; =>  This Inner Loop Header: Depth=2
	v_cmp_gt_u64_e32 vcc, s[52:53], v[4:5]
	v_mov_b32_e32 v6, 0
	s_and_saveexec_b64 s[20:21], vcc
	s_cbranch_execz .LBB85_111
; %bb.110:                              ;   in Loop: Header=BB85_109 Depth=2
	v_pk_mov_b32 v[6:7], s[78:79], s[78:79] op_sel:[0,1]
	v_mad_u64_u32 v[6:7], s[22:23], v4, s68, v[6:7]
	v_mul_lo_u32 v8, v4, s69
	v_mul_lo_u32 v9, v5, s68
	v_add3_u32 v7, v9, v7, v8
	global_load_ubyte v6, v[6:7], off
.LBB85_111:                             ;   in Loop: Header=BB85_109 Depth=2
	s_or_b64 exec, exec, s[20:21]
	s_and_saveexec_b64 s[20:21], vcc
	s_cbranch_execz .LBB85_108
; %bb.112:                              ;   in Loop: Header=BB85_109 Depth=2
	s_waitcnt vmcnt(0)
	v_add_u32_sdwa v7, sext(v6), s1 dst_sel:DWORD dst_unused:UNUSED_PAD src0_sel:BYTE_0 src1_sel:DWORD
	v_and_b32_e32 v7, s26, v7
	v_cmp_eq_u32_e32 vcc, s27, v7
	s_and_b64 exec, exec, vcc
	s_cbranch_execz .LBB85_108
; %bb.113:                              ;   in Loop: Header=BB85_109 Depth=2
	v_lshlrev_b16_e32 v6, 8, v6
	v_or_b32_e32 v6, 1, v6
	ds_write_b16 v11, v6 offset:3072
	s_branch .LBB85_108
.LBB85_114:                             ;   in Loop: Header=BB85_16 Depth=1
	s_or_b64 exec, exec, s[8:9]
	v_lshrrev_b16_e32 v29, 8, v6
	s_and_b64 s[8:9], s[10:11], exec
.LBB85_115:                             ;   in Loop: Header=BB85_16 Depth=1
	s_or_b64 exec, exec, s[2:3]
	s_mov_b64 s[20:21], -1
	s_mov_b64 s[2:3], 0
	s_mov_b64 s[10:11], 0
.LBB85_116:                             ;   in Loop: Header=BB85_16 Depth=1
	s_andn2_b64 s[22:23], s[64:65], exec
	s_and_b64 s[2:3], s[2:3], exec
	s_or_b64 s[64:65], s[22:23], s[2:3]
	s_andn2_b64 s[2:3], s[66:67], exec
	s_and_b64 s[20:21], s[20:21], exec
	s_or_b64 s[66:67], s[2:3], s[20:21]
	;; [unrolled: 3-line block ×3, first 2 shown]
	s_and_saveexec_b64 s[10:11], s[8:9]
	s_cbranch_execz .LBB85_15
; %bb.117:                              ;   in Loop: Header=BB85_16 Depth=1
	s_xor_b64 s[2:3], s[18:19], -1
	s_andn2_b64 vcc, exec, s[2:3]
	s_mov_b32 s47, 1
	s_cbranch_vccnz .LBB85_128
; %bb.118:                              ;   in Loop: Header=BB85_16 Depth=1
	v_pk_mov_b32 v[2:3], s[12:13], s[12:13] op_sel:[0,1]
	v_cmp_gt_u64_e32 vcc, s[84:85], v[2:3]
	s_mov_b64 s[2:3], -1
                                        ; implicit-def: $sgpr47
                                        ; implicit-def: $sgpr8
                                        ; implicit-def: $sgpr9
	s_cbranch_vccnz .LBB85_124
; %bb.119:                              ;   in Loop: Header=BB85_16 Depth=1
	ds_read_b64 v[2:3], v11 offset:5120
	s_waitcnt lgkmcnt(0)
	v_cmp_ne_u64_e32 vcc, 0, v[2:3]
	s_cbranch_vccnz .LBB85_123
; %bb.120:                              ;   in Loop: Header=BB85_16 Depth=1
	s_mov_b64 s[2:3], exec
	v_readlane_b32 s8, v38, 8
	v_readlane_b32 s9, v38, 9
	s_and_b64 s[8:9], s[2:3], s[8:9]
	s_mov_b64 exec, s[8:9]
	s_cbranch_execz .LBB85_122
; %bb.121:                              ;   in Loop: Header=BB85_16 Depth=1
	v_pk_mov_b32 v[2:3], s[12:13], s[12:13] op_sel:[0,1]
	ds_write_b64 v11, v[2:3] offset:5128
.LBB85_122:                             ;   in Loop: Header=BB85_16 Depth=1
	s_or_b64 exec, exec, s[2:3]
	s_waitcnt lgkmcnt(0)
	s_barrier
.LBB85_123:                             ;   in Loop: Header=BB85_16 Depth=1
	s_and_b32 s8, s27, s39
	s_or_b32 s9, s26, s46
	s_mov_b64 s[2:3], 0
	s_mov_b32 s47, 8
.LBB85_124:                             ;   in Loop: Header=BB85_16 Depth=1
	s_andn2_b64 vcc, exec, s[2:3]
	s_cbranch_vccnz .LBB85_126
; %bb.125:                              ;   in Loop: Header=BB85_16 Depth=1
	s_sub_u32 s84, s84, s12
	s_subb_u32 s85, s85, s13
	s_mov_b64 s[2:3], -1
	s_mov_b32 s47, 0
	s_mov_b32 s8, s27
	;; [unrolled: 1-line block ×3, first 2 shown]
.LBB85_126:                             ;   in Loop: Header=BB85_16 Depth=1
	s_mov_b32 s26, s9
	s_mov_b32 s27, s8
	s_mov_b64 s[12:13], -1
	s_and_b64 vcc, exec, s[2:3]
	s_cbranch_vccnz .LBB85_129
.LBB85_127:                             ;   in Loop: Header=BB85_16 Depth=1
	s_mov_b64 s[2:3], -1
                                        ; implicit-def: $sgpr16_sgpr17
                                        ; implicit-def: $sgpr20_sgpr21
                                        ; implicit-def: $sgpr18_sgpr19
	s_and_saveexec_b64 s[6:7], s[2:3]
	s_xor_b64 s[2:3], exec, s[6:7]
	s_cbranch_execz .LBB85_14
	s_branch .LBB85_278
.LBB85_128:                             ;   in Loop: Header=BB85_16 Depth=1
	s_mov_b64 s[84:85], 1
	s_mov_b64 s[12:13], -1
	s_branch .LBB85_127
.LBB85_129:                             ;   in Loop: Header=BB85_16 Depth=1
	s_cmp_eq_u64 s[24:25], 1
	s_cselect_b64 s[2:3], -1, 0
	s_cmp_eq_u64 s[84:85], 1
	s_cselect_b64 s[8:9], -1, 0
	s_and_b64 s[28:29], s[2:3], s[8:9]
	s_mov_b64 s[8:9], -1
	s_and_b64 vcc, exec, s[28:29]
	s_cbranch_vccz .LBB85_144
; %bb.130:                              ;   in Loop: Header=BB85_16 Depth=1
	ds_read_b64 v[2:3], v11 offset:5120
	s_waitcnt lgkmcnt(0)
	s_barrier
	v_readfirstlane_b32 s2, v2
	v_readfirstlane_b32 s3, v3
	s_mov_b64 s[8:9], exec
	v_readlane_b32 s16, v38, 26
	v_readlane_b32 s17, v38, 27
	s_and_b64 s[16:17], s[8:9], s[16:17]
	s_mov_b64 exec, s[16:17]
	s_cbranch_execz .LBB85_132
; %bb.131:                              ;   in Loop: Header=BB85_16 Depth=1
	ds_write_b8 v0, v1 offset:3072
.LBB85_132:                             ;   in Loop: Header=BB85_16 Depth=1
	s_or_b64 exec, exec, s[8:9]
	s_lshl_b32 s8, 1, s38
	s_and_b32 s9, s27, s39
	s_or_b32 s27, s9, s8
	s_or_b32 s26, s26, s46
	s_cmp_eq_u64 s[2:3], 0
	s_waitcnt lgkmcnt(0)
	s_barrier
	s_cbranch_scc1 .LBB85_150
; %bb.133:                              ;   in Loop: Header=BB85_16 Depth=1
	v_readlane_b32 s8, v38, 32
	s_add_u32 s18, s8, s2
	v_readlane_b32 s8, v38, 33
	s_addc_u32 s9, s8, s3
	s_mov_b32 s8, s81
	s_cmp_lg_u64 s[8:9], 0
	s_cbranch_scc0 .LBB85_195
; %bb.134:                              ;   in Loop: Header=BB85_16 Depth=1
	v_cvt_f32_u32_e32 v2, s33
	s_sub_u32 s8, 0, s33
	s_subb_u32 s16, 0, 0
	v_mac_f32_e32 v2, 0, v28
	v_rcp_f32_e32 v2, v2
	v_mul_f32_e32 v2, 0x5f7ffffc, v2
	v_mul_f32_e32 v3, 0x2f800000, v2
	v_trunc_f32_e32 v3, v3
	v_mac_f32_e32 v2, 0xcf800000, v3
	v_cvt_u32_f32_e32 v3, v3
	v_cvt_u32_f32_e32 v2, v2
	v_readfirstlane_b32 s17, v3
	v_readfirstlane_b32 s19, v2
	s_mul_i32 s20, s8, s17
	s_mul_hi_u32 s22, s8, s19
	s_mul_i32 s21, s16, s19
	s_add_i32 s20, s22, s20
	s_mul_i32 s23, s8, s19
	s_add_i32 s20, s20, s21
	s_mul_hi_u32 s22, s19, s23
	s_mul_hi_u32 s21, s19, s20
	s_mul_i32 s19, s19, s20
	s_add_u32 s19, s22, s19
	s_addc_u32 s21, 0, s21
	s_mul_hi_u32 s30, s17, s23
	s_mul_i32 s23, s17, s23
	s_add_u32 s19, s19, s23
	s_mul_hi_u32 s22, s17, s20
	s_addc_u32 s19, s21, s30
	s_addc_u32 s21, s22, 0
	s_mul_i32 s20, s17, s20
	s_add_u32 s19, s19, s20
	s_addc_u32 s20, 0, s21
	v_add_co_u32_e32 v2, vcc, s19, v2
	s_cmp_lg_u64 vcc, 0
	s_addc_u32 s17, s17, s20
	v_readfirstlane_b32 s20, v2
	s_mul_i32 s19, s8, s17
	s_mul_hi_u32 s21, s8, s20
	s_add_i32 s19, s21, s19
	s_mul_i32 s16, s16, s20
	s_add_i32 s19, s19, s16
	s_mul_i32 s8, s8, s20
	s_mul_hi_u32 s21, s17, s8
	s_mul_i32 s22, s17, s8
	s_mul_i32 s30, s20, s19
	s_mul_hi_u32 s8, s20, s8
	s_mul_hi_u32 s23, s20, s19
	s_add_u32 s8, s8, s30
	s_addc_u32 s20, 0, s23
	s_add_u32 s8, s8, s22
	s_mul_hi_u32 s16, s17, s19
	s_addc_u32 s8, s20, s21
	s_addc_u32 s16, s16, 0
	s_mul_i32 s19, s17, s19
	s_add_u32 s8, s8, s19
	s_addc_u32 s16, 0, s16
	v_add_co_u32_e32 v2, vcc, s8, v2
	s_cmp_lg_u64 vcc, 0
	s_addc_u32 s8, s17, s16
	v_readfirstlane_b32 s19, v2
	s_mul_i32 s17, s18, s8
	s_mul_hi_u32 s20, s18, s19
	s_mul_hi_u32 s16, s18, s8
	s_add_u32 s17, s20, s17
	s_addc_u32 s16, 0, s16
	s_mul_hi_u32 s21, s9, s19
	s_mul_i32 s19, s9, s19
	s_add_u32 s17, s17, s19
	s_mul_hi_u32 s20, s9, s8
	s_addc_u32 s16, s16, s21
	s_addc_u32 s17, s20, 0
	s_mul_i32 s8, s9, s8
	s_add_u32 s8, s16, s8
	s_addc_u32 s16, 0, s17
	s_mul_hi_u32 s17, s33, s8
	s_mul_i32 s8, s33, s8
	s_mul_i32 s16, s33, s16
	v_mov_b32_e32 v2, s8
	s_add_i32 s17, s17, s16
	v_sub_co_u32_e32 v2, vcc, s18, v2
	s_cmp_lg_u64 vcc, 0
	s_subb_u32 s8, s9, s17
	v_subrev_co_u32_e32 v3, vcc, s33, v2
	s_cmp_lg_u64 vcc, 0
	s_subb_u32 s16, s8, 0
	v_subrev_co_u32_e32 v4, vcc, s33, v3
	s_cmp_lg_u64 vcc, 0
	s_subb_u32 s17, s16, 0
	v_cmp_le_u32_e32 vcc, s33, v3
	s_cmp_eq_u32 s16, 0
	v_cndmask_b32_e64 v5, 0, -1, vcc
	s_cselect_b64 vcc, -1, 0
	v_cndmask_b32_e32 v5, -1, v5, vcc
	v_mov_b32_e32 v6, s16
	v_mov_b32_e32 v7, s17
	v_cmp_ne_u32_e32 vcc, 0, v5
	v_cndmask_b32_e32 v5, v6, v7, vcc
	v_cndmask_b32_e32 v4, v3, v4, vcc
	v_cmp_le_u32_e32 vcc, s33, v2
	s_cmp_eq_u32 s8, 0
	v_cndmask_b32_e64 v3, 0, -1, vcc
	s_cselect_b64 vcc, -1, 0
	v_cndmask_b32_e32 v3, -1, v3, vcc
	v_mov_b32_e32 v6, s8
	v_cmp_ne_u32_e32 vcc, 0, v3
	v_cndmask_b32_e32 v3, v6, v5, vcc
	v_cndmask_b32_e32 v2, v2, v4, vcc
	s_cbranch_execnz .LBB85_136
.LBB85_135:                             ;   in Loop: Header=BB85_16 Depth=1
	v_cvt_f32_u32_e32 v2, s33
	s_sub_i32 s8, 0, s33
	v_rcp_iflag_f32_e32 v2, v2
	v_mul_f32_e32 v2, 0x4f7ffffe, v2
	v_cvt_u32_f32_e32 v2, v2
	v_mul_lo_u32 v3, s8, v2
	v_mul_hi_u32 v3, v2, v3
	v_add_u32_e32 v2, v2, v3
	v_mul_hi_u32 v2, s18, v2
	v_mul_lo_u32 v2, v2, s33
	v_sub_u32_e32 v2, s18, v2
	v_subrev_u32_e32 v3, s33, v2
	v_cmp_le_u32_e32 vcc, s33, v2
	v_cndmask_b32_e32 v2, v2, v3, vcc
	v_subrev_u32_e32 v3, s33, v2
	v_cmp_le_u32_e32 vcc, s33, v2
	v_cndmask_b32_e32 v10, v2, v3, vcc
	v_pk_mov_b32 v[2:3], v[10:11], v[10:11] op_sel:[0,1]
.LBB85_136:                             ;   in Loop: Header=BB85_16 Depth=1
	v_mov_b32_e32 v4, s9
	v_sub_co_u32_e32 v2, vcc, s18, v2
	v_subb_co_u32_e32 v3, vcc, v4, v3, vcc
	v_cmp_gt_u64_e32 vcc, v[2:3], v[0:1]
	s_mov_b64 s[8:9], 0
                                        ; implicit-def: $vgpr29
	s_and_saveexec_b64 s[16:17], vcc
	s_cbranch_execz .LBB85_152
; %bb.137:                              ;   in Loop: Header=BB85_16 Depth=1
	v_mov_b32_e32 v6, v0
	v_pk_mov_b32 v[4:5], v[0:1], v[0:1] op_sel:[0,1]
                                        ; implicit-def: $sgpr18_sgpr19
	s_branch .LBB85_139
.LBB85_138:                             ;   in Loop: Header=BB85_139 Depth=2
	s_or_b64 exec, exec, s[20:21]
	s_waitcnt lgkmcnt(0)
	s_barrier
	ds_read_u16 v7, v11 offset:3072
	v_mov_b32_e32 v8, s55
	v_add_co_u32_e32 v4, vcc, s33, v4
	v_addc_co_u32_e32 v5, vcc, v5, v8, vcc
	s_waitcnt lgkmcnt(0)
	v_cmp_ne_u16_sdwa s[20:21], v7, v1 src0_sel:BYTE_0 src1_sel:DWORD
	v_cmp_ge_u64_e32 vcc, v[4:5], v[2:3]
	s_or_b64 s[22:23], vcc, s[20:21]
	s_and_b64 s[22:23], exec, s[22:23]
	s_or_b64 s[8:9], s[22:23], s[8:9]
	s_andn2_b64 s[18:19], s[18:19], exec
	s_and_b64 s[20:21], s[20:21], exec
	v_add_u32_e32 v6, s33, v6
	s_or_b64 s[18:19], s[18:19], s[20:21]
	s_barrier
	s_andn2_b64 exec, exec, s[8:9]
	s_cbranch_execz .LBB85_151
.LBB85_139:                             ;   Parent Loop BB85_16 Depth=1
                                        ; =>  This Inner Loop Header: Depth=2
	v_cmp_gt_u64_e32 vcc, s[2:3], v[4:5]
	v_mov_b32_e32 v7, 0
	s_and_saveexec_b64 s[20:21], vcc
	s_cbranch_execz .LBB85_141
; %bb.140:                              ;   in Loop: Header=BB85_139 Depth=2
	ds_read_u8 v7, v6
.LBB85_141:                             ;   in Loop: Header=BB85_139 Depth=2
	s_or_b64 exec, exec, s[20:21]
	s_and_saveexec_b64 s[20:21], vcc
	s_cbranch_execz .LBB85_138
; %bb.142:                              ;   in Loop: Header=BB85_139 Depth=2
	s_waitcnt lgkmcnt(0)
	v_add_u32_sdwa v8, sext(v7), s1 dst_sel:DWORD dst_unused:UNUSED_PAD src0_sel:BYTE_0 src1_sel:DWORD
	v_and_b32_e32 v8, s26, v8
	v_cmp_eq_u32_e32 vcc, s27, v8
	s_and_b64 exec, exec, vcc
	s_cbranch_execz .LBB85_138
; %bb.143:                              ;   in Loop: Header=BB85_139 Depth=2
	v_lshlrev_b16_e32 v7, 8, v7
	v_or_b32_e32 v7, 1, v7
	ds_write_b16 v11, v7 offset:3072
	s_branch .LBB85_138
.LBB85_144:                             ;   in Loop: Header=BB85_16 Depth=1
                                        ; implicit-def: $sgpr18_sgpr19
                                        ; implicit-def: $sgpr20_sgpr21
                                        ; implicit-def: $sgpr16_sgpr17
	s_branch .LBB85_166
.LBB85_145:                             ;   in Loop: Header=BB85_16 Depth=1
                                        ; implicit-def: $vgpr2_vgpr3
	s_branch .LBB85_90
.LBB85_146:                             ;   in Loop: Header=BB85_16 Depth=1
	s_or_b64 exec, exec, s[2:3]
	s_waitcnt lgkmcnt(0)
	s_barrier
	s_mov_b64 s[2:3], exec
	v_readlane_b32 s6, v38, 8
	v_readlane_b32 s7, v38, 9
	s_and_b64 s[6:7], s[2:3], s[6:7]
	s_mov_b64 exec, s[6:7]
	s_cbranch_execz .LBB85_148
; %bb.147:                              ;   in Loop: Header=BB85_16 Depth=1
	ds_read_b32 v2, v11 offset:5144
	s_waitcnt lgkmcnt(0)
	v_ashrrev_i32_e32 v3, 31, v2
	ds_write_b64 v11, v[2:3] offset:5120
.LBB85_148:                             ;   in Loop: Header=BB85_16 Depth=1
	s_or_b64 exec, exec, s[2:3]
	s_waitcnt lgkmcnt(0)
	s_barrier
	s_mov_b64 s[2:3], -1
	s_and_b64 vcc, exec, s[70:71]
	s_cbranch_vccnz .LBB85_31
	s_branch .LBB85_41
.LBB85_149:                             ;   in Loop: Header=BB85_16 Depth=1
                                        ; implicit-def: $vgpr2_vgpr3
	s_branch .LBB85_105
.LBB85_150:                             ;   in Loop: Header=BB85_16 Depth=1
	s_mov_b64 s[18:19], -1
	s_mov_b64 s[8:9], 0
                                        ; implicit-def: $sgpr16_sgpr17
                                        ; implicit-def: $vgpr29
	s_mov_b64 s[20:21], s[18:19]
	s_cbranch_execnz .LBB85_153
	s_branch .LBB85_166
.LBB85_151:                             ;   in Loop: Header=BB85_16 Depth=1
	s_or_b64 exec, exec, s[8:9]
	v_lshrrev_b16_e32 v29, 8, v7
	s_and_b64 s[8:9], s[18:19], exec
.LBB85_152:                             ;   in Loop: Header=BB85_16 Depth=1
	s_or_b64 exec, exec, s[16:17]
	s_mov_b64 s[16:17], -1
	s_mov_b64 s[18:19], 0
	s_mov_b64 s[20:21], s[18:19]
	s_branch .LBB85_166
.LBB85_153:                             ;   in Loop: Header=BB85_16 Depth=1
	s_mov_b32 s88, s81
	s_cmp_lg_u64 s[88:89], 0
	s_cbranch_scc0 .LBB85_196
; %bb.154:                              ;   in Loop: Header=BB85_16 Depth=1
	v_cvt_f32_u32_e32 v2, s33
	s_sub_u32 s2, 0, s33
	s_subb_u32 s3, 0, 0
	v_mac_f32_e32 v2, 0, v28
	v_rcp_f32_e32 v2, v2
	v_mul_f32_e32 v2, 0x5f7ffffc, v2
	v_mul_f32_e32 v3, 0x2f800000, v2
	v_trunc_f32_e32 v3, v3
	v_mac_f32_e32 v2, 0xcf800000, v3
	v_cvt_u32_f32_e32 v3, v3
	v_cvt_u32_f32_e32 v2, v2
	v_readfirstlane_b32 s8, v3
	v_readfirstlane_b32 s9, v2
	s_mul_i32 s16, s2, s8
	s_mul_hi_u32 s18, s2, s9
	s_mul_i32 s17, s3, s9
	s_add_i32 s16, s18, s16
	s_mul_i32 s19, s2, s9
	s_add_i32 s16, s16, s17
	s_mul_hi_u32 s18, s9, s19
	s_mul_hi_u32 s17, s9, s16
	s_mul_i32 s9, s9, s16
	s_add_u32 s9, s18, s9
	s_addc_u32 s17, 0, s17
	s_mul_hi_u32 s20, s8, s19
	s_mul_i32 s19, s8, s19
	s_add_u32 s9, s9, s19
	s_mul_hi_u32 s18, s8, s16
	s_addc_u32 s9, s17, s20
	s_addc_u32 s17, s18, 0
	s_mul_i32 s16, s8, s16
	s_add_u32 s9, s9, s16
	s_addc_u32 s16, 0, s17
	v_add_co_u32_e32 v2, vcc, s9, v2
	s_cmp_lg_u64 vcc, 0
	s_addc_u32 s8, s8, s16
	v_readfirstlane_b32 s16, v2
	s_mul_i32 s9, s2, s8
	s_mul_hi_u32 s17, s2, s16
	s_add_i32 s9, s17, s9
	s_mul_i32 s3, s3, s16
	s_add_i32 s9, s9, s3
	s_mul_i32 s2, s2, s16
	s_mul_hi_u32 s17, s8, s2
	s_mul_i32 s18, s8, s2
	s_mul_i32 s20, s16, s9
	s_mul_hi_u32 s2, s16, s2
	s_mul_hi_u32 s19, s16, s9
	s_add_u32 s2, s2, s20
	s_addc_u32 s16, 0, s19
	s_add_u32 s2, s2, s18
	s_mul_hi_u32 s3, s8, s9
	s_addc_u32 s2, s16, s17
	s_addc_u32 s3, s3, 0
	s_mul_i32 s9, s8, s9
	s_add_u32 s2, s2, s9
	s_addc_u32 s3, 0, s3
	v_add_co_u32_e32 v2, vcc, s2, v2
	s_cmp_lg_u64 vcc, 0
	s_addc_u32 s2, s8, s3
	v_readfirstlane_b32 s9, v2
	s_mul_i32 s8, s54, s2
	s_mul_hi_u32 s16, s54, s9
	s_mul_hi_u32 s3, s54, s2
	s_add_u32 s8, s16, s8
	s_addc_u32 s3, 0, s3
	s_mul_hi_u32 s17, s89, s9
	s_mul_i32 s9, s89, s9
	s_add_u32 s8, s8, s9
	s_mul_hi_u32 s16, s89, s2
	s_addc_u32 s3, s3, s17
	s_addc_u32 s8, s16, 0
	s_mul_i32 s2, s89, s2
	s_add_u32 s2, s3, s2
	s_addc_u32 s3, 0, s8
	s_mul_hi_u32 s8, s33, s2
	s_mul_i32 s2, s33, s2
	s_mul_i32 s3, s33, s3
	v_mov_b32_e32 v2, s2
	s_add_i32 s8, s8, s3
	v_sub_co_u32_e32 v2, vcc, s54, v2
	s_cmp_lg_u64 vcc, 0
	s_subb_u32 s2, s89, s8
	v_subrev_co_u32_e32 v3, vcc, s33, v2
	s_cmp_lg_u64 vcc, 0
	s_subb_u32 s3, s2, 0
	v_subrev_co_u32_e32 v4, vcc, s33, v3
	s_cmp_lg_u64 vcc, 0
	s_subb_u32 s8, s3, 0
	v_cmp_le_u32_e32 vcc, s33, v3
	s_cmp_eq_u32 s3, 0
	v_cndmask_b32_e64 v5, 0, -1, vcc
	s_cselect_b64 vcc, -1, 0
	v_cndmask_b32_e32 v5, -1, v5, vcc
	v_mov_b32_e32 v6, s3
	v_mov_b32_e32 v7, s8
	v_cmp_ne_u32_e32 vcc, 0, v5
	v_cndmask_b32_e32 v5, v6, v7, vcc
	v_cndmask_b32_e32 v4, v3, v4, vcc
	v_cmp_le_u32_e32 vcc, s33, v2
	s_cmp_eq_u32 s2, 0
	v_cndmask_b32_e64 v3, 0, -1, vcc
	s_cselect_b64 vcc, -1, 0
	v_cndmask_b32_e32 v3, -1, v3, vcc
	v_mov_b32_e32 v6, s2
	v_cmp_ne_u32_e32 vcc, 0, v3
	v_cndmask_b32_e32 v3, v6, v5, vcc
	v_cndmask_b32_e32 v2, v2, v4, vcc
	s_cbranch_execnz .LBB85_156
.LBB85_155:                             ;   in Loop: Header=BB85_16 Depth=1
	v_cvt_f32_u32_e32 v2, s33
	s_sub_i32 s2, 0, s33
	v_rcp_iflag_f32_e32 v2, v2
	v_mul_f32_e32 v2, 0x4f7ffffe, v2
	v_cvt_u32_f32_e32 v2, v2
	v_mul_lo_u32 v3, s2, v2
	v_mul_hi_u32 v3, v2, v3
	v_add_u32_e32 v2, v2, v3
	v_mul_hi_u32 v2, s54, v2
	v_mul_lo_u32 v2, v2, s33
	v_sub_u32_e32 v2, s54, v2
	v_subrev_u32_e32 v3, s33, v2
	v_cmp_le_u32_e32 vcc, s33, v2
	v_cndmask_b32_e32 v2, v2, v3, vcc
	v_subrev_u32_e32 v3, s33, v2
	v_cmp_le_u32_e32 vcc, s33, v2
	v_cndmask_b32_e32 v10, v2, v3, vcc
	v_pk_mov_b32 v[2:3], v[10:11], v[10:11] op_sel:[0,1]
.LBB85_156:                             ;   in Loop: Header=BB85_16 Depth=1
	v_mov_b32_e32 v4, s89
	v_sub_co_u32_e32 v2, vcc, s54, v2
	v_subb_co_u32_e32 v3, vcc, v4, v3, vcc
	v_cmp_gt_u64_e32 vcc, v[2:3], v[0:1]
	s_mov_b64 s[8:9], 0
                                        ; implicit-def: $vgpr29
	s_and_saveexec_b64 s[2:3], vcc
	s_cbranch_execz .LBB85_165
; %bb.157:                              ;   in Loop: Header=BB85_16 Depth=1
	v_pk_mov_b32 v[4:5], v[0:1], v[0:1] op_sel:[0,1]
                                        ; implicit-def: $sgpr16_sgpr17
	s_branch .LBB85_159
.LBB85_158:                             ;   in Loop: Header=BB85_159 Depth=2
	s_or_b64 exec, exec, s[18:19]
	s_waitcnt lgkmcnt(0)
	s_barrier
	s_waitcnt vmcnt(0)
	ds_read_u16 v6, v11 offset:3072
	v_mov_b32_e32 v7, s55
	v_add_co_u32_e32 v4, vcc, s33, v4
	v_addc_co_u32_e32 v5, vcc, v5, v7, vcc
	s_waitcnt lgkmcnt(0)
	v_cmp_ne_u16_sdwa s[18:19], v6, v1 src0_sel:BYTE_0 src1_sel:DWORD
	v_cmp_ge_u64_e32 vcc, v[4:5], v[2:3]
	s_or_b64 s[20:21], vcc, s[18:19]
	s_and_b64 s[20:21], exec, s[20:21]
	s_or_b64 s[8:9], s[20:21], s[8:9]
	s_andn2_b64 s[16:17], s[16:17], exec
	s_and_b64 s[18:19], s[18:19], exec
	s_or_b64 s[16:17], s[16:17], s[18:19]
	s_barrier
	s_andn2_b64 exec, exec, s[8:9]
	s_cbranch_execz .LBB85_164
.LBB85_159:                             ;   Parent Loop BB85_16 Depth=1
                                        ; =>  This Inner Loop Header: Depth=2
	v_cmp_gt_u64_e32 vcc, s[52:53], v[4:5]
	v_mov_b32_e32 v6, 0
	s_and_saveexec_b64 s[18:19], vcc
	s_cbranch_execz .LBB85_161
; %bb.160:                              ;   in Loop: Header=BB85_159 Depth=2
	v_pk_mov_b32 v[6:7], s[78:79], s[78:79] op_sel:[0,1]
	v_mad_u64_u32 v[6:7], s[20:21], v4, s68, v[6:7]
	v_mul_lo_u32 v8, v4, s69
	v_mul_lo_u32 v9, v5, s68
	v_add3_u32 v7, v9, v7, v8
	global_load_ubyte v6, v[6:7], off
.LBB85_161:                             ;   in Loop: Header=BB85_159 Depth=2
	s_or_b64 exec, exec, s[18:19]
	s_and_saveexec_b64 s[18:19], vcc
	s_cbranch_execz .LBB85_158
; %bb.162:                              ;   in Loop: Header=BB85_159 Depth=2
	s_waitcnt vmcnt(0)
	v_add_u32_sdwa v7, sext(v6), s1 dst_sel:DWORD dst_unused:UNUSED_PAD src0_sel:BYTE_0 src1_sel:DWORD
	v_and_b32_e32 v7, s26, v7
	v_cmp_eq_u32_e32 vcc, s27, v7
	s_and_b64 exec, exec, vcc
	s_cbranch_execz .LBB85_158
; %bb.163:                              ;   in Loop: Header=BB85_159 Depth=2
	v_lshlrev_b16_e32 v6, 8, v6
	v_or_b32_e32 v6, 1, v6
	ds_write_b16 v11, v6 offset:3072
	s_branch .LBB85_158
.LBB85_164:                             ;   in Loop: Header=BB85_16 Depth=1
	s_or_b64 exec, exec, s[8:9]
	v_lshrrev_b16_e32 v29, 8, v6
	s_and_b64 s[8:9], s[16:17], exec
.LBB85_165:                             ;   in Loop: Header=BB85_16 Depth=1
	s_or_b64 exec, exec, s[2:3]
	s_mov_b64 s[20:21], -1
	s_mov_b64 s[18:19], 0
	s_mov_b64 s[16:17], 0
.LBB85_166:                             ;   in Loop: Header=BB85_16 Depth=1
	s_mov_b64 s[2:3], 0
                                        ; implicit-def: $sgpr47
	s_and_saveexec_b64 s[22:23], s[8:9]
	s_cbranch_execz .LBB85_277
; %bb.167:                              ;   in Loop: Header=BB85_16 Depth=1
	s_xor_b64 s[2:3], s[28:29], -1
	s_andn2_b64 vcc, exec, s[2:3]
	s_mov_b32 s47, 1
	s_cbranch_vccnz .LBB85_178
; %bb.168:                              ;   in Loop: Header=BB85_16 Depth=1
	v_pk_mov_b32 v[2:3], s[24:25], s[24:25] op_sel:[0,1]
	v_cmp_gt_u64_e32 vcc, s[84:85], v[2:3]
	s_mov_b64 s[2:3], -1
                                        ; implicit-def: $sgpr47
                                        ; implicit-def: $sgpr8
                                        ; implicit-def: $sgpr9
	s_cbranch_vccnz .LBB85_174
; %bb.169:                              ;   in Loop: Header=BB85_16 Depth=1
	ds_read_b64 v[2:3], v11 offset:5120
	s_waitcnt lgkmcnt(0)
	v_cmp_ne_u64_e32 vcc, 0, v[2:3]
	s_cbranch_vccnz .LBB85_173
; %bb.170:                              ;   in Loop: Header=BB85_16 Depth=1
	s_mov_b64 s[2:3], exec
	v_readlane_b32 s8, v38, 8
	v_readlane_b32 s9, v38, 9
	s_and_b64 s[8:9], s[2:3], s[8:9]
	s_mov_b64 exec, s[8:9]
	s_cbranch_execz .LBB85_172
; %bb.171:                              ;   in Loop: Header=BB85_16 Depth=1
	v_pk_mov_b32 v[2:3], s[24:25], s[24:25] op_sel:[0,1]
	ds_write_b64 v11, v[2:3] offset:5128
.LBB85_172:                             ;   in Loop: Header=BB85_16 Depth=1
	s_or_b64 exec, exec, s[2:3]
	s_waitcnt lgkmcnt(0)
	s_barrier
.LBB85_173:                             ;   in Loop: Header=BB85_16 Depth=1
	s_lshl_b32 s2, 1, s38
	s_and_b32 s3, s27, s39
	s_or_b32 s8, s3, s2
	s_or_b32 s9, s26, s46
	s_mov_b64 s[2:3], 0
	s_mov_b32 s47, 8
.LBB85_174:                             ;   in Loop: Header=BB85_16 Depth=1
	s_andn2_b64 vcc, exec, s[2:3]
	s_cbranch_vccnz .LBB85_176
; %bb.175:                              ;   in Loop: Header=BB85_16 Depth=1
	s_sub_u32 s84, s84, s24
	s_subb_u32 s85, s85, s25
	s_mov_b64 s[2:3], -1
	s_mov_b32 s47, 0
	s_mov_b32 s8, s27
	;; [unrolled: 1-line block ×3, first 2 shown]
.LBB85_176:                             ;   in Loop: Header=BB85_16 Depth=1
	s_mov_b32 s26, s9
	s_mov_b32 s27, s8
	s_andn2_b64 vcc, exec, s[2:3]
	s_mov_b64 s[2:3], -1
	s_cbranch_vccz .LBB85_179
.LBB85_177:                             ;   in Loop: Header=BB85_16 Depth=1
                                        ; implicit-def: $sgpr28_sgpr29
                                        ; implicit-def: $sgpr30_sgpr31
                                        ; implicit-def: $sgpr24_sgpr25
	s_branch .LBB85_276
.LBB85_178:                             ;   in Loop: Header=BB85_16 Depth=1
	s_mov_b64 s[84:85], 1
	s_mov_b64 s[2:3], -1
	s_cbranch_execnz .LBB85_177
.LBB85_179:                             ;   in Loop: Header=BB85_16 Depth=1
	s_cmp_eq_u64 s[14:15], 1
	s_cselect_b64 s[2:3], -1, 0
	s_cmp_eq_u64 s[84:85], 1
	s_cselect_b64 s[8:9], -1, 0
	s_and_b64 s[36:37], s[2:3], s[8:9]
	s_mov_b64 s[8:9], -1
	s_and_b64 vcc, exec, s[36:37]
	s_cbranch_vccz .LBB85_194
; %bb.180:                              ;   in Loop: Header=BB85_16 Depth=1
	ds_read_b64 v[2:3], v11 offset:5120
	s_waitcnt lgkmcnt(0)
	s_barrier
	v_readfirstlane_b32 s2, v2
	v_readfirstlane_b32 s3, v3
	s_mov_b64 s[8:9], exec
	v_readlane_b32 s24, v38, 26
	v_readlane_b32 s25, v38, 27
	s_and_b64 s[24:25], s[8:9], s[24:25]
	s_mov_b64 exec, s[24:25]
	s_cbranch_execz .LBB85_182
; %bb.181:                              ;   in Loop: Header=BB85_16 Depth=1
	ds_write_b8 v0, v1 offset:3072
.LBB85_182:                             ;   in Loop: Header=BB85_16 Depth=1
	s_or_b64 exec, exec, s[8:9]
	s_lshl_b32 s8, 2, s38
	s_and_b32 s9, s27, s39
	s_or_b32 s27, s9, s8
	s_or_b32 s26, s26, s46
	s_cmp_eq_u64 s[2:3], 0
	s_waitcnt lgkmcnt(0)
	s_barrier
	s_cbranch_scc1 .LBB85_197
; %bb.183:                              ;   in Loop: Header=BB85_16 Depth=1
	v_readlane_b32 s8, v38, 32
	s_add_u32 s28, s8, s2
	v_readlane_b32 s8, v38, 33
	s_addc_u32 s9, s8, s3
	s_mov_b32 s8, s81
	s_cmp_lg_u64 s[8:9], 0
	s_cbranch_scc0 .LBB85_242
; %bb.184:                              ;   in Loop: Header=BB85_16 Depth=1
	v_cvt_f32_u32_e32 v2, s33
	s_sub_u32 s8, 0, s33
	s_subb_u32 s24, 0, 0
	v_mac_f32_e32 v2, 0, v28
	v_rcp_f32_e32 v2, v2
	v_mul_f32_e32 v2, 0x5f7ffffc, v2
	v_mul_f32_e32 v3, 0x2f800000, v2
	v_trunc_f32_e32 v3, v3
	v_mac_f32_e32 v2, 0xcf800000, v3
	v_cvt_u32_f32_e32 v3, v3
	v_cvt_u32_f32_e32 v2, v2
	v_readfirstlane_b32 s25, v3
	v_readfirstlane_b32 s29, v2
	s_mul_i32 s30, s8, s25
	s_mul_hi_u32 s34, s8, s29
	s_mul_i32 s31, s24, s29
	s_add_i32 s30, s34, s30
	s_mul_i32 s35, s8, s29
	s_add_i32 s30, s30, s31
	s_mul_hi_u32 s34, s29, s35
	s_mul_hi_u32 s31, s29, s30
	s_mul_i32 s29, s29, s30
	s_add_u32 s29, s34, s29
	s_addc_u32 s31, 0, s31
	s_mul_hi_u32 s40, s25, s35
	s_mul_i32 s35, s25, s35
	s_add_u32 s29, s29, s35
	s_mul_hi_u32 s34, s25, s30
	s_addc_u32 s29, s31, s40
	s_addc_u32 s31, s34, 0
	s_mul_i32 s30, s25, s30
	s_add_u32 s29, s29, s30
	s_addc_u32 s30, 0, s31
	v_add_co_u32_e32 v2, vcc, s29, v2
	s_cmp_lg_u64 vcc, 0
	s_addc_u32 s25, s25, s30
	v_readfirstlane_b32 s30, v2
	s_mul_i32 s29, s8, s25
	s_mul_hi_u32 s31, s8, s30
	s_add_i32 s29, s31, s29
	s_mul_i32 s24, s24, s30
	s_add_i32 s29, s29, s24
	s_mul_i32 s8, s8, s30
	s_mul_hi_u32 s31, s25, s8
	s_mul_i32 s34, s25, s8
	s_mul_i32 s40, s30, s29
	s_mul_hi_u32 s8, s30, s8
	s_mul_hi_u32 s35, s30, s29
	s_add_u32 s8, s8, s40
	s_addc_u32 s30, 0, s35
	s_add_u32 s8, s8, s34
	s_mul_hi_u32 s24, s25, s29
	s_addc_u32 s8, s30, s31
	s_addc_u32 s24, s24, 0
	s_mul_i32 s29, s25, s29
	s_add_u32 s8, s8, s29
	s_addc_u32 s24, 0, s24
	v_add_co_u32_e32 v2, vcc, s8, v2
	s_cmp_lg_u64 vcc, 0
	s_addc_u32 s8, s25, s24
	v_readfirstlane_b32 s29, v2
	s_mul_i32 s25, s28, s8
	s_mul_hi_u32 s30, s28, s29
	s_mul_hi_u32 s24, s28, s8
	s_add_u32 s25, s30, s25
	s_addc_u32 s24, 0, s24
	s_mul_hi_u32 s31, s9, s29
	s_mul_i32 s29, s9, s29
	s_add_u32 s25, s25, s29
	s_mul_hi_u32 s30, s9, s8
	s_addc_u32 s24, s24, s31
	s_addc_u32 s25, s30, 0
	s_mul_i32 s8, s9, s8
	s_add_u32 s8, s24, s8
	s_addc_u32 s24, 0, s25
	s_mul_hi_u32 s25, s33, s8
	s_mul_i32 s8, s33, s8
	s_mul_i32 s24, s33, s24
	v_mov_b32_e32 v2, s8
	s_add_i32 s25, s25, s24
	v_sub_co_u32_e32 v2, vcc, s28, v2
	s_cmp_lg_u64 vcc, 0
	s_subb_u32 s8, s9, s25
	v_subrev_co_u32_e32 v3, vcc, s33, v2
	s_cmp_lg_u64 vcc, 0
	s_subb_u32 s24, s8, 0
	v_subrev_co_u32_e32 v4, vcc, s33, v3
	s_cmp_lg_u64 vcc, 0
	s_subb_u32 s25, s24, 0
	v_cmp_le_u32_e32 vcc, s33, v3
	s_cmp_eq_u32 s24, 0
	v_cndmask_b32_e64 v5, 0, -1, vcc
	s_cselect_b64 vcc, -1, 0
	v_cndmask_b32_e32 v5, -1, v5, vcc
	v_mov_b32_e32 v6, s24
	v_mov_b32_e32 v7, s25
	v_cmp_ne_u32_e32 vcc, 0, v5
	v_cndmask_b32_e32 v5, v6, v7, vcc
	v_cndmask_b32_e32 v4, v3, v4, vcc
	v_cmp_le_u32_e32 vcc, s33, v2
	s_cmp_eq_u32 s8, 0
	v_cndmask_b32_e64 v3, 0, -1, vcc
	s_cselect_b64 vcc, -1, 0
	v_cndmask_b32_e32 v3, -1, v3, vcc
	v_mov_b32_e32 v6, s8
	v_cmp_ne_u32_e32 vcc, 0, v3
	v_cndmask_b32_e32 v3, v6, v5, vcc
	v_cndmask_b32_e32 v2, v2, v4, vcc
	s_cbranch_execnz .LBB85_186
.LBB85_185:                             ;   in Loop: Header=BB85_16 Depth=1
	v_cvt_f32_u32_e32 v2, s33
	s_sub_i32 s8, 0, s33
	v_rcp_iflag_f32_e32 v2, v2
	v_mul_f32_e32 v2, 0x4f7ffffe, v2
	v_cvt_u32_f32_e32 v2, v2
	v_mul_lo_u32 v3, s8, v2
	v_mul_hi_u32 v3, v2, v3
	v_add_u32_e32 v2, v2, v3
	v_mul_hi_u32 v2, s28, v2
	v_mul_lo_u32 v2, v2, s33
	v_sub_u32_e32 v2, s28, v2
	v_subrev_u32_e32 v3, s33, v2
	v_cmp_le_u32_e32 vcc, s33, v2
	v_cndmask_b32_e32 v2, v2, v3, vcc
	v_subrev_u32_e32 v3, s33, v2
	v_cmp_le_u32_e32 vcc, s33, v2
	v_cndmask_b32_e32 v10, v2, v3, vcc
	v_pk_mov_b32 v[2:3], v[10:11], v[10:11] op_sel:[0,1]
.LBB85_186:                             ;   in Loop: Header=BB85_16 Depth=1
	v_mov_b32_e32 v4, s9
	v_sub_co_u32_e32 v2, vcc, s28, v2
	v_subb_co_u32_e32 v3, vcc, v4, v3, vcc
	v_cmp_gt_u64_e32 vcc, v[2:3], v[0:1]
	s_mov_b64 s[8:9], 0
                                        ; implicit-def: $vgpr29
	s_and_saveexec_b64 s[24:25], vcc
	s_cbranch_execz .LBB85_199
; %bb.187:                              ;   in Loop: Header=BB85_16 Depth=1
	v_mov_b32_e32 v6, v0
	v_pk_mov_b32 v[4:5], v[0:1], v[0:1] op_sel:[0,1]
                                        ; implicit-def: $sgpr28_sgpr29
	s_branch .LBB85_189
.LBB85_188:                             ;   in Loop: Header=BB85_189 Depth=2
	s_or_b64 exec, exec, s[30:31]
	s_waitcnt lgkmcnt(0)
	s_barrier
	ds_read_u16 v7, v11 offset:3072
	v_mov_b32_e32 v8, s55
	v_add_co_u32_e32 v4, vcc, s33, v4
	v_addc_co_u32_e32 v5, vcc, v5, v8, vcc
	s_waitcnt lgkmcnt(0)
	v_cmp_ne_u16_sdwa s[30:31], v7, v1 src0_sel:BYTE_0 src1_sel:DWORD
	v_cmp_ge_u64_e32 vcc, v[4:5], v[2:3]
	s_or_b64 s[34:35], vcc, s[30:31]
	s_and_b64 s[34:35], exec, s[34:35]
	s_or_b64 s[8:9], s[34:35], s[8:9]
	s_andn2_b64 s[28:29], s[28:29], exec
	s_and_b64 s[30:31], s[30:31], exec
	v_add_u32_e32 v6, s33, v6
	s_or_b64 s[28:29], s[28:29], s[30:31]
	s_barrier
	s_andn2_b64 exec, exec, s[8:9]
	s_cbranch_execz .LBB85_198
.LBB85_189:                             ;   Parent Loop BB85_16 Depth=1
                                        ; =>  This Inner Loop Header: Depth=2
	v_cmp_gt_u64_e32 vcc, s[2:3], v[4:5]
	v_mov_b32_e32 v7, 0
	s_and_saveexec_b64 s[30:31], vcc
	s_cbranch_execz .LBB85_191
; %bb.190:                              ;   in Loop: Header=BB85_189 Depth=2
	ds_read_u8 v7, v6
.LBB85_191:                             ;   in Loop: Header=BB85_189 Depth=2
	s_or_b64 exec, exec, s[30:31]
	s_and_saveexec_b64 s[30:31], vcc
	s_cbranch_execz .LBB85_188
; %bb.192:                              ;   in Loop: Header=BB85_189 Depth=2
	s_waitcnt lgkmcnt(0)
	v_add_u32_sdwa v8, sext(v7), s1 dst_sel:DWORD dst_unused:UNUSED_PAD src0_sel:BYTE_0 src1_sel:DWORD
	v_and_b32_e32 v8, s26, v8
	v_cmp_eq_u32_e32 vcc, s27, v8
	s_and_b64 exec, exec, vcc
	s_cbranch_execz .LBB85_188
; %bb.193:                              ;   in Loop: Header=BB85_189 Depth=2
	v_lshlrev_b16_e32 v7, 8, v7
	v_or_b32_e32 v7, 1, v7
	ds_write_b16 v11, v7 offset:3072
	s_branch .LBB85_188
.LBB85_194:                             ;   in Loop: Header=BB85_16 Depth=1
                                        ; implicit-def: $sgpr24_sgpr25
                                        ; implicit-def: $sgpr30_sgpr31
                                        ; implicit-def: $sgpr28_sgpr29
	s_branch .LBB85_213
.LBB85_195:                             ;   in Loop: Header=BB85_16 Depth=1
                                        ; implicit-def: $vgpr2_vgpr3
	s_branch .LBB85_135
.LBB85_196:                             ;   in Loop: Header=BB85_16 Depth=1
                                        ; implicit-def: $vgpr2_vgpr3
	s_branch .LBB85_155
.LBB85_197:                             ;   in Loop: Header=BB85_16 Depth=1
	s_mov_b64 s[24:25], -1
	s_mov_b64 s[8:9], 0
                                        ; implicit-def: $sgpr28_sgpr29
                                        ; implicit-def: $vgpr29
	s_mov_b64 s[30:31], s[24:25]
	s_cbranch_execnz .LBB85_200
	s_branch .LBB85_213
.LBB85_198:                             ;   in Loop: Header=BB85_16 Depth=1
	s_or_b64 exec, exec, s[8:9]
	v_lshrrev_b16_e32 v29, 8, v7
	s_and_b64 s[8:9], s[28:29], exec
.LBB85_199:                             ;   in Loop: Header=BB85_16 Depth=1
	s_or_b64 exec, exec, s[24:25]
	s_mov_b64 s[28:29], -1
	s_mov_b64 s[24:25], 0
	s_mov_b64 s[30:31], s[24:25]
	s_branch .LBB85_213
.LBB85_200:                             ;   in Loop: Header=BB85_16 Depth=1
	s_mov_b32 s88, s81
	s_cmp_lg_u64 s[88:89], 0
	s_cbranch_scc0 .LBB85_243
; %bb.201:                              ;   in Loop: Header=BB85_16 Depth=1
	v_cvt_f32_u32_e32 v2, s33
	s_sub_u32 s2, 0, s33
	s_subb_u32 s3, 0, 0
	v_mac_f32_e32 v2, 0, v28
	v_rcp_f32_e32 v2, v2
	v_mul_f32_e32 v2, 0x5f7ffffc, v2
	v_mul_f32_e32 v3, 0x2f800000, v2
	v_trunc_f32_e32 v3, v3
	v_mac_f32_e32 v2, 0xcf800000, v3
	v_cvt_u32_f32_e32 v3, v3
	v_cvt_u32_f32_e32 v2, v2
	v_readfirstlane_b32 s8, v3
	v_readfirstlane_b32 s9, v2
	s_mul_i32 s24, s2, s8
	s_mul_hi_u32 s28, s2, s9
	s_mul_i32 s25, s3, s9
	s_add_i32 s24, s28, s24
	s_mul_i32 s29, s2, s9
	s_add_i32 s24, s24, s25
	s_mul_hi_u32 s28, s9, s29
	s_mul_hi_u32 s25, s9, s24
	s_mul_i32 s9, s9, s24
	s_add_u32 s9, s28, s9
	s_addc_u32 s25, 0, s25
	s_mul_hi_u32 s30, s8, s29
	s_mul_i32 s29, s8, s29
	s_add_u32 s9, s9, s29
	s_mul_hi_u32 s28, s8, s24
	s_addc_u32 s9, s25, s30
	s_addc_u32 s25, s28, 0
	s_mul_i32 s24, s8, s24
	s_add_u32 s9, s9, s24
	s_addc_u32 s24, 0, s25
	v_add_co_u32_e32 v2, vcc, s9, v2
	s_cmp_lg_u64 vcc, 0
	s_addc_u32 s8, s8, s24
	v_readfirstlane_b32 s24, v2
	s_mul_i32 s9, s2, s8
	s_mul_hi_u32 s25, s2, s24
	s_add_i32 s9, s25, s9
	s_mul_i32 s3, s3, s24
	s_add_i32 s9, s9, s3
	s_mul_i32 s2, s2, s24
	s_mul_hi_u32 s25, s8, s2
	s_mul_i32 s28, s8, s2
	s_mul_i32 s30, s24, s9
	s_mul_hi_u32 s2, s24, s2
	s_mul_hi_u32 s29, s24, s9
	s_add_u32 s2, s2, s30
	s_addc_u32 s24, 0, s29
	s_add_u32 s2, s2, s28
	s_mul_hi_u32 s3, s8, s9
	s_addc_u32 s2, s24, s25
	s_addc_u32 s3, s3, 0
	s_mul_i32 s9, s8, s9
	s_add_u32 s2, s2, s9
	s_addc_u32 s3, 0, s3
	v_add_co_u32_e32 v2, vcc, s2, v2
	s_cmp_lg_u64 vcc, 0
	s_addc_u32 s2, s8, s3
	v_readfirstlane_b32 s9, v2
	s_mul_i32 s8, s54, s2
	s_mul_hi_u32 s24, s54, s9
	s_mul_hi_u32 s3, s54, s2
	s_add_u32 s8, s24, s8
	s_addc_u32 s3, 0, s3
	s_mul_hi_u32 s25, s89, s9
	s_mul_i32 s9, s89, s9
	s_add_u32 s8, s8, s9
	s_mul_hi_u32 s24, s89, s2
	s_addc_u32 s3, s3, s25
	s_addc_u32 s8, s24, 0
	s_mul_i32 s2, s89, s2
	s_add_u32 s2, s3, s2
	s_addc_u32 s3, 0, s8
	s_mul_hi_u32 s8, s33, s2
	s_mul_i32 s2, s33, s2
	s_mul_i32 s3, s33, s3
	v_mov_b32_e32 v2, s2
	s_add_i32 s8, s8, s3
	v_sub_co_u32_e32 v2, vcc, s54, v2
	s_cmp_lg_u64 vcc, 0
	s_subb_u32 s2, s89, s8
	v_subrev_co_u32_e32 v3, vcc, s33, v2
	s_cmp_lg_u64 vcc, 0
	s_subb_u32 s3, s2, 0
	v_subrev_co_u32_e32 v4, vcc, s33, v3
	s_cmp_lg_u64 vcc, 0
	s_subb_u32 s8, s3, 0
	v_cmp_le_u32_e32 vcc, s33, v3
	s_cmp_eq_u32 s3, 0
	v_cndmask_b32_e64 v5, 0, -1, vcc
	s_cselect_b64 vcc, -1, 0
	v_cndmask_b32_e32 v5, -1, v5, vcc
	v_mov_b32_e32 v6, s3
	v_mov_b32_e32 v7, s8
	v_cmp_ne_u32_e32 vcc, 0, v5
	v_cndmask_b32_e32 v5, v6, v7, vcc
	v_cndmask_b32_e32 v4, v3, v4, vcc
	v_cmp_le_u32_e32 vcc, s33, v2
	s_cmp_eq_u32 s2, 0
	v_cndmask_b32_e64 v3, 0, -1, vcc
	s_cselect_b64 vcc, -1, 0
	v_cndmask_b32_e32 v3, -1, v3, vcc
	v_mov_b32_e32 v6, s2
	v_cmp_ne_u32_e32 vcc, 0, v3
	v_cndmask_b32_e32 v3, v6, v5, vcc
	v_cndmask_b32_e32 v2, v2, v4, vcc
	s_cbranch_execnz .LBB85_203
.LBB85_202:                             ;   in Loop: Header=BB85_16 Depth=1
	v_cvt_f32_u32_e32 v2, s33
	s_sub_i32 s2, 0, s33
	v_rcp_iflag_f32_e32 v2, v2
	v_mul_f32_e32 v2, 0x4f7ffffe, v2
	v_cvt_u32_f32_e32 v2, v2
	v_mul_lo_u32 v3, s2, v2
	v_mul_hi_u32 v3, v2, v3
	v_add_u32_e32 v2, v2, v3
	v_mul_hi_u32 v2, s54, v2
	v_mul_lo_u32 v2, v2, s33
	v_sub_u32_e32 v2, s54, v2
	v_subrev_u32_e32 v3, s33, v2
	v_cmp_le_u32_e32 vcc, s33, v2
	v_cndmask_b32_e32 v2, v2, v3, vcc
	v_subrev_u32_e32 v3, s33, v2
	v_cmp_le_u32_e32 vcc, s33, v2
	v_cndmask_b32_e32 v10, v2, v3, vcc
	v_pk_mov_b32 v[2:3], v[10:11], v[10:11] op_sel:[0,1]
.LBB85_203:                             ;   in Loop: Header=BB85_16 Depth=1
	v_mov_b32_e32 v4, s89
	v_sub_co_u32_e32 v2, vcc, s54, v2
	v_subb_co_u32_e32 v3, vcc, v4, v3, vcc
	v_cmp_gt_u64_e32 vcc, v[2:3], v[0:1]
	s_mov_b64 s[8:9], 0
                                        ; implicit-def: $vgpr29
	s_and_saveexec_b64 s[2:3], vcc
	s_cbranch_execz .LBB85_212
; %bb.204:                              ;   in Loop: Header=BB85_16 Depth=1
	v_pk_mov_b32 v[4:5], v[0:1], v[0:1] op_sel:[0,1]
                                        ; implicit-def: $sgpr24_sgpr25
	s_branch .LBB85_206
.LBB85_205:                             ;   in Loop: Header=BB85_206 Depth=2
	s_or_b64 exec, exec, s[28:29]
	s_waitcnt lgkmcnt(0)
	s_barrier
	s_waitcnt vmcnt(0)
	ds_read_u16 v6, v11 offset:3072
	v_mov_b32_e32 v7, s55
	v_add_co_u32_e32 v4, vcc, s33, v4
	v_addc_co_u32_e32 v5, vcc, v5, v7, vcc
	s_waitcnt lgkmcnt(0)
	v_cmp_ne_u16_sdwa s[28:29], v6, v1 src0_sel:BYTE_0 src1_sel:DWORD
	v_cmp_ge_u64_e32 vcc, v[4:5], v[2:3]
	s_or_b64 s[30:31], vcc, s[28:29]
	s_and_b64 s[30:31], exec, s[30:31]
	s_or_b64 s[8:9], s[30:31], s[8:9]
	s_andn2_b64 s[24:25], s[24:25], exec
	s_and_b64 s[28:29], s[28:29], exec
	s_or_b64 s[24:25], s[24:25], s[28:29]
	s_barrier
	s_andn2_b64 exec, exec, s[8:9]
	s_cbranch_execz .LBB85_211
.LBB85_206:                             ;   Parent Loop BB85_16 Depth=1
                                        ; =>  This Inner Loop Header: Depth=2
	v_cmp_gt_u64_e32 vcc, s[52:53], v[4:5]
	v_mov_b32_e32 v6, 0
	s_and_saveexec_b64 s[28:29], vcc
	s_cbranch_execz .LBB85_208
; %bb.207:                              ;   in Loop: Header=BB85_206 Depth=2
	v_pk_mov_b32 v[6:7], s[78:79], s[78:79] op_sel:[0,1]
	v_mad_u64_u32 v[6:7], s[30:31], v4, s68, v[6:7]
	v_mul_lo_u32 v8, v4, s69
	v_mul_lo_u32 v9, v5, s68
	v_add3_u32 v7, v9, v7, v8
	global_load_ubyte v6, v[6:7], off
.LBB85_208:                             ;   in Loop: Header=BB85_206 Depth=2
	s_or_b64 exec, exec, s[28:29]
	s_and_saveexec_b64 s[28:29], vcc
	s_cbranch_execz .LBB85_205
; %bb.209:                              ;   in Loop: Header=BB85_206 Depth=2
	s_waitcnt vmcnt(0)
	v_add_u32_sdwa v7, sext(v6), s1 dst_sel:DWORD dst_unused:UNUSED_PAD src0_sel:BYTE_0 src1_sel:DWORD
	v_and_b32_e32 v7, s26, v7
	v_cmp_eq_u32_e32 vcc, s27, v7
	s_and_b64 exec, exec, vcc
	s_cbranch_execz .LBB85_205
; %bb.210:                              ;   in Loop: Header=BB85_206 Depth=2
	v_lshlrev_b16_e32 v6, 8, v6
	v_or_b32_e32 v6, 1, v6
	ds_write_b16 v11, v6 offset:3072
	s_branch .LBB85_205
.LBB85_211:                             ;   in Loop: Header=BB85_16 Depth=1
	s_or_b64 exec, exec, s[8:9]
	v_lshrrev_b16_e32 v29, 8, v6
	s_and_b64 s[8:9], s[24:25], exec
.LBB85_212:                             ;   in Loop: Header=BB85_16 Depth=1
	s_or_b64 exec, exec, s[2:3]
	s_mov_b64 s[30:31], -1
	s_mov_b64 s[24:25], 0
	s_mov_b64 s[28:29], 0
.LBB85_213:                             ;   in Loop: Header=BB85_16 Depth=1
	s_mov_b64 s[2:3], 0
                                        ; implicit-def: $sgpr47
	s_and_saveexec_b64 s[34:35], s[8:9]
	s_cbranch_execz .LBB85_275
; %bb.214:                              ;   in Loop: Header=BB85_16 Depth=1
	s_xor_b64 s[2:3], s[36:37], -1
	s_andn2_b64 vcc, exec, s[2:3]
	s_mov_b32 s47, 1
	s_cbranch_vccnz .LBB85_225
; %bb.215:                              ;   in Loop: Header=BB85_16 Depth=1
	v_pk_mov_b32 v[2:3], s[14:15], s[14:15] op_sel:[0,1]
	v_cmp_gt_u64_e32 vcc, s[84:85], v[2:3]
	s_mov_b64 s[2:3], -1
                                        ; implicit-def: $sgpr47
                                        ; implicit-def: $sgpr8
                                        ; implicit-def: $sgpr9
	s_cbranch_vccnz .LBB85_221
; %bb.216:                              ;   in Loop: Header=BB85_16 Depth=1
	ds_read_b64 v[2:3], v11 offset:5120
	s_waitcnt lgkmcnt(0)
	v_cmp_ne_u64_e32 vcc, 0, v[2:3]
	s_cbranch_vccnz .LBB85_220
; %bb.217:                              ;   in Loop: Header=BB85_16 Depth=1
	s_mov_b64 s[2:3], exec
	v_readlane_b32 s8, v38, 8
	v_readlane_b32 s9, v38, 9
	s_and_b64 s[8:9], s[2:3], s[8:9]
	s_mov_b64 exec, s[8:9]
	s_cbranch_execz .LBB85_219
; %bb.218:                              ;   in Loop: Header=BB85_16 Depth=1
	v_pk_mov_b32 v[2:3], s[14:15], s[14:15] op_sel:[0,1]
	ds_write_b64 v11, v[2:3] offset:5128
.LBB85_219:                             ;   in Loop: Header=BB85_16 Depth=1
	s_or_b64 exec, exec, s[2:3]
	s_waitcnt lgkmcnt(0)
	s_barrier
.LBB85_220:                             ;   in Loop: Header=BB85_16 Depth=1
	s_lshl_b32 s2, 2, s38
	s_and_b32 s3, s27, s39
	s_or_b32 s8, s3, s2
	s_or_b32 s9, s26, s46
	s_mov_b64 s[2:3], 0
	s_mov_b32 s47, 8
.LBB85_221:                             ;   in Loop: Header=BB85_16 Depth=1
	s_andn2_b64 vcc, exec, s[2:3]
	s_cbranch_vccnz .LBB85_223
; %bb.222:                              ;   in Loop: Header=BB85_16 Depth=1
	s_sub_u32 s84, s84, s14
	s_subb_u32 s85, s85, s15
	s_mov_b64 s[2:3], -1
	s_mov_b32 s47, 0
	s_mov_b32 s8, s27
	;; [unrolled: 1-line block ×3, first 2 shown]
.LBB85_223:                             ;   in Loop: Header=BB85_16 Depth=1
	s_mov_b32 s26, s9
	s_mov_b32 s27, s8
	s_andn2_b64 vcc, exec, s[2:3]
	s_mov_b64 s[42:43], -1
	s_cbranch_vccz .LBB85_226
.LBB85_224:                             ;   in Loop: Header=BB85_16 Depth=1
                                        ; implicit-def: $sgpr2_sgpr3
                                        ; implicit-def: $sgpr36_sgpr37
                                        ; implicit-def: $sgpr8_sgpr9
	s_branch .LBB85_274
.LBB85_225:                             ;   in Loop: Header=BB85_16 Depth=1
	s_mov_b64 s[84:85], 1
	s_mov_b64 s[42:43], -1
	s_cbranch_execnz .LBB85_224
.LBB85_226:                             ;   in Loop: Header=BB85_16 Depth=1
	s_cmp_eq_u64 s[6:7], 1
	s_cselect_b64 s[2:3], -1, 0
	s_cmp_eq_u64 s[84:85], 1
	s_cselect_b64 s[8:9], -1, 0
	s_and_b64 s[14:15], s[2:3], s[8:9]
	s_mov_b64 s[38:39], -1
	s_and_b64 vcc, exec, s[14:15]
	s_cbranch_vccz .LBB85_241
; %bb.227:                              ;   in Loop: Header=BB85_16 Depth=1
	ds_read_b64 v[2:3], v11 offset:5120
	s_waitcnt lgkmcnt(0)
	s_barrier
	v_readfirstlane_b32 s2, v2
	v_readfirstlane_b32 s3, v3
	s_mov_b64 s[8:9], exec
	v_readlane_b32 s36, v38, 26
	v_readlane_b32 s37, v38, 27
	s_and_b64 s[36:37], s[8:9], s[36:37]
	s_mov_b64 exec, s[36:37]
	s_cbranch_execz .LBB85_229
; %bb.228:                              ;   in Loop: Header=BB85_16 Depth=1
	ds_write_b8 v0, v1 offset:3072
.LBB85_229:                             ;   in Loop: Header=BB85_16 Depth=1
	s_or_b64 exec, exec, s[8:9]
	s_or_b32 s27, s27, s46
	s_or_b32 s26, s26, s46
	s_cmp_eq_u64 s[2:3], 0
	s_waitcnt lgkmcnt(0)
	s_barrier
	s_cbranch_scc1 .LBB85_244
; %bb.230:                              ;   in Loop: Header=BB85_16 Depth=1
	v_readlane_b32 s8, v38, 32
	s_add_u32 s38, s8, s2
	v_readlane_b32 s8, v38, 33
	s_addc_u32 s9, s8, s3
	s_mov_b32 s8, s81
	s_cmp_lg_u64 s[8:9], 0
	s_cbranch_scc0 .LBB85_280
; %bb.231:                              ;   in Loop: Header=BB85_16 Depth=1
	v_cvt_f32_u32_e32 v2, s33
	s_sub_u32 s8, 0, s33
	s_subb_u32 s36, 0, 0
	v_mac_f32_e32 v2, 0, v28
	v_rcp_f32_e32 v2, v2
	v_mul_f32_e32 v2, 0x5f7ffffc, v2
	v_mul_f32_e32 v3, 0x2f800000, v2
	v_trunc_f32_e32 v3, v3
	v_mac_f32_e32 v2, 0xcf800000, v3
	v_cvt_u32_f32_e32 v3, v3
	v_cvt_u32_f32_e32 v2, v2
	v_readfirstlane_b32 s37, v3
	v_readfirstlane_b32 s39, v2
	s_mul_i32 s40, s8, s37
	s_mul_hi_u32 s42, s8, s39
	s_mul_i32 s41, s36, s39
	s_add_i32 s40, s42, s40
	s_mul_i32 s43, s8, s39
	s_add_i32 s40, s40, s41
	s_mul_hi_u32 s42, s39, s43
	s_mul_hi_u32 s41, s39, s40
	s_mul_i32 s39, s39, s40
	s_add_u32 s39, s42, s39
	s_addc_u32 s41, 0, s41
	s_mul_hi_u32 s44, s37, s43
	s_mul_i32 s43, s37, s43
	s_add_u32 s39, s39, s43
	s_mul_hi_u32 s42, s37, s40
	s_addc_u32 s39, s41, s44
	s_addc_u32 s41, s42, 0
	s_mul_i32 s40, s37, s40
	s_add_u32 s39, s39, s40
	s_addc_u32 s40, 0, s41
	v_add_co_u32_e32 v2, vcc, s39, v2
	s_cmp_lg_u64 vcc, 0
	s_addc_u32 s37, s37, s40
	v_readfirstlane_b32 s40, v2
	s_mul_i32 s39, s8, s37
	s_mul_hi_u32 s41, s8, s40
	s_add_i32 s39, s41, s39
	s_mul_i32 s36, s36, s40
	s_add_i32 s39, s39, s36
	s_mul_i32 s8, s8, s40
	s_mul_hi_u32 s41, s37, s8
	s_mul_i32 s42, s37, s8
	s_mul_i32 s44, s40, s39
	s_mul_hi_u32 s8, s40, s8
	s_mul_hi_u32 s43, s40, s39
	s_add_u32 s8, s8, s44
	s_addc_u32 s40, 0, s43
	s_add_u32 s8, s8, s42
	s_mul_hi_u32 s36, s37, s39
	s_addc_u32 s8, s40, s41
	s_addc_u32 s36, s36, 0
	s_mul_i32 s39, s37, s39
	s_add_u32 s8, s8, s39
	s_addc_u32 s36, 0, s36
	v_add_co_u32_e32 v2, vcc, s8, v2
	s_cmp_lg_u64 vcc, 0
	s_addc_u32 s8, s37, s36
	v_readfirstlane_b32 s39, v2
	s_mul_i32 s37, s38, s8
	s_mul_hi_u32 s40, s38, s39
	s_mul_hi_u32 s36, s38, s8
	s_add_u32 s37, s40, s37
	s_addc_u32 s36, 0, s36
	s_mul_hi_u32 s41, s9, s39
	s_mul_i32 s39, s9, s39
	s_add_u32 s37, s37, s39
	s_mul_hi_u32 s40, s9, s8
	s_addc_u32 s36, s36, s41
	s_addc_u32 s37, s40, 0
	s_mul_i32 s8, s9, s8
	s_add_u32 s8, s36, s8
	s_addc_u32 s36, 0, s37
	s_mul_hi_u32 s37, s33, s8
	s_mul_i32 s8, s33, s8
	s_mul_i32 s36, s33, s36
	v_mov_b32_e32 v2, s8
	s_add_i32 s37, s37, s36
	v_sub_co_u32_e32 v2, vcc, s38, v2
	s_cmp_lg_u64 vcc, 0
	s_subb_u32 s8, s9, s37
	v_subrev_co_u32_e32 v3, vcc, s33, v2
	s_cmp_lg_u64 vcc, 0
	s_subb_u32 s36, s8, 0
	v_subrev_co_u32_e32 v4, vcc, s33, v3
	s_cmp_lg_u64 vcc, 0
	s_subb_u32 s37, s36, 0
	v_cmp_le_u32_e32 vcc, s33, v3
	s_cmp_eq_u32 s36, 0
	v_cndmask_b32_e64 v5, 0, -1, vcc
	s_cselect_b64 vcc, -1, 0
	v_cndmask_b32_e32 v5, -1, v5, vcc
	v_mov_b32_e32 v6, s36
	v_mov_b32_e32 v7, s37
	v_cmp_ne_u32_e32 vcc, 0, v5
	v_cndmask_b32_e32 v5, v6, v7, vcc
	v_cndmask_b32_e32 v4, v3, v4, vcc
	v_cmp_le_u32_e32 vcc, s33, v2
	s_cmp_eq_u32 s8, 0
	v_cndmask_b32_e64 v3, 0, -1, vcc
	s_cselect_b64 vcc, -1, 0
	v_cndmask_b32_e32 v3, -1, v3, vcc
	v_mov_b32_e32 v6, s8
	v_cmp_ne_u32_e32 vcc, 0, v3
	v_cndmask_b32_e32 v3, v6, v5, vcc
	v_cndmask_b32_e32 v2, v2, v4, vcc
	s_cbranch_execnz .LBB85_233
.LBB85_232:                             ;   in Loop: Header=BB85_16 Depth=1
	v_cvt_f32_u32_e32 v2, s33
	s_sub_i32 s8, 0, s33
	v_rcp_iflag_f32_e32 v2, v2
	v_mul_f32_e32 v2, 0x4f7ffffe, v2
	v_cvt_u32_f32_e32 v2, v2
	v_mul_lo_u32 v3, s8, v2
	v_mul_hi_u32 v3, v2, v3
	v_add_u32_e32 v2, v2, v3
	v_mul_hi_u32 v2, s38, v2
	v_mul_lo_u32 v2, v2, s33
	v_sub_u32_e32 v2, s38, v2
	v_subrev_u32_e32 v3, s33, v2
	v_cmp_le_u32_e32 vcc, s33, v2
	v_cndmask_b32_e32 v2, v2, v3, vcc
	v_subrev_u32_e32 v3, s33, v2
	v_cmp_le_u32_e32 vcc, s33, v2
	v_cndmask_b32_e32 v10, v2, v3, vcc
	v_pk_mov_b32 v[2:3], v[10:11], v[10:11] op_sel:[0,1]
.LBB85_233:                             ;   in Loop: Header=BB85_16 Depth=1
	v_mov_b32_e32 v4, s9
	v_sub_co_u32_e32 v2, vcc, s38, v2
	v_subb_co_u32_e32 v3, vcc, v4, v3, vcc
	v_cmp_gt_u64_e32 vcc, v[2:3], v[0:1]
	s_mov_b64 s[38:39], 0
                                        ; implicit-def: $vgpr29
	s_and_saveexec_b64 s[8:9], vcc
	s_cbranch_execz .LBB85_246
; %bb.234:                              ;   in Loop: Header=BB85_16 Depth=1
	s_mov_b64 s[36:37], 0
	v_mov_b32_e32 v6, v0
	v_pk_mov_b32 v[4:5], v[0:1], v[0:1] op_sel:[0,1]
                                        ; implicit-def: $sgpr38_sgpr39
	s_branch .LBB85_236
.LBB85_235:                             ;   in Loop: Header=BB85_236 Depth=2
	s_or_b64 exec, exec, s[40:41]
	s_waitcnt lgkmcnt(0)
	s_barrier
	ds_read_u16 v7, v11 offset:3072
	v_mov_b32_e32 v8, s55
	v_add_co_u32_e32 v4, vcc, s33, v4
	v_addc_co_u32_e32 v5, vcc, v5, v8, vcc
	s_waitcnt lgkmcnt(0)
	v_cmp_ne_u16_sdwa s[40:41], v7, v1 src0_sel:BYTE_0 src1_sel:DWORD
	v_cmp_ge_u64_e32 vcc, v[4:5], v[2:3]
	s_or_b64 s[42:43], vcc, s[40:41]
	s_and_b64 s[42:43], exec, s[42:43]
	s_or_b64 s[36:37], s[42:43], s[36:37]
	s_andn2_b64 s[38:39], s[38:39], exec
	s_and_b64 s[40:41], s[40:41], exec
	v_add_u32_e32 v6, s33, v6
	s_or_b64 s[38:39], s[38:39], s[40:41]
	s_barrier
	s_andn2_b64 exec, exec, s[36:37]
	s_cbranch_execz .LBB85_245
.LBB85_236:                             ;   Parent Loop BB85_16 Depth=1
                                        ; =>  This Inner Loop Header: Depth=2
	v_cmp_gt_u64_e32 vcc, s[2:3], v[4:5]
	v_mov_b32_e32 v7, 0
	s_and_saveexec_b64 s[40:41], vcc
	s_cbranch_execz .LBB85_238
; %bb.237:                              ;   in Loop: Header=BB85_236 Depth=2
	ds_read_u8 v7, v6
.LBB85_238:                             ;   in Loop: Header=BB85_236 Depth=2
	s_or_b64 exec, exec, s[40:41]
	s_and_saveexec_b64 s[40:41], vcc
	s_cbranch_execz .LBB85_235
; %bb.239:                              ;   in Loop: Header=BB85_236 Depth=2
	s_waitcnt lgkmcnt(0)
	v_add_u32_sdwa v8, sext(v7), s1 dst_sel:DWORD dst_unused:UNUSED_PAD src0_sel:BYTE_0 src1_sel:DWORD
	v_and_b32_e32 v8, s26, v8
	v_cmp_eq_u32_e32 vcc, s27, v8
	s_and_b64 exec, exec, vcc
	s_cbranch_execz .LBB85_235
; %bb.240:                              ;   in Loop: Header=BB85_236 Depth=2
	v_lshlrev_b16_e32 v7, 8, v7
	v_or_b32_e32 v7, 1, v7
	ds_write_b16 v11, v7 offset:3072
	s_branch .LBB85_235
.LBB85_241:                             ;   in Loop: Header=BB85_16 Depth=1
                                        ; implicit-def: $sgpr2_sgpr3
                                        ; implicit-def: $sgpr36_sgpr37
                                        ; implicit-def: $sgpr8_sgpr9
	s_branch .LBB85_260
.LBB85_242:                             ;   in Loop: Header=BB85_16 Depth=1
                                        ; implicit-def: $vgpr2_vgpr3
	s_branch .LBB85_185
.LBB85_243:                             ;   in Loop: Header=BB85_16 Depth=1
                                        ; implicit-def: $vgpr2_vgpr3
	s_branch .LBB85_202
.LBB85_244:                             ;   in Loop: Header=BB85_16 Depth=1
	s_mov_b64 s[2:3], -1
	s_mov_b64 s[38:39], 0
                                        ; implicit-def: $sgpr8_sgpr9
                                        ; implicit-def: $vgpr29
	s_mov_b64 s[36:37], s[2:3]
	s_cbranch_execnz .LBB85_247
	s_branch .LBB85_260
.LBB85_245:                             ;   in Loop: Header=BB85_16 Depth=1
	s_or_b64 exec, exec, s[36:37]
	v_lshrrev_b16_e32 v29, 8, v7
	s_and_b64 s[38:39], s[38:39], exec
.LBB85_246:                             ;   in Loop: Header=BB85_16 Depth=1
	s_or_b64 exec, exec, s[8:9]
	s_mov_b64 s[8:9], -1
	s_mov_b64 s[2:3], 0
	s_mov_b64 s[36:37], s[2:3]
	s_branch .LBB85_260
.LBB85_247:                             ;   in Loop: Header=BB85_16 Depth=1
	s_mov_b32 s88, s81
	s_cmp_lg_u64 s[88:89], 0
	s_cbranch_scc0 .LBB85_281
; %bb.248:                              ;   in Loop: Header=BB85_16 Depth=1
	v_cvt_f32_u32_e32 v2, s33
	s_sub_u32 s2, 0, s33
	s_subb_u32 s3, 0, 0
	v_mac_f32_e32 v2, 0, v28
	v_rcp_f32_e32 v2, v2
	v_mul_f32_e32 v2, 0x5f7ffffc, v2
	v_mul_f32_e32 v3, 0x2f800000, v2
	v_trunc_f32_e32 v3, v3
	v_mac_f32_e32 v2, 0xcf800000, v3
	v_cvt_u32_f32_e32 v3, v3
	v_cvt_u32_f32_e32 v2, v2
	v_readfirstlane_b32 s8, v3
	v_readfirstlane_b32 s9, v2
	s_mul_i32 s36, s2, s8
	s_mul_hi_u32 s38, s2, s9
	s_mul_i32 s37, s3, s9
	s_add_i32 s36, s38, s36
	s_mul_i32 s39, s2, s9
	s_add_i32 s36, s36, s37
	s_mul_hi_u32 s38, s9, s39
	s_mul_hi_u32 s37, s9, s36
	s_mul_i32 s9, s9, s36
	s_add_u32 s9, s38, s9
	s_addc_u32 s37, 0, s37
	s_mul_hi_u32 s40, s8, s39
	s_mul_i32 s39, s8, s39
	s_add_u32 s9, s9, s39
	s_mul_hi_u32 s38, s8, s36
	s_addc_u32 s9, s37, s40
	s_addc_u32 s37, s38, 0
	s_mul_i32 s36, s8, s36
	s_add_u32 s9, s9, s36
	s_addc_u32 s36, 0, s37
	v_add_co_u32_e32 v2, vcc, s9, v2
	s_cmp_lg_u64 vcc, 0
	s_addc_u32 s8, s8, s36
	v_readfirstlane_b32 s36, v2
	s_mul_i32 s9, s2, s8
	s_mul_hi_u32 s37, s2, s36
	s_add_i32 s9, s37, s9
	s_mul_i32 s3, s3, s36
	s_add_i32 s9, s9, s3
	s_mul_i32 s2, s2, s36
	s_mul_hi_u32 s37, s8, s2
	s_mul_i32 s38, s8, s2
	s_mul_i32 s40, s36, s9
	s_mul_hi_u32 s2, s36, s2
	s_mul_hi_u32 s39, s36, s9
	s_add_u32 s2, s2, s40
	s_addc_u32 s36, 0, s39
	s_add_u32 s2, s2, s38
	s_mul_hi_u32 s3, s8, s9
	s_addc_u32 s2, s36, s37
	s_addc_u32 s3, s3, 0
	s_mul_i32 s9, s8, s9
	s_add_u32 s2, s2, s9
	s_addc_u32 s3, 0, s3
	v_add_co_u32_e32 v2, vcc, s2, v2
	s_cmp_lg_u64 vcc, 0
	s_addc_u32 s2, s8, s3
	v_readfirstlane_b32 s9, v2
	s_mul_i32 s8, s54, s2
	s_mul_hi_u32 s36, s54, s9
	s_mul_hi_u32 s3, s54, s2
	s_add_u32 s8, s36, s8
	s_addc_u32 s3, 0, s3
	s_mul_hi_u32 s37, s89, s9
	s_mul_i32 s9, s89, s9
	s_add_u32 s8, s8, s9
	s_mul_hi_u32 s36, s89, s2
	s_addc_u32 s3, s3, s37
	s_addc_u32 s8, s36, 0
	s_mul_i32 s2, s89, s2
	s_add_u32 s2, s3, s2
	s_addc_u32 s3, 0, s8
	s_mul_hi_u32 s8, s33, s2
	s_mul_i32 s2, s33, s2
	s_mul_i32 s3, s33, s3
	v_mov_b32_e32 v2, s2
	s_add_i32 s8, s8, s3
	v_sub_co_u32_e32 v2, vcc, s54, v2
	s_cmp_lg_u64 vcc, 0
	s_subb_u32 s2, s89, s8
	v_subrev_co_u32_e32 v3, vcc, s33, v2
	s_cmp_lg_u64 vcc, 0
	s_subb_u32 s3, s2, 0
	v_subrev_co_u32_e32 v4, vcc, s33, v3
	s_cmp_lg_u64 vcc, 0
	s_subb_u32 s8, s3, 0
	v_cmp_le_u32_e32 vcc, s33, v3
	s_cmp_eq_u32 s3, 0
	v_cndmask_b32_e64 v5, 0, -1, vcc
	s_cselect_b64 vcc, -1, 0
	v_cndmask_b32_e32 v5, -1, v5, vcc
	v_mov_b32_e32 v6, s3
	v_mov_b32_e32 v7, s8
	v_cmp_ne_u32_e32 vcc, 0, v5
	v_cndmask_b32_e32 v5, v6, v7, vcc
	v_cndmask_b32_e32 v4, v3, v4, vcc
	v_cmp_le_u32_e32 vcc, s33, v2
	s_cmp_eq_u32 s2, 0
	v_cndmask_b32_e64 v3, 0, -1, vcc
	s_cselect_b64 vcc, -1, 0
	v_cndmask_b32_e32 v3, -1, v3, vcc
	v_mov_b32_e32 v6, s2
	v_cmp_ne_u32_e32 vcc, 0, v3
	v_cndmask_b32_e32 v3, v6, v5, vcc
	v_cndmask_b32_e32 v2, v2, v4, vcc
	s_cbranch_execnz .LBB85_250
.LBB85_249:                             ;   in Loop: Header=BB85_16 Depth=1
	v_cvt_f32_u32_e32 v2, s33
	s_sub_i32 s2, 0, s33
	v_rcp_iflag_f32_e32 v2, v2
	v_mul_f32_e32 v2, 0x4f7ffffe, v2
	v_cvt_u32_f32_e32 v2, v2
	v_mul_lo_u32 v3, s2, v2
	v_mul_hi_u32 v3, v2, v3
	v_add_u32_e32 v2, v2, v3
	v_mul_hi_u32 v2, s54, v2
	v_mul_lo_u32 v2, v2, s33
	v_sub_u32_e32 v2, s54, v2
	v_subrev_u32_e32 v3, s33, v2
	v_cmp_le_u32_e32 vcc, s33, v2
	v_cndmask_b32_e32 v2, v2, v3, vcc
	v_subrev_u32_e32 v3, s33, v2
	v_cmp_le_u32_e32 vcc, s33, v2
	v_cndmask_b32_e32 v10, v2, v3, vcc
	v_pk_mov_b32 v[2:3], v[10:11], v[10:11] op_sel:[0,1]
.LBB85_250:                             ;   in Loop: Header=BB85_16 Depth=1
	v_mov_b32_e32 v4, s89
	v_sub_co_u32_e32 v2, vcc, s54, v2
	v_subb_co_u32_e32 v3, vcc, v4, v3, vcc
	v_cmp_gt_u64_e32 vcc, v[2:3], v[0:1]
	s_mov_b64 s[38:39], 0
                                        ; implicit-def: $vgpr29
	s_and_saveexec_b64 s[2:3], vcc
	s_cbranch_execz .LBB85_259
; %bb.251:                              ;   in Loop: Header=BB85_16 Depth=1
	s_mov_b64 s[8:9], 0
	v_pk_mov_b32 v[4:5], v[0:1], v[0:1] op_sel:[0,1]
                                        ; implicit-def: $sgpr36_sgpr37
	s_branch .LBB85_253
.LBB85_252:                             ;   in Loop: Header=BB85_253 Depth=2
	s_or_b64 exec, exec, s[38:39]
	s_waitcnt lgkmcnt(0)
	s_barrier
	s_waitcnt vmcnt(0)
	ds_read_u16 v6, v11 offset:3072
	v_mov_b32_e32 v7, s55
	v_add_co_u32_e32 v4, vcc, s33, v4
	v_addc_co_u32_e32 v5, vcc, v5, v7, vcc
	s_waitcnt lgkmcnt(0)
	v_cmp_ne_u16_sdwa s[38:39], v6, v1 src0_sel:BYTE_0 src1_sel:DWORD
	v_cmp_ge_u64_e32 vcc, v[4:5], v[2:3]
	s_or_b64 s[40:41], vcc, s[38:39]
	s_and_b64 s[40:41], exec, s[40:41]
	s_or_b64 s[8:9], s[40:41], s[8:9]
	s_andn2_b64 s[36:37], s[36:37], exec
	s_and_b64 s[38:39], s[38:39], exec
	s_or_b64 s[36:37], s[36:37], s[38:39]
	s_barrier
	s_andn2_b64 exec, exec, s[8:9]
	s_cbranch_execz .LBB85_258
.LBB85_253:                             ;   Parent Loop BB85_16 Depth=1
                                        ; =>  This Inner Loop Header: Depth=2
	v_cmp_gt_u64_e32 vcc, s[52:53], v[4:5]
	v_mov_b32_e32 v6, 0
	s_and_saveexec_b64 s[38:39], vcc
	s_cbranch_execz .LBB85_255
; %bb.254:                              ;   in Loop: Header=BB85_253 Depth=2
	v_pk_mov_b32 v[6:7], s[78:79], s[78:79] op_sel:[0,1]
	v_mad_u64_u32 v[6:7], s[40:41], v4, s68, v[6:7]
	v_mul_lo_u32 v8, v4, s69
	v_mul_lo_u32 v9, v5, s68
	v_add3_u32 v7, v9, v7, v8
	global_load_ubyte v6, v[6:7], off
.LBB85_255:                             ;   in Loop: Header=BB85_253 Depth=2
	s_or_b64 exec, exec, s[38:39]
	s_and_saveexec_b64 s[38:39], vcc
	s_cbranch_execz .LBB85_252
; %bb.256:                              ;   in Loop: Header=BB85_253 Depth=2
	s_waitcnt vmcnt(0)
	v_add_u32_sdwa v7, sext(v6), s1 dst_sel:DWORD dst_unused:UNUSED_PAD src0_sel:BYTE_0 src1_sel:DWORD
	v_and_b32_e32 v7, s26, v7
	v_cmp_eq_u32_e32 vcc, s27, v7
	s_and_b64 exec, exec, vcc
	s_cbranch_execz .LBB85_252
; %bb.257:                              ;   in Loop: Header=BB85_253 Depth=2
	v_lshlrev_b16_e32 v6, 8, v6
	v_or_b32_e32 v6, 1, v6
	ds_write_b16 v11, v6 offset:3072
	s_branch .LBB85_252
.LBB85_258:                             ;   in Loop: Header=BB85_16 Depth=1
	s_or_b64 exec, exec, s[8:9]
	v_lshrrev_b16_e32 v29, 8, v6
	s_and_b64 s[38:39], s[36:37], exec
.LBB85_259:                             ;   in Loop: Header=BB85_16 Depth=1
	s_or_b64 exec, exec, s[2:3]
	s_mov_b64 s[36:37], -1
	s_mov_b64 s[2:3], 0
	s_mov_b64 s[8:9], 0
.LBB85_260:                             ;   in Loop: Header=BB85_16 Depth=1
	s_mov_b64 s[42:43], 0
                                        ; implicit-def: $sgpr47
                                        ; implicit-def: $sgpr44_sgpr45
	s_and_saveexec_b64 s[40:41], s[38:39]
	s_cbranch_execz .LBB85_273
; %bb.261:                              ;   in Loop: Header=BB85_16 Depth=1
	s_xor_b64 s[14:15], s[14:15], -1
	s_mov_b64 s[44:45], 1
	s_andn2_b64 vcc, exec, s[14:15]
	s_mov_b32 s47, 1
	s_cbranch_vccnz .LBB85_272
; %bb.262:                              ;   in Loop: Header=BB85_16 Depth=1
	v_pk_mov_b32 v[2:3], s[6:7], s[6:7] op_sel:[0,1]
	v_cmp_gt_u64_e32 vcc, s[84:85], v[2:3]
	s_cbranch_vccnz .LBB85_268
; %bb.263:                              ;   in Loop: Header=BB85_16 Depth=1
	ds_read_b64 v[2:3], v11 offset:5120
	s_waitcnt lgkmcnt(0)
	v_cmp_ne_u64_e32 vcc, 0, v[2:3]
	s_cbranch_vccnz .LBB85_267
; %bb.264:                              ;   in Loop: Header=BB85_16 Depth=1
	s_mov_b64 s[14:15], exec
	v_readlane_b32 s38, v38, 8
	v_readlane_b32 s39, v38, 9
	s_and_b64 s[38:39], s[14:15], s[38:39]
	s_mov_b64 exec, s[38:39]
	s_cbranch_execz .LBB85_266
; %bb.265:                              ;   in Loop: Header=BB85_16 Depth=1
	v_pk_mov_b32 v[2:3], s[6:7], s[6:7] op_sel:[0,1]
	ds_write_b64 v11, v[2:3] offset:5128
.LBB85_266:                             ;   in Loop: Header=BB85_16 Depth=1
	s_or_b64 exec, exec, s[14:15]
	s_waitcnt lgkmcnt(0)
	s_barrier
.LBB85_267:                             ;   in Loop: Header=BB85_16 Depth=1
	s_or_b32 s38, s27, s46
	s_or_b32 s39, s26, s46
	s_mov_b64 s[14:15], 0
	s_mov_b32 s47, 8
	s_branch .LBB85_269
.LBB85_268:                             ;   in Loop: Header=BB85_16 Depth=1
	s_mov_b64 s[14:15], -1
                                        ; implicit-def: $sgpr47
                                        ; implicit-def: $sgpr38
                                        ; implicit-def: $sgpr39
.LBB85_269:                             ;   in Loop: Header=BB85_16 Depth=1
	s_andn2_b64 vcc, exec, s[14:15]
	s_cbranch_vccnz .LBB85_271
; %bb.270:                              ;   in Loop: Header=BB85_16 Depth=1
	s_sub_u32 s84, s84, s6
	s_subb_u32 s85, s85, s7
	s_mov_b32 s47, 8
	s_mov_b32 s38, s27
	s_mov_b32 s39, s26
.LBB85_271:                             ;   in Loop: Header=BB85_16 Depth=1
	s_mov_b64 s[44:45], s[84:85]
	s_mov_b32 s27, s38
	s_mov_b32 s26, s39
.LBB85_272:                             ;   in Loop: Header=BB85_16 Depth=1
	s_mov_b64 s[42:43], exec
.LBB85_273:                             ;   in Loop: Header=BB85_16 Depth=1
	s_or_b64 exec, exec, s[40:41]
	s_mov_b64 s[84:85], s[44:45]
.LBB85_274:                             ;   in Loop: Header=BB85_16 Depth=1
	s_andn2_b64 s[6:7], s[24:25], exec
	s_and_b64 s[2:3], s[2:3], exec
	s_or_b64 s[24:25], s[6:7], s[2:3]
	s_andn2_b64 s[2:3], s[30:31], exec
	s_and_b64 s[6:7], s[36:37], exec
	s_or_b64 s[30:31], s[2:3], s[6:7]
	;; [unrolled: 3-line block ×3, first 2 shown]
	s_and_b64 s[2:3], s[42:43], exec
.LBB85_275:                             ;   in Loop: Header=BB85_16 Depth=1
	s_or_b64 exec, exec, s[34:35]
.LBB85_276:                             ;   in Loop: Header=BB85_16 Depth=1
	s_andn2_b64 s[6:7], s[18:19], exec
	s_and_b64 s[8:9], s[24:25], exec
	s_or_b64 s[18:19], s[6:7], s[8:9]
	s_andn2_b64 s[6:7], s[20:21], exec
	s_and_b64 s[8:9], s[30:31], exec
	s_or_b64 s[20:21], s[6:7], s[8:9]
	;; [unrolled: 3-line block ×3, first 2 shown]
	s_and_b64 s[2:3], s[2:3], exec
.LBB85_277:                             ;   in Loop: Header=BB85_16 Depth=1
	s_or_b64 exec, exec, s[22:23]
	s_and_saveexec_b64 s[6:7], s[2:3]
	s_xor_b64 s[2:3], exec, s[6:7]
	s_cbranch_execz .LBB85_14
.LBB85_278:                             ;   in Loop: Header=BB85_16 Depth=1
	s_and_b32 s6, s47, -9
	s_cmp_eq_u32 s6, 0
	s_cbranch_scc1 .LBB85_12
; %bb.279:                              ;   in Loop: Header=BB85_16 Depth=1
	s_mov_b64 s[6:7], -1
                                        ; implicit-def: $sgpr26
                                        ; implicit-def: $sgpr84_sgpr85
                                        ; implicit-def: $sgpr86
                                        ; implicit-def: $sgpr87
	s_mov_b64 s[8:9], -1
	s_branch .LBB85_13
.LBB85_280:                             ;   in Loop: Header=BB85_16 Depth=1
                                        ; implicit-def: $vgpr2_vgpr3
	s_branch .LBB85_232
.LBB85_281:                             ;   in Loop: Header=BB85_16 Depth=1
                                        ; implicit-def: $vgpr2_vgpr3
	s_branch .LBB85_249
.LBB85_282:
	s_or_b64 exec, exec, s[72:73]
	s_xor_b64 s[6:7], s[60:61], -1
	s_xor_b64 s[0:1], s[58:59], -1
	;; [unrolled: 1-line block ×3, first 2 shown]
	s_mov_b64 s[2:3], 0
	s_and_saveexec_b64 s[8:9], s[0:1]
	s_xor_b64 s[0:1], exec, s[8:9]
	s_cbranch_execnz .LBB85_287
; %bb.283:
	s_andn2_saveexec_b64 s[0:1], s[0:1]
	s_cbranch_execnz .LBB85_300
.LBB85_284:
	s_or_b64 exec, exec, s[0:1]
	s_and_saveexec_b64 s[0:1], s[2:3]
.LBB85_285:
	; divergent unreachable
.LBB85_286:
	s_endpgm
.LBB85_287:
	s_and_saveexec_b64 s[2:3], s[6:7]
	s_xor_b64 s[2:3], exec, s[2:3]
	s_cbranch_execz .LBB85_298
; %bb.288:
	s_and_saveexec_b64 s[6:7], s[4:5]
	s_xor_b64 s[4:5], exec, s[6:7]
; %bb.289:
	v_xor_b32_e32 v29, 0xffffff80, v2
; %bb.290:
	s_or_b64 exec, exec, s[4:5]
	v_readlane_b32 s6, v38, 2
	v_readlane_b32 s4, v38, 0
	;; [unrolled: 1-line block ×4, first 2 shown]
	s_mov_b32 s8, s4
	s_mul_i32 s4, s4, s7
	s_mul_hi_u32 s5, s8, s6
	s_add_i32 s5, s5, s4
	s_mul_i32 s4, s8, s6
	v_readlane_b32 s18, v38, 22
	v_readlane_b32 s12, v38, 18
	s_sub_u32 s4, s18, s4
	v_readlane_b32 s14, v38, 20
	v_readlane_b32 s15, v38, 21
	s_subb_u32 s5, 0, s5
	s_mul_i32 s6, s4, s15
	s_mul_hi_u32 s7, s4, s14
	v_readlane_b32 s13, v38, 19
	s_add_i32 s6, s7, s6
	s_mul_i32 s5, s5, s14
	s_add_i32 s6, s6, s5
	s_mul_i32 s5, s8, s13
	s_mul_hi_u32 s7, s8, s12
	s_add_i32 s7, s7, s5
	s_mul_i32 s5, s8, s12
	v_readlane_b32 s8, v38, 12
	v_readlane_b32 s9, v38, 13
	s_add_u32 s5, s8, s5
	s_mul_i32 s4, s4, s14
	s_addc_u32 s7, s9, s7
	s_add_u32 s4, s5, s4
	s_addc_u32 s5, s7, s6
	v_mov_b32_e32 v2, 0
	v_readlane_b32 s19, v38, 23
	global_store_byte v2, v29, s[4:5]
	s_mov_b64 s[4:5], exec
	v_readlane_b32 s6, v38, 24
	v_readlane_b32 s7, v38, 25
	s_and_b64 s[6:7], s[4:5], s[6:7]
	s_mov_b64 exec, s[6:7]
	s_cbranch_execz .LBB85_297
; %bb.291:
	s_mov_b64 s[6:7], 0
	v_pk_mov_b32 v[4:5], s[78:79], s[78:79] op_sel:[0,1]
                                        ; implicit-def: $sgpr8_sgpr9
                                        ; implicit-def: $sgpr12_sgpr13
                                        ; implicit-def: $sgpr10_sgpr11
	s_branch .LBB85_293
.LBB85_292:                             ;   in Loop: Header=BB85_293 Depth=1
	s_or_b64 exec, exec, s[14:15]
	s_and_b64 s[14:15], exec, s[12:13]
	s_or_b64 s[6:7], s[14:15], s[6:7]
	s_andn2_b64 s[8:9], s[8:9], exec
	s_and_b64 s[14:15], s[10:11], exec
	s_or_b64 s[8:9], s[8:9], s[14:15]
	s_andn2_b64 exec, exec, s[6:7]
	s_cbranch_execz .LBB85_295
.LBB85_293:                             ; =>This Inner Loop Header: Depth=1
	v_pk_mov_b32 v[2:3], v[0:1], v[0:1] op_sel:[0,1]
	v_mad_u64_u32 v[0:1], s[14:15], v2, s68, v[4:5]
	v_mul_lo_u32 v6, v2, s69
	v_mul_lo_u32 v7, v3, s68
	v_add3_u32 v1, v7, v1, v6
	global_load_ubyte v0, v[0:1], off
	s_or_b64 s[10:11], s[10:11], exec
	s_or_b64 s[12:13], s[12:13], exec
	s_waitcnt vmcnt(0)
	v_cmp_ne_u16_sdwa s[16:17], v0, v29 src0_sel:DWORD src1_sel:BYTE_0
                                        ; implicit-def: $vgpr0_vgpr1
	s_and_saveexec_b64 s[14:15], s[16:17]
	s_cbranch_execz .LBB85_292
; %bb.294:                              ;   in Loop: Header=BB85_293 Depth=1
	v_mov_b32_e32 v1, s55
	v_add_co_u32_e32 v0, vcc, s33, v2
	v_addc_co_u32_e32 v1, vcc, v3, v1, vcc
	v_cmp_le_u64_e32 vcc, s[52:53], v[0:1]
	s_andn2_b64 s[12:13], s[12:13], exec
	s_and_b64 s[16:17], vcc, exec
	s_andn2_b64 s[10:11], s[10:11], exec
	s_or_b64 s[12:13], s[12:13], s[16:17]
	s_branch .LBB85_292
.LBB85_295:
	s_or_b64 exec, exec, s[6:7]
	s_and_saveexec_b64 s[6:7], s[8:9]
	s_xor_b64 s[6:7], exec, s[6:7]
	s_cbranch_execz .LBB85_297
; %bb.296:
	v_readlane_b32 s8, v38, 6
	v_readlane_b32 s6, v38, 4
	;; [unrolled: 1-line block ×4, first 2 shown]
	s_mov_b32 s10, s6
	s_mul_i32 s6, s6, s9
	s_mul_hi_u32 s7, s10, s8
	s_add_i32 s7, s7, s6
	s_mul_i32 s6, s10, s8
	v_readlane_b32 s12, v38, 14
	s_sub_u32 s6, s18, s6
	v_readlane_b32 s14, v38, 16
	v_readlane_b32 s15, v38, 17
	s_subb_u32 s7, 0, s7
	s_mul_i32 s8, s6, s15
	s_mul_hi_u32 s9, s6, s14
	v_readlane_b32 s13, v38, 15
	s_add_i32 s8, s9, s8
	s_mul_i32 s7, s7, s14
	s_add_i32 s7, s8, s7
	s_mul_i32 s8, s10, s13
	s_mul_hi_u32 s9, s10, s12
	s_add_i32 s9, s9, s8
	s_mul_i32 s8, s10, s12
	s_lshl_b64 s[8:9], s[8:9], 3
	v_readlane_b32 s10, v38, 10
	s_mul_i32 s6, s6, s14
	v_readlane_b32 s11, v38, 11
	s_add_u32 s8, s10, s8
	s_addc_u32 s9, s11, s9
	s_lshl_b64 s[6:7], s[6:7], 3
	s_add_u32 s6, s8, s6
	s_addc_u32 s7, s9, s7
	v_mov_b32_e32 v0, 0
	global_store_dwordx2 v0, v[2:3], s[6:7]
.LBB85_297:
	s_or_b64 exec, exec, s[4:5]
.LBB85_298:
	s_or_saveexec_b64 s[2:3], s[2:3]
	s_mov_b64 s[4:5], 0
	s_xor_b64 exec, exec, s[2:3]
	s_cbranch_execnz .LBB85_301
.LBB85_299:
	s_or_b64 exec, exec, s[2:3]
	s_and_b64 s[2:3], s[4:5], exec
	s_andn2_saveexec_b64 s[0:1], s[0:1]
	s_cbranch_execz .LBB85_284
.LBB85_300:
	s_or_b64 s[2:3], s[2:3], exec
	s_trap 2
	s_or_b64 exec, exec, s[0:1]
	s_and_saveexec_b64 s[0:1], s[2:3]
	s_cbranch_execnz .LBB85_285
	s_branch .LBB85_286
.LBB85_301:
	s_mov_b64 s[4:5], exec
	s_trap 2
	s_branch .LBB85_299
	.section	.rodata,"a",@progbits
	.p2align	6, 0x0
	.amdhsa_kernel _ZN2at6native12_GLOBAL__N_112gatherMedianIamLi2EEEvNS_4cuda6detail10TensorInfoIT_T0_EENS5_IlS7_EENS5_IKS6_S7_EES7_S7_S7_b
		.amdhsa_group_segment_fixed_size 5152
		.amdhsa_private_segment_fixed_size 0
		.amdhsa_kernarg_size 1536
		.amdhsa_user_sgpr_count 6
		.amdhsa_user_sgpr_private_segment_buffer 1
		.amdhsa_user_sgpr_dispatch_ptr 0
		.amdhsa_user_sgpr_queue_ptr 0
		.amdhsa_user_sgpr_kernarg_segment_ptr 1
		.amdhsa_user_sgpr_dispatch_id 0
		.amdhsa_user_sgpr_flat_scratch_init 0
		.amdhsa_user_sgpr_kernarg_preload_length 0
		.amdhsa_user_sgpr_kernarg_preload_offset 0
		.amdhsa_user_sgpr_private_segment_size 0
		.amdhsa_uses_dynamic_stack 0
		.amdhsa_system_sgpr_private_segment_wavefront_offset 0
		.amdhsa_system_sgpr_workgroup_id_x 1
		.amdhsa_system_sgpr_workgroup_id_y 1
		.amdhsa_system_sgpr_workgroup_id_z 1
		.amdhsa_system_sgpr_workgroup_info 0
		.amdhsa_system_vgpr_workitem_id 0
		.amdhsa_next_free_vgpr 39
		.amdhsa_next_free_sgpr 96
		.amdhsa_accum_offset 40
		.amdhsa_reserve_vcc 1
		.amdhsa_reserve_flat_scratch 0
		.amdhsa_float_round_mode_32 0
		.amdhsa_float_round_mode_16_64 0
		.amdhsa_float_denorm_mode_32 3
		.amdhsa_float_denorm_mode_16_64 3
		.amdhsa_dx10_clamp 1
		.amdhsa_ieee_mode 1
		.amdhsa_fp16_overflow 0
		.amdhsa_tg_split 0
		.amdhsa_exception_fp_ieee_invalid_op 0
		.amdhsa_exception_fp_denorm_src 0
		.amdhsa_exception_fp_ieee_div_zero 0
		.amdhsa_exception_fp_ieee_overflow 0
		.amdhsa_exception_fp_ieee_underflow 0
		.amdhsa_exception_fp_ieee_inexact 0
		.amdhsa_exception_int_div_zero 0
	.end_amdhsa_kernel
	.section	.text._ZN2at6native12_GLOBAL__N_112gatherMedianIamLi2EEEvNS_4cuda6detail10TensorInfoIT_T0_EENS5_IlS7_EENS5_IKS6_S7_EES7_S7_S7_b,"axG",@progbits,_ZN2at6native12_GLOBAL__N_112gatherMedianIamLi2EEEvNS_4cuda6detail10TensorInfoIT_T0_EENS5_IlS7_EENS5_IKS6_S7_EES7_S7_S7_b,comdat
.Lfunc_end85:
	.size	_ZN2at6native12_GLOBAL__N_112gatherMedianIamLi2EEEvNS_4cuda6detail10TensorInfoIT_T0_EENS5_IlS7_EENS5_IKS6_S7_EES7_S7_S7_b, .Lfunc_end85-_ZN2at6native12_GLOBAL__N_112gatherMedianIamLi2EEEvNS_4cuda6detail10TensorInfoIT_T0_EENS5_IlS7_EENS5_IKS6_S7_EES7_S7_S7_b
                                        ; -- End function
	.section	.AMDGPU.csdata,"",@progbits
; Kernel info:
; codeLenInByte = 15512
; NumSgprs: 100
; NumVgprs: 39
; NumAgprs: 0
; TotalNumVgprs: 39
; ScratchSize: 0
; MemoryBound: 0
; FloatMode: 240
; IeeeMode: 1
; LDSByteSize: 5152 bytes/workgroup (compile time only)
; SGPRBlocks: 12
; VGPRBlocks: 4
; NumSGPRsForWavesPerEU: 100
; NumVGPRsForWavesPerEU: 39
; AccumOffset: 40
; Occupancy: 8
; WaveLimiterHint : 1
; COMPUTE_PGM_RSRC2:SCRATCH_EN: 0
; COMPUTE_PGM_RSRC2:USER_SGPR: 6
; COMPUTE_PGM_RSRC2:TRAP_HANDLER: 0
; COMPUTE_PGM_RSRC2:TGID_X_EN: 1
; COMPUTE_PGM_RSRC2:TGID_Y_EN: 1
; COMPUTE_PGM_RSRC2:TGID_Z_EN: 1
; COMPUTE_PGM_RSRC2:TIDIG_COMP_CNT: 0
; COMPUTE_PGM_RSRC3_GFX90A:ACCUM_OFFSET: 9
; COMPUTE_PGM_RSRC3_GFX90A:TG_SPLIT: 0
	.section	.text._ZN2at6native12_GLOBAL__N_112gatherMedianIamLi3EEEvNS_4cuda6detail10TensorInfoIT_T0_EENS5_IlS7_EENS5_IKS6_S7_EES7_S7_S7_b,"axG",@progbits,_ZN2at6native12_GLOBAL__N_112gatherMedianIamLi3EEEvNS_4cuda6detail10TensorInfoIT_T0_EENS5_IlS7_EENS5_IKS6_S7_EES7_S7_S7_b,comdat
	.globl	_ZN2at6native12_GLOBAL__N_112gatherMedianIamLi3EEEvNS_4cuda6detail10TensorInfoIT_T0_EENS5_IlS7_EENS5_IKS6_S7_EES7_S7_S7_b ; -- Begin function _ZN2at6native12_GLOBAL__N_112gatherMedianIamLi3EEEvNS_4cuda6detail10TensorInfoIT_T0_EENS5_IlS7_EENS5_IKS6_S7_EES7_S7_S7_b
	.p2align	8
	.type	_ZN2at6native12_GLOBAL__N_112gatherMedianIamLi3EEEvNS_4cuda6detail10TensorInfoIT_T0_EENS5_IlS7_EENS5_IKS6_S7_EES7_S7_S7_b,@function
_ZN2at6native12_GLOBAL__N_112gatherMedianIamLi3EEEvNS_4cuda6detail10TensorInfoIT_T0_EENS5_IlS7_EENS5_IKS6_S7_EES7_S7_S7_b: ; @_ZN2at6native12_GLOBAL__N_112gatherMedianIamLi3EEEvNS_4cuda6detail10TensorInfoIT_T0_EENS5_IlS7_EENS5_IKS6_S7_EES7_S7_S7_b
; %bb.0:
	s_load_dwordx4 s[52:55], s[4:5], 0x4e0
	s_load_dwordx2 s[16:17], s[4:5], 0x500
	s_add_u32 s18, s4, 0x500
	s_addc_u32 s19, s5, 0
	s_mov_b32 s31, 0
	s_waitcnt lgkmcnt(0)
	v_mov_b32_e32 v2, s54
	s_mul_i32 s0, s17, s8
	s_add_i32 s0, s0, s7
	s_mul_i32 s0, s0, s16
	v_mov_b32_e32 v3, s55
	s_add_i32 s30, s0, s6
	v_cmp_ge_u64_e32 vcc, s[30:31], v[2:3]
	s_cbranch_vccnz .LBB86_292
; %bb.1:
	s_load_dwordx4 s[8:11], s[4:5], 0x10
	s_mov_b64 s[0:1], 0
                                        ; implicit-def: $vgpr38 : SGPR spill to VGPR lane
	v_writelane_b32 v38, s0, 0
	v_writelane_b32 v38, s1, 1
	s_waitcnt lgkmcnt(0)
	v_pk_mov_b32 v[2:3], s[10:11], s[10:11] op_sel:[0,1]
	v_cmp_lt_u64_e32 vcc, s[30:31], v[2:3]
	s_mov_b64 s[0:1], 0
	s_cbranch_vccnz .LBB86_3
; %bb.2:
	v_cvt_f32_u32_e32 v1, s10
	s_sub_i32 s0, 0, s10
	s_mov_b32 s13, 0
	v_rcp_iflag_f32_e32 v1, v1
	v_mul_f32_e32 v1, 0x4f7ffffe, v1
	v_cvt_u32_f32_e32 v1, v1
	v_readfirstlane_b32 s1, v1
	s_mul_i32 s0, s0, s1
	s_mul_hi_u32 s0, s1, s0
	s_add_i32 s1, s1, s0
	s_mul_hi_u32 s0, s30, s1
	s_mul_i32 s2, s0, s10
	s_sub_i32 s2, s30, s2
	s_add_i32 s1, s0, 1
	s_sub_i32 s3, s2, s10
	s_cmp_ge_u32 s2, s10
	s_cselect_b32 s0, s1, s0
	s_cselect_b32 s2, s3, s2
	s_add_i32 s1, s0, 1
	s_cmp_ge_u32 s2, s10
	s_cselect_b32 s12, s1, s0
	s_mov_b64 s[0:1], s[12:13]
.LBB86_3:
	s_mov_b64 s[12:13], s[0:1]
	s_load_dwordx4 s[0:3], s[4:5], 0x1b0
	v_writelane_b32 v38, s12, 2
	v_writelane_b32 v38, s13, 3
	v_pk_mov_b32 v[2:3], s[8:9], s[8:9] op_sel:[0,1]
	v_cmp_lt_u64_e32 vcc, s[12:13], v[2:3]
	s_waitcnt lgkmcnt(0)
	v_writelane_b32 v38, s0, 4
	v_writelane_b32 v38, s1, 5
	v_writelane_b32 v38, s2, 6
	v_writelane_b32 v38, s3, 7
	s_cbranch_vccnz .LBB86_5
; %bb.4:
	v_cvt_f32_u32_e32 v1, s8
	s_sub_i32 s0, 0, s8
	v_readlane_b32 s12, v38, 2
	v_readlane_b32 s13, v38, 3
	v_rcp_iflag_f32_e32 v1, v1
	v_mul_f32_e32 v1, 0x4f7ffffe, v1
	v_cvt_u32_f32_e32 v1, v1
	v_readfirstlane_b32 s1, v1
	s_mul_i32 s0, s0, s1
	s_mul_hi_u32 s0, s1, s0
	s_add_i32 s1, s1, s0
	s_mul_hi_u32 s0, s12, s1
	s_mul_i32 s2, s0, s8
	s_sub_i32 s2, s12, s2
	s_add_i32 s1, s0, 1
	s_sub_i32 s3, s2, s8
	s_cmp_ge_u32 s2, s8
	s_cselect_b32 s0, s1, s0
	s_cselect_b32 s2, s3, s2
	s_add_i32 s1, s0, 1
	s_cmp_ge_u32 s2, s8
	s_cselect_b32 s0, s1, s0
	v_writelane_b32 v38, s0, 0
	v_writelane_b32 v38, s1, 1
	s_load_dwordx4 s[0:3], s[4:5], 0x1b0
.LBB86_5:
	v_writelane_b32 v38, s8, 8
	s_waitcnt lgkmcnt(0)
	v_pk_mov_b32 v[2:3], s[2:3], s[2:3] op_sel:[0,1]
	v_writelane_b32 v38, s9, 9
	v_cmp_lt_u64_e32 vcc, s[30:31], v[2:3]
	v_writelane_b32 v38, s10, 10
	s_mov_b64 s[14:15], 0
	s_mov_b64 s[12:13], 0
	v_writelane_b32 v38, s11, 11
	s_cbranch_vccnz .LBB86_7
; %bb.6:
	v_cvt_f32_u32_e32 v1, s2
	s_load_dwordx4 s[0:3], s[4:5], 0x1b0
	s_load_dwordx4 s[8:11], s[4:5], 0x1b0
	s_mov_b32 s13, 0
	v_rcp_iflag_f32_e32 v1, v1
	s_waitcnt lgkmcnt(0)
	s_sub_i32 s0, 0, s2
	v_mul_f32_e32 v1, 0x4f7ffffe, v1
	v_cvt_u32_f32_e32 v1, v1
	v_readfirstlane_b32 s1, v1
	s_mul_i32 s0, s0, s1
	s_mul_hi_u32 s0, s1, s0
	s_add_i32 s1, s1, s0
	s_mul_hi_u32 s0, s30, s1
	s_mul_i32 s2, s0, s10
	s_load_dwordx4 s[8:11], s[4:5], 0x1b0
	s_sub_i32 s2, s30, s2
	s_add_i32 s1, s0, 1
	s_waitcnt lgkmcnt(0)
	s_sub_i32 s3, s2, s10
	s_load_dwordx4 s[8:11], s[4:5], 0x1b0
	s_waitcnt lgkmcnt(0)
	s_cmp_ge_u32 s2, s10
	s_load_dwordx4 s[8:11], s[4:5], 0x1b0
	s_cselect_b32 s0, s1, s0
	s_cselect_b32 s2, s3, s2
	s_add_i32 s1, s0, 1
	s_waitcnt lgkmcnt(0)
	s_cmp_ge_u32 s2, s10
	s_cselect_b32 s12, s1, s0
	s_load_dwordx4 s[0:3], s[4:5], 0x1b0
.LBB86_7:
	s_load_dwordx4 s[8:11], s[4:5], 0x350
	s_waitcnt lgkmcnt(0)
	v_pk_mov_b32 v[2:3], s[0:1], s[0:1] op_sel:[0,1]
	v_writelane_b32 v38, s12, 12
	v_cmp_lt_u64_e32 vcc, s[12:13], v[2:3]
	v_writelane_b32 v38, s13, 13
	s_cbranch_vccnz .LBB86_9
; %bb.8:
	s_load_dwordx4 s[12:15], s[4:5], 0x1b0
	s_waitcnt lgkmcnt(0)
	v_readlane_b32 s14, v38, 12
	v_readlane_b32 s15, v38, 13
	v_cvt_f32_u32_e32 v1, s12
	s_sub_i32 s0, 0, s12
	v_rcp_iflag_f32_e32 v1, v1
	v_mul_f32_e32 v1, 0x4f7ffffe, v1
	v_cvt_u32_f32_e32 v1, v1
	v_readfirstlane_b32 s1, v1
	s_mul_i32 s0, s0, s1
	s_mul_hi_u32 s0, s1, s0
	s_add_i32 s1, s1, s0
	s_mul_hi_u32 s0, s14, s1
	s_mul_i32 s2, s0, s12
	s_sub_i32 s2, s14, s2
	s_add_i32 s1, s0, 1
	s_sub_i32 s3, s2, s12
	s_cmp_ge_u32 s2, s12
	s_cselect_b32 s0, s1, s0
	s_cselect_b32 s2, s3, s2
	s_add_i32 s1, s0, 1
	s_cmp_ge_u32 s2, s12
	s_cselect_b32 s14, s1, s0
.LBB86_9:
	s_load_dwordx2 s[80:81], s[4:5], 0x4f0
	v_pk_mov_b32 v[2:3], s[10:11], s[10:11] op_sel:[0,1]
	v_cmp_lt_u64_e32 vcc, s[30:31], v[2:3]
	v_writelane_b32 v38, s14, 14
	s_mov_b64 s[20:21], 0
	s_mov_b64 s[2:3], 0
	v_writelane_b32 v38, s15, 15
	s_cbranch_vccnz .LBB86_11
; %bb.10:
	v_cvt_f32_u32_e32 v1, s10
	s_sub_i32 s0, 0, s10
	s_mov_b32 s3, 0
	v_rcp_iflag_f32_e32 v1, v1
	v_mul_f32_e32 v1, 0x4f7ffffe, v1
	v_cvt_u32_f32_e32 v1, v1
	v_readfirstlane_b32 s1, v1
	s_mul_i32 s0, s0, s1
	s_mul_hi_u32 s0, s1, s0
	s_add_i32 s1, s1, s0
	s_mul_hi_u32 s0, s30, s1
	s_mul_i32 s2, s0, s10
	s_sub_i32 s2, s30, s2
	s_add_i32 s1, s0, 1
	s_sub_i32 s7, s2, s10
	s_cmp_ge_u32 s2, s10
	s_cselect_b32 s0, s1, s0
	s_cselect_b32 s2, s7, s2
	s_add_i32 s1, s0, 1
	s_cmp_ge_u32 s2, s10
	s_cselect_b32 s2, s1, s0
.LBB86_11:
	s_load_dwordx2 s[22:23], s[4:5], 0x420
	s_load_dwordx4 s[12:15], s[4:5], 0x410
	v_pk_mov_b32 v[2:3], s[8:9], s[8:9] op_sel:[0,1]
	v_cmp_lt_u64_e32 vcc, s[2:3], v[2:3]
	s_cbranch_vccnz .LBB86_13
; %bb.12:
	v_cvt_f32_u32_e32 v1, s8
	s_sub_i32 s0, 0, s8
	v_rcp_iflag_f32_e32 v1, v1
	v_mul_f32_e32 v1, 0x4f7ffffe, v1
	v_cvt_u32_f32_e32 v1, v1
	v_readfirstlane_b32 s1, v1
	s_mul_i32 s0, s0, s1
	s_mul_hi_u32 s0, s1, s0
	s_add_i32 s1, s1, s0
	s_mul_hi_u32 s0, s2, s1
	s_mul_i32 s7, s0, s8
	s_sub_i32 s7, s2, s7
	s_add_i32 s1, s0, 1
	s_sub_i32 s17, s7, s8
	s_cmp_ge_u32 s7, s8
	s_cselect_b32 s0, s1, s0
	s_cselect_b32 s7, s17, s7
	s_add_i32 s1, s0, 1
	s_cmp_ge_u32 s7, s8
	s_cselect_b32 s20, s1, s0
.LBB86_13:
	s_load_dwordx2 s[0:1], s[4:5], 0x280
	s_load_dwordx4 s[24:27], s[4:5], 0x270
	s_waitcnt lgkmcnt(0)
	v_writelane_b32 v38, s0, 16
	v_writelane_b32 v38, s1, 17
	;; [unrolled: 1-line block ×4, first 2 shown]
	s_load_dwordx2 s[0:1], s[4:5], 0xe0
	v_writelane_b32 v38, s26, 20
	v_writelane_b32 v38, s27, 21
	s_load_dwordx4 s[24:27], s[4:5], 0xd0
	s_waitcnt lgkmcnt(0)
	v_writelane_b32 v38, s0, 22
	v_writelane_b32 v38, s1, 23
	v_cmp_eq_u32_e64 s[0:1], 0, v0
	v_writelane_b32 v38, s24, 24
	v_writelane_b32 v38, s25, 25
	v_writelane_b32 v38, s26, 26
	v_writelane_b32 v38, s27, 27
	s_load_dwordx2 s[24:25], s[4:5], 0x340
	s_mov_b64 s[26:27], exec
	v_writelane_b32 v38, s0, 28
	v_writelane_b32 v38, s1, 29
	s_and_b64 s[0:1], s[26:27], s[0:1]
	s_mov_b64 exec, s[0:1]
	s_cbranch_execz .LBB86_15
; %bb.14:
	v_mov_b32_e32 v2, 0
	v_mov_b32_e32 v3, v2
	ds_write_b64 v2, v[2:3] offset:5136
.LBB86_15:
	s_or_b64 exec, exec, s[26:27]
	s_load_dwordx2 s[0:1], s[4:5], 0x1a0
	v_mov_b32_e32 v11, 0
	s_waitcnt lgkmcnt(0)
	s_barrier
	v_writelane_b32 v38, s0, 30
	s_barrier
	ds_read_b64 v[2:3], v11 offset:5136
	v_writelane_b32 v38, s1, 31
	s_load_dwordx2 s[0:1], s[4:5], 0x0
	s_waitcnt lgkmcnt(0)
	v_readfirstlane_b32 s26, v2
	v_readfirstlane_b32 s27, v3
	v_writelane_b32 v38, s0, 32
	v_writelane_b32 v38, s1, 33
	s_mov_b64 s[28:29], exec
	v_readlane_b32 s0, v38, 28
	v_readlane_b32 s1, v38, 29
	s_and_b64 s[0:1], s[28:29], s[0:1]
	s_mov_b64 exec, s[0:1]
	s_cbranch_execz .LBB86_17
; %bb.16:
	v_mov_b32_e32 v2, 0
	v_mov_b32_e32 v4, s52
	v_mov_b32_e32 v5, s53
	v_mov_b32_e32 v3, v2
	ds_write_b32 v2, v2 offset:5144
	ds_write_b128 v2, v[2:5] offset:5120
.LBB86_17:
	s_or_b64 exec, exec, s[28:29]
	s_load_dword s4, s[4:5], 0x4f8
	v_cmp_lt_i64_e64 s[0:1], s[26:27], 1
	s_mul_i32 s7, s2, s11
	v_mov_b32_e32 v1, 0
	v_mbcnt_lo_u32_b32 v2, -1, 0
	s_waitcnt lgkmcnt(0)
	s_bitcmp1_b32 s4, 0
	s_cselect_b64 s[4:5], -1, 0
	s_not_b64 s[26:27], s[26:27]
	s_or_b64 s[0:1], s[4:5], s[0:1]
	s_add_u32 s4, s26, s52
	s_addc_u32 s5, s27, s53
	s_lshr_b64 s[4:5], s[4:5], 1
	s_add_u32 s4, s4, 1
	s_addc_u32 s5, s5, 0
	s_and_b64 s[0:1], s[0:1], exec
	s_mul_hi_u32 s0, s2, s10
	s_cselect_b32 s95, s5, s53
	s_cselect_b32 s94, s4, s52
	s_add_i32 s0, s0, s7
	s_mul_i32 s1, s2, s10
	s_mov_b32 s4, s30
	v_writelane_b32 v38, s4, 34
	s_sub_u32 s1, s30, s1
	v_writelane_b32 v38, s5, 35
	s_subb_u32 s0, 0, s0
	s_mul_i32 s4, s1, s23
	s_mul_hi_u32 s5, s1, s22
	s_add_i32 s4, s5, s4
	s_mul_i32 s0, s0, s22
	s_add_i32 s4, s4, s0
	s_mul_i32 s0, s20, s9
	s_mul_hi_u32 s5, s20, s8
	s_add_i32 s5, s5, s0
	s_mul_i32 s0, s20, s8
	s_sub_u32 s0, s2, s0
	s_subb_u32 s2, s3, s5
	s_mul_i32 s3, s0, s15
	s_mul_hi_u32 s5, s0, s14
	s_add_i32 s3, s5, s3
	s_mul_i32 s2, s2, s14
	s_add_i32 s3, s3, s2
	s_mul_i32 s2, s20, s13
	s_mul_hi_u32 s5, s20, s12
	s_add_i32 s5, s5, s2
	s_mul_i32 s2, s20, s12
	s_add_u32 s2, s24, s2
	s_mul_i32 s0, s0, s14
	s_addc_u32 s5, s25, s5
	s_add_u32 s0, s2, s0
	s_mul_i32 s1, s1, s22
	s_addc_u32 s2, s5, s3
	s_add_u32 s90, s0, s1
	v_cmp_gt_u64_e64 s[0:1], s[52:53], v[0:1]
	v_writelane_b32 v38, s0, 36
	v_writelane_b32 v38, s1, 37
	v_mbcnt_hi_u32_b32 v24, -1, v2
	v_cmp_gt_u32_e64 s[0:1], 2, v0
	v_mov_b32_e32 v2, 0xc00
	v_writelane_b32 v38, s0, 38
	v_mov_b32_e32 v3, 0
	s_addc_u32 s91, s2, s4
	v_writelane_b32 v38, s1, 39
	v_cmp_gt_u64_e64 s[0:1], s[52:53], v[2:3]
	v_writelane_b32 v38, s0, 40
	v_pk_mov_b32 v[12:13], s[90:91], s[90:91] op_sel:[0,1]
	v_writelane_b32 v38, s1, 41
	v_mad_u64_u32 v[14:15], s[0:1], v0, s80, v[12:13]
	v_mov_b32_e32 v2, v15
	v_mad_u64_u32 v[2:3], s[0:1], v0, s81, v[2:3]
	s_barrier
	s_load_dword s0, s[18:19], 0xc
	v_cmp_gt_u32_e32 vcc, 64, v0
	v_cmp_gt_i32_e64 s[8:9], 4, v24
	s_and_b64 s[84:85], vcc, s[8:9]
	v_mov_b32_e32 v15, v2
	s_waitcnt lgkmcnt(0)
	s_and_b32 s33, s0, 0xffff
	s_bfe_u32 s1, s0, 0xa0006
	v_cmp_gt_u16_e64 s[2:3], s0, 63
	v_writelane_b32 v38, s2, 42
	s_add_u32 s0, s33, -1
	v_writelane_b32 v38, s3, 43
	s_addc_u32 s2, 0, -1
	s_add_u32 s54, s0, s52
	s_addc_u32 s65, s2, s53
	s_cmp_lt_u32 s6, s16
	v_writelane_b32 v38, s0, 44
	s_cselect_b32 s0, 12, 18
	s_add_u32 s66, s18, s0
	v_writelane_b32 v38, s2, 45
	s_addc_u32 s67, s19, 0
	s_add_i32 s0, s1, -1
	s_bfe_u32 s2, s33, 0x30006
	s_cmp_gt_u32 s0, 6
	v_lshrrev_b32_e32 v2, 4, v0
	s_cselect_b64 s[6:7], -1, 0
	v_and_b32_e32 v25, 60, v2
	v_lshlrev_b32_e32 v2, 2, v24
	v_writelane_b32 v38, s6, 46
	s_and_b32 s0, s1, 0x3f8
	v_and_b32_e32 v26, 0x100, v2
	v_lshlrev_b64 v[2:3], v24, -1
	v_writelane_b32 v38, s7, 47
	s_cmp_lg_u32 s2, 0
	s_mov_b32 s93, 0
	v_not_b32_e32 v18, v2
	v_writelane_b32 v38, s2, 48
	s_cselect_b64 s[2:3], -1, 0
	v_mov_b32_e32 v2, 0xc00
	v_cmp_eq_u32_e64 s[4:5], 0, v24
	v_lshlrev_b32_e32 v16, 2, v0
	v_mov_b32_e32 v17, v1
	v_not_b32_e32 v19, v3
	s_mov_b32 s55, s93
	s_mov_b32 s82, 6
	v_writelane_b32 v38, s2, 49
	v_lshl_or_b32 v27, v24, 3, v2
	s_mov_b64 s[68:69], 0
	s_movk_i32 s1, 0x80
	v_mov_b32_e32 v28, 0x4f800000
	v_mov_b32_e32 v29, 0
	s_mov_b32 s83, 0
	s_mov_b32 s27, 0
	;; [unrolled: 1-line block ×3, first 2 shown]
	v_writelane_b32 v38, s3, 50
                                        ; implicit-def: $sgpr74_sgpr75
                                        ; implicit-def: $sgpr70_sgpr71
                                        ; implicit-def: $sgpr78_sgpr79
                                        ; implicit-def: $sgpr56_sgpr57
                                        ; implicit-def: $sgpr58_sgpr59
                                        ; implicit-def: $sgpr72_sgpr73
	s_branch .LBB86_22
.LBB86_18:                              ;   in Loop: Header=BB86_22 Depth=1
	s_xor_b32 s83, s83, 1
	s_add_i32 s12, s82, -2
	s_cmp_eq_u32 s82, 0
	s_mov_b64 s[6:7], 0
	s_cselect_b64 s[8:9], -1, 0
	s_mov_b32 s82, s12
.LBB86_19:                              ;   in Loop: Header=BB86_22 Depth=1
	s_andn2_b64 s[12:13], s[18:19], exec
	s_and_b64 s[6:7], s[6:7], exec
	s_or_b64 s[18:19], s[12:13], s[6:7]
	s_andn2_b64 s[20:21], s[20:21], exec
	s_andn2_b64 s[16:17], s[16:17], exec
	s_orn2_b64 s[12:13], s[8:9], exec
.LBB86_20:                              ;   in Loop: Header=BB86_22 Depth=1
	s_or_b64 exec, exec, s[2:3]
	s_andn2_b64 s[2:3], s[72:73], exec
	s_and_b64 s[6:7], s[18:19], exec
	s_or_b64 s[72:73], s[2:3], s[6:7]
	s_andn2_b64 s[2:3], s[58:59], exec
	s_and_b64 s[6:7], s[20:21], exec
	s_or_b64 s[58:59], s[2:3], s[6:7]
	;; [unrolled: 3-line block ×3, first 2 shown]
	s_orn2_b64 s[16:17], s[12:13], exec
.LBB86_21:                              ;   in Loop: Header=BB86_22 Depth=1
	s_or_b64 exec, exec, s[10:11]
	s_and_b64 s[2:3], exec, s[16:17]
	s_or_b64 s[68:69], s[2:3], s[68:69]
	s_andn2_b64 s[2:3], s[78:79], exec
	s_and_b64 s[6:7], s[72:73], exec
	s_or_b64 s[78:79], s[2:3], s[6:7]
	s_andn2_b64 s[2:3], s[70:71], exec
	s_and_b64 s[6:7], s[58:59], exec
	;; [unrolled: 3-line block ×3, first 2 shown]
	v_mov_b32_e32 v2, s27
	s_or_b64 s[74:75], s[2:3], s[6:7]
	s_andn2_b64 exec, exec, s[68:69]
	s_cbranch_execz .LBB86_288
.LBB86_22:                              ; =>This Loop Header: Depth=1
                                        ;     Child Loop BB86_27 Depth 2
                                        ;     Child Loop BB86_42 Depth 2
	;; [unrolled: 1-line block ×16, first 2 shown]
	ds_read_b128 v[2:5], v11 offset:5120
	s_waitcnt lgkmcnt(0)
	v_readfirstlane_b32 s61, v3
	v_readfirstlane_b32 s60, v2
	s_cmp_lg_u64 s[60:61], 0
	s_cbranch_scc1 .LBB86_49
; %bb.23:                               ;   in Loop: Header=BB86_22 Depth=1
	v_readlane_b32 s2, v38, 40
	v_readlane_b32 s3, v38, 41
	s_and_b64 vcc, exec, s[2:3]
	s_cbranch_vccz .LBB86_35
; %bb.24:                               ;   in Loop: Header=BB86_22 Depth=1
	s_mov_b64 s[2:3], 0xc01
	v_cmp_gt_u64_e32 vcc, s[2:3], v[4:5]
	s_mov_b64 s[60:61], 0
	s_mov_b64 s[2:3], 0
	s_cbranch_vccz .LBB86_36
; %bb.25:                               ;   in Loop: Header=BB86_22 Depth=1
	global_load_ubyte v5, v[14:15], off
	global_load_ushort v4, v11, s[66:67]
	v_pk_mov_b32 v[2:3], v[0:1], v[0:1] op_sel:[0,1]
	s_branch .LBB86_27
.LBB86_26:                              ;   in Loop: Header=BB86_27 Depth=2
	s_or_b64 exec, exec, s[6:7]
	s_waitcnt vmcnt(0)
	v_mov_b32_e32 v5, v6
	s_andn2_b64 exec, exec, s[2:3]
	s_cbranch_execz .LBB86_152
.LBB86_27:                              ;   Parent Loop BB86_22 Depth=1
                                        ; =>  This Inner Loop Header: Depth=2
	s_waitcnt vmcnt(0)
	v_add_co_u32_sdwa v2, vcc, v2, v4 dst_sel:DWORD dst_unused:UNUSED_PAD src0_sel:DWORD src1_sel:WORD_0
	v_addc_co_u32_e32 v3, vcc, 0, v3, vcc
	v_cmp_gt_u64_e64 s[6:7], s[52:53], v[2:3]
	v_cmp_le_u64_e32 vcc, s[52:53], v[2:3]
	s_waitcnt lgkmcnt(0)
	v_mov_b32_e32 v7, 0
	v_mov_b32_e32 v6, 0
	s_and_saveexec_b64 s[8:9], s[6:7]
	s_cbranch_execz .LBB86_29
; %bb.28:                               ;   in Loop: Header=BB86_27 Depth=2
	v_mad_u64_u32 v[8:9], s[6:7], v2, s80, v[12:13]
	v_mul_lo_u32 v6, v2, s81
	v_mul_lo_u32 v10, v3, s80
	v_add3_u32 v9, v10, v9, v6
	global_load_ubyte v6, v[8:9], off
.LBB86_29:                              ;   in Loop: Header=BB86_27 Depth=2
	s_or_b64 exec, exec, s[8:9]
	v_add_u32_sdwa v8, sext(v5), s1 dst_sel:DWORD dst_unused:UNUSED_PAD src0_sel:BYTE_0 src1_sel:DWORD
	v_and_b32_e32 v8, s26, v8
	v_cmp_eq_u32_e64 s[10:11], s27, v8
	s_cmp_lg_u64 s[10:11], 0
	s_cselect_b64 s[6:7], -1, 0
	s_and_b64 s[6:7], s[4:5], s[6:7]
	s_and_saveexec_b64 s[8:9], s[6:7]
	s_cbranch_execz .LBB86_33
; %bb.30:                               ;   in Loop: Header=BB86_27 Depth=2
	s_mov_b64 s[14:15], exec
	v_mbcnt_lo_u32_b32 v7, s14, 0
	v_mbcnt_hi_u32_b32 v7, s15, v7
	s_bcnt1_i32_b64 s16, s[10:11]
	v_cmp_eq_u32_e64 s[6:7], 0, v7
                                        ; implicit-def: $vgpr8
	s_and_saveexec_b64 s[12:13], s[6:7]
	s_cbranch_execz .LBB86_32
; %bb.31:                               ;   in Loop: Header=BB86_27 Depth=2
	s_bcnt1_i32_b64 s6, s[14:15]
	s_mul_i32 s6, s16, s6
	v_mov_b32_e32 v8, s6
	ds_add_rtn_u32 v8, v11, v8 offset:5144
.LBB86_32:                              ;   in Loop: Header=BB86_27 Depth=2
	s_or_b64 exec, exec, s[12:13]
	s_waitcnt lgkmcnt(0)
	v_readfirstlane_b32 s6, v8
	v_mov_b32_e32 v8, s6
	v_mad_u32_u24 v7, s16, v7, v8
.LBB86_33:                              ;   in Loop: Header=BB86_27 Depth=2
	s_or_b64 exec, exec, s[8:9]
	ds_bpermute_b32 v7, v26, v7
	s_and_b64 s[6:7], exec, vcc
	s_or_b64 s[2:3], s[6:7], s[2:3]
	s_and_saveexec_b64 s[6:7], s[10:11]
	s_cbranch_execz .LBB86_26
; %bb.34:                               ;   in Loop: Header=BB86_27 Depth=2
	v_and_b32_e32 v9, s10, v18
	v_and_b32_e32 v8, s11, v19
	v_bcnt_u32_b32 v9, v9, 0
	v_bcnt_u32_b32 v8, v8, v9
	s_waitcnt lgkmcnt(0)
	v_add_u32_e32 v7, v7, v8
	ds_write_b8 v7, v5
	s_branch .LBB86_26
.LBB86_35:                              ;   in Loop: Header=BB86_22 Depth=1
	s_mov_b64 s[60:61], -1
	s_mov_b64 s[2:3], 0
.LBB86_36:                              ;   in Loop: Header=BB86_22 Depth=1
	s_and_b64 vcc, exec, s[60:61]
	s_cbranch_vccz .LBB86_47
.LBB86_37:                              ;   in Loop: Header=BB86_22 Depth=1
	v_mov_b32_e32 v4, 0
	s_mov_b64 s[2:3], exec
	v_readlane_b32 s6, v38, 36
	v_readlane_b32 s7, v38, 37
	s_and_b64 s[6:7], s[2:3], s[6:7]
	s_mov_b64 exec, s[6:7]
	s_cbranch_execz .LBB86_39
; %bb.38:                               ;   in Loop: Header=BB86_22 Depth=1
	global_load_ubyte v4, v[14:15], off
.LBB86_39:                              ;   in Loop: Header=BB86_22 Depth=1
	s_or_b64 exec, exec, s[2:3]
	s_mov_b64 s[2:3], exec
	v_readlane_b32 s6, v38, 36
	v_readlane_b32 s7, v38, 37
	s_and_b64 s[6:7], s[2:3], s[6:7]
	s_mov_b64 exec, s[6:7]
	s_cbranch_execz .LBB86_44
; %bb.40:                               ;   in Loop: Header=BB86_22 Depth=1
	global_load_ushort v2, v11, s[66:67]
	s_mov_b64 s[8:9], 0
	v_mov_b32_e32 v5, v0
	s_waitcnt vmcnt(0)
	v_and_b32_e32 v6, 0xffff, v2
	v_pk_mov_b32 v[2:3], v[0:1], v[0:1] op_sel:[0,1]
	s_branch .LBB86_42
.LBB86_41:                              ;   in Loop: Header=BB86_42 Depth=2
	s_or_b64 exec, exec, s[10:11]
	s_and_b64 s[6:7], exec, vcc
	s_or_b64 s[8:9], s[6:7], s[8:9]
	ds_write_b8 v5, v4
	v_add_u32_e32 v5, v5, v6
	s_waitcnt vmcnt(0)
	v_mov_b32_e32 v4, v7
	s_andn2_b64 exec, exec, s[8:9]
	s_cbranch_execz .LBB86_44
.LBB86_42:                              ;   Parent Loop BB86_22 Depth=1
                                        ; =>  This Inner Loop Header: Depth=2
	v_add_co_u32_e32 v2, vcc, v2, v6
	v_addc_co_u32_e32 v3, vcc, 0, v3, vcc
	v_cmp_gt_u64_e64 s[6:7], s[52:53], v[2:3]
	v_cmp_le_u64_e32 vcc, s[52:53], v[2:3]
	v_mov_b32_e32 v7, 0
	s_and_saveexec_b64 s[10:11], s[6:7]
	s_cbranch_execz .LBB86_41
; %bb.43:                               ;   in Loop: Header=BB86_42 Depth=2
	v_pk_mov_b32 v[8:9], s[90:91], s[90:91] op_sel:[0,1]
	v_mad_u64_u32 v[8:9], s[6:7], v2, s80, v[8:9]
	v_mul_lo_u32 v7, v2, s81
	v_mul_lo_u32 v10, v3, s80
	v_add3_u32 v9, v10, v9, v7
	global_load_ubyte v7, v[8:9], off
	s_branch .LBB86_41
.LBB86_44:                              ;   in Loop: Header=BB86_22 Depth=1
	s_or_b64 exec, exec, s[2:3]
	s_waitcnt lgkmcnt(0)
	s_barrier
	s_mov_b64 s[2:3], exec
	v_readlane_b32 s6, v38, 28
	v_readlane_b32 s7, v38, 29
	s_and_b64 s[6:7], s[2:3], s[6:7]
	s_mov_b64 exec, s[6:7]
	s_cbranch_execz .LBB86_46
; %bb.45:                               ;   in Loop: Header=BB86_22 Depth=1
	v_pk_mov_b32 v[2:3], s[52:53], s[52:53] op_sel:[0,1]
	ds_write_b64 v11, v[2:3] offset:5120
.LBB86_46:                              ;   in Loop: Header=BB86_22 Depth=1
	s_or_b64 exec, exec, s[2:3]
	s_mov_b64 s[2:3], -1
	s_waitcnt lgkmcnt(0)
	s_barrier
                                        ; implicit-def: $sgpr60_sgpr61
.LBB86_47:                              ;   in Loop: Header=BB86_22 Depth=1
	s_and_b64 vcc, exec, s[2:3]
	s_cbranch_vccz .LBB86_49
; %bb.48:                               ;   in Loop: Header=BB86_22 Depth=1
	ds_read_b64 v[2:3], v11 offset:5120
	s_waitcnt lgkmcnt(0)
	v_readfirstlane_b32 s60, v2
.LBB86_49:                              ;   in Loop: Header=BB86_22 Depth=1
	s_cmp_lt_i32 s60, 1
	s_cbranch_scc0 .LBB86_64
; %bb.50:                               ;   in Loop: Header=BB86_22 Depth=1
	global_load_ushort v30, v11, s[66:67]
	s_mov_b32 s2, s93
	s_waitcnt vmcnt(0)
	v_readfirstlane_b32 s3, v30
	s_and_b32 s3, 0xffff, s3
	s_lshl_b32 s61, s3, 2
	s_mov_b32 s3, s53
	s_cmp_lg_u64 s[2:3], 0
	s_cbranch_scc0 .LBB86_84
; %bb.51:                               ;   in Loop: Header=BB86_22 Depth=1
	v_cvt_f32_u32_e32 v2, s61
	s_sub_u32 s2, 0, s61
	s_subb_u32 s3, 0, 0
	v_mac_f32_e32 v2, 0, v28
	v_rcp_f32_e32 v2, v2
	v_mul_f32_e32 v2, 0x5f7ffffc, v2
	v_mul_f32_e32 v3, 0x2f800000, v2
	v_trunc_f32_e32 v3, v3
	v_mac_f32_e32 v2, 0xcf800000, v3
	v_cvt_u32_f32_e32 v3, v3
	v_cvt_u32_f32_e32 v2, v2
	v_readfirstlane_b32 s6, v3
	v_readfirstlane_b32 s7, v2
	s_mul_i32 s8, s2, s6
	s_mul_hi_u32 s10, s2, s7
	s_mul_i32 s9, s3, s7
	s_add_i32 s8, s10, s8
	s_mul_i32 s11, s2, s7
	s_add_i32 s8, s8, s9
	s_mul_hi_u32 s10, s7, s11
	s_mul_hi_u32 s9, s7, s8
	s_mul_i32 s7, s7, s8
	s_add_u32 s7, s10, s7
	s_addc_u32 s9, 0, s9
	s_mul_hi_u32 s12, s6, s11
	s_mul_i32 s11, s6, s11
	s_add_u32 s7, s7, s11
	s_mul_hi_u32 s10, s6, s8
	s_addc_u32 s7, s9, s12
	s_addc_u32 s9, s10, 0
	s_mul_i32 s8, s6, s8
	s_add_u32 s7, s7, s8
	s_addc_u32 s8, 0, s9
	v_add_co_u32_e32 v2, vcc, s7, v2
	s_cmp_lg_u64 vcc, 0
	s_addc_u32 s6, s6, s8
	v_readfirstlane_b32 s8, v2
	s_mul_i32 s7, s2, s6
	s_mul_hi_u32 s9, s2, s8
	s_add_i32 s7, s9, s7
	s_mul_i32 s3, s3, s8
	s_add_i32 s7, s7, s3
	s_mul_i32 s2, s2, s8
	s_mul_hi_u32 s9, s6, s2
	s_mul_i32 s10, s6, s2
	s_mul_i32 s12, s8, s7
	s_mul_hi_u32 s2, s8, s2
	s_mul_hi_u32 s11, s8, s7
	s_add_u32 s2, s2, s12
	s_addc_u32 s8, 0, s11
	s_add_u32 s2, s2, s10
	s_mul_hi_u32 s3, s6, s7
	s_addc_u32 s2, s8, s9
	s_addc_u32 s3, s3, 0
	s_mul_i32 s7, s6, s7
	s_add_u32 s2, s2, s7
	s_addc_u32 s3, 0, s3
	v_add_co_u32_e32 v2, vcc, s2, v2
	s_cmp_lg_u64 vcc, 0
	s_addc_u32 s2, s6, s3
	v_readfirstlane_b32 s7, v2
	s_mul_i32 s6, s52, s2
	s_mul_hi_u32 s8, s52, s7
	s_mul_hi_u32 s3, s52, s2
	s_add_u32 s6, s8, s6
	s_addc_u32 s3, 0, s3
	s_mul_hi_u32 s9, s53, s7
	s_mul_i32 s7, s53, s7
	s_add_u32 s6, s6, s7
	s_mul_hi_u32 s8, s53, s2
	s_addc_u32 s3, s3, s9
	s_addc_u32 s6, s8, 0
	s_mul_i32 s2, s53, s2
	s_add_u32 s2, s3, s2
	s_addc_u32 s3, 0, s6
	s_mul_hi_u32 s6, s61, s2
	s_mul_i32 s2, s61, s2
	s_mul_i32 s3, s61, s3
	v_mov_b32_e32 v2, s2
	s_add_i32 s6, s6, s3
	v_sub_co_u32_e32 v2, vcc, s52, v2
	s_cmp_lg_u64 vcc, 0
	s_subb_u32 s2, s53, s6
	v_subrev_co_u32_e32 v3, vcc, s61, v2
	s_cmp_lg_u64 vcc, 0
	s_subb_u32 s3, s2, 0
	v_subrev_co_u32_e32 v4, vcc, s61, v3
	s_cmp_lg_u64 vcc, 0
	s_subb_u32 s6, s3, 0
	v_cmp_le_u32_e32 vcc, s61, v3
	s_cmp_eq_u32 s3, 0
	v_cndmask_b32_e64 v5, 0, -1, vcc
	s_cselect_b64 vcc, -1, 0
	v_cndmask_b32_e32 v5, -1, v5, vcc
	v_mov_b32_e32 v6, s3
	v_mov_b32_e32 v7, s6
	v_cmp_ne_u32_e32 vcc, 0, v5
	v_cndmask_b32_e32 v5, v6, v7, vcc
	v_cndmask_b32_e32 v4, v3, v4, vcc
	v_cmp_le_u32_e32 vcc, s61, v2
	s_cmp_eq_u32 s2, 0
	v_cndmask_b32_e64 v3, 0, -1, vcc
	s_cselect_b64 vcc, -1, 0
	v_cndmask_b32_e32 v3, -1, v3, vcc
	v_mov_b32_e32 v6, s2
	v_cmp_ne_u32_e32 vcc, 0, v3
	v_cndmask_b32_e32 v3, v6, v5, vcc
	v_cndmask_b32_e32 v2, v2, v4, vcc
	s_cbranch_execnz .LBB86_53
.LBB86_52:                              ;   in Loop: Header=BB86_22 Depth=1
	v_cvt_f32_u32_e32 v2, s61
	s_sub_i32 s2, 0, s61
	v_rcp_iflag_f32_e32 v2, v2
	v_mul_f32_e32 v2, 0x4f7ffffe, v2
	v_cvt_u32_f32_e32 v2, v2
	v_mul_lo_u32 v3, s2, v2
	v_mul_hi_u32 v3, v2, v3
	v_add_u32_e32 v2, v2, v3
	v_mul_hi_u32 v2, s52, v2
	v_mul_lo_u32 v2, v2, s61
	v_sub_u32_e32 v2, s52, v2
	v_subrev_u32_e32 v3, s61, v2
	v_cmp_le_u32_e32 vcc, s61, v2
	v_cndmask_b32_e32 v2, v2, v3, vcc
	v_subrev_u32_e32 v3, s61, v2
	v_cmp_le_u32_e32 vcc, s61, v2
	v_cndmask_b32_e32 v10, v2, v3, vcc
	v_pk_mov_b32 v[2:3], v[10:11], v[10:11] op_sel:[0,1]
.LBB86_53:                              ;   in Loop: Header=BB86_22 Depth=1
	v_mov_b32_e32 v4, s53
	v_sub_co_u32_e32 v20, vcc, s52, v2
	v_subb_co_u32_e32 v21, vcc, v4, v3, vcc
	v_pk_mov_b32 v[2:3], 0, 0
	v_cmp_gt_u64_e32 vcc, v[20:21], v[16:17]
	s_mov_b64 s[62:63], 0
	v_pk_mov_b32 v[4:5], v[2:3], v[2:3] op_sel:[0,1]
	v_pk_mov_b32 v[6:7], v[2:3], v[2:3] op_sel:[0,1]
	;; [unrolled: 1-line block ×3, first 2 shown]
	s_and_saveexec_b64 s[50:51], vcc
	s_cbranch_execz .LBB86_57
; %bb.54:                               ;   in Loop: Header=BB86_22 Depth=1
	s_and_b32 s2, s82, 0xfe
	s_mov_b64 s[76:77], 0
	s_mov_b64 s[88:89], 0
	s_mov_b64 s[86:87], 0
	s_mov_b64 s[8:9], 0
	v_pk_mov_b32 v[22:23], v[16:17], v[16:17] op_sel:[0,1]
.LBB86_55:                              ;   Parent Loop BB86_22 Depth=1
                                        ; =>  This Inner Loop Header: Depth=2
	v_pk_mov_b32 v[2:3], s[90:91], s[90:91] op_sel:[0,1]
	v_mul_lo_u32 v4, v22, s81
	v_mul_lo_u32 v5, v23, s80
	v_mad_u64_u32 v[2:3], s[6:7], v22, s80, v[2:3]
	v_mov_b32_e32 v6, s81
	v_add3_u32 v3, v5, v3, v4
	v_add_co_u32_e64 v4, s[6:7], s80, v2
	v_addc_co_u32_e64 v5, s[6:7], v3, v6, s[6:7]
	v_mov_b32_e32 v7, s81
	global_load_sbyte v9, v[2:3], off
	global_load_sbyte v6, v[4:5], off
	v_add_co_u32_e64 v2, s[6:7], s80, v4
	v_addc_co_u32_e64 v3, s[6:7], v5, v7, s[6:7]
	v_mov_b32_e32 v8, s81
	v_add_co_u32_e64 v4, s[6:7], s80, v2
	global_load_sbyte v2, v[2:3], off
	v_addc_co_u32_e64 v5, s[6:7], v3, v8, s[6:7]
	global_load_sbyte v3, v[4:5], off
	v_add_co_u32_e32 v22, vcc, s61, v22
	v_addc_co_u32_e32 v23, vcc, 0, v23, vcc
	v_cmp_ge_u64_e32 vcc, v[22:23], v[20:21]
	s_waitcnt vmcnt(3)
	v_add_u32_e32 v4, 0x80, v9
	s_waitcnt vmcnt(2)
	v_add_u32_e32 v5, 0x80, v6
	v_and_b32_e32 v6, s26, v4
	v_bfe_u32 v4, v4, s2, 2
	v_cmp_eq_u32_e64 s[10:11], s27, v6
	v_and_b32_e32 v6, s26, v5
	v_bfe_u32 v5, v5, s2, 2
	v_cmp_eq_u32_e64 s[6:7], 0, v4
	v_cmp_eq_u32_e64 s[12:13], s27, v6
	s_waitcnt vmcnt(1)
	v_add_u32_e32 v2, 0x80, v2
	v_cmp_eq_u32_e64 s[22:23], 0, v5
	s_and_b64 s[6:7], s[10:11], s[6:7]
	v_cmp_eq_u32_e64 s[28:29], 1, v4
	v_cmp_eq_u32_e64 s[30:31], 2, v4
	;; [unrolled: 1-line block ×3, first 2 shown]
	s_waitcnt vmcnt(0)
	v_add_u32_e32 v3, 0x80, v3
	v_and_b32_e32 v4, s26, v2
	v_bfe_u32 v2, v2, s2, 2
	v_cmp_eq_u32_e64 s[34:35], 1, v5
	v_cmp_eq_u32_e64 s[36:37], 2, v5
	;; [unrolled: 1-line block ×3, first 2 shown]
	v_cndmask_b32_e64 v5, 0, 1, s[6:7]
	s_and_b64 s[22:23], s[12:13], s[22:23]
	v_cmp_eq_u32_e64 s[18:19], s27, v4
	v_and_b32_e32 v4, s26, v3
	v_bfe_u32 v3, v3, s2, 2
	v_cmp_eq_u32_e64 s[6:7], 0, v2
	v_cmp_eq_u32_e64 s[38:39], 1, v2
	;; [unrolled: 1-line block ×4, first 2 shown]
	v_cmp_ne_u32_e64 s[42:43], 0, v5
	v_cndmask_b32_e64 v2, 0, 1, s[22:23]
	v_cmp_eq_u32_e64 s[22:23], s27, v4
	v_cmp_eq_u32_e64 s[44:45], 0, v3
	s_bcnt1_i32_b64 s3, s[42:43]
	v_cmp_ne_u32_e64 s[42:43], 0, v2
	s_and_b64 s[6:7], s[18:19], s[6:7]
	v_cndmask_b32_e64 v2, 0, 1, s[6:7]
	s_bcnt1_i32_b64 s64, s[42:43]
	s_and_b64 s[42:43], s[22:23], s[44:45]
	v_cmp_ne_u32_e64 s[6:7], 0, v2
	v_cndmask_b32_e64 v2, 0, 1, s[42:43]
	s_bcnt1_i32_b64 s42, s[6:7]
	v_cmp_ne_u32_e64 s[6:7], 0, v2
	s_bcnt1_i32_b64 s6, s[6:7]
	s_add_u32 s3, s3, s8
	s_addc_u32 s7, 0, s9
	s_add_u32 s3, s3, s64
	s_addc_u32 s7, s7, 0
	s_add_u32 s3, s3, s42
	s_addc_u32 s7, s7, 0
	s_add_u32 s8, s3, s6
	s_addc_u32 s9, s7, 0
	s_and_b64 s[6:7], s[10:11], s[28:29]
	v_cndmask_b32_e64 v4, 0, 1, s[6:7]
	s_and_b64 s[6:7], s[12:13], s[34:35]
	v_cmp_eq_u32_e64 s[46:47], 1, v3
	v_cndmask_b32_e64 v5, 0, 1, s[6:7]
	s_and_b64 s[6:7], s[18:19], s[38:39]
	v_cndmask_b32_e64 v6, 0, 1, s[6:7]
	s_and_b64 s[6:7], s[22:23], s[46:47]
	v_cndmask_b32_e64 v7, 0, 1, s[6:7]
	v_cmp_ne_u32_e64 s[6:7], 0, v4
	v_cmp_ne_u32_e64 s[28:29], 0, v5
	v_cmp_ne_u32_e64 s[34:35], 0, v6
	v_cmp_ne_u32_e64 s[38:39], 0, v7
	s_bcnt1_i32_b64 s3, s[6:7]
	s_bcnt1_i32_b64 s6, s[28:29]
	s_bcnt1_i32_b64 s7, s[34:35]
	s_bcnt1_i32_b64 s28, s[38:39]
	s_add_u32 s3, s3, s86
	s_addc_u32 s29, 0, s87
	s_add_u32 s3, s3, s6
	s_addc_u32 s6, s29, 0
	s_add_u32 s3, s3, s7
	s_addc_u32 s6, s6, 0
	s_add_u32 s86, s3, s28
	s_addc_u32 s87, s6, 0
	s_and_b64 s[6:7], s[10:11], s[30:31]
	v_cndmask_b32_e64 v6, 0, 1, s[6:7]
	s_and_b64 s[6:7], s[12:13], s[36:37]
	v_cmp_eq_u32_e64 s[48:49], 2, v3
	v_cndmask_b32_e64 v7, 0, 1, s[6:7]
	s_and_b64 s[6:7], s[18:19], s[40:41]
	v_cndmask_b32_e64 v8, 0, 1, s[6:7]
	s_and_b64 s[6:7], s[22:23], s[48:49]
	v_cndmask_b32_e64 v9, 0, 1, s[6:7]
	v_cmp_ne_u32_e64 s[6:7], 0, v6
	v_cmp_ne_u32_e64 s[28:29], 0, v7
	v_cmp_ne_u32_e64 s[30:31], 0, v8
	v_cmp_ne_u32_e64 s[34:35], 0, v9
	s_bcnt1_i32_b64 s3, s[6:7]
	s_bcnt1_i32_b64 s6, s[28:29]
	s_bcnt1_i32_b64 s7, s[30:31]
	;; [unrolled: 25-line block ×3, first 2 shown]
	s_bcnt1_i32_b64 s10, s[14:15]
	s_add_u32 s3, s3, s76
	s_addc_u32 s11, 0, s77
	s_add_u32 s3, s3, s6
	s_addc_u32 s6, s11, 0
	;; [unrolled: 2-line block ×4, first 2 shown]
	v_pk_mov_b32 v[2:3], s[8:9], s[8:9] op_sel:[0,1]
	v_pk_mov_b32 v[4:5], s[86:87], s[86:87] op_sel:[0,1]
	v_pk_mov_b32 v[6:7], s[88:89], s[88:89] op_sel:[0,1]
	s_or_b64 s[62:63], vcc, s[62:63]
	v_pk_mov_b32 v[8:9], s[76:77], s[76:77] op_sel:[0,1]
	s_andn2_b64 exec, exec, s[62:63]
	s_cbranch_execnz .LBB86_55
; %bb.56:                               ;   in Loop: Header=BB86_22 Depth=1
	s_or_b64 exec, exec, s[62:63]
.LBB86_57:                              ;   in Loop: Header=BB86_22 Depth=1
	s_or_b64 exec, exec, s[50:51]
	v_add_co_u32_e32 v20, vcc, v20, v0
	v_addc_co_u32_e32 v21, vcc, 0, v21, vcc
	v_cmp_gt_u64_e32 vcc, s[52:53], v[20:21]
	v_mov_b32_e32 v10, 0
	s_and_saveexec_b64 s[2:3], vcc
	s_cbranch_execz .LBB86_59
; %bb.58:                               ;   in Loop: Header=BB86_22 Depth=1
	v_pk_mov_b32 v[22:23], s[90:91], s[90:91] op_sel:[0,1]
	v_mad_u64_u32 v[22:23], s[6:7], v20, s80, v[22:23]
	v_mul_lo_u32 v10, v20, s81
	v_mul_lo_u32 v31, v21, s80
	v_add3_u32 v23, v31, v23, v10
	global_load_ubyte v10, v[22:23], off
.LBB86_59:                              ;   in Loop: Header=BB86_22 Depth=1
	s_or_b64 exec, exec, s[2:3]
	s_and_saveexec_b64 s[2:3], vcc
	s_cbranch_execz .LBB86_66
; %bb.60:                               ;   in Loop: Header=BB86_22 Depth=1
	s_and_b32 s12, s82, 0xfe
	s_mov_b64 s[8:9], 0
	s_branch .LBB86_62
.LBB86_61:                              ;   in Loop: Header=BB86_62 Depth=2
	s_or_b64 exec, exec, s[10:11]
	s_waitcnt vmcnt(0)
	v_add_u32_sdwa v10, sext(v10), s1 dst_sel:DWORD dst_unused:UNUSED_PAD src0_sel:BYTE_0 src1_sel:DWORD
	s_and_b64 s[6:7], exec, vcc
	v_and_b32_e32 v23, s26, v10
	v_bfe_u32 v10, v10, s12, 2
	s_or_b64 s[8:9], s[6:7], s[8:9]
	v_cmp_eq_u32_e32 vcc, s27, v23
	v_cmp_eq_u32_e64 s[6:7], 0, v10
	s_and_b64 s[6:7], vcc, s[6:7]
	v_cndmask_b32_e64 v23, 0, 1, s[6:7]
	v_cmp_ne_u32_e64 s[6:7], 0, v23
	s_bcnt1_i32_b64 s6, s[6:7]
	v_add_co_u32_e64 v2, s[6:7], s6, v2
	v_addc_co_u32_e64 v3, s[6:7], 0, v3, s[6:7]
	v_cmp_eq_u32_e64 s[6:7], 1, v10
	s_and_b64 s[6:7], vcc, s[6:7]
	v_cndmask_b32_e64 v23, 0, 1, s[6:7]
	v_cmp_ne_u32_e64 s[6:7], 0, v23
	s_bcnt1_i32_b64 s6, s[6:7]
	v_add_co_u32_e64 v4, s[6:7], s6, v4
	v_addc_co_u32_e64 v5, s[6:7], 0, v5, s[6:7]
	;; [unrolled: 7-line block ×3, first 2 shown]
	v_cmp_eq_u32_e64 s[6:7], 3, v10
	s_and_b64 s[6:7], vcc, s[6:7]
	v_cndmask_b32_e64 v10, 0, 1, s[6:7]
	v_cmp_ne_u32_e32 vcc, 0, v10
	s_bcnt1_i32_b64 s6, vcc
	v_add_co_u32_e32 v8, vcc, s6, v8
	v_addc_co_u32_e32 v9, vcc, 0, v9, vcc
	v_mov_b32_e32 v10, v22
	s_andn2_b64 exec, exec, s[8:9]
	s_cbranch_execz .LBB86_65
.LBB86_62:                              ;   Parent Loop BB86_22 Depth=1
                                        ; =>  This Inner Loop Header: Depth=2
	v_add_co_u32_sdwa v20, vcc, v20, v30 dst_sel:DWORD dst_unused:UNUSED_PAD src0_sel:DWORD src1_sel:WORD_0
	v_addc_co_u32_e32 v21, vcc, 0, v21, vcc
	v_cmp_gt_u64_e64 s[6:7], s[52:53], v[20:21]
	v_cmp_le_u64_e32 vcc, s[52:53], v[20:21]
	v_mov_b32_e32 v22, 0
	s_and_saveexec_b64 s[10:11], s[6:7]
	s_cbranch_execz .LBB86_61
; %bb.63:                               ;   in Loop: Header=BB86_62 Depth=2
	v_pk_mov_b32 v[22:23], s[90:91], s[90:91] op_sel:[0,1]
	v_mad_u64_u32 v[22:23], s[6:7], v20, s80, v[22:23]
	v_mul_lo_u32 v31, v20, s81
	v_mul_lo_u32 v32, v21, s80
	v_add3_u32 v23, v32, v23, v31
	global_load_ubyte v22, v[22:23], off
	s_branch .LBB86_61
.LBB86_64:                              ;   in Loop: Header=BB86_22 Depth=1
                                        ; implicit-def: $vgpr8_vgpr9
                                        ; implicit-def: $vgpr4_vgpr5
	s_cbranch_execnz .LBB86_67
	s_branch .LBB86_76
.LBB86_65:                              ;   in Loop: Header=BB86_22 Depth=1
	s_or_b64 exec, exec, s[8:9]
.LBB86_66:                              ;   in Loop: Header=BB86_22 Depth=1
	s_or_b64 exec, exec, s[2:3]
	s_branch .LBB86_76
.LBB86_67:                              ;   in Loop: Header=BB86_22 Depth=1
	global_load_ushort v10, v11, s[66:67]
	s_mov_b64 s[62:63], 0
	s_waitcnt vmcnt(0)
	v_readfirstlane_b32 s2, v10
	s_and_b32 s2, 0xffff, s2
	s_lshl_b32 s61, s2, 2
	v_cvt_f32_u32_e32 v2, s61
	s_sub_i32 s2, 0, s61
	v_rcp_iflag_f32_e32 v4, v2
	v_pk_mov_b32 v[2:3], 0, 0
	v_pk_mov_b32 v[6:7], v[2:3], v[2:3] op_sel:[0,1]
	v_mul_f32_e32 v4, 0x4f7ffffe, v4
	v_cvt_u32_f32_e32 v8, v4
	v_pk_mov_b32 v[4:5], v[2:3], v[2:3] op_sel:[0,1]
	v_readfirstlane_b32 s3, v8
	s_mul_i32 s2, s2, s3
	s_mul_hi_u32 s2, s3, s2
	s_add_i32 s3, s3, s2
	s_mul_hi_u32 s2, s60, s3
	s_mul_i32 s2, s2, s61
	s_sub_i32 s2, s60, s2
	s_sub_i32 s3, s2, s61
	s_cmp_ge_u32 s2, s61
	s_cselect_b32 s2, s3, s2
	s_sub_i32 s3, s2, s61
	s_cmp_ge_u32 s2, s61
	s_cselect_b32 s2, s3, s2
	s_sub_i32 s92, s60, s2
	v_cmp_gt_u32_e32 vcc, s92, v16
	v_pk_mov_b32 v[8:9], v[2:3], v[2:3] op_sel:[0,1]
	s_and_saveexec_b64 s[8:9], vcc
	s_cbranch_execz .LBB86_71
; %bb.68:                               ;   in Loop: Header=BB86_22 Depth=1
	s_and_b32 s64, s82, 0xfe
	v_mov_b32_e32 v22, v16
	s_mov_b64 s[76:77], 0
	s_mov_b64 s[86:87], 0
	;; [unrolled: 1-line block ×4, first 2 shown]
	v_pk_mov_b32 v[20:21], v[16:17], v[16:17] op_sel:[0,1]
.LBB86_69:                              ;   Parent Loop BB86_22 Depth=1
                                        ; =>  This Inner Loop Header: Depth=2
	ds_read_b32 v2, v22
	v_add_co_u32_e32 v20, vcc, s61, v20
	v_addc_co_u32_e32 v21, vcc, 0, v21, vcc
	s_waitcnt lgkmcnt(0)
	v_add_u32_sdwa v3, sext(v2), s1 dst_sel:DWORD dst_unused:UNUSED_PAD src0_sel:BYTE_0 src1_sel:DWORD
	v_add_u32_sdwa v4, sext(v2), s1 dst_sel:DWORD dst_unused:UNUSED_PAD src0_sel:BYTE_1 src1_sel:DWORD
	v_and_b32_e32 v6, s26, v3
	v_bfe_u32 v3, v3, s64, 2
	v_add_u32_sdwa v5, sext(v2), s1 dst_sel:DWORD dst_unused:UNUSED_PAD src0_sel:BYTE_2 src1_sel:DWORD
	v_add_u32_sdwa v2, sext(v2), s1 dst_sel:DWORD dst_unused:UNUSED_PAD src0_sel:BYTE_3 src1_sel:DWORD
	v_and_b32_e32 v7, s26, v4
	v_bfe_u32 v4, v4, s64, 2
	v_cmp_eq_u32_e64 s[16:17], s27, v6
	v_cmp_eq_u32_e64 s[6:7], 0, v3
	v_and_b32_e32 v8, s26, v5
	v_and_b32_e32 v9, s26, v2
	v_bfe_u32 v5, v5, s64, 2
	v_bfe_u32 v2, v2, s64, 2
	v_cmp_eq_u32_e64 s[14:15], s27, v7
	v_cmp_eq_u32_e64 s[28:29], 0, v4
	s_and_b64 s[6:7], s[16:17], s[6:7]
	v_cmp_eq_u32_e64 s[12:13], s27, v8
	v_cmp_eq_u32_e64 s[30:31], 0, v5
	;; [unrolled: 1-line block ×6, first 2 shown]
	v_cndmask_b32_e64 v2, 0, 1, s[6:7]
	s_and_b64 s[6:7], s[14:15], s[28:29]
	v_cmp_eq_u32_e64 s[10:11], s27, v9
	v_cmp_eq_u32_e64 s[36:37], 1, v3
	;; [unrolled: 1-line block ×4, first 2 shown]
	v_cndmask_b32_e64 v3, 0, 1, s[6:7]
	s_and_b64 s[6:7], s[12:13], s[30:31]
	v_cmp_eq_u32_e64 s[38:39], 1, v4
	v_cmp_eq_u32_e64 s[46:47], 2, v4
	;; [unrolled: 1-line block ×3, first 2 shown]
	v_cndmask_b32_e64 v4, 0, 1, s[6:7]
	s_and_b64 s[6:7], s[10:11], s[34:35]
	v_cmp_eq_u32_e64 s[40:41], 1, v5
	v_cmp_eq_u32_e64 s[48:49], 2, v5
	;; [unrolled: 1-line block ×3, first 2 shown]
	v_cndmask_b32_e64 v5, 0, 1, s[6:7]
	v_cmp_ne_u32_e64 s[6:7], 0, v2
	v_cmp_ne_u32_e64 s[28:29], 0, v3
	v_cmp_ne_u32_e64 s[30:31], 0, v4
	v_cmp_ne_u32_e64 s[34:35], 0, v5
	s_bcnt1_i32_b64 s6, s[6:7]
	s_bcnt1_i32_b64 s7, s[28:29]
	s_bcnt1_i32_b64 s28, s[30:31]
	s_bcnt1_i32_b64 s29, s[34:35]
	s_add_u32 s2, s6, s2
	s_addc_u32 s3, 0, s3
	s_add_u32 s2, s2, s7
	s_addc_u32 s3, s3, 0
	s_add_u32 s2, s2, s28
	s_addc_u32 s3, s3, 0
	s_add_u32 s2, s2, s29
	s_addc_u32 s3, s3, 0
	s_and_b64 s[6:7], s[16:17], s[36:37]
	v_cndmask_b32_e64 v4, 0, 1, s[6:7]
	s_and_b64 s[6:7], s[14:15], s[38:39]
	v_cndmask_b32_e64 v5, 0, 1, s[6:7]
	s_and_b64 s[6:7], s[12:13], s[40:41]
	v_cndmask_b32_e64 v6, 0, 1, s[6:7]
	s_and_b64 s[6:7], s[10:11], s[42:43]
	v_cndmask_b32_e64 v7, 0, 1, s[6:7]
	v_cmp_ne_u32_e64 s[6:7], 0, v4
	v_cmp_ne_u32_e64 s[28:29], 0, v5
	v_cmp_ne_u32_e64 s[30:31], 0, v6
	v_cmp_ne_u32_e64 s[34:35], 0, v7
	s_bcnt1_i32_b64 s6, s[6:7]
	s_bcnt1_i32_b64 s7, s[28:29]
	s_bcnt1_i32_b64 s28, s[30:31]
	s_bcnt1_i32_b64 s29, s[34:35]
	s_add_u32 s6, s6, s88
	s_addc_u32 s30, 0, s89
	s_add_u32 s6, s6, s7
	s_addc_u32 s7, s30, 0
	s_add_u32 s6, s6, s28
	s_addc_u32 s7, s7, 0
	s_add_u32 s88, s6, s29
	s_addc_u32 s89, s7, 0
	s_and_b64 s[6:7], s[16:17], s[44:45]
	v_cndmask_b32_e64 v6, 0, 1, s[6:7]
	s_and_b64 s[6:7], s[14:15], s[46:47]
	v_cndmask_b32_e64 v7, 0, 1, s[6:7]
	s_and_b64 s[6:7], s[12:13], s[48:49]
	v_cndmask_b32_e64 v8, 0, 1, s[6:7]
	s_and_b64 s[6:7], s[10:11], s[50:51]
	;; [unrolled: 24-line block ×3, first 2 shown]
	v_cndmask_b32_e64 v30, 0, 1, s[6:7]
	v_cmp_ne_u32_e64 s[6:7], 0, v8
	v_cmp_ne_u32_e64 s[10:11], 0, v9
	;; [unrolled: 1-line block ×4, first 2 shown]
	s_bcnt1_i32_b64 s6, s[6:7]
	s_bcnt1_i32_b64 s7, s[10:11]
	;; [unrolled: 1-line block ×4, first 2 shown]
	s_add_u32 s6, s6, s76
	s_addc_u32 s12, 0, s77
	s_add_u32 s6, s6, s7
	s_addc_u32 s7, s12, 0
	s_add_u32 s6, s6, s10
	s_addc_u32 s7, s7, 0
	s_add_u32 s76, s6, s11
	v_cmp_le_u64_e32 vcc, s[92:93], v[20:21]
	s_addc_u32 s77, s7, 0
	v_add_u32_e32 v22, s61, v22
	v_pk_mov_b32 v[2:3], s[2:3], s[2:3] op_sel:[0,1]
	v_pk_mov_b32 v[4:5], s[88:89], s[88:89] op_sel:[0,1]
	;; [unrolled: 1-line block ×3, first 2 shown]
	s_or_b64 s[62:63], vcc, s[62:63]
	v_pk_mov_b32 v[8:9], s[76:77], s[76:77] op_sel:[0,1]
	s_andn2_b64 exec, exec, s[62:63]
	s_cbranch_execnz .LBB86_69
; %bb.70:                               ;   in Loop: Header=BB86_22 Depth=1
	s_or_b64 exec, exec, s[62:63]
.LBB86_71:                              ;   in Loop: Header=BB86_22 Depth=1
	s_or_b64 exec, exec, s[8:9]
	v_and_b32_e32 v22, 0xffff, v10
	v_add_u32_e32 v10, s92, v0
	v_cmp_gt_u32_e32 vcc, s60, v10
	s_and_saveexec_b64 s[2:3], vcc
	s_cbranch_execz .LBB86_75
; %bb.72:                               ;   in Loop: Header=BB86_22 Depth=1
	s_and_b32 s8, s60, 0x7fffffff
	s_mov_b32 s9, s93
	s_and_b32 s20, s82, 0xfe
	v_add_u32_e32 v23, s92, v0
	s_mov_b64 s[18:19], 0
	v_pk_mov_b32 v[20:21], v[10:11], v[10:11] op_sel:[0,1]
.LBB86_73:                              ;   Parent Loop BB86_22 Depth=1
                                        ; =>  This Inner Loop Header: Depth=2
	ds_read_i8 v10, v23
	v_add_co_u32_e32 v20, vcc, v20, v22
	v_addc_co_u32_e32 v21, vcc, 0, v21, vcc
	s_waitcnt lgkmcnt(0)
	v_add_u32_e32 v10, 0x80, v10
	v_and_b32_e32 v30, s26, v10
	v_bfe_u32 v10, v10, s20, 2
	v_cmp_eq_u32_e64 s[6:7], s27, v30
	v_cmp_eq_u32_e64 s[10:11], 0, v10
	;; [unrolled: 1-line block ×3, first 2 shown]
	s_and_b64 s[10:11], s[6:7], s[10:11]
	v_cmp_eq_u32_e64 s[14:15], 2, v10
	v_cmp_eq_u32_e64 s[16:17], 3, v10
	v_cndmask_b32_e64 v10, 0, 1, s[10:11]
	s_and_b64 s[10:11], s[6:7], s[12:13]
	v_cndmask_b32_e64 v30, 0, 1, s[10:11]
	s_and_b64 s[10:11], s[6:7], s[14:15]
	s_and_b64 s[6:7], s[6:7], s[16:17]
	v_cndmask_b32_e64 v31, 0, 1, s[10:11]
	v_cndmask_b32_e64 v32, 0, 1, s[6:7]
	v_cmp_ne_u32_e64 s[6:7], 0, v10
	v_cmp_ne_u32_e64 s[10:11], 0, v30
	;; [unrolled: 1-line block ×4, first 2 shown]
	v_cmp_le_u64_e32 vcc, s[8:9], v[20:21]
	s_bcnt1_i32_b64 s6, s[6:7]
	s_bcnt1_i32_b64 s7, s[10:11]
	;; [unrolled: 1-line block ×4, first 2 shown]
	s_or_b64 s[18:19], vcc, s[18:19]
	v_add_co_u32_e32 v2, vcc, s6, v2
	v_addc_co_u32_e32 v3, vcc, 0, v3, vcc
	v_add_co_u32_e32 v4, vcc, s7, v4
	v_addc_co_u32_e32 v5, vcc, 0, v5, vcc
	v_add_co_u32_e32 v6, vcc, s10, v6
	v_addc_co_u32_e32 v7, vcc, 0, v7, vcc
	v_add_co_u32_e32 v8, vcc, s11, v8
	v_add_u32_e32 v23, v23, v22
	v_addc_co_u32_e32 v9, vcc, 0, v9, vcc
	s_andn2_b64 exec, exec, s[18:19]
	s_cbranch_execnz .LBB86_73
; %bb.74:                               ;   in Loop: Header=BB86_22 Depth=1
	s_or_b64 exec, exec, s[18:19]
.LBB86_75:                              ;   in Loop: Header=BB86_22 Depth=1
	s_or_b64 exec, exec, s[2:3]
.LBB86_76:                              ;   in Loop: Header=BB86_22 Depth=1
	s_lshl_b32 s6, s83, 6
	s_and_saveexec_b64 s[2:3], s[4:5]
	s_cbranch_execz .LBB86_78
; %bb.77:                               ;   in Loop: Header=BB86_22 Depth=1
	s_waitcnt vmcnt(0)
	v_or_b32_e32 v10, s6, v25
	v_lshlrev_b32_e32 v10, 3, v10
	ds_write_b128 v10, v[2:5] offset:3072
	ds_write_b128 v10, v[6:9] offset:3088
.LBB86_78:                              ;   in Loop: Header=BB86_22 Depth=1
	s_or_b64 exec, exec, s[2:3]
	s_waitcnt lgkmcnt(0)
	s_barrier
	s_and_saveexec_b64 s[2:3], s[84:85]
	s_cbranch_execz .LBB86_90
; %bb.79:                               ;   in Loop: Header=BB86_22 Depth=1
	v_readlane_b32 s8, v38, 42
	v_readlane_b32 s9, v38, 43
	s_andn2_b64 vcc, exec, s[8:9]
	v_pk_mov_b32 v[2:3], 0, 0
	s_cbranch_vccnz .LBB86_89
; %bb.80:                               ;   in Loop: Header=BB86_22 Depth=1
	v_readlane_b32 s8, v38, 46
	v_readlane_b32 s9, v38, 47
	s_andn2_b64 vcc, exec, s[8:9]
	s_cbranch_vccnz .LBB86_85
; %bb.81:                               ;   in Loop: Header=BB86_22 Depth=1
	s_waitcnt vmcnt(0)
	v_lshl_add_u32 v4, s83, 9, v27
	s_mov_b32 s7, 0
	v_pk_mov_b32 v[2:3], 0, 0
.LBB86_82:                              ;   Parent Loop BB86_22 Depth=1
                                        ; =>  This Inner Loop Header: Depth=2
	ds_read2_b64 v[6:9], v4 offset1:4
	ds_read2_b64 v[20:23], v4 offset0:8 offset1:12
	ds_read2_b64 v[30:33], v4 offset0:16 offset1:20
	;; [unrolled: 1-line block ×3, first 2 shown]
	s_add_i32 s7, s7, 8
	s_waitcnt lgkmcnt(3)
	v_add_co_u32_e32 v2, vcc, v6, v2
	v_addc_co_u32_e32 v3, vcc, v7, v3, vcc
	v_add_co_u32_e32 v2, vcc, v8, v2
	v_addc_co_u32_e32 v3, vcc, v9, v3, vcc
	s_waitcnt lgkmcnt(2)
	v_add_co_u32_e32 v2, vcc, v20, v2
	v_addc_co_u32_e32 v3, vcc, v21, v3, vcc
	v_add_co_u32_e32 v2, vcc, v22, v2
	v_addc_co_u32_e32 v3, vcc, v23, v3, vcc
	;; [unrolled: 5-line block ×3, first 2 shown]
	s_waitcnt lgkmcnt(0)
	v_add_co_u32_e32 v2, vcc, v34, v2
	v_addc_co_u32_e32 v3, vcc, v35, v3, vcc
	v_add_co_u32_e32 v2, vcc, v36, v2
	v_add_u32_e32 v4, 0x100, v4
	s_cmp_eq_u32 s0, s7
	v_addc_co_u32_e32 v3, vcc, v37, v3, vcc
	s_cbranch_scc0 .LBB86_82
; %bb.83:                               ;   in Loop: Header=BB86_22 Depth=1
	s_mov_b32 s7, s0
	s_branch .LBB86_86
.LBB86_84:                              ;   in Loop: Header=BB86_22 Depth=1
                                        ; implicit-def: $vgpr2_vgpr3
	s_branch .LBB86_52
.LBB86_85:                              ;   in Loop: Header=BB86_22 Depth=1
	s_mov_b32 s7, 0
	v_pk_mov_b32 v[2:3], 0, 0
.LBB86_86:                              ;   in Loop: Header=BB86_22 Depth=1
	v_readlane_b32 s8, v38, 49
	v_readlane_b32 s9, v38, 50
	s_andn2_b64 vcc, exec, s[8:9]
	s_cbranch_vccnz .LBB86_89
; %bb.87:                               ;   in Loop: Header=BB86_22 Depth=1
	s_lshl_b32 s8, s83, 9
	s_lshl_b32 s7, s7, 5
	s_add_i32 s8, s8, s7
	s_waitcnt vmcnt(0)
	v_add_u32_e32 v4, s8, v27
	v_readlane_b32 s7, v38, 48
.LBB86_88:                              ;   Parent Loop BB86_22 Depth=1
                                        ; =>  This Inner Loop Header: Depth=2
	ds_read_b64 v[6:7], v4
	s_add_i32 s7, s7, -1
	v_add_u32_e32 v4, 32, v4
	s_cmp_lg_u32 s7, 0
	s_waitcnt lgkmcnt(0)
	v_add_co_u32_e32 v2, vcc, v6, v2
	v_addc_co_u32_e32 v3, vcc, v7, v3, vcc
	s_cbranch_scc1 .LBB86_88
.LBB86_89:                              ;   in Loop: Header=BB86_22 Depth=1
	s_waitcnt vmcnt(0)
	v_add_lshl_u32 v4, s6, v24, 3
	ds_write_b64 v4, v[2:3] offset:3072
.LBB86_90:                              ;   in Loop: Header=BB86_22 Depth=1
	s_or_b64 exec, exec, s[2:3]
	s_lshl_b32 s2, s6, 3
	v_mov_b32_e32 v6, s2
	s_waitcnt lgkmcnt(0)
	s_barrier
	s_waitcnt vmcnt(0)
	ds_read_b128 v[2:5], v6 offset:3072
	ds_read_b128 v[6:9], v6 offset:3088
	s_and_b32 s38, s82, 0xfe
	s_lshl_b32 s46, 3, s38
	s_not_b32 s39, s46
	s_waitcnt lgkmcnt(1)
	v_readfirstlane_b32 s13, v3
	v_readfirstlane_b32 s12, v2
	s_cmp_eq_u64 s[12:13], 1
	s_cselect_b64 s[2:3], -1, 0
	s_cmp_eq_u64 s[94:95], 1
	s_cselect_b64 s[8:9], -1, 0
	s_and_b64 s[18:19], s[2:3], s[8:9]
	v_readfirstlane_b32 s24, v4
	v_readfirstlane_b32 s25, v5
	s_waitcnt lgkmcnt(0)
	v_readfirstlane_b32 s14, v6
	v_readfirstlane_b32 s15, v7
	;; [unrolled: 1-line block ×4, first 2 shown]
	s_mov_b64 s[16:17], -1
	s_and_b64 vcc, exec, s[18:19]
	s_cbranch_vccz .LBB86_105
; %bb.91:                               ;   in Loop: Header=BB86_22 Depth=1
	ds_read_b64 v[2:3], v11 offset:5120
	s_waitcnt lgkmcnt(0)
	s_barrier
	v_readfirstlane_b32 s2, v2
	v_readfirstlane_b32 s3, v3
	s_mov_b64 s[8:9], exec
	v_readlane_b32 s10, v38, 38
	v_readlane_b32 s11, v38, 39
	s_and_b64 s[10:11], s[8:9], s[10:11]
	s_mov_b64 exec, s[10:11]
	s_cbranch_execz .LBB86_93
; %bb.92:                               ;   in Loop: Header=BB86_22 Depth=1
	ds_write_b8 v0, v1 offset:3072
.LBB86_93:                              ;   in Loop: Header=BB86_22 Depth=1
	s_or_b64 exec, exec, s[8:9]
	s_and_b32 s27, s27, s39
	s_or_b32 s26, s26, s46
	s_cmp_eq_u64 s[2:3], 0
	s_waitcnt lgkmcnt(0)
	s_barrier
	s_cbranch_scc1 .LBB86_106
; %bb.94:                               ;   in Loop: Header=BB86_22 Depth=1
	v_readlane_b32 s8, v38, 44
	s_add_u32 s20, s8, s2
	v_readlane_b32 s8, v38, 45
	s_addc_u32 s9, s8, s3
	s_mov_b32 s8, s93
	s_cmp_lg_u64 s[8:9], 0
	s_cbranch_scc0 .LBB86_151
; %bb.95:                               ;   in Loop: Header=BB86_22 Depth=1
	v_cvt_f32_u32_e32 v2, s33
	s_sub_u32 s8, 0, s33
	s_subb_u32 s10, 0, 0
	v_mac_f32_e32 v2, 0, v28
	v_rcp_f32_e32 v2, v2
	v_mul_f32_e32 v2, 0x5f7ffffc, v2
	v_mul_f32_e32 v3, 0x2f800000, v2
	v_trunc_f32_e32 v3, v3
	v_mac_f32_e32 v2, 0xcf800000, v3
	v_cvt_u32_f32_e32 v3, v3
	v_cvt_u32_f32_e32 v2, v2
	v_readfirstlane_b32 s11, v3
	v_readfirstlane_b32 s21, v2
	s_mul_i32 s22, s8, s11
	s_mul_hi_u32 s28, s8, s21
	s_mul_i32 s23, s10, s21
	s_add_i32 s22, s28, s22
	s_mul_i32 s29, s8, s21
	s_add_i32 s22, s22, s23
	s_mul_hi_u32 s28, s21, s29
	s_mul_hi_u32 s23, s21, s22
	s_mul_i32 s21, s21, s22
	s_add_u32 s21, s28, s21
	s_addc_u32 s23, 0, s23
	s_mul_hi_u32 s30, s11, s29
	s_mul_i32 s29, s11, s29
	s_add_u32 s21, s21, s29
	s_mul_hi_u32 s28, s11, s22
	s_addc_u32 s21, s23, s30
	s_addc_u32 s23, s28, 0
	s_mul_i32 s22, s11, s22
	s_add_u32 s21, s21, s22
	s_addc_u32 s22, 0, s23
	v_add_co_u32_e32 v2, vcc, s21, v2
	s_cmp_lg_u64 vcc, 0
	s_addc_u32 s11, s11, s22
	v_readfirstlane_b32 s22, v2
	s_mul_i32 s21, s8, s11
	s_mul_hi_u32 s23, s8, s22
	s_add_i32 s21, s23, s21
	s_mul_i32 s10, s10, s22
	s_add_i32 s21, s21, s10
	s_mul_i32 s8, s8, s22
	s_mul_hi_u32 s23, s11, s8
	s_mul_i32 s28, s11, s8
	s_mul_i32 s30, s22, s21
	s_mul_hi_u32 s8, s22, s8
	s_mul_hi_u32 s29, s22, s21
	s_add_u32 s8, s8, s30
	s_addc_u32 s22, 0, s29
	s_add_u32 s8, s8, s28
	s_mul_hi_u32 s10, s11, s21
	s_addc_u32 s8, s22, s23
	s_addc_u32 s10, s10, 0
	s_mul_i32 s21, s11, s21
	s_add_u32 s8, s8, s21
	s_addc_u32 s10, 0, s10
	v_add_co_u32_e32 v2, vcc, s8, v2
	s_cmp_lg_u64 vcc, 0
	s_addc_u32 s8, s11, s10
	v_readfirstlane_b32 s21, v2
	s_mul_i32 s11, s20, s8
	s_mul_hi_u32 s22, s20, s21
	s_mul_hi_u32 s10, s20, s8
	s_add_u32 s11, s22, s11
	s_addc_u32 s10, 0, s10
	s_mul_hi_u32 s23, s9, s21
	s_mul_i32 s21, s9, s21
	s_add_u32 s11, s11, s21
	s_mul_hi_u32 s22, s9, s8
	s_addc_u32 s10, s10, s23
	s_addc_u32 s11, s22, 0
	s_mul_i32 s8, s9, s8
	s_add_u32 s8, s10, s8
	s_addc_u32 s10, 0, s11
	s_mul_hi_u32 s11, s33, s8
	s_mul_i32 s8, s33, s8
	s_mul_i32 s10, s33, s10
	v_mov_b32_e32 v2, s8
	s_add_i32 s11, s11, s10
	v_sub_co_u32_e32 v2, vcc, s20, v2
	s_cmp_lg_u64 vcc, 0
	s_subb_u32 s8, s9, s11
	v_subrev_co_u32_e32 v3, vcc, s33, v2
	s_cmp_lg_u64 vcc, 0
	s_subb_u32 s10, s8, 0
	v_subrev_co_u32_e32 v4, vcc, s33, v3
	s_cmp_lg_u64 vcc, 0
	s_subb_u32 s11, s10, 0
	v_cmp_le_u32_e32 vcc, s33, v3
	s_cmp_eq_u32 s10, 0
	v_cndmask_b32_e64 v5, 0, -1, vcc
	s_cselect_b64 vcc, -1, 0
	v_cndmask_b32_e32 v5, -1, v5, vcc
	v_mov_b32_e32 v6, s10
	v_mov_b32_e32 v7, s11
	v_cmp_ne_u32_e32 vcc, 0, v5
	v_cndmask_b32_e32 v5, v6, v7, vcc
	v_cndmask_b32_e32 v4, v3, v4, vcc
	v_cmp_le_u32_e32 vcc, s33, v2
	s_cmp_eq_u32 s8, 0
	v_cndmask_b32_e64 v3, 0, -1, vcc
	s_cselect_b64 vcc, -1, 0
	v_cndmask_b32_e32 v3, -1, v3, vcc
	v_mov_b32_e32 v6, s8
	v_cmp_ne_u32_e32 vcc, 0, v3
	v_cndmask_b32_e32 v3, v6, v5, vcc
	v_cndmask_b32_e32 v2, v2, v4, vcc
	s_cbranch_execnz .LBB86_97
.LBB86_96:                              ;   in Loop: Header=BB86_22 Depth=1
	v_cvt_f32_u32_e32 v2, s33
	s_sub_i32 s8, 0, s33
	v_rcp_iflag_f32_e32 v2, v2
	v_mul_f32_e32 v2, 0x4f7ffffe, v2
	v_cvt_u32_f32_e32 v2, v2
	v_mul_lo_u32 v3, s8, v2
	v_mul_hi_u32 v3, v2, v3
	v_add_u32_e32 v2, v2, v3
	v_mul_hi_u32 v2, s20, v2
	v_mul_lo_u32 v2, v2, s33
	v_sub_u32_e32 v2, s20, v2
	v_subrev_u32_e32 v3, s33, v2
	v_cmp_le_u32_e32 vcc, s33, v2
	v_cndmask_b32_e32 v2, v2, v3, vcc
	v_subrev_u32_e32 v3, s33, v2
	v_cmp_le_u32_e32 vcc, s33, v2
	v_cndmask_b32_e32 v10, v2, v3, vcc
	v_pk_mov_b32 v[2:3], v[10:11], v[10:11] op_sel:[0,1]
.LBB86_97:                              ;   in Loop: Header=BB86_22 Depth=1
	v_mov_b32_e32 v4, s9
	v_sub_co_u32_e32 v2, vcc, s20, v2
	v_subb_co_u32_e32 v3, vcc, v4, v3, vcc
	v_cmp_gt_u64_e32 vcc, v[2:3], v[0:1]
	s_mov_b64 s[8:9], 0
                                        ; implicit-def: $vgpr29
	s_and_saveexec_b64 s[10:11], vcc
	s_cbranch_execz .LBB86_108
; %bb.98:                               ;   in Loop: Header=BB86_22 Depth=1
	v_mov_b32_e32 v6, v0
	v_pk_mov_b32 v[4:5], v[0:1], v[0:1] op_sel:[0,1]
                                        ; implicit-def: $sgpr20_sgpr21
	s_branch .LBB86_100
.LBB86_99:                              ;   in Loop: Header=BB86_100 Depth=2
	s_or_b64 exec, exec, s[22:23]
	s_waitcnt lgkmcnt(0)
	s_barrier
	ds_read_u16 v7, v11 offset:3072
	v_mov_b32_e32 v8, s55
	v_add_co_u32_e32 v4, vcc, s33, v4
	v_addc_co_u32_e32 v5, vcc, v5, v8, vcc
	s_waitcnt lgkmcnt(0)
	v_cmp_ne_u16_sdwa s[22:23], v7, v1 src0_sel:BYTE_0 src1_sel:DWORD
	v_cmp_ge_u64_e32 vcc, v[4:5], v[2:3]
	s_or_b64 s[28:29], vcc, s[22:23]
	s_and_b64 s[28:29], exec, s[28:29]
	s_or_b64 s[8:9], s[28:29], s[8:9]
	s_andn2_b64 s[20:21], s[20:21], exec
	s_and_b64 s[22:23], s[22:23], exec
	v_add_u32_e32 v6, s33, v6
	s_or_b64 s[20:21], s[20:21], s[22:23]
	s_barrier
	s_andn2_b64 exec, exec, s[8:9]
	s_cbranch_execz .LBB86_107
.LBB86_100:                             ;   Parent Loop BB86_22 Depth=1
                                        ; =>  This Inner Loop Header: Depth=2
	v_cmp_gt_u64_e32 vcc, s[2:3], v[4:5]
	v_mov_b32_e32 v7, 0
	s_and_saveexec_b64 s[22:23], vcc
	s_cbranch_execz .LBB86_102
; %bb.101:                              ;   in Loop: Header=BB86_100 Depth=2
	ds_read_u8 v7, v6
.LBB86_102:                             ;   in Loop: Header=BB86_100 Depth=2
	s_or_b64 exec, exec, s[22:23]
	s_and_saveexec_b64 s[22:23], vcc
	s_cbranch_execz .LBB86_99
; %bb.103:                              ;   in Loop: Header=BB86_100 Depth=2
	s_waitcnt lgkmcnt(0)
	v_add_u32_sdwa v8, sext(v7), s1 dst_sel:DWORD dst_unused:UNUSED_PAD src0_sel:BYTE_0 src1_sel:DWORD
	v_and_b32_e32 v8, s26, v8
	v_cmp_eq_u32_e32 vcc, s27, v8
	s_and_b64 exec, exec, vcc
	s_cbranch_execz .LBB86_99
; %bb.104:                              ;   in Loop: Header=BB86_100 Depth=2
	v_lshlrev_b16_e32 v7, 8, v7
	v_or_b32_e32 v7, 1, v7
	ds_write_b16 v11, v7 offset:3072
	s_branch .LBB86_99
.LBB86_105:                             ;   in Loop: Header=BB86_22 Depth=1
	s_mov_b64 s[8:9], -1
                                        ; implicit-def: $sgpr2_sgpr3
                                        ; implicit-def: $sgpr20_sgpr21
                                        ; implicit-def: $sgpr10_sgpr11
	s_branch .LBB86_122
.LBB86_106:                             ;   in Loop: Header=BB86_22 Depth=1
	s_mov_b64 s[2:3], -1
	s_mov_b64 s[8:9], 0
                                        ; implicit-def: $sgpr10_sgpr11
                                        ; implicit-def: $vgpr29
	s_mov_b64 s[20:21], s[2:3]
	s_cbranch_execnz .LBB86_109
	s_branch .LBB86_122
.LBB86_107:                             ;   in Loop: Header=BB86_22 Depth=1
	s_or_b64 exec, exec, s[8:9]
	v_lshrrev_b16_e32 v29, 8, v7
	s_and_b64 s[8:9], s[20:21], exec
.LBB86_108:                             ;   in Loop: Header=BB86_22 Depth=1
	s_or_b64 exec, exec, s[10:11]
	s_mov_b64 s[10:11], -1
	s_mov_b64 s[2:3], 0
	s_mov_b64 s[20:21], s[2:3]
	s_branch .LBB86_122
.LBB86_109:                             ;   in Loop: Header=BB86_22 Depth=1
	s_mov_b32 s64, s93
	s_cmp_lg_u64 s[64:65], 0
	s_cbranch_scc0 .LBB86_155
; %bb.110:                              ;   in Loop: Header=BB86_22 Depth=1
	v_cvt_f32_u32_e32 v2, s33
	s_sub_u32 s2, 0, s33
	s_subb_u32 s3, 0, 0
	v_mac_f32_e32 v2, 0, v28
	v_rcp_f32_e32 v2, v2
	v_mul_f32_e32 v2, 0x5f7ffffc, v2
	v_mul_f32_e32 v3, 0x2f800000, v2
	v_trunc_f32_e32 v3, v3
	v_mac_f32_e32 v2, 0xcf800000, v3
	v_cvt_u32_f32_e32 v3, v3
	v_cvt_u32_f32_e32 v2, v2
	v_readfirstlane_b32 s8, v3
	v_readfirstlane_b32 s9, v2
	s_mul_i32 s10, s2, s8
	s_mul_hi_u32 s20, s2, s9
	s_mul_i32 s11, s3, s9
	s_add_i32 s10, s20, s10
	s_mul_i32 s21, s2, s9
	s_add_i32 s10, s10, s11
	s_mul_hi_u32 s20, s9, s21
	s_mul_hi_u32 s11, s9, s10
	s_mul_i32 s9, s9, s10
	s_add_u32 s9, s20, s9
	s_addc_u32 s11, 0, s11
	s_mul_hi_u32 s22, s8, s21
	s_mul_i32 s21, s8, s21
	s_add_u32 s9, s9, s21
	s_mul_hi_u32 s20, s8, s10
	s_addc_u32 s9, s11, s22
	s_addc_u32 s11, s20, 0
	s_mul_i32 s10, s8, s10
	s_add_u32 s9, s9, s10
	s_addc_u32 s10, 0, s11
	v_add_co_u32_e32 v2, vcc, s9, v2
	s_cmp_lg_u64 vcc, 0
	s_addc_u32 s8, s8, s10
	v_readfirstlane_b32 s10, v2
	s_mul_i32 s9, s2, s8
	s_mul_hi_u32 s11, s2, s10
	s_add_i32 s9, s11, s9
	s_mul_i32 s3, s3, s10
	s_add_i32 s9, s9, s3
	s_mul_i32 s2, s2, s10
	s_mul_hi_u32 s11, s8, s2
	s_mul_i32 s20, s8, s2
	s_mul_i32 s22, s10, s9
	s_mul_hi_u32 s2, s10, s2
	s_mul_hi_u32 s21, s10, s9
	s_add_u32 s2, s2, s22
	s_addc_u32 s10, 0, s21
	s_add_u32 s2, s2, s20
	s_mul_hi_u32 s3, s8, s9
	s_addc_u32 s2, s10, s11
	s_addc_u32 s3, s3, 0
	s_mul_i32 s9, s8, s9
	s_add_u32 s2, s2, s9
	s_addc_u32 s3, 0, s3
	v_add_co_u32_e32 v2, vcc, s2, v2
	s_cmp_lg_u64 vcc, 0
	s_addc_u32 s2, s8, s3
	v_readfirstlane_b32 s9, v2
	s_mul_i32 s8, s54, s2
	s_mul_hi_u32 s10, s54, s9
	s_mul_hi_u32 s3, s54, s2
	s_add_u32 s8, s10, s8
	s_addc_u32 s3, 0, s3
	s_mul_hi_u32 s11, s65, s9
	s_mul_i32 s9, s65, s9
	s_add_u32 s8, s8, s9
	s_mul_hi_u32 s10, s65, s2
	s_addc_u32 s3, s3, s11
	s_addc_u32 s8, s10, 0
	s_mul_i32 s2, s65, s2
	s_add_u32 s2, s3, s2
	s_addc_u32 s3, 0, s8
	s_mul_hi_u32 s8, s33, s2
	s_mul_i32 s2, s33, s2
	s_mul_i32 s3, s33, s3
	v_mov_b32_e32 v2, s2
	s_add_i32 s8, s8, s3
	v_sub_co_u32_e32 v2, vcc, s54, v2
	s_cmp_lg_u64 vcc, 0
	s_subb_u32 s2, s65, s8
	v_subrev_co_u32_e32 v3, vcc, s33, v2
	s_cmp_lg_u64 vcc, 0
	s_subb_u32 s3, s2, 0
	v_subrev_co_u32_e32 v4, vcc, s33, v3
	s_cmp_lg_u64 vcc, 0
	s_subb_u32 s8, s3, 0
	v_cmp_le_u32_e32 vcc, s33, v3
	s_cmp_eq_u32 s3, 0
	v_cndmask_b32_e64 v5, 0, -1, vcc
	s_cselect_b64 vcc, -1, 0
	v_cndmask_b32_e32 v5, -1, v5, vcc
	v_mov_b32_e32 v6, s3
	v_mov_b32_e32 v7, s8
	v_cmp_ne_u32_e32 vcc, 0, v5
	v_cndmask_b32_e32 v5, v6, v7, vcc
	v_cndmask_b32_e32 v4, v3, v4, vcc
	v_cmp_le_u32_e32 vcc, s33, v2
	s_cmp_eq_u32 s2, 0
	v_cndmask_b32_e64 v3, 0, -1, vcc
	s_cselect_b64 vcc, -1, 0
	v_cndmask_b32_e32 v3, -1, v3, vcc
	v_mov_b32_e32 v6, s2
	v_cmp_ne_u32_e32 vcc, 0, v3
	v_cndmask_b32_e32 v3, v6, v5, vcc
	v_cndmask_b32_e32 v2, v2, v4, vcc
	s_cbranch_execnz .LBB86_112
.LBB86_111:                             ;   in Loop: Header=BB86_22 Depth=1
	v_cvt_f32_u32_e32 v2, s33
	s_sub_i32 s2, 0, s33
	v_rcp_iflag_f32_e32 v2, v2
	v_mul_f32_e32 v2, 0x4f7ffffe, v2
	v_cvt_u32_f32_e32 v2, v2
	v_mul_lo_u32 v3, s2, v2
	v_mul_hi_u32 v3, v2, v3
	v_add_u32_e32 v2, v2, v3
	v_mul_hi_u32 v2, s54, v2
	v_mul_lo_u32 v2, v2, s33
	v_sub_u32_e32 v2, s54, v2
	v_subrev_u32_e32 v3, s33, v2
	v_cmp_le_u32_e32 vcc, s33, v2
	v_cndmask_b32_e32 v2, v2, v3, vcc
	v_subrev_u32_e32 v3, s33, v2
	v_cmp_le_u32_e32 vcc, s33, v2
	v_cndmask_b32_e32 v10, v2, v3, vcc
	v_pk_mov_b32 v[2:3], v[10:11], v[10:11] op_sel:[0,1]
.LBB86_112:                             ;   in Loop: Header=BB86_22 Depth=1
	v_mov_b32_e32 v4, s65
	v_sub_co_u32_e32 v2, vcc, s54, v2
	v_subb_co_u32_e32 v3, vcc, v4, v3, vcc
	v_cmp_gt_u64_e32 vcc, v[2:3], v[0:1]
	s_mov_b64 s[8:9], 0
                                        ; implicit-def: $vgpr29
	s_and_saveexec_b64 s[2:3], vcc
	s_cbranch_execz .LBB86_121
; %bb.113:                              ;   in Loop: Header=BB86_22 Depth=1
	v_pk_mov_b32 v[4:5], v[0:1], v[0:1] op_sel:[0,1]
                                        ; implicit-def: $sgpr10_sgpr11
	s_branch .LBB86_115
.LBB86_114:                             ;   in Loop: Header=BB86_115 Depth=2
	s_or_b64 exec, exec, s[20:21]
	s_waitcnt lgkmcnt(0)
	s_barrier
	s_waitcnt vmcnt(0)
	ds_read_u16 v6, v11 offset:3072
	v_mov_b32_e32 v7, s55
	v_add_co_u32_e32 v4, vcc, s33, v4
	v_addc_co_u32_e32 v5, vcc, v5, v7, vcc
	s_waitcnt lgkmcnt(0)
	v_cmp_ne_u16_sdwa s[20:21], v6, v1 src0_sel:BYTE_0 src1_sel:DWORD
	v_cmp_ge_u64_e32 vcc, v[4:5], v[2:3]
	s_or_b64 s[22:23], vcc, s[20:21]
	s_and_b64 s[22:23], exec, s[22:23]
	s_or_b64 s[8:9], s[22:23], s[8:9]
	s_andn2_b64 s[10:11], s[10:11], exec
	s_and_b64 s[20:21], s[20:21], exec
	s_or_b64 s[10:11], s[10:11], s[20:21]
	s_barrier
	s_andn2_b64 exec, exec, s[8:9]
	s_cbranch_execz .LBB86_120
.LBB86_115:                             ;   Parent Loop BB86_22 Depth=1
                                        ; =>  This Inner Loop Header: Depth=2
	v_cmp_gt_u64_e32 vcc, s[52:53], v[4:5]
	v_mov_b32_e32 v6, 0
	s_and_saveexec_b64 s[20:21], vcc
	s_cbranch_execz .LBB86_117
; %bb.116:                              ;   in Loop: Header=BB86_115 Depth=2
	v_pk_mov_b32 v[6:7], s[90:91], s[90:91] op_sel:[0,1]
	v_mad_u64_u32 v[6:7], s[22:23], v4, s80, v[6:7]
	v_mul_lo_u32 v8, v4, s81
	v_mul_lo_u32 v9, v5, s80
	v_add3_u32 v7, v9, v7, v8
	global_load_ubyte v6, v[6:7], off
.LBB86_117:                             ;   in Loop: Header=BB86_115 Depth=2
	s_or_b64 exec, exec, s[20:21]
	s_and_saveexec_b64 s[20:21], vcc
	s_cbranch_execz .LBB86_114
; %bb.118:                              ;   in Loop: Header=BB86_115 Depth=2
	s_waitcnt vmcnt(0)
	v_add_u32_sdwa v7, sext(v6), s1 dst_sel:DWORD dst_unused:UNUSED_PAD src0_sel:BYTE_0 src1_sel:DWORD
	v_and_b32_e32 v7, s26, v7
	v_cmp_eq_u32_e32 vcc, s27, v7
	s_and_b64 exec, exec, vcc
	s_cbranch_execz .LBB86_114
; %bb.119:                              ;   in Loop: Header=BB86_115 Depth=2
	v_lshlrev_b16_e32 v6, 8, v6
	v_or_b32_e32 v6, 1, v6
	ds_write_b16 v11, v6 offset:3072
	s_branch .LBB86_114
.LBB86_120:                             ;   in Loop: Header=BB86_22 Depth=1
	s_or_b64 exec, exec, s[8:9]
	v_lshrrev_b16_e32 v29, 8, v6
	s_and_b64 s[8:9], s[10:11], exec
.LBB86_121:                             ;   in Loop: Header=BB86_22 Depth=1
	s_or_b64 exec, exec, s[2:3]
	s_mov_b64 s[20:21], -1
	s_mov_b64 s[2:3], 0
	s_mov_b64 s[10:11], 0
.LBB86_122:                             ;   in Loop: Header=BB86_22 Depth=1
	s_andn2_b64 s[22:23], s[72:73], exec
	s_and_b64 s[2:3], s[2:3], exec
	s_or_b64 s[72:73], s[22:23], s[2:3]
	s_andn2_b64 s[2:3], s[58:59], exec
	s_and_b64 s[20:21], s[20:21], exec
	s_or_b64 s[58:59], s[2:3], s[20:21]
	;; [unrolled: 3-line block ×3, first 2 shown]
	s_and_saveexec_b64 s[10:11], s[8:9]
	s_cbranch_execz .LBB86_21
; %bb.123:                              ;   in Loop: Header=BB86_22 Depth=1
	s_xor_b64 s[2:3], s[18:19], -1
	s_andn2_b64 vcc, exec, s[2:3]
	s_mov_b32 s47, 1
	s_cbranch_vccnz .LBB86_134
; %bb.124:                              ;   in Loop: Header=BB86_22 Depth=1
	v_pk_mov_b32 v[2:3], s[12:13], s[12:13] op_sel:[0,1]
	v_cmp_gt_u64_e32 vcc, s[94:95], v[2:3]
	s_mov_b64 s[2:3], -1
                                        ; implicit-def: $sgpr47
                                        ; implicit-def: $sgpr8
                                        ; implicit-def: $sgpr9
	s_cbranch_vccnz .LBB86_130
; %bb.125:                              ;   in Loop: Header=BB86_22 Depth=1
	ds_read_b64 v[2:3], v11 offset:5120
	s_waitcnt lgkmcnt(0)
	v_cmp_ne_u64_e32 vcc, 0, v[2:3]
	s_cbranch_vccnz .LBB86_129
; %bb.126:                              ;   in Loop: Header=BB86_22 Depth=1
	s_mov_b64 s[2:3], exec
	v_readlane_b32 s8, v38, 28
	v_readlane_b32 s9, v38, 29
	s_and_b64 s[8:9], s[2:3], s[8:9]
	s_mov_b64 exec, s[8:9]
	s_cbranch_execz .LBB86_128
; %bb.127:                              ;   in Loop: Header=BB86_22 Depth=1
	v_pk_mov_b32 v[2:3], s[12:13], s[12:13] op_sel:[0,1]
	ds_write_b64 v11, v[2:3] offset:5128
.LBB86_128:                             ;   in Loop: Header=BB86_22 Depth=1
	s_or_b64 exec, exec, s[2:3]
	s_waitcnt lgkmcnt(0)
	s_barrier
.LBB86_129:                             ;   in Loop: Header=BB86_22 Depth=1
	s_and_b32 s8, s27, s39
	s_or_b32 s9, s26, s46
	s_mov_b64 s[2:3], 0
	s_mov_b32 s47, 8
.LBB86_130:                             ;   in Loop: Header=BB86_22 Depth=1
	s_andn2_b64 vcc, exec, s[2:3]
	s_cbranch_vccnz .LBB86_132
; %bb.131:                              ;   in Loop: Header=BB86_22 Depth=1
	s_sub_u32 s94, s94, s12
	s_subb_u32 s95, s95, s13
	s_mov_b64 s[2:3], -1
	s_mov_b32 s47, 0
	s_mov_b32 s8, s27
	;; [unrolled: 1-line block ×3, first 2 shown]
.LBB86_132:                             ;   in Loop: Header=BB86_22 Depth=1
	s_mov_b32 s26, s9
	s_mov_b32 s27, s8
	s_mov_b64 s[12:13], -1
	s_and_b64 vcc, exec, s[2:3]
	s_cbranch_vccnz .LBB86_135
.LBB86_133:                             ;   in Loop: Header=BB86_22 Depth=1
	s_mov_b64 s[2:3], -1
                                        ; implicit-def: $sgpr16_sgpr17
                                        ; implicit-def: $sgpr20_sgpr21
                                        ; implicit-def: $sgpr18_sgpr19
	s_and_saveexec_b64 s[6:7], s[2:3]
	s_xor_b64 s[2:3], exec, s[6:7]
	s_cbranch_execz .LBB86_20
	s_branch .LBB86_284
.LBB86_134:                             ;   in Loop: Header=BB86_22 Depth=1
	s_mov_b64 s[94:95], 1
	s_mov_b64 s[12:13], -1
	s_branch .LBB86_133
.LBB86_135:                             ;   in Loop: Header=BB86_22 Depth=1
	s_cmp_eq_u64 s[24:25], 1
	s_cselect_b64 s[2:3], -1, 0
	s_cmp_eq_u64 s[94:95], 1
	s_cselect_b64 s[8:9], -1, 0
	s_and_b64 s[28:29], s[2:3], s[8:9]
	s_mov_b64 s[8:9], -1
	s_and_b64 vcc, exec, s[28:29]
	s_cbranch_vccz .LBB86_150
; %bb.136:                              ;   in Loop: Header=BB86_22 Depth=1
	ds_read_b64 v[2:3], v11 offset:5120
	s_waitcnt lgkmcnt(0)
	s_barrier
	v_readfirstlane_b32 s2, v2
	v_readfirstlane_b32 s3, v3
	s_mov_b64 s[8:9], exec
	v_readlane_b32 s16, v38, 38
	v_readlane_b32 s17, v38, 39
	s_and_b64 s[16:17], s[8:9], s[16:17]
	s_mov_b64 exec, s[16:17]
	s_cbranch_execz .LBB86_138
; %bb.137:                              ;   in Loop: Header=BB86_22 Depth=1
	ds_write_b8 v0, v1 offset:3072
.LBB86_138:                             ;   in Loop: Header=BB86_22 Depth=1
	s_or_b64 exec, exec, s[8:9]
	s_lshl_b32 s8, 1, s38
	s_and_b32 s9, s27, s39
	s_or_b32 s27, s9, s8
	s_or_b32 s26, s26, s46
	s_cmp_eq_u64 s[2:3], 0
	s_waitcnt lgkmcnt(0)
	s_barrier
	s_cbranch_scc1 .LBB86_156
; %bb.139:                              ;   in Loop: Header=BB86_22 Depth=1
	v_readlane_b32 s8, v38, 44
	s_add_u32 s18, s8, s2
	v_readlane_b32 s8, v38, 45
	s_addc_u32 s9, s8, s3
	s_mov_b32 s8, s93
	s_cmp_lg_u64 s[8:9], 0
	s_cbranch_scc0 .LBB86_201
; %bb.140:                              ;   in Loop: Header=BB86_22 Depth=1
	v_cvt_f32_u32_e32 v2, s33
	s_sub_u32 s8, 0, s33
	s_subb_u32 s16, 0, 0
	v_mac_f32_e32 v2, 0, v28
	v_rcp_f32_e32 v2, v2
	v_mul_f32_e32 v2, 0x5f7ffffc, v2
	v_mul_f32_e32 v3, 0x2f800000, v2
	v_trunc_f32_e32 v3, v3
	v_mac_f32_e32 v2, 0xcf800000, v3
	v_cvt_u32_f32_e32 v3, v3
	v_cvt_u32_f32_e32 v2, v2
	v_readfirstlane_b32 s17, v3
	v_readfirstlane_b32 s19, v2
	s_mul_i32 s20, s8, s17
	s_mul_hi_u32 s22, s8, s19
	s_mul_i32 s21, s16, s19
	s_add_i32 s20, s22, s20
	s_mul_i32 s23, s8, s19
	s_add_i32 s20, s20, s21
	s_mul_hi_u32 s22, s19, s23
	s_mul_hi_u32 s21, s19, s20
	s_mul_i32 s19, s19, s20
	s_add_u32 s19, s22, s19
	s_addc_u32 s21, 0, s21
	s_mul_hi_u32 s30, s17, s23
	s_mul_i32 s23, s17, s23
	s_add_u32 s19, s19, s23
	s_mul_hi_u32 s22, s17, s20
	s_addc_u32 s19, s21, s30
	s_addc_u32 s21, s22, 0
	s_mul_i32 s20, s17, s20
	s_add_u32 s19, s19, s20
	s_addc_u32 s20, 0, s21
	v_add_co_u32_e32 v2, vcc, s19, v2
	s_cmp_lg_u64 vcc, 0
	s_addc_u32 s17, s17, s20
	v_readfirstlane_b32 s20, v2
	s_mul_i32 s19, s8, s17
	s_mul_hi_u32 s21, s8, s20
	s_add_i32 s19, s21, s19
	s_mul_i32 s16, s16, s20
	s_add_i32 s19, s19, s16
	s_mul_i32 s8, s8, s20
	s_mul_hi_u32 s21, s17, s8
	s_mul_i32 s22, s17, s8
	s_mul_i32 s30, s20, s19
	s_mul_hi_u32 s8, s20, s8
	s_mul_hi_u32 s23, s20, s19
	s_add_u32 s8, s8, s30
	s_addc_u32 s20, 0, s23
	s_add_u32 s8, s8, s22
	s_mul_hi_u32 s16, s17, s19
	s_addc_u32 s8, s20, s21
	s_addc_u32 s16, s16, 0
	s_mul_i32 s19, s17, s19
	s_add_u32 s8, s8, s19
	s_addc_u32 s16, 0, s16
	v_add_co_u32_e32 v2, vcc, s8, v2
	s_cmp_lg_u64 vcc, 0
	s_addc_u32 s8, s17, s16
	v_readfirstlane_b32 s19, v2
	s_mul_i32 s17, s18, s8
	s_mul_hi_u32 s20, s18, s19
	s_mul_hi_u32 s16, s18, s8
	s_add_u32 s17, s20, s17
	s_addc_u32 s16, 0, s16
	s_mul_hi_u32 s21, s9, s19
	s_mul_i32 s19, s9, s19
	s_add_u32 s17, s17, s19
	s_mul_hi_u32 s20, s9, s8
	s_addc_u32 s16, s16, s21
	s_addc_u32 s17, s20, 0
	s_mul_i32 s8, s9, s8
	s_add_u32 s8, s16, s8
	s_addc_u32 s16, 0, s17
	s_mul_hi_u32 s17, s33, s8
	s_mul_i32 s8, s33, s8
	s_mul_i32 s16, s33, s16
	v_mov_b32_e32 v2, s8
	s_add_i32 s17, s17, s16
	v_sub_co_u32_e32 v2, vcc, s18, v2
	s_cmp_lg_u64 vcc, 0
	s_subb_u32 s8, s9, s17
	v_subrev_co_u32_e32 v3, vcc, s33, v2
	s_cmp_lg_u64 vcc, 0
	s_subb_u32 s16, s8, 0
	v_subrev_co_u32_e32 v4, vcc, s33, v3
	s_cmp_lg_u64 vcc, 0
	s_subb_u32 s17, s16, 0
	v_cmp_le_u32_e32 vcc, s33, v3
	s_cmp_eq_u32 s16, 0
	v_cndmask_b32_e64 v5, 0, -1, vcc
	s_cselect_b64 vcc, -1, 0
	v_cndmask_b32_e32 v5, -1, v5, vcc
	v_mov_b32_e32 v6, s16
	v_mov_b32_e32 v7, s17
	v_cmp_ne_u32_e32 vcc, 0, v5
	v_cndmask_b32_e32 v5, v6, v7, vcc
	v_cndmask_b32_e32 v4, v3, v4, vcc
	v_cmp_le_u32_e32 vcc, s33, v2
	s_cmp_eq_u32 s8, 0
	v_cndmask_b32_e64 v3, 0, -1, vcc
	s_cselect_b64 vcc, -1, 0
	v_cndmask_b32_e32 v3, -1, v3, vcc
	v_mov_b32_e32 v6, s8
	v_cmp_ne_u32_e32 vcc, 0, v3
	v_cndmask_b32_e32 v3, v6, v5, vcc
	v_cndmask_b32_e32 v2, v2, v4, vcc
	s_cbranch_execnz .LBB86_142
.LBB86_141:                             ;   in Loop: Header=BB86_22 Depth=1
	v_cvt_f32_u32_e32 v2, s33
	s_sub_i32 s8, 0, s33
	v_rcp_iflag_f32_e32 v2, v2
	v_mul_f32_e32 v2, 0x4f7ffffe, v2
	v_cvt_u32_f32_e32 v2, v2
	v_mul_lo_u32 v3, s8, v2
	v_mul_hi_u32 v3, v2, v3
	v_add_u32_e32 v2, v2, v3
	v_mul_hi_u32 v2, s18, v2
	v_mul_lo_u32 v2, v2, s33
	v_sub_u32_e32 v2, s18, v2
	v_subrev_u32_e32 v3, s33, v2
	v_cmp_le_u32_e32 vcc, s33, v2
	v_cndmask_b32_e32 v2, v2, v3, vcc
	v_subrev_u32_e32 v3, s33, v2
	v_cmp_le_u32_e32 vcc, s33, v2
	v_cndmask_b32_e32 v10, v2, v3, vcc
	v_pk_mov_b32 v[2:3], v[10:11], v[10:11] op_sel:[0,1]
.LBB86_142:                             ;   in Loop: Header=BB86_22 Depth=1
	v_mov_b32_e32 v4, s9
	v_sub_co_u32_e32 v2, vcc, s18, v2
	v_subb_co_u32_e32 v3, vcc, v4, v3, vcc
	v_cmp_gt_u64_e32 vcc, v[2:3], v[0:1]
	s_mov_b64 s[8:9], 0
                                        ; implicit-def: $vgpr29
	s_and_saveexec_b64 s[16:17], vcc
	s_cbranch_execz .LBB86_158
; %bb.143:                              ;   in Loop: Header=BB86_22 Depth=1
	v_mov_b32_e32 v6, v0
	v_pk_mov_b32 v[4:5], v[0:1], v[0:1] op_sel:[0,1]
                                        ; implicit-def: $sgpr18_sgpr19
	s_branch .LBB86_145
.LBB86_144:                             ;   in Loop: Header=BB86_145 Depth=2
	s_or_b64 exec, exec, s[20:21]
	s_waitcnt lgkmcnt(0)
	s_barrier
	ds_read_u16 v7, v11 offset:3072
	v_mov_b32_e32 v8, s55
	v_add_co_u32_e32 v4, vcc, s33, v4
	v_addc_co_u32_e32 v5, vcc, v5, v8, vcc
	s_waitcnt lgkmcnt(0)
	v_cmp_ne_u16_sdwa s[20:21], v7, v1 src0_sel:BYTE_0 src1_sel:DWORD
	v_cmp_ge_u64_e32 vcc, v[4:5], v[2:3]
	s_or_b64 s[22:23], vcc, s[20:21]
	s_and_b64 s[22:23], exec, s[22:23]
	s_or_b64 s[8:9], s[22:23], s[8:9]
	s_andn2_b64 s[18:19], s[18:19], exec
	s_and_b64 s[20:21], s[20:21], exec
	v_add_u32_e32 v6, s33, v6
	s_or_b64 s[18:19], s[18:19], s[20:21]
	s_barrier
	s_andn2_b64 exec, exec, s[8:9]
	s_cbranch_execz .LBB86_157
.LBB86_145:                             ;   Parent Loop BB86_22 Depth=1
                                        ; =>  This Inner Loop Header: Depth=2
	v_cmp_gt_u64_e32 vcc, s[2:3], v[4:5]
	v_mov_b32_e32 v7, 0
	s_and_saveexec_b64 s[20:21], vcc
	s_cbranch_execz .LBB86_147
; %bb.146:                              ;   in Loop: Header=BB86_145 Depth=2
	ds_read_u8 v7, v6
.LBB86_147:                             ;   in Loop: Header=BB86_145 Depth=2
	s_or_b64 exec, exec, s[20:21]
	s_and_saveexec_b64 s[20:21], vcc
	s_cbranch_execz .LBB86_144
; %bb.148:                              ;   in Loop: Header=BB86_145 Depth=2
	s_waitcnt lgkmcnt(0)
	v_add_u32_sdwa v8, sext(v7), s1 dst_sel:DWORD dst_unused:UNUSED_PAD src0_sel:BYTE_0 src1_sel:DWORD
	v_and_b32_e32 v8, s26, v8
	v_cmp_eq_u32_e32 vcc, s27, v8
	s_and_b64 exec, exec, vcc
	s_cbranch_execz .LBB86_144
; %bb.149:                              ;   in Loop: Header=BB86_145 Depth=2
	v_lshlrev_b16_e32 v7, 8, v7
	v_or_b32_e32 v7, 1, v7
	ds_write_b16 v11, v7 offset:3072
	s_branch .LBB86_144
.LBB86_150:                             ;   in Loop: Header=BB86_22 Depth=1
                                        ; implicit-def: $sgpr18_sgpr19
                                        ; implicit-def: $sgpr20_sgpr21
                                        ; implicit-def: $sgpr16_sgpr17
	s_branch .LBB86_172
.LBB86_151:                             ;   in Loop: Header=BB86_22 Depth=1
                                        ; implicit-def: $vgpr2_vgpr3
	s_branch .LBB86_96
.LBB86_152:                             ;   in Loop: Header=BB86_22 Depth=1
	s_or_b64 exec, exec, s[2:3]
	s_waitcnt lgkmcnt(0)
	s_barrier
	s_mov_b64 s[2:3], exec
	v_readlane_b32 s6, v38, 28
	v_readlane_b32 s7, v38, 29
	s_and_b64 s[6:7], s[2:3], s[6:7]
	s_mov_b64 exec, s[6:7]
	s_cbranch_execz .LBB86_154
; %bb.153:                              ;   in Loop: Header=BB86_22 Depth=1
	ds_read_b32 v2, v11 offset:5144
	s_waitcnt lgkmcnt(0)
	v_ashrrev_i32_e32 v3, 31, v2
	ds_write_b64 v11, v[2:3] offset:5120
.LBB86_154:                             ;   in Loop: Header=BB86_22 Depth=1
	s_or_b64 exec, exec, s[2:3]
	s_waitcnt lgkmcnt(0)
	s_barrier
	s_mov_b64 s[2:3], -1
	s_and_b64 vcc, exec, s[60:61]
	s_cbranch_vccnz .LBB86_37
	s_branch .LBB86_47
.LBB86_155:                             ;   in Loop: Header=BB86_22 Depth=1
                                        ; implicit-def: $vgpr2_vgpr3
	s_branch .LBB86_111
.LBB86_156:                             ;   in Loop: Header=BB86_22 Depth=1
	s_mov_b64 s[18:19], -1
	s_mov_b64 s[8:9], 0
                                        ; implicit-def: $sgpr16_sgpr17
                                        ; implicit-def: $vgpr29
	s_mov_b64 s[20:21], s[18:19]
	s_cbranch_execnz .LBB86_159
	s_branch .LBB86_172
.LBB86_157:                             ;   in Loop: Header=BB86_22 Depth=1
	s_or_b64 exec, exec, s[8:9]
	v_lshrrev_b16_e32 v29, 8, v7
	s_and_b64 s[8:9], s[18:19], exec
.LBB86_158:                             ;   in Loop: Header=BB86_22 Depth=1
	s_or_b64 exec, exec, s[16:17]
	s_mov_b64 s[16:17], -1
	s_mov_b64 s[18:19], 0
	s_mov_b64 s[20:21], s[18:19]
	s_branch .LBB86_172
.LBB86_159:                             ;   in Loop: Header=BB86_22 Depth=1
	s_mov_b32 s64, s93
	s_cmp_lg_u64 s[64:65], 0
	s_cbranch_scc0 .LBB86_202
; %bb.160:                              ;   in Loop: Header=BB86_22 Depth=1
	v_cvt_f32_u32_e32 v2, s33
	s_sub_u32 s2, 0, s33
	s_subb_u32 s3, 0, 0
	v_mac_f32_e32 v2, 0, v28
	v_rcp_f32_e32 v2, v2
	v_mul_f32_e32 v2, 0x5f7ffffc, v2
	v_mul_f32_e32 v3, 0x2f800000, v2
	v_trunc_f32_e32 v3, v3
	v_mac_f32_e32 v2, 0xcf800000, v3
	v_cvt_u32_f32_e32 v3, v3
	v_cvt_u32_f32_e32 v2, v2
	v_readfirstlane_b32 s8, v3
	v_readfirstlane_b32 s9, v2
	s_mul_i32 s16, s2, s8
	s_mul_hi_u32 s18, s2, s9
	s_mul_i32 s17, s3, s9
	s_add_i32 s16, s18, s16
	s_mul_i32 s19, s2, s9
	s_add_i32 s16, s16, s17
	s_mul_hi_u32 s18, s9, s19
	s_mul_hi_u32 s17, s9, s16
	s_mul_i32 s9, s9, s16
	s_add_u32 s9, s18, s9
	s_addc_u32 s17, 0, s17
	s_mul_hi_u32 s20, s8, s19
	s_mul_i32 s19, s8, s19
	s_add_u32 s9, s9, s19
	s_mul_hi_u32 s18, s8, s16
	s_addc_u32 s9, s17, s20
	s_addc_u32 s17, s18, 0
	s_mul_i32 s16, s8, s16
	s_add_u32 s9, s9, s16
	s_addc_u32 s16, 0, s17
	v_add_co_u32_e32 v2, vcc, s9, v2
	s_cmp_lg_u64 vcc, 0
	s_addc_u32 s8, s8, s16
	v_readfirstlane_b32 s16, v2
	s_mul_i32 s9, s2, s8
	s_mul_hi_u32 s17, s2, s16
	s_add_i32 s9, s17, s9
	s_mul_i32 s3, s3, s16
	s_add_i32 s9, s9, s3
	s_mul_i32 s2, s2, s16
	s_mul_hi_u32 s17, s8, s2
	s_mul_i32 s18, s8, s2
	s_mul_i32 s20, s16, s9
	s_mul_hi_u32 s2, s16, s2
	s_mul_hi_u32 s19, s16, s9
	s_add_u32 s2, s2, s20
	s_addc_u32 s16, 0, s19
	s_add_u32 s2, s2, s18
	s_mul_hi_u32 s3, s8, s9
	s_addc_u32 s2, s16, s17
	s_addc_u32 s3, s3, 0
	s_mul_i32 s9, s8, s9
	s_add_u32 s2, s2, s9
	s_addc_u32 s3, 0, s3
	v_add_co_u32_e32 v2, vcc, s2, v2
	s_cmp_lg_u64 vcc, 0
	s_addc_u32 s2, s8, s3
	v_readfirstlane_b32 s9, v2
	s_mul_i32 s8, s54, s2
	s_mul_hi_u32 s16, s54, s9
	s_mul_hi_u32 s3, s54, s2
	s_add_u32 s8, s16, s8
	s_addc_u32 s3, 0, s3
	s_mul_hi_u32 s17, s65, s9
	s_mul_i32 s9, s65, s9
	s_add_u32 s8, s8, s9
	s_mul_hi_u32 s16, s65, s2
	s_addc_u32 s3, s3, s17
	s_addc_u32 s8, s16, 0
	s_mul_i32 s2, s65, s2
	s_add_u32 s2, s3, s2
	s_addc_u32 s3, 0, s8
	s_mul_hi_u32 s8, s33, s2
	s_mul_i32 s2, s33, s2
	s_mul_i32 s3, s33, s3
	v_mov_b32_e32 v2, s2
	s_add_i32 s8, s8, s3
	v_sub_co_u32_e32 v2, vcc, s54, v2
	s_cmp_lg_u64 vcc, 0
	s_subb_u32 s2, s65, s8
	v_subrev_co_u32_e32 v3, vcc, s33, v2
	s_cmp_lg_u64 vcc, 0
	s_subb_u32 s3, s2, 0
	v_subrev_co_u32_e32 v4, vcc, s33, v3
	s_cmp_lg_u64 vcc, 0
	s_subb_u32 s8, s3, 0
	v_cmp_le_u32_e32 vcc, s33, v3
	s_cmp_eq_u32 s3, 0
	v_cndmask_b32_e64 v5, 0, -1, vcc
	s_cselect_b64 vcc, -1, 0
	v_cndmask_b32_e32 v5, -1, v5, vcc
	v_mov_b32_e32 v6, s3
	v_mov_b32_e32 v7, s8
	v_cmp_ne_u32_e32 vcc, 0, v5
	v_cndmask_b32_e32 v5, v6, v7, vcc
	v_cndmask_b32_e32 v4, v3, v4, vcc
	v_cmp_le_u32_e32 vcc, s33, v2
	s_cmp_eq_u32 s2, 0
	v_cndmask_b32_e64 v3, 0, -1, vcc
	s_cselect_b64 vcc, -1, 0
	v_cndmask_b32_e32 v3, -1, v3, vcc
	v_mov_b32_e32 v6, s2
	v_cmp_ne_u32_e32 vcc, 0, v3
	v_cndmask_b32_e32 v3, v6, v5, vcc
	v_cndmask_b32_e32 v2, v2, v4, vcc
	s_cbranch_execnz .LBB86_162
.LBB86_161:                             ;   in Loop: Header=BB86_22 Depth=1
	v_cvt_f32_u32_e32 v2, s33
	s_sub_i32 s2, 0, s33
	v_rcp_iflag_f32_e32 v2, v2
	v_mul_f32_e32 v2, 0x4f7ffffe, v2
	v_cvt_u32_f32_e32 v2, v2
	v_mul_lo_u32 v3, s2, v2
	v_mul_hi_u32 v3, v2, v3
	v_add_u32_e32 v2, v2, v3
	v_mul_hi_u32 v2, s54, v2
	v_mul_lo_u32 v2, v2, s33
	v_sub_u32_e32 v2, s54, v2
	v_subrev_u32_e32 v3, s33, v2
	v_cmp_le_u32_e32 vcc, s33, v2
	v_cndmask_b32_e32 v2, v2, v3, vcc
	v_subrev_u32_e32 v3, s33, v2
	v_cmp_le_u32_e32 vcc, s33, v2
	v_cndmask_b32_e32 v10, v2, v3, vcc
	v_pk_mov_b32 v[2:3], v[10:11], v[10:11] op_sel:[0,1]
.LBB86_162:                             ;   in Loop: Header=BB86_22 Depth=1
	v_mov_b32_e32 v4, s65
	v_sub_co_u32_e32 v2, vcc, s54, v2
	v_subb_co_u32_e32 v3, vcc, v4, v3, vcc
	v_cmp_gt_u64_e32 vcc, v[2:3], v[0:1]
	s_mov_b64 s[8:9], 0
                                        ; implicit-def: $vgpr29
	s_and_saveexec_b64 s[2:3], vcc
	s_cbranch_execz .LBB86_171
; %bb.163:                              ;   in Loop: Header=BB86_22 Depth=1
	v_pk_mov_b32 v[4:5], v[0:1], v[0:1] op_sel:[0,1]
                                        ; implicit-def: $sgpr16_sgpr17
	s_branch .LBB86_165
.LBB86_164:                             ;   in Loop: Header=BB86_165 Depth=2
	s_or_b64 exec, exec, s[18:19]
	s_waitcnt lgkmcnt(0)
	s_barrier
	s_waitcnt vmcnt(0)
	ds_read_u16 v6, v11 offset:3072
	v_mov_b32_e32 v7, s55
	v_add_co_u32_e32 v4, vcc, s33, v4
	v_addc_co_u32_e32 v5, vcc, v5, v7, vcc
	s_waitcnt lgkmcnt(0)
	v_cmp_ne_u16_sdwa s[18:19], v6, v1 src0_sel:BYTE_0 src1_sel:DWORD
	v_cmp_ge_u64_e32 vcc, v[4:5], v[2:3]
	s_or_b64 s[20:21], vcc, s[18:19]
	s_and_b64 s[20:21], exec, s[20:21]
	s_or_b64 s[8:9], s[20:21], s[8:9]
	s_andn2_b64 s[16:17], s[16:17], exec
	s_and_b64 s[18:19], s[18:19], exec
	s_or_b64 s[16:17], s[16:17], s[18:19]
	s_barrier
	s_andn2_b64 exec, exec, s[8:9]
	s_cbranch_execz .LBB86_170
.LBB86_165:                             ;   Parent Loop BB86_22 Depth=1
                                        ; =>  This Inner Loop Header: Depth=2
	v_cmp_gt_u64_e32 vcc, s[52:53], v[4:5]
	v_mov_b32_e32 v6, 0
	s_and_saveexec_b64 s[18:19], vcc
	s_cbranch_execz .LBB86_167
; %bb.166:                              ;   in Loop: Header=BB86_165 Depth=2
	v_pk_mov_b32 v[6:7], s[90:91], s[90:91] op_sel:[0,1]
	v_mad_u64_u32 v[6:7], s[20:21], v4, s80, v[6:7]
	v_mul_lo_u32 v8, v4, s81
	v_mul_lo_u32 v9, v5, s80
	v_add3_u32 v7, v9, v7, v8
	global_load_ubyte v6, v[6:7], off
.LBB86_167:                             ;   in Loop: Header=BB86_165 Depth=2
	s_or_b64 exec, exec, s[18:19]
	s_and_saveexec_b64 s[18:19], vcc
	s_cbranch_execz .LBB86_164
; %bb.168:                              ;   in Loop: Header=BB86_165 Depth=2
	s_waitcnt vmcnt(0)
	v_add_u32_sdwa v7, sext(v6), s1 dst_sel:DWORD dst_unused:UNUSED_PAD src0_sel:BYTE_0 src1_sel:DWORD
	v_and_b32_e32 v7, s26, v7
	v_cmp_eq_u32_e32 vcc, s27, v7
	s_and_b64 exec, exec, vcc
	s_cbranch_execz .LBB86_164
; %bb.169:                              ;   in Loop: Header=BB86_165 Depth=2
	v_lshlrev_b16_e32 v6, 8, v6
	v_or_b32_e32 v6, 1, v6
	ds_write_b16 v11, v6 offset:3072
	s_branch .LBB86_164
.LBB86_170:                             ;   in Loop: Header=BB86_22 Depth=1
	s_or_b64 exec, exec, s[8:9]
	v_lshrrev_b16_e32 v29, 8, v6
	s_and_b64 s[8:9], s[16:17], exec
.LBB86_171:                             ;   in Loop: Header=BB86_22 Depth=1
	s_or_b64 exec, exec, s[2:3]
	s_mov_b64 s[20:21], -1
	s_mov_b64 s[18:19], 0
	s_mov_b64 s[16:17], 0
.LBB86_172:                             ;   in Loop: Header=BB86_22 Depth=1
	s_mov_b64 s[2:3], 0
                                        ; implicit-def: $sgpr47
	s_and_saveexec_b64 s[22:23], s[8:9]
	s_cbranch_execz .LBB86_283
; %bb.173:                              ;   in Loop: Header=BB86_22 Depth=1
	s_xor_b64 s[2:3], s[28:29], -1
	s_andn2_b64 vcc, exec, s[2:3]
	s_mov_b32 s47, 1
	s_cbranch_vccnz .LBB86_184
; %bb.174:                              ;   in Loop: Header=BB86_22 Depth=1
	v_pk_mov_b32 v[2:3], s[24:25], s[24:25] op_sel:[0,1]
	v_cmp_gt_u64_e32 vcc, s[94:95], v[2:3]
	s_mov_b64 s[2:3], -1
                                        ; implicit-def: $sgpr47
                                        ; implicit-def: $sgpr8
                                        ; implicit-def: $sgpr9
	s_cbranch_vccnz .LBB86_180
; %bb.175:                              ;   in Loop: Header=BB86_22 Depth=1
	ds_read_b64 v[2:3], v11 offset:5120
	s_waitcnt lgkmcnt(0)
	v_cmp_ne_u64_e32 vcc, 0, v[2:3]
	s_cbranch_vccnz .LBB86_179
; %bb.176:                              ;   in Loop: Header=BB86_22 Depth=1
	s_mov_b64 s[2:3], exec
	v_readlane_b32 s8, v38, 28
	v_readlane_b32 s9, v38, 29
	s_and_b64 s[8:9], s[2:3], s[8:9]
	s_mov_b64 exec, s[8:9]
	s_cbranch_execz .LBB86_178
; %bb.177:                              ;   in Loop: Header=BB86_22 Depth=1
	v_pk_mov_b32 v[2:3], s[24:25], s[24:25] op_sel:[0,1]
	ds_write_b64 v11, v[2:3] offset:5128
.LBB86_178:                             ;   in Loop: Header=BB86_22 Depth=1
	s_or_b64 exec, exec, s[2:3]
	s_waitcnt lgkmcnt(0)
	s_barrier
.LBB86_179:                             ;   in Loop: Header=BB86_22 Depth=1
	s_lshl_b32 s2, 1, s38
	s_and_b32 s3, s27, s39
	s_or_b32 s8, s3, s2
	s_or_b32 s9, s26, s46
	s_mov_b64 s[2:3], 0
	s_mov_b32 s47, 8
.LBB86_180:                             ;   in Loop: Header=BB86_22 Depth=1
	s_andn2_b64 vcc, exec, s[2:3]
	s_cbranch_vccnz .LBB86_182
; %bb.181:                              ;   in Loop: Header=BB86_22 Depth=1
	s_sub_u32 s94, s94, s24
	s_subb_u32 s95, s95, s25
	s_mov_b64 s[2:3], -1
	s_mov_b32 s47, 0
	s_mov_b32 s8, s27
	;; [unrolled: 1-line block ×3, first 2 shown]
.LBB86_182:                             ;   in Loop: Header=BB86_22 Depth=1
	s_mov_b32 s26, s9
	s_mov_b32 s27, s8
	s_andn2_b64 vcc, exec, s[2:3]
	s_mov_b64 s[2:3], -1
	s_cbranch_vccz .LBB86_185
.LBB86_183:                             ;   in Loop: Header=BB86_22 Depth=1
                                        ; implicit-def: $sgpr28_sgpr29
                                        ; implicit-def: $sgpr30_sgpr31
                                        ; implicit-def: $sgpr24_sgpr25
	s_branch .LBB86_282
.LBB86_184:                             ;   in Loop: Header=BB86_22 Depth=1
	s_mov_b64 s[94:95], 1
	s_mov_b64 s[2:3], -1
	s_cbranch_execnz .LBB86_183
.LBB86_185:                             ;   in Loop: Header=BB86_22 Depth=1
	s_cmp_eq_u64 s[14:15], 1
	s_cselect_b64 s[2:3], -1, 0
	s_cmp_eq_u64 s[94:95], 1
	s_cselect_b64 s[8:9], -1, 0
	s_and_b64 s[36:37], s[2:3], s[8:9]
	s_mov_b64 s[8:9], -1
	s_and_b64 vcc, exec, s[36:37]
	s_cbranch_vccz .LBB86_200
; %bb.186:                              ;   in Loop: Header=BB86_22 Depth=1
	ds_read_b64 v[2:3], v11 offset:5120
	s_waitcnt lgkmcnt(0)
	s_barrier
	v_readfirstlane_b32 s2, v2
	v_readfirstlane_b32 s3, v3
	s_mov_b64 s[8:9], exec
	v_readlane_b32 s24, v38, 38
	v_readlane_b32 s25, v38, 39
	s_and_b64 s[24:25], s[8:9], s[24:25]
	s_mov_b64 exec, s[24:25]
	s_cbranch_execz .LBB86_188
; %bb.187:                              ;   in Loop: Header=BB86_22 Depth=1
	ds_write_b8 v0, v1 offset:3072
.LBB86_188:                             ;   in Loop: Header=BB86_22 Depth=1
	s_or_b64 exec, exec, s[8:9]
	s_lshl_b32 s8, 2, s38
	s_and_b32 s9, s27, s39
	s_or_b32 s27, s9, s8
	s_or_b32 s26, s26, s46
	s_cmp_eq_u64 s[2:3], 0
	s_waitcnt lgkmcnt(0)
	s_barrier
	s_cbranch_scc1 .LBB86_203
; %bb.189:                              ;   in Loop: Header=BB86_22 Depth=1
	v_readlane_b32 s8, v38, 44
	s_add_u32 s28, s8, s2
	v_readlane_b32 s8, v38, 45
	s_addc_u32 s9, s8, s3
	s_mov_b32 s8, s93
	s_cmp_lg_u64 s[8:9], 0
	s_cbranch_scc0 .LBB86_248
; %bb.190:                              ;   in Loop: Header=BB86_22 Depth=1
	v_cvt_f32_u32_e32 v2, s33
	s_sub_u32 s8, 0, s33
	s_subb_u32 s24, 0, 0
	v_mac_f32_e32 v2, 0, v28
	v_rcp_f32_e32 v2, v2
	v_mul_f32_e32 v2, 0x5f7ffffc, v2
	v_mul_f32_e32 v3, 0x2f800000, v2
	v_trunc_f32_e32 v3, v3
	v_mac_f32_e32 v2, 0xcf800000, v3
	v_cvt_u32_f32_e32 v3, v3
	v_cvt_u32_f32_e32 v2, v2
	v_readfirstlane_b32 s25, v3
	v_readfirstlane_b32 s29, v2
	s_mul_i32 s30, s8, s25
	s_mul_hi_u32 s34, s8, s29
	s_mul_i32 s31, s24, s29
	s_add_i32 s30, s34, s30
	s_mul_i32 s35, s8, s29
	s_add_i32 s30, s30, s31
	s_mul_hi_u32 s34, s29, s35
	s_mul_hi_u32 s31, s29, s30
	s_mul_i32 s29, s29, s30
	s_add_u32 s29, s34, s29
	s_addc_u32 s31, 0, s31
	s_mul_hi_u32 s40, s25, s35
	s_mul_i32 s35, s25, s35
	s_add_u32 s29, s29, s35
	s_mul_hi_u32 s34, s25, s30
	s_addc_u32 s29, s31, s40
	s_addc_u32 s31, s34, 0
	s_mul_i32 s30, s25, s30
	s_add_u32 s29, s29, s30
	s_addc_u32 s30, 0, s31
	v_add_co_u32_e32 v2, vcc, s29, v2
	s_cmp_lg_u64 vcc, 0
	s_addc_u32 s25, s25, s30
	v_readfirstlane_b32 s30, v2
	s_mul_i32 s29, s8, s25
	s_mul_hi_u32 s31, s8, s30
	s_add_i32 s29, s31, s29
	s_mul_i32 s24, s24, s30
	s_add_i32 s29, s29, s24
	s_mul_i32 s8, s8, s30
	s_mul_hi_u32 s31, s25, s8
	s_mul_i32 s34, s25, s8
	s_mul_i32 s40, s30, s29
	s_mul_hi_u32 s8, s30, s8
	s_mul_hi_u32 s35, s30, s29
	s_add_u32 s8, s8, s40
	s_addc_u32 s30, 0, s35
	s_add_u32 s8, s8, s34
	s_mul_hi_u32 s24, s25, s29
	s_addc_u32 s8, s30, s31
	s_addc_u32 s24, s24, 0
	s_mul_i32 s29, s25, s29
	s_add_u32 s8, s8, s29
	s_addc_u32 s24, 0, s24
	v_add_co_u32_e32 v2, vcc, s8, v2
	s_cmp_lg_u64 vcc, 0
	s_addc_u32 s8, s25, s24
	v_readfirstlane_b32 s29, v2
	s_mul_i32 s25, s28, s8
	s_mul_hi_u32 s30, s28, s29
	s_mul_hi_u32 s24, s28, s8
	s_add_u32 s25, s30, s25
	s_addc_u32 s24, 0, s24
	s_mul_hi_u32 s31, s9, s29
	s_mul_i32 s29, s9, s29
	s_add_u32 s25, s25, s29
	s_mul_hi_u32 s30, s9, s8
	s_addc_u32 s24, s24, s31
	s_addc_u32 s25, s30, 0
	s_mul_i32 s8, s9, s8
	s_add_u32 s8, s24, s8
	s_addc_u32 s24, 0, s25
	s_mul_hi_u32 s25, s33, s8
	s_mul_i32 s8, s33, s8
	s_mul_i32 s24, s33, s24
	v_mov_b32_e32 v2, s8
	s_add_i32 s25, s25, s24
	v_sub_co_u32_e32 v2, vcc, s28, v2
	s_cmp_lg_u64 vcc, 0
	s_subb_u32 s8, s9, s25
	v_subrev_co_u32_e32 v3, vcc, s33, v2
	s_cmp_lg_u64 vcc, 0
	s_subb_u32 s24, s8, 0
	v_subrev_co_u32_e32 v4, vcc, s33, v3
	s_cmp_lg_u64 vcc, 0
	s_subb_u32 s25, s24, 0
	v_cmp_le_u32_e32 vcc, s33, v3
	s_cmp_eq_u32 s24, 0
	v_cndmask_b32_e64 v5, 0, -1, vcc
	s_cselect_b64 vcc, -1, 0
	v_cndmask_b32_e32 v5, -1, v5, vcc
	v_mov_b32_e32 v6, s24
	v_mov_b32_e32 v7, s25
	v_cmp_ne_u32_e32 vcc, 0, v5
	v_cndmask_b32_e32 v5, v6, v7, vcc
	v_cndmask_b32_e32 v4, v3, v4, vcc
	v_cmp_le_u32_e32 vcc, s33, v2
	s_cmp_eq_u32 s8, 0
	v_cndmask_b32_e64 v3, 0, -1, vcc
	s_cselect_b64 vcc, -1, 0
	v_cndmask_b32_e32 v3, -1, v3, vcc
	v_mov_b32_e32 v6, s8
	v_cmp_ne_u32_e32 vcc, 0, v3
	v_cndmask_b32_e32 v3, v6, v5, vcc
	v_cndmask_b32_e32 v2, v2, v4, vcc
	s_cbranch_execnz .LBB86_192
.LBB86_191:                             ;   in Loop: Header=BB86_22 Depth=1
	v_cvt_f32_u32_e32 v2, s33
	s_sub_i32 s8, 0, s33
	v_rcp_iflag_f32_e32 v2, v2
	v_mul_f32_e32 v2, 0x4f7ffffe, v2
	v_cvt_u32_f32_e32 v2, v2
	v_mul_lo_u32 v3, s8, v2
	v_mul_hi_u32 v3, v2, v3
	v_add_u32_e32 v2, v2, v3
	v_mul_hi_u32 v2, s28, v2
	v_mul_lo_u32 v2, v2, s33
	v_sub_u32_e32 v2, s28, v2
	v_subrev_u32_e32 v3, s33, v2
	v_cmp_le_u32_e32 vcc, s33, v2
	v_cndmask_b32_e32 v2, v2, v3, vcc
	v_subrev_u32_e32 v3, s33, v2
	v_cmp_le_u32_e32 vcc, s33, v2
	v_cndmask_b32_e32 v10, v2, v3, vcc
	v_pk_mov_b32 v[2:3], v[10:11], v[10:11] op_sel:[0,1]
.LBB86_192:                             ;   in Loop: Header=BB86_22 Depth=1
	v_mov_b32_e32 v4, s9
	v_sub_co_u32_e32 v2, vcc, s28, v2
	v_subb_co_u32_e32 v3, vcc, v4, v3, vcc
	v_cmp_gt_u64_e32 vcc, v[2:3], v[0:1]
	s_mov_b64 s[8:9], 0
                                        ; implicit-def: $vgpr29
	s_and_saveexec_b64 s[24:25], vcc
	s_cbranch_execz .LBB86_205
; %bb.193:                              ;   in Loop: Header=BB86_22 Depth=1
	v_mov_b32_e32 v6, v0
	v_pk_mov_b32 v[4:5], v[0:1], v[0:1] op_sel:[0,1]
                                        ; implicit-def: $sgpr28_sgpr29
	s_branch .LBB86_195
.LBB86_194:                             ;   in Loop: Header=BB86_195 Depth=2
	s_or_b64 exec, exec, s[30:31]
	s_waitcnt lgkmcnt(0)
	s_barrier
	ds_read_u16 v7, v11 offset:3072
	v_mov_b32_e32 v8, s55
	v_add_co_u32_e32 v4, vcc, s33, v4
	v_addc_co_u32_e32 v5, vcc, v5, v8, vcc
	s_waitcnt lgkmcnt(0)
	v_cmp_ne_u16_sdwa s[30:31], v7, v1 src0_sel:BYTE_0 src1_sel:DWORD
	v_cmp_ge_u64_e32 vcc, v[4:5], v[2:3]
	s_or_b64 s[34:35], vcc, s[30:31]
	s_and_b64 s[34:35], exec, s[34:35]
	s_or_b64 s[8:9], s[34:35], s[8:9]
	s_andn2_b64 s[28:29], s[28:29], exec
	s_and_b64 s[30:31], s[30:31], exec
	v_add_u32_e32 v6, s33, v6
	s_or_b64 s[28:29], s[28:29], s[30:31]
	s_barrier
	s_andn2_b64 exec, exec, s[8:9]
	s_cbranch_execz .LBB86_204
.LBB86_195:                             ;   Parent Loop BB86_22 Depth=1
                                        ; =>  This Inner Loop Header: Depth=2
	v_cmp_gt_u64_e32 vcc, s[2:3], v[4:5]
	v_mov_b32_e32 v7, 0
	s_and_saveexec_b64 s[30:31], vcc
	s_cbranch_execz .LBB86_197
; %bb.196:                              ;   in Loop: Header=BB86_195 Depth=2
	ds_read_u8 v7, v6
.LBB86_197:                             ;   in Loop: Header=BB86_195 Depth=2
	s_or_b64 exec, exec, s[30:31]
	s_and_saveexec_b64 s[30:31], vcc
	s_cbranch_execz .LBB86_194
; %bb.198:                              ;   in Loop: Header=BB86_195 Depth=2
	s_waitcnt lgkmcnt(0)
	v_add_u32_sdwa v8, sext(v7), s1 dst_sel:DWORD dst_unused:UNUSED_PAD src0_sel:BYTE_0 src1_sel:DWORD
	v_and_b32_e32 v8, s26, v8
	v_cmp_eq_u32_e32 vcc, s27, v8
	s_and_b64 exec, exec, vcc
	s_cbranch_execz .LBB86_194
; %bb.199:                              ;   in Loop: Header=BB86_195 Depth=2
	v_lshlrev_b16_e32 v7, 8, v7
	v_or_b32_e32 v7, 1, v7
	ds_write_b16 v11, v7 offset:3072
	s_branch .LBB86_194
.LBB86_200:                             ;   in Loop: Header=BB86_22 Depth=1
                                        ; implicit-def: $sgpr24_sgpr25
                                        ; implicit-def: $sgpr30_sgpr31
                                        ; implicit-def: $sgpr28_sgpr29
	s_branch .LBB86_219
.LBB86_201:                             ;   in Loop: Header=BB86_22 Depth=1
                                        ; implicit-def: $vgpr2_vgpr3
	s_branch .LBB86_141
.LBB86_202:                             ;   in Loop: Header=BB86_22 Depth=1
                                        ; implicit-def: $vgpr2_vgpr3
	s_branch .LBB86_161
.LBB86_203:                             ;   in Loop: Header=BB86_22 Depth=1
	s_mov_b64 s[24:25], -1
	s_mov_b64 s[8:9], 0
                                        ; implicit-def: $sgpr28_sgpr29
                                        ; implicit-def: $vgpr29
	s_mov_b64 s[30:31], s[24:25]
	s_cbranch_execnz .LBB86_206
	s_branch .LBB86_219
.LBB86_204:                             ;   in Loop: Header=BB86_22 Depth=1
	s_or_b64 exec, exec, s[8:9]
	v_lshrrev_b16_e32 v29, 8, v7
	s_and_b64 s[8:9], s[28:29], exec
.LBB86_205:                             ;   in Loop: Header=BB86_22 Depth=1
	s_or_b64 exec, exec, s[24:25]
	s_mov_b64 s[28:29], -1
	s_mov_b64 s[24:25], 0
	s_mov_b64 s[30:31], s[24:25]
	s_branch .LBB86_219
.LBB86_206:                             ;   in Loop: Header=BB86_22 Depth=1
	s_mov_b32 s64, s93
	s_cmp_lg_u64 s[64:65], 0
	s_cbranch_scc0 .LBB86_249
; %bb.207:                              ;   in Loop: Header=BB86_22 Depth=1
	v_cvt_f32_u32_e32 v2, s33
	s_sub_u32 s2, 0, s33
	s_subb_u32 s3, 0, 0
	v_mac_f32_e32 v2, 0, v28
	v_rcp_f32_e32 v2, v2
	v_mul_f32_e32 v2, 0x5f7ffffc, v2
	v_mul_f32_e32 v3, 0x2f800000, v2
	v_trunc_f32_e32 v3, v3
	v_mac_f32_e32 v2, 0xcf800000, v3
	v_cvt_u32_f32_e32 v3, v3
	v_cvt_u32_f32_e32 v2, v2
	v_readfirstlane_b32 s8, v3
	v_readfirstlane_b32 s9, v2
	s_mul_i32 s24, s2, s8
	s_mul_hi_u32 s28, s2, s9
	s_mul_i32 s25, s3, s9
	s_add_i32 s24, s28, s24
	s_mul_i32 s29, s2, s9
	s_add_i32 s24, s24, s25
	s_mul_hi_u32 s28, s9, s29
	s_mul_hi_u32 s25, s9, s24
	s_mul_i32 s9, s9, s24
	s_add_u32 s9, s28, s9
	s_addc_u32 s25, 0, s25
	s_mul_hi_u32 s30, s8, s29
	s_mul_i32 s29, s8, s29
	s_add_u32 s9, s9, s29
	s_mul_hi_u32 s28, s8, s24
	s_addc_u32 s9, s25, s30
	s_addc_u32 s25, s28, 0
	s_mul_i32 s24, s8, s24
	s_add_u32 s9, s9, s24
	s_addc_u32 s24, 0, s25
	v_add_co_u32_e32 v2, vcc, s9, v2
	s_cmp_lg_u64 vcc, 0
	s_addc_u32 s8, s8, s24
	v_readfirstlane_b32 s24, v2
	s_mul_i32 s9, s2, s8
	s_mul_hi_u32 s25, s2, s24
	s_add_i32 s9, s25, s9
	s_mul_i32 s3, s3, s24
	s_add_i32 s9, s9, s3
	s_mul_i32 s2, s2, s24
	s_mul_hi_u32 s25, s8, s2
	s_mul_i32 s28, s8, s2
	s_mul_i32 s30, s24, s9
	s_mul_hi_u32 s2, s24, s2
	s_mul_hi_u32 s29, s24, s9
	s_add_u32 s2, s2, s30
	s_addc_u32 s24, 0, s29
	s_add_u32 s2, s2, s28
	s_mul_hi_u32 s3, s8, s9
	s_addc_u32 s2, s24, s25
	s_addc_u32 s3, s3, 0
	s_mul_i32 s9, s8, s9
	s_add_u32 s2, s2, s9
	s_addc_u32 s3, 0, s3
	v_add_co_u32_e32 v2, vcc, s2, v2
	s_cmp_lg_u64 vcc, 0
	s_addc_u32 s2, s8, s3
	v_readfirstlane_b32 s9, v2
	s_mul_i32 s8, s54, s2
	s_mul_hi_u32 s24, s54, s9
	s_mul_hi_u32 s3, s54, s2
	s_add_u32 s8, s24, s8
	s_addc_u32 s3, 0, s3
	s_mul_hi_u32 s25, s65, s9
	s_mul_i32 s9, s65, s9
	s_add_u32 s8, s8, s9
	s_mul_hi_u32 s24, s65, s2
	s_addc_u32 s3, s3, s25
	s_addc_u32 s8, s24, 0
	s_mul_i32 s2, s65, s2
	s_add_u32 s2, s3, s2
	s_addc_u32 s3, 0, s8
	s_mul_hi_u32 s8, s33, s2
	s_mul_i32 s2, s33, s2
	s_mul_i32 s3, s33, s3
	v_mov_b32_e32 v2, s2
	s_add_i32 s8, s8, s3
	v_sub_co_u32_e32 v2, vcc, s54, v2
	s_cmp_lg_u64 vcc, 0
	s_subb_u32 s2, s65, s8
	v_subrev_co_u32_e32 v3, vcc, s33, v2
	s_cmp_lg_u64 vcc, 0
	s_subb_u32 s3, s2, 0
	v_subrev_co_u32_e32 v4, vcc, s33, v3
	s_cmp_lg_u64 vcc, 0
	s_subb_u32 s8, s3, 0
	v_cmp_le_u32_e32 vcc, s33, v3
	s_cmp_eq_u32 s3, 0
	v_cndmask_b32_e64 v5, 0, -1, vcc
	s_cselect_b64 vcc, -1, 0
	v_cndmask_b32_e32 v5, -1, v5, vcc
	v_mov_b32_e32 v6, s3
	v_mov_b32_e32 v7, s8
	v_cmp_ne_u32_e32 vcc, 0, v5
	v_cndmask_b32_e32 v5, v6, v7, vcc
	v_cndmask_b32_e32 v4, v3, v4, vcc
	v_cmp_le_u32_e32 vcc, s33, v2
	s_cmp_eq_u32 s2, 0
	v_cndmask_b32_e64 v3, 0, -1, vcc
	s_cselect_b64 vcc, -1, 0
	v_cndmask_b32_e32 v3, -1, v3, vcc
	v_mov_b32_e32 v6, s2
	v_cmp_ne_u32_e32 vcc, 0, v3
	v_cndmask_b32_e32 v3, v6, v5, vcc
	v_cndmask_b32_e32 v2, v2, v4, vcc
	s_cbranch_execnz .LBB86_209
.LBB86_208:                             ;   in Loop: Header=BB86_22 Depth=1
	v_cvt_f32_u32_e32 v2, s33
	s_sub_i32 s2, 0, s33
	v_rcp_iflag_f32_e32 v2, v2
	v_mul_f32_e32 v2, 0x4f7ffffe, v2
	v_cvt_u32_f32_e32 v2, v2
	v_mul_lo_u32 v3, s2, v2
	v_mul_hi_u32 v3, v2, v3
	v_add_u32_e32 v2, v2, v3
	v_mul_hi_u32 v2, s54, v2
	v_mul_lo_u32 v2, v2, s33
	v_sub_u32_e32 v2, s54, v2
	v_subrev_u32_e32 v3, s33, v2
	v_cmp_le_u32_e32 vcc, s33, v2
	v_cndmask_b32_e32 v2, v2, v3, vcc
	v_subrev_u32_e32 v3, s33, v2
	v_cmp_le_u32_e32 vcc, s33, v2
	v_cndmask_b32_e32 v10, v2, v3, vcc
	v_pk_mov_b32 v[2:3], v[10:11], v[10:11] op_sel:[0,1]
.LBB86_209:                             ;   in Loop: Header=BB86_22 Depth=1
	v_mov_b32_e32 v4, s65
	v_sub_co_u32_e32 v2, vcc, s54, v2
	v_subb_co_u32_e32 v3, vcc, v4, v3, vcc
	v_cmp_gt_u64_e32 vcc, v[2:3], v[0:1]
	s_mov_b64 s[8:9], 0
                                        ; implicit-def: $vgpr29
	s_and_saveexec_b64 s[2:3], vcc
	s_cbranch_execz .LBB86_218
; %bb.210:                              ;   in Loop: Header=BB86_22 Depth=1
	v_pk_mov_b32 v[4:5], v[0:1], v[0:1] op_sel:[0,1]
                                        ; implicit-def: $sgpr24_sgpr25
	s_branch .LBB86_212
.LBB86_211:                             ;   in Loop: Header=BB86_212 Depth=2
	s_or_b64 exec, exec, s[28:29]
	s_waitcnt lgkmcnt(0)
	s_barrier
	s_waitcnt vmcnt(0)
	ds_read_u16 v6, v11 offset:3072
	v_mov_b32_e32 v7, s55
	v_add_co_u32_e32 v4, vcc, s33, v4
	v_addc_co_u32_e32 v5, vcc, v5, v7, vcc
	s_waitcnt lgkmcnt(0)
	v_cmp_ne_u16_sdwa s[28:29], v6, v1 src0_sel:BYTE_0 src1_sel:DWORD
	v_cmp_ge_u64_e32 vcc, v[4:5], v[2:3]
	s_or_b64 s[30:31], vcc, s[28:29]
	s_and_b64 s[30:31], exec, s[30:31]
	s_or_b64 s[8:9], s[30:31], s[8:9]
	s_andn2_b64 s[24:25], s[24:25], exec
	s_and_b64 s[28:29], s[28:29], exec
	s_or_b64 s[24:25], s[24:25], s[28:29]
	s_barrier
	s_andn2_b64 exec, exec, s[8:9]
	s_cbranch_execz .LBB86_217
.LBB86_212:                             ;   Parent Loop BB86_22 Depth=1
                                        ; =>  This Inner Loop Header: Depth=2
	v_cmp_gt_u64_e32 vcc, s[52:53], v[4:5]
	v_mov_b32_e32 v6, 0
	s_and_saveexec_b64 s[28:29], vcc
	s_cbranch_execz .LBB86_214
; %bb.213:                              ;   in Loop: Header=BB86_212 Depth=2
	v_pk_mov_b32 v[6:7], s[90:91], s[90:91] op_sel:[0,1]
	v_mad_u64_u32 v[6:7], s[30:31], v4, s80, v[6:7]
	v_mul_lo_u32 v8, v4, s81
	v_mul_lo_u32 v9, v5, s80
	v_add3_u32 v7, v9, v7, v8
	global_load_ubyte v6, v[6:7], off
.LBB86_214:                             ;   in Loop: Header=BB86_212 Depth=2
	s_or_b64 exec, exec, s[28:29]
	s_and_saveexec_b64 s[28:29], vcc
	s_cbranch_execz .LBB86_211
; %bb.215:                              ;   in Loop: Header=BB86_212 Depth=2
	s_waitcnt vmcnt(0)
	v_add_u32_sdwa v7, sext(v6), s1 dst_sel:DWORD dst_unused:UNUSED_PAD src0_sel:BYTE_0 src1_sel:DWORD
	v_and_b32_e32 v7, s26, v7
	v_cmp_eq_u32_e32 vcc, s27, v7
	s_and_b64 exec, exec, vcc
	s_cbranch_execz .LBB86_211
; %bb.216:                              ;   in Loop: Header=BB86_212 Depth=2
	v_lshlrev_b16_e32 v6, 8, v6
	v_or_b32_e32 v6, 1, v6
	ds_write_b16 v11, v6 offset:3072
	s_branch .LBB86_211
.LBB86_217:                             ;   in Loop: Header=BB86_22 Depth=1
	s_or_b64 exec, exec, s[8:9]
	v_lshrrev_b16_e32 v29, 8, v6
	s_and_b64 s[8:9], s[24:25], exec
.LBB86_218:                             ;   in Loop: Header=BB86_22 Depth=1
	s_or_b64 exec, exec, s[2:3]
	s_mov_b64 s[30:31], -1
	s_mov_b64 s[24:25], 0
	s_mov_b64 s[28:29], 0
.LBB86_219:                             ;   in Loop: Header=BB86_22 Depth=1
	s_mov_b64 s[2:3], 0
                                        ; implicit-def: $sgpr47
	s_and_saveexec_b64 s[34:35], s[8:9]
	s_cbranch_execz .LBB86_281
; %bb.220:                              ;   in Loop: Header=BB86_22 Depth=1
	s_xor_b64 s[2:3], s[36:37], -1
	s_andn2_b64 vcc, exec, s[2:3]
	s_mov_b32 s47, 1
	s_cbranch_vccnz .LBB86_231
; %bb.221:                              ;   in Loop: Header=BB86_22 Depth=1
	v_pk_mov_b32 v[2:3], s[14:15], s[14:15] op_sel:[0,1]
	v_cmp_gt_u64_e32 vcc, s[94:95], v[2:3]
	s_mov_b64 s[2:3], -1
                                        ; implicit-def: $sgpr47
                                        ; implicit-def: $sgpr8
                                        ; implicit-def: $sgpr9
	s_cbranch_vccnz .LBB86_227
; %bb.222:                              ;   in Loop: Header=BB86_22 Depth=1
	ds_read_b64 v[2:3], v11 offset:5120
	s_waitcnt lgkmcnt(0)
	v_cmp_ne_u64_e32 vcc, 0, v[2:3]
	s_cbranch_vccnz .LBB86_226
; %bb.223:                              ;   in Loop: Header=BB86_22 Depth=1
	s_mov_b64 s[2:3], exec
	v_readlane_b32 s8, v38, 28
	v_readlane_b32 s9, v38, 29
	s_and_b64 s[8:9], s[2:3], s[8:9]
	s_mov_b64 exec, s[8:9]
	s_cbranch_execz .LBB86_225
; %bb.224:                              ;   in Loop: Header=BB86_22 Depth=1
	v_pk_mov_b32 v[2:3], s[14:15], s[14:15] op_sel:[0,1]
	ds_write_b64 v11, v[2:3] offset:5128
.LBB86_225:                             ;   in Loop: Header=BB86_22 Depth=1
	s_or_b64 exec, exec, s[2:3]
	s_waitcnt lgkmcnt(0)
	s_barrier
.LBB86_226:                             ;   in Loop: Header=BB86_22 Depth=1
	s_lshl_b32 s2, 2, s38
	s_and_b32 s3, s27, s39
	s_or_b32 s8, s3, s2
	s_or_b32 s9, s26, s46
	s_mov_b64 s[2:3], 0
	s_mov_b32 s47, 8
.LBB86_227:                             ;   in Loop: Header=BB86_22 Depth=1
	s_andn2_b64 vcc, exec, s[2:3]
	s_cbranch_vccnz .LBB86_229
; %bb.228:                              ;   in Loop: Header=BB86_22 Depth=1
	s_sub_u32 s94, s94, s14
	s_subb_u32 s95, s95, s15
	s_mov_b64 s[2:3], -1
	s_mov_b32 s47, 0
	s_mov_b32 s8, s27
	;; [unrolled: 1-line block ×3, first 2 shown]
.LBB86_229:                             ;   in Loop: Header=BB86_22 Depth=1
	s_mov_b32 s26, s9
	s_mov_b32 s27, s8
	s_andn2_b64 vcc, exec, s[2:3]
	s_mov_b64 s[42:43], -1
	s_cbranch_vccz .LBB86_232
.LBB86_230:                             ;   in Loop: Header=BB86_22 Depth=1
                                        ; implicit-def: $sgpr2_sgpr3
                                        ; implicit-def: $sgpr36_sgpr37
                                        ; implicit-def: $sgpr8_sgpr9
	s_branch .LBB86_280
.LBB86_231:                             ;   in Loop: Header=BB86_22 Depth=1
	s_mov_b64 s[94:95], 1
	s_mov_b64 s[42:43], -1
	s_cbranch_execnz .LBB86_230
.LBB86_232:                             ;   in Loop: Header=BB86_22 Depth=1
	s_cmp_eq_u64 s[6:7], 1
	s_cselect_b64 s[2:3], -1, 0
	s_cmp_eq_u64 s[94:95], 1
	s_cselect_b64 s[8:9], -1, 0
	s_and_b64 s[14:15], s[2:3], s[8:9]
	s_mov_b64 s[38:39], -1
	s_and_b64 vcc, exec, s[14:15]
	s_cbranch_vccz .LBB86_247
; %bb.233:                              ;   in Loop: Header=BB86_22 Depth=1
	ds_read_b64 v[2:3], v11 offset:5120
	s_waitcnt lgkmcnt(0)
	s_barrier
	v_readfirstlane_b32 s2, v2
	v_readfirstlane_b32 s3, v3
	s_mov_b64 s[8:9], exec
	v_readlane_b32 s36, v38, 38
	v_readlane_b32 s37, v38, 39
	s_and_b64 s[36:37], s[8:9], s[36:37]
	s_mov_b64 exec, s[36:37]
	s_cbranch_execz .LBB86_235
; %bb.234:                              ;   in Loop: Header=BB86_22 Depth=1
	ds_write_b8 v0, v1 offset:3072
.LBB86_235:                             ;   in Loop: Header=BB86_22 Depth=1
	s_or_b64 exec, exec, s[8:9]
	s_or_b32 s27, s27, s46
	s_or_b32 s26, s26, s46
	s_cmp_eq_u64 s[2:3], 0
	s_waitcnt lgkmcnt(0)
	s_barrier
	s_cbranch_scc1 .LBB86_250
; %bb.236:                              ;   in Loop: Header=BB86_22 Depth=1
	v_readlane_b32 s8, v38, 44
	s_add_u32 s38, s8, s2
	v_readlane_b32 s8, v38, 45
	s_addc_u32 s9, s8, s3
	s_mov_b32 s8, s93
	s_cmp_lg_u64 s[8:9], 0
	s_cbranch_scc0 .LBB86_286
; %bb.237:                              ;   in Loop: Header=BB86_22 Depth=1
	v_cvt_f32_u32_e32 v2, s33
	s_sub_u32 s8, 0, s33
	s_subb_u32 s36, 0, 0
	v_mac_f32_e32 v2, 0, v28
	v_rcp_f32_e32 v2, v2
	v_mul_f32_e32 v2, 0x5f7ffffc, v2
	v_mul_f32_e32 v3, 0x2f800000, v2
	v_trunc_f32_e32 v3, v3
	v_mac_f32_e32 v2, 0xcf800000, v3
	v_cvt_u32_f32_e32 v3, v3
	v_cvt_u32_f32_e32 v2, v2
	v_readfirstlane_b32 s37, v3
	v_readfirstlane_b32 s39, v2
	s_mul_i32 s40, s8, s37
	s_mul_hi_u32 s42, s8, s39
	s_mul_i32 s41, s36, s39
	s_add_i32 s40, s42, s40
	s_mul_i32 s43, s8, s39
	s_add_i32 s40, s40, s41
	s_mul_hi_u32 s42, s39, s43
	s_mul_hi_u32 s41, s39, s40
	s_mul_i32 s39, s39, s40
	s_add_u32 s39, s42, s39
	s_addc_u32 s41, 0, s41
	s_mul_hi_u32 s44, s37, s43
	s_mul_i32 s43, s37, s43
	s_add_u32 s39, s39, s43
	s_mul_hi_u32 s42, s37, s40
	s_addc_u32 s39, s41, s44
	s_addc_u32 s41, s42, 0
	s_mul_i32 s40, s37, s40
	s_add_u32 s39, s39, s40
	s_addc_u32 s40, 0, s41
	v_add_co_u32_e32 v2, vcc, s39, v2
	s_cmp_lg_u64 vcc, 0
	s_addc_u32 s37, s37, s40
	v_readfirstlane_b32 s40, v2
	s_mul_i32 s39, s8, s37
	s_mul_hi_u32 s41, s8, s40
	s_add_i32 s39, s41, s39
	s_mul_i32 s36, s36, s40
	s_add_i32 s39, s39, s36
	s_mul_i32 s8, s8, s40
	s_mul_hi_u32 s41, s37, s8
	s_mul_i32 s42, s37, s8
	s_mul_i32 s44, s40, s39
	s_mul_hi_u32 s8, s40, s8
	s_mul_hi_u32 s43, s40, s39
	s_add_u32 s8, s8, s44
	s_addc_u32 s40, 0, s43
	s_add_u32 s8, s8, s42
	s_mul_hi_u32 s36, s37, s39
	s_addc_u32 s8, s40, s41
	s_addc_u32 s36, s36, 0
	s_mul_i32 s39, s37, s39
	s_add_u32 s8, s8, s39
	s_addc_u32 s36, 0, s36
	v_add_co_u32_e32 v2, vcc, s8, v2
	s_cmp_lg_u64 vcc, 0
	s_addc_u32 s8, s37, s36
	v_readfirstlane_b32 s39, v2
	s_mul_i32 s37, s38, s8
	s_mul_hi_u32 s40, s38, s39
	s_mul_hi_u32 s36, s38, s8
	s_add_u32 s37, s40, s37
	s_addc_u32 s36, 0, s36
	s_mul_hi_u32 s41, s9, s39
	s_mul_i32 s39, s9, s39
	s_add_u32 s37, s37, s39
	s_mul_hi_u32 s40, s9, s8
	s_addc_u32 s36, s36, s41
	s_addc_u32 s37, s40, 0
	s_mul_i32 s8, s9, s8
	s_add_u32 s8, s36, s8
	s_addc_u32 s36, 0, s37
	s_mul_hi_u32 s37, s33, s8
	s_mul_i32 s8, s33, s8
	s_mul_i32 s36, s33, s36
	v_mov_b32_e32 v2, s8
	s_add_i32 s37, s37, s36
	v_sub_co_u32_e32 v2, vcc, s38, v2
	s_cmp_lg_u64 vcc, 0
	s_subb_u32 s8, s9, s37
	v_subrev_co_u32_e32 v3, vcc, s33, v2
	s_cmp_lg_u64 vcc, 0
	s_subb_u32 s36, s8, 0
	v_subrev_co_u32_e32 v4, vcc, s33, v3
	s_cmp_lg_u64 vcc, 0
	s_subb_u32 s37, s36, 0
	v_cmp_le_u32_e32 vcc, s33, v3
	s_cmp_eq_u32 s36, 0
	v_cndmask_b32_e64 v5, 0, -1, vcc
	s_cselect_b64 vcc, -1, 0
	v_cndmask_b32_e32 v5, -1, v5, vcc
	v_mov_b32_e32 v6, s36
	v_mov_b32_e32 v7, s37
	v_cmp_ne_u32_e32 vcc, 0, v5
	v_cndmask_b32_e32 v5, v6, v7, vcc
	v_cndmask_b32_e32 v4, v3, v4, vcc
	v_cmp_le_u32_e32 vcc, s33, v2
	s_cmp_eq_u32 s8, 0
	v_cndmask_b32_e64 v3, 0, -1, vcc
	s_cselect_b64 vcc, -1, 0
	v_cndmask_b32_e32 v3, -1, v3, vcc
	v_mov_b32_e32 v6, s8
	v_cmp_ne_u32_e32 vcc, 0, v3
	v_cndmask_b32_e32 v3, v6, v5, vcc
	v_cndmask_b32_e32 v2, v2, v4, vcc
	s_cbranch_execnz .LBB86_239
.LBB86_238:                             ;   in Loop: Header=BB86_22 Depth=1
	v_cvt_f32_u32_e32 v2, s33
	s_sub_i32 s8, 0, s33
	v_rcp_iflag_f32_e32 v2, v2
	v_mul_f32_e32 v2, 0x4f7ffffe, v2
	v_cvt_u32_f32_e32 v2, v2
	v_mul_lo_u32 v3, s8, v2
	v_mul_hi_u32 v3, v2, v3
	v_add_u32_e32 v2, v2, v3
	v_mul_hi_u32 v2, s38, v2
	v_mul_lo_u32 v2, v2, s33
	v_sub_u32_e32 v2, s38, v2
	v_subrev_u32_e32 v3, s33, v2
	v_cmp_le_u32_e32 vcc, s33, v2
	v_cndmask_b32_e32 v2, v2, v3, vcc
	v_subrev_u32_e32 v3, s33, v2
	v_cmp_le_u32_e32 vcc, s33, v2
	v_cndmask_b32_e32 v10, v2, v3, vcc
	v_pk_mov_b32 v[2:3], v[10:11], v[10:11] op_sel:[0,1]
.LBB86_239:                             ;   in Loop: Header=BB86_22 Depth=1
	v_mov_b32_e32 v4, s9
	v_sub_co_u32_e32 v2, vcc, s38, v2
	v_subb_co_u32_e32 v3, vcc, v4, v3, vcc
	v_cmp_gt_u64_e32 vcc, v[2:3], v[0:1]
	s_mov_b64 s[38:39], 0
                                        ; implicit-def: $vgpr29
	s_and_saveexec_b64 s[8:9], vcc
	s_cbranch_execz .LBB86_252
; %bb.240:                              ;   in Loop: Header=BB86_22 Depth=1
	s_mov_b64 s[36:37], 0
	v_mov_b32_e32 v6, v0
	v_pk_mov_b32 v[4:5], v[0:1], v[0:1] op_sel:[0,1]
                                        ; implicit-def: $sgpr38_sgpr39
	s_branch .LBB86_242
.LBB86_241:                             ;   in Loop: Header=BB86_242 Depth=2
	s_or_b64 exec, exec, s[40:41]
	s_waitcnt lgkmcnt(0)
	s_barrier
	ds_read_u16 v7, v11 offset:3072
	v_mov_b32_e32 v8, s55
	v_add_co_u32_e32 v4, vcc, s33, v4
	v_addc_co_u32_e32 v5, vcc, v5, v8, vcc
	s_waitcnt lgkmcnt(0)
	v_cmp_ne_u16_sdwa s[40:41], v7, v1 src0_sel:BYTE_0 src1_sel:DWORD
	v_cmp_ge_u64_e32 vcc, v[4:5], v[2:3]
	s_or_b64 s[42:43], vcc, s[40:41]
	s_and_b64 s[42:43], exec, s[42:43]
	s_or_b64 s[36:37], s[42:43], s[36:37]
	s_andn2_b64 s[38:39], s[38:39], exec
	s_and_b64 s[40:41], s[40:41], exec
	v_add_u32_e32 v6, s33, v6
	s_or_b64 s[38:39], s[38:39], s[40:41]
	s_barrier
	s_andn2_b64 exec, exec, s[36:37]
	s_cbranch_execz .LBB86_251
.LBB86_242:                             ;   Parent Loop BB86_22 Depth=1
                                        ; =>  This Inner Loop Header: Depth=2
	v_cmp_gt_u64_e32 vcc, s[2:3], v[4:5]
	v_mov_b32_e32 v7, 0
	s_and_saveexec_b64 s[40:41], vcc
	s_cbranch_execz .LBB86_244
; %bb.243:                              ;   in Loop: Header=BB86_242 Depth=2
	ds_read_u8 v7, v6
.LBB86_244:                             ;   in Loop: Header=BB86_242 Depth=2
	s_or_b64 exec, exec, s[40:41]
	s_and_saveexec_b64 s[40:41], vcc
	s_cbranch_execz .LBB86_241
; %bb.245:                              ;   in Loop: Header=BB86_242 Depth=2
	s_waitcnt lgkmcnt(0)
	v_add_u32_sdwa v8, sext(v7), s1 dst_sel:DWORD dst_unused:UNUSED_PAD src0_sel:BYTE_0 src1_sel:DWORD
	v_and_b32_e32 v8, s26, v8
	v_cmp_eq_u32_e32 vcc, s27, v8
	s_and_b64 exec, exec, vcc
	s_cbranch_execz .LBB86_241
; %bb.246:                              ;   in Loop: Header=BB86_242 Depth=2
	v_lshlrev_b16_e32 v7, 8, v7
	v_or_b32_e32 v7, 1, v7
	ds_write_b16 v11, v7 offset:3072
	s_branch .LBB86_241
.LBB86_247:                             ;   in Loop: Header=BB86_22 Depth=1
                                        ; implicit-def: $sgpr2_sgpr3
                                        ; implicit-def: $sgpr36_sgpr37
                                        ; implicit-def: $sgpr8_sgpr9
	s_branch .LBB86_266
.LBB86_248:                             ;   in Loop: Header=BB86_22 Depth=1
                                        ; implicit-def: $vgpr2_vgpr3
	s_branch .LBB86_191
.LBB86_249:                             ;   in Loop: Header=BB86_22 Depth=1
                                        ; implicit-def: $vgpr2_vgpr3
	s_branch .LBB86_208
.LBB86_250:                             ;   in Loop: Header=BB86_22 Depth=1
	s_mov_b64 s[2:3], -1
	s_mov_b64 s[38:39], 0
                                        ; implicit-def: $sgpr8_sgpr9
                                        ; implicit-def: $vgpr29
	s_mov_b64 s[36:37], s[2:3]
	s_cbranch_execnz .LBB86_253
	s_branch .LBB86_266
.LBB86_251:                             ;   in Loop: Header=BB86_22 Depth=1
	s_or_b64 exec, exec, s[36:37]
	v_lshrrev_b16_e32 v29, 8, v7
	s_and_b64 s[38:39], s[38:39], exec
.LBB86_252:                             ;   in Loop: Header=BB86_22 Depth=1
	s_or_b64 exec, exec, s[8:9]
	s_mov_b64 s[8:9], -1
	s_mov_b64 s[2:3], 0
	s_mov_b64 s[36:37], s[2:3]
	s_branch .LBB86_266
.LBB86_253:                             ;   in Loop: Header=BB86_22 Depth=1
	s_mov_b32 s64, s93
	s_cmp_lg_u64 s[64:65], 0
	s_cbranch_scc0 .LBB86_287
; %bb.254:                              ;   in Loop: Header=BB86_22 Depth=1
	v_cvt_f32_u32_e32 v2, s33
	s_sub_u32 s2, 0, s33
	s_subb_u32 s3, 0, 0
	v_mac_f32_e32 v2, 0, v28
	v_rcp_f32_e32 v2, v2
	v_mul_f32_e32 v2, 0x5f7ffffc, v2
	v_mul_f32_e32 v3, 0x2f800000, v2
	v_trunc_f32_e32 v3, v3
	v_mac_f32_e32 v2, 0xcf800000, v3
	v_cvt_u32_f32_e32 v3, v3
	v_cvt_u32_f32_e32 v2, v2
	v_readfirstlane_b32 s8, v3
	v_readfirstlane_b32 s9, v2
	s_mul_i32 s36, s2, s8
	s_mul_hi_u32 s38, s2, s9
	s_mul_i32 s37, s3, s9
	s_add_i32 s36, s38, s36
	s_mul_i32 s39, s2, s9
	s_add_i32 s36, s36, s37
	s_mul_hi_u32 s38, s9, s39
	s_mul_hi_u32 s37, s9, s36
	s_mul_i32 s9, s9, s36
	s_add_u32 s9, s38, s9
	s_addc_u32 s37, 0, s37
	s_mul_hi_u32 s40, s8, s39
	s_mul_i32 s39, s8, s39
	s_add_u32 s9, s9, s39
	s_mul_hi_u32 s38, s8, s36
	s_addc_u32 s9, s37, s40
	s_addc_u32 s37, s38, 0
	s_mul_i32 s36, s8, s36
	s_add_u32 s9, s9, s36
	s_addc_u32 s36, 0, s37
	v_add_co_u32_e32 v2, vcc, s9, v2
	s_cmp_lg_u64 vcc, 0
	s_addc_u32 s8, s8, s36
	v_readfirstlane_b32 s36, v2
	s_mul_i32 s9, s2, s8
	s_mul_hi_u32 s37, s2, s36
	s_add_i32 s9, s37, s9
	s_mul_i32 s3, s3, s36
	s_add_i32 s9, s9, s3
	s_mul_i32 s2, s2, s36
	s_mul_hi_u32 s37, s8, s2
	s_mul_i32 s38, s8, s2
	s_mul_i32 s40, s36, s9
	s_mul_hi_u32 s2, s36, s2
	s_mul_hi_u32 s39, s36, s9
	s_add_u32 s2, s2, s40
	s_addc_u32 s36, 0, s39
	s_add_u32 s2, s2, s38
	s_mul_hi_u32 s3, s8, s9
	s_addc_u32 s2, s36, s37
	s_addc_u32 s3, s3, 0
	s_mul_i32 s9, s8, s9
	s_add_u32 s2, s2, s9
	s_addc_u32 s3, 0, s3
	v_add_co_u32_e32 v2, vcc, s2, v2
	s_cmp_lg_u64 vcc, 0
	s_addc_u32 s2, s8, s3
	v_readfirstlane_b32 s9, v2
	s_mul_i32 s8, s54, s2
	s_mul_hi_u32 s36, s54, s9
	s_mul_hi_u32 s3, s54, s2
	s_add_u32 s8, s36, s8
	s_addc_u32 s3, 0, s3
	s_mul_hi_u32 s37, s65, s9
	s_mul_i32 s9, s65, s9
	s_add_u32 s8, s8, s9
	s_mul_hi_u32 s36, s65, s2
	s_addc_u32 s3, s3, s37
	s_addc_u32 s8, s36, 0
	s_mul_i32 s2, s65, s2
	s_add_u32 s2, s3, s2
	s_addc_u32 s3, 0, s8
	s_mul_hi_u32 s8, s33, s2
	s_mul_i32 s2, s33, s2
	s_mul_i32 s3, s33, s3
	v_mov_b32_e32 v2, s2
	s_add_i32 s8, s8, s3
	v_sub_co_u32_e32 v2, vcc, s54, v2
	s_cmp_lg_u64 vcc, 0
	s_subb_u32 s2, s65, s8
	v_subrev_co_u32_e32 v3, vcc, s33, v2
	s_cmp_lg_u64 vcc, 0
	s_subb_u32 s3, s2, 0
	v_subrev_co_u32_e32 v4, vcc, s33, v3
	s_cmp_lg_u64 vcc, 0
	s_subb_u32 s8, s3, 0
	v_cmp_le_u32_e32 vcc, s33, v3
	s_cmp_eq_u32 s3, 0
	v_cndmask_b32_e64 v5, 0, -1, vcc
	s_cselect_b64 vcc, -1, 0
	v_cndmask_b32_e32 v5, -1, v5, vcc
	v_mov_b32_e32 v6, s3
	v_mov_b32_e32 v7, s8
	v_cmp_ne_u32_e32 vcc, 0, v5
	v_cndmask_b32_e32 v5, v6, v7, vcc
	v_cndmask_b32_e32 v4, v3, v4, vcc
	v_cmp_le_u32_e32 vcc, s33, v2
	s_cmp_eq_u32 s2, 0
	v_cndmask_b32_e64 v3, 0, -1, vcc
	s_cselect_b64 vcc, -1, 0
	v_cndmask_b32_e32 v3, -1, v3, vcc
	v_mov_b32_e32 v6, s2
	v_cmp_ne_u32_e32 vcc, 0, v3
	v_cndmask_b32_e32 v3, v6, v5, vcc
	v_cndmask_b32_e32 v2, v2, v4, vcc
	s_cbranch_execnz .LBB86_256
.LBB86_255:                             ;   in Loop: Header=BB86_22 Depth=1
	v_cvt_f32_u32_e32 v2, s33
	s_sub_i32 s2, 0, s33
	v_rcp_iflag_f32_e32 v2, v2
	v_mul_f32_e32 v2, 0x4f7ffffe, v2
	v_cvt_u32_f32_e32 v2, v2
	v_mul_lo_u32 v3, s2, v2
	v_mul_hi_u32 v3, v2, v3
	v_add_u32_e32 v2, v2, v3
	v_mul_hi_u32 v2, s54, v2
	v_mul_lo_u32 v2, v2, s33
	v_sub_u32_e32 v2, s54, v2
	v_subrev_u32_e32 v3, s33, v2
	v_cmp_le_u32_e32 vcc, s33, v2
	v_cndmask_b32_e32 v2, v2, v3, vcc
	v_subrev_u32_e32 v3, s33, v2
	v_cmp_le_u32_e32 vcc, s33, v2
	v_cndmask_b32_e32 v10, v2, v3, vcc
	v_pk_mov_b32 v[2:3], v[10:11], v[10:11] op_sel:[0,1]
.LBB86_256:                             ;   in Loop: Header=BB86_22 Depth=1
	v_mov_b32_e32 v4, s65
	v_sub_co_u32_e32 v2, vcc, s54, v2
	v_subb_co_u32_e32 v3, vcc, v4, v3, vcc
	v_cmp_gt_u64_e32 vcc, v[2:3], v[0:1]
	s_mov_b64 s[38:39], 0
                                        ; implicit-def: $vgpr29
	s_and_saveexec_b64 s[2:3], vcc
	s_cbranch_execz .LBB86_265
; %bb.257:                              ;   in Loop: Header=BB86_22 Depth=1
	s_mov_b64 s[8:9], 0
	v_pk_mov_b32 v[4:5], v[0:1], v[0:1] op_sel:[0,1]
                                        ; implicit-def: $sgpr36_sgpr37
	s_branch .LBB86_259
.LBB86_258:                             ;   in Loop: Header=BB86_259 Depth=2
	s_or_b64 exec, exec, s[38:39]
	s_waitcnt lgkmcnt(0)
	s_barrier
	s_waitcnt vmcnt(0)
	ds_read_u16 v6, v11 offset:3072
	v_mov_b32_e32 v7, s55
	v_add_co_u32_e32 v4, vcc, s33, v4
	v_addc_co_u32_e32 v5, vcc, v5, v7, vcc
	s_waitcnt lgkmcnt(0)
	v_cmp_ne_u16_sdwa s[38:39], v6, v1 src0_sel:BYTE_0 src1_sel:DWORD
	v_cmp_ge_u64_e32 vcc, v[4:5], v[2:3]
	s_or_b64 s[40:41], vcc, s[38:39]
	s_and_b64 s[40:41], exec, s[40:41]
	s_or_b64 s[8:9], s[40:41], s[8:9]
	s_andn2_b64 s[36:37], s[36:37], exec
	s_and_b64 s[38:39], s[38:39], exec
	s_or_b64 s[36:37], s[36:37], s[38:39]
	s_barrier
	s_andn2_b64 exec, exec, s[8:9]
	s_cbranch_execz .LBB86_264
.LBB86_259:                             ;   Parent Loop BB86_22 Depth=1
                                        ; =>  This Inner Loop Header: Depth=2
	v_cmp_gt_u64_e32 vcc, s[52:53], v[4:5]
	v_mov_b32_e32 v6, 0
	s_and_saveexec_b64 s[38:39], vcc
	s_cbranch_execz .LBB86_261
; %bb.260:                              ;   in Loop: Header=BB86_259 Depth=2
	v_pk_mov_b32 v[6:7], s[90:91], s[90:91] op_sel:[0,1]
	v_mad_u64_u32 v[6:7], s[40:41], v4, s80, v[6:7]
	v_mul_lo_u32 v8, v4, s81
	v_mul_lo_u32 v9, v5, s80
	v_add3_u32 v7, v9, v7, v8
	global_load_ubyte v6, v[6:7], off
.LBB86_261:                             ;   in Loop: Header=BB86_259 Depth=2
	s_or_b64 exec, exec, s[38:39]
	s_and_saveexec_b64 s[38:39], vcc
	s_cbranch_execz .LBB86_258
; %bb.262:                              ;   in Loop: Header=BB86_259 Depth=2
	s_waitcnt vmcnt(0)
	v_add_u32_sdwa v7, sext(v6), s1 dst_sel:DWORD dst_unused:UNUSED_PAD src0_sel:BYTE_0 src1_sel:DWORD
	v_and_b32_e32 v7, s26, v7
	v_cmp_eq_u32_e32 vcc, s27, v7
	s_and_b64 exec, exec, vcc
	s_cbranch_execz .LBB86_258
; %bb.263:                              ;   in Loop: Header=BB86_259 Depth=2
	v_lshlrev_b16_e32 v6, 8, v6
	v_or_b32_e32 v6, 1, v6
	ds_write_b16 v11, v6 offset:3072
	s_branch .LBB86_258
.LBB86_264:                             ;   in Loop: Header=BB86_22 Depth=1
	s_or_b64 exec, exec, s[8:9]
	v_lshrrev_b16_e32 v29, 8, v6
	s_and_b64 s[38:39], s[36:37], exec
.LBB86_265:                             ;   in Loop: Header=BB86_22 Depth=1
	s_or_b64 exec, exec, s[2:3]
	s_mov_b64 s[36:37], -1
	s_mov_b64 s[2:3], 0
	s_mov_b64 s[8:9], 0
.LBB86_266:                             ;   in Loop: Header=BB86_22 Depth=1
	s_mov_b64 s[42:43], 0
                                        ; implicit-def: $sgpr47
                                        ; implicit-def: $sgpr44_sgpr45
	s_and_saveexec_b64 s[40:41], s[38:39]
	s_cbranch_execz .LBB86_279
; %bb.267:                              ;   in Loop: Header=BB86_22 Depth=1
	s_xor_b64 s[14:15], s[14:15], -1
	s_mov_b64 s[44:45], 1
	s_andn2_b64 vcc, exec, s[14:15]
	s_mov_b32 s47, 1
	s_cbranch_vccnz .LBB86_278
; %bb.268:                              ;   in Loop: Header=BB86_22 Depth=1
	v_pk_mov_b32 v[2:3], s[6:7], s[6:7] op_sel:[0,1]
	v_cmp_gt_u64_e32 vcc, s[94:95], v[2:3]
	s_cbranch_vccnz .LBB86_274
; %bb.269:                              ;   in Loop: Header=BB86_22 Depth=1
	ds_read_b64 v[2:3], v11 offset:5120
	s_waitcnt lgkmcnt(0)
	v_cmp_ne_u64_e32 vcc, 0, v[2:3]
	s_cbranch_vccnz .LBB86_273
; %bb.270:                              ;   in Loop: Header=BB86_22 Depth=1
	s_mov_b64 s[14:15], exec
	v_readlane_b32 s38, v38, 28
	v_readlane_b32 s39, v38, 29
	s_and_b64 s[38:39], s[14:15], s[38:39]
	s_mov_b64 exec, s[38:39]
	s_cbranch_execz .LBB86_272
; %bb.271:                              ;   in Loop: Header=BB86_22 Depth=1
	v_pk_mov_b32 v[2:3], s[6:7], s[6:7] op_sel:[0,1]
	ds_write_b64 v11, v[2:3] offset:5128
.LBB86_272:                             ;   in Loop: Header=BB86_22 Depth=1
	s_or_b64 exec, exec, s[14:15]
	s_waitcnt lgkmcnt(0)
	s_barrier
.LBB86_273:                             ;   in Loop: Header=BB86_22 Depth=1
	s_or_b32 s38, s27, s46
	s_or_b32 s39, s26, s46
	s_mov_b64 s[14:15], 0
	s_mov_b32 s47, 8
	s_branch .LBB86_275
.LBB86_274:                             ;   in Loop: Header=BB86_22 Depth=1
	s_mov_b64 s[14:15], -1
                                        ; implicit-def: $sgpr47
                                        ; implicit-def: $sgpr38
                                        ; implicit-def: $sgpr39
.LBB86_275:                             ;   in Loop: Header=BB86_22 Depth=1
	s_andn2_b64 vcc, exec, s[14:15]
	s_cbranch_vccnz .LBB86_277
; %bb.276:                              ;   in Loop: Header=BB86_22 Depth=1
	s_sub_u32 s94, s94, s6
	s_subb_u32 s95, s95, s7
	s_mov_b32 s47, 8
	s_mov_b32 s38, s27
	;; [unrolled: 1-line block ×3, first 2 shown]
.LBB86_277:                             ;   in Loop: Header=BB86_22 Depth=1
	s_mov_b64 s[44:45], s[94:95]
	s_mov_b32 s27, s38
	s_mov_b32 s26, s39
.LBB86_278:                             ;   in Loop: Header=BB86_22 Depth=1
	s_mov_b64 s[42:43], exec
.LBB86_279:                             ;   in Loop: Header=BB86_22 Depth=1
	s_or_b64 exec, exec, s[40:41]
	s_mov_b64 s[94:95], s[44:45]
.LBB86_280:                             ;   in Loop: Header=BB86_22 Depth=1
	s_andn2_b64 s[6:7], s[24:25], exec
	s_and_b64 s[2:3], s[2:3], exec
	s_or_b64 s[24:25], s[6:7], s[2:3]
	s_andn2_b64 s[2:3], s[30:31], exec
	s_and_b64 s[6:7], s[36:37], exec
	s_or_b64 s[30:31], s[2:3], s[6:7]
	;; [unrolled: 3-line block ×3, first 2 shown]
	s_and_b64 s[2:3], s[42:43], exec
.LBB86_281:                             ;   in Loop: Header=BB86_22 Depth=1
	s_or_b64 exec, exec, s[34:35]
.LBB86_282:                             ;   in Loop: Header=BB86_22 Depth=1
	s_andn2_b64 s[6:7], s[18:19], exec
	s_and_b64 s[8:9], s[24:25], exec
	s_or_b64 s[18:19], s[6:7], s[8:9]
	s_andn2_b64 s[6:7], s[20:21], exec
	s_and_b64 s[8:9], s[30:31], exec
	s_or_b64 s[20:21], s[6:7], s[8:9]
	;; [unrolled: 3-line block ×3, first 2 shown]
	s_and_b64 s[2:3], s[2:3], exec
.LBB86_283:                             ;   in Loop: Header=BB86_22 Depth=1
	s_or_b64 exec, exec, s[22:23]
	s_and_saveexec_b64 s[6:7], s[2:3]
	s_xor_b64 s[2:3], exec, s[6:7]
	s_cbranch_execz .LBB86_20
.LBB86_284:                             ;   in Loop: Header=BB86_22 Depth=1
	s_and_b32 s6, s47, -9
	s_cmp_eq_u32 s6, 0
	s_cbranch_scc1 .LBB86_18
; %bb.285:                              ;   in Loop: Header=BB86_22 Depth=1
	s_mov_b64 s[6:7], -1
                                        ; implicit-def: $sgpr26
                                        ; implicit-def: $sgpr94_sgpr95
                                        ; implicit-def: $sgpr82
                                        ; implicit-def: $sgpr83
	s_mov_b64 s[8:9], -1
	s_branch .LBB86_19
.LBB86_286:                             ;   in Loop: Header=BB86_22 Depth=1
                                        ; implicit-def: $vgpr2_vgpr3
	s_branch .LBB86_238
.LBB86_287:                             ;   in Loop: Header=BB86_22 Depth=1
                                        ; implicit-def: $vgpr2_vgpr3
	s_branch .LBB86_255
.LBB86_288:
	s_or_b64 exec, exec, s[68:69]
	s_xor_b64 s[6:7], s[70:71], -1
	s_xor_b64 s[0:1], s[74:75], -1
	;; [unrolled: 1-line block ×3, first 2 shown]
	s_mov_b64 s[2:3], 0
	s_and_saveexec_b64 s[8:9], s[0:1]
	s_xor_b64 s[0:1], exec, s[8:9]
	s_cbranch_execnz .LBB86_293
; %bb.289:
	s_andn2_saveexec_b64 s[0:1], s[0:1]
	s_cbranch_execnz .LBB86_306
.LBB86_290:
	s_or_b64 exec, exec, s[0:1]
	s_and_saveexec_b64 s[0:1], s[2:3]
.LBB86_291:
	; divergent unreachable
.LBB86_292:
	s_endpgm
.LBB86_293:
	s_and_saveexec_b64 s[2:3], s[6:7]
	s_xor_b64 s[2:3], exec, s[2:3]
	s_cbranch_execz .LBB86_304
; %bb.294:
	s_and_saveexec_b64 s[6:7], s[4:5]
	s_xor_b64 s[4:5], exec, s[6:7]
; %bb.295:
	v_xor_b32_e32 v29, 0xffffff80, v2
; %bb.296:
	s_or_b64 exec, exec, s[4:5]
	v_readlane_b32 s8, v38, 8
	v_readlane_b32 s4, v38, 0
	v_readlane_b32 s9, v38, 9
	v_readlane_b32 s5, v38, 1
	s_mov_b32 s14, s4
	s_mul_i32 s4, s4, s9
	s_mul_hi_u32 s5, s14, s8
	s_add_i32 s5, s5, s4
	s_mul_i32 s4, s14, s8
	v_readlane_b32 s12, v38, 2
	v_readlane_b32 s16, v38, 24
	;; [unrolled: 1-line block ×3, first 2 shown]
	s_sub_u32 s4, s12, s4
	v_readlane_b32 s18, v38, 26
	v_readlane_b32 s19, v38, 27
	s_subb_u32 s5, s13, s5
	s_mul_i32 s6, s4, s19
	s_mul_hi_u32 s7, s4, s18
	v_readlane_b32 s10, v38, 10
	v_readlane_b32 s11, v38, 11
	;; [unrolled: 1-line block ×3, first 2 shown]
	s_add_i32 s6, s7, s6
	s_mul_i32 s5, s5, s18
	s_add_i32 s6, s6, s5
	s_mul_i32 s5, s14, s17
	s_mul_hi_u32 s7, s14, s16
	s_mul_i32 s8, s12, s11
	s_mul_hi_u32 s9, s12, s10
	s_mul_i32 s4, s4, s18
	s_add_i32 s7, s7, s5
	s_add_i32 s9, s9, s8
	s_mul_i32 s8, s12, s10
	v_readlane_b32 s18, v38, 34
	v_readlane_b32 s12, v38, 22
	s_sub_u32 s8, s18, s8
	v_readlane_b32 s13, v38, 23
	s_subb_u32 s9, 0, s9
	s_mul_i32 s10, s8, s13
	s_mul_hi_u32 s11, s8, s12
	s_add_i32 s10, s11, s10
	s_mul_i32 s9, s9, s12
	s_mul_i32 s5, s14, s16
	s_add_i32 s10, s10, s9
	s_mul_i32 s8, s8, s12
	v_readlane_b32 s12, v38, 32
	v_readlane_b32 s13, v38, 33
	s_add_u32 s5, s12, s5
	s_addc_u32 s7, s13, s7
	s_add_u32 s4, s5, s4
	s_addc_u32 s5, s7, s6
	;; [unrolled: 2-line block ×3, first 2 shown]
	v_mov_b32_e32 v2, 0
	v_readlane_b32 s19, v38, 35
	global_store_byte v2, v29, s[4:5]
	s_mov_b64 s[4:5], exec
	v_readlane_b32 s6, v38, 36
	v_readlane_b32 s7, v38, 37
	s_and_b64 s[6:7], s[4:5], s[6:7]
	s_mov_b64 exec, s[6:7]
	s_cbranch_execz .LBB86_303
; %bb.297:
	s_mov_b64 s[6:7], 0
	v_pk_mov_b32 v[4:5], s[90:91], s[90:91] op_sel:[0,1]
                                        ; implicit-def: $sgpr8_sgpr9
                                        ; implicit-def: $sgpr12_sgpr13
                                        ; implicit-def: $sgpr10_sgpr11
	s_branch .LBB86_299
.LBB86_298:                             ;   in Loop: Header=BB86_299 Depth=1
	s_or_b64 exec, exec, s[14:15]
	s_and_b64 s[14:15], exec, s[12:13]
	s_or_b64 s[6:7], s[14:15], s[6:7]
	s_andn2_b64 s[8:9], s[8:9], exec
	s_and_b64 s[14:15], s[10:11], exec
	s_or_b64 s[8:9], s[8:9], s[14:15]
	s_andn2_b64 exec, exec, s[6:7]
	s_cbranch_execz .LBB86_301
.LBB86_299:                             ; =>This Inner Loop Header: Depth=1
	v_pk_mov_b32 v[2:3], v[0:1], v[0:1] op_sel:[0,1]
	v_mad_u64_u32 v[0:1], s[14:15], v2, s80, v[4:5]
	v_mul_lo_u32 v6, v2, s81
	v_mul_lo_u32 v7, v3, s80
	v_add3_u32 v1, v7, v1, v6
	global_load_ubyte v0, v[0:1], off
	s_or_b64 s[10:11], s[10:11], exec
	s_or_b64 s[12:13], s[12:13], exec
	s_waitcnt vmcnt(0)
	v_cmp_ne_u16_sdwa s[16:17], v0, v29 src0_sel:DWORD src1_sel:BYTE_0
                                        ; implicit-def: $vgpr0_vgpr1
	s_and_saveexec_b64 s[14:15], s[16:17]
	s_cbranch_execz .LBB86_298
; %bb.300:                              ;   in Loop: Header=BB86_299 Depth=1
	v_mov_b32_e32 v1, s55
	v_add_co_u32_e32 v0, vcc, s33, v2
	v_addc_co_u32_e32 v1, vcc, v3, v1, vcc
	v_cmp_le_u64_e32 vcc, s[52:53], v[0:1]
	s_andn2_b64 s[12:13], s[12:13], exec
	s_and_b64 s[16:17], vcc, exec
	s_andn2_b64 s[10:11], s[10:11], exec
	s_or_b64 s[12:13], s[12:13], s[16:17]
	s_branch .LBB86_298
.LBB86_301:
	s_or_b64 exec, exec, s[6:7]
	s_and_saveexec_b64 s[6:7], s[8:9]
	s_xor_b64 s[6:7], exec, s[6:7]
	s_cbranch_execz .LBB86_303
; %bb.302:
	v_readlane_b32 s12, v38, 4
	v_readlane_b32 s6, v38, 14
	;; [unrolled: 1-line block ×4, first 2 shown]
	s_mov_b32 s10, s6
	s_mul_i32 s6, s6, s13
	s_mul_hi_u32 s7, s10, s12
	s_add_i32 s7, s7, s6
	s_mul_i32 s6, s10, s12
	v_readlane_b32 s12, v38, 12
	v_readlane_b32 s20, v38, 18
	;; [unrolled: 1-line block ×3, first 2 shown]
	s_sub_u32 s6, s12, s6
	v_readlane_b32 s22, v38, 20
	v_readlane_b32 s23, v38, 21
	s_subb_u32 s7, s13, s7
	s_mul_i32 s8, s6, s23
	s_mul_hi_u32 s9, s6, s22
	v_readlane_b32 s21, v38, 19
	s_add_i32 s8, s9, s8
	s_mul_i32 s7, s7, s22
	v_readlane_b32 s14, v38, 6
	v_readlane_b32 s15, v38, 7
	s_add_i32 s7, s8, s7
	s_mul_i32 s8, s10, s21
	s_mul_hi_u32 s9, s10, s20
	s_add_i32 s9, s9, s8
	s_mul_i32 s8, s10, s20
	s_mul_i32 s10, s12, s15
	s_mul_hi_u32 s11, s12, s14
	s_add_i32 s11, s11, s10
	s_mul_i32 s10, s12, s14
	v_readlane_b32 s14, v38, 16
	s_sub_u32 s10, s18, s10
	v_readlane_b32 s15, v38, 17
	s_subb_u32 s11, 0, s11
	s_mul_i32 s12, s10, s15
	s_mul_hi_u32 s13, s10, s14
	s_add_i32 s12, s13, s12
	s_mul_i32 s11, s11, s14
	s_add_i32 s11, s12, s11
	s_lshl_b64 s[8:9], s[8:9], 3
	v_readlane_b32 s12, v38, 30
	s_mul_i32 s6, s6, s22
	v_readlane_b32 s13, v38, 31
	s_add_u32 s8, s12, s8
	s_addc_u32 s9, s13, s9
	s_lshl_b64 s[6:7], s[6:7], 3
	s_mul_i32 s10, s10, s14
	s_add_u32 s8, s8, s6
	s_addc_u32 s9, s9, s7
	s_lshl_b64 s[6:7], s[10:11], 3
	s_add_u32 s6, s8, s6
	s_addc_u32 s7, s9, s7
	v_mov_b32_e32 v0, 0
	global_store_dwordx2 v0, v[2:3], s[6:7]
.LBB86_303:
	s_or_b64 exec, exec, s[4:5]
.LBB86_304:
	s_or_saveexec_b64 s[2:3], s[2:3]
	s_mov_b64 s[4:5], 0
	s_xor_b64 exec, exec, s[2:3]
	s_cbranch_execnz .LBB86_307
.LBB86_305:
	s_or_b64 exec, exec, s[2:3]
	s_and_b64 s[2:3], s[4:5], exec
	s_andn2_saveexec_b64 s[0:1], s[0:1]
	s_cbranch_execz .LBB86_290
.LBB86_306:
	s_or_b64 s[2:3], s[2:3], exec
	s_trap 2
	s_or_b64 exec, exec, s[0:1]
	s_and_saveexec_b64 s[0:1], s[2:3]
	s_cbranch_execnz .LBB86_291
	s_branch .LBB86_292
.LBB86_307:
	s_mov_b64 s[4:5], exec
	s_trap 2
	s_branch .LBB86_305
	.section	.rodata,"a",@progbits
	.p2align	6, 0x0
	.amdhsa_kernel _ZN2at6native12_GLOBAL__N_112gatherMedianIamLi3EEEvNS_4cuda6detail10TensorInfoIT_T0_EENS5_IlS7_EENS5_IKS6_S7_EES7_S7_S7_b
		.amdhsa_group_segment_fixed_size 5152
		.amdhsa_private_segment_fixed_size 0
		.amdhsa_kernarg_size 1536
		.amdhsa_user_sgpr_count 6
		.amdhsa_user_sgpr_private_segment_buffer 1
		.amdhsa_user_sgpr_dispatch_ptr 0
		.amdhsa_user_sgpr_queue_ptr 0
		.amdhsa_user_sgpr_kernarg_segment_ptr 1
		.amdhsa_user_sgpr_dispatch_id 0
		.amdhsa_user_sgpr_flat_scratch_init 0
		.amdhsa_user_sgpr_kernarg_preload_length 0
		.amdhsa_user_sgpr_kernarg_preload_offset 0
		.amdhsa_user_sgpr_private_segment_size 0
		.amdhsa_uses_dynamic_stack 0
		.amdhsa_system_sgpr_private_segment_wavefront_offset 0
		.amdhsa_system_sgpr_workgroup_id_x 1
		.amdhsa_system_sgpr_workgroup_id_y 1
		.amdhsa_system_sgpr_workgroup_id_z 1
		.amdhsa_system_sgpr_workgroup_info 0
		.amdhsa_system_vgpr_workitem_id 0
		.amdhsa_next_free_vgpr 39
		.amdhsa_next_free_sgpr 96
		.amdhsa_accum_offset 40
		.amdhsa_reserve_vcc 1
		.amdhsa_reserve_flat_scratch 0
		.amdhsa_float_round_mode_32 0
		.amdhsa_float_round_mode_16_64 0
		.amdhsa_float_denorm_mode_32 3
		.amdhsa_float_denorm_mode_16_64 3
		.amdhsa_dx10_clamp 1
		.amdhsa_ieee_mode 1
		.amdhsa_fp16_overflow 0
		.amdhsa_tg_split 0
		.amdhsa_exception_fp_ieee_invalid_op 0
		.amdhsa_exception_fp_denorm_src 0
		.amdhsa_exception_fp_ieee_div_zero 0
		.amdhsa_exception_fp_ieee_overflow 0
		.amdhsa_exception_fp_ieee_underflow 0
		.amdhsa_exception_fp_ieee_inexact 0
		.amdhsa_exception_int_div_zero 0
	.end_amdhsa_kernel
	.section	.text._ZN2at6native12_GLOBAL__N_112gatherMedianIamLi3EEEvNS_4cuda6detail10TensorInfoIT_T0_EENS5_IlS7_EENS5_IKS6_S7_EES7_S7_S7_b,"axG",@progbits,_ZN2at6native12_GLOBAL__N_112gatherMedianIamLi3EEEvNS_4cuda6detail10TensorInfoIT_T0_EENS5_IlS7_EENS5_IKS6_S7_EES7_S7_S7_b,comdat
.Lfunc_end86:
	.size	_ZN2at6native12_GLOBAL__N_112gatherMedianIamLi3EEEvNS_4cuda6detail10TensorInfoIT_T0_EENS5_IlS7_EENS5_IKS6_S7_EES7_S7_S7_b, .Lfunc_end86-_ZN2at6native12_GLOBAL__N_112gatherMedianIamLi3EEEvNS_4cuda6detail10TensorInfoIT_T0_EENS5_IlS7_EENS5_IKS6_S7_EES7_S7_S7_b
                                        ; -- End function
	.section	.AMDGPU.csdata,"",@progbits
; Kernel info:
; codeLenInByte = 16356
; NumSgprs: 100
; NumVgprs: 39
; NumAgprs: 0
; TotalNumVgprs: 39
; ScratchSize: 0
; MemoryBound: 0
; FloatMode: 240
; IeeeMode: 1
; LDSByteSize: 5152 bytes/workgroup (compile time only)
; SGPRBlocks: 12
; VGPRBlocks: 4
; NumSGPRsForWavesPerEU: 100
; NumVGPRsForWavesPerEU: 39
; AccumOffset: 40
; Occupancy: 8
; WaveLimiterHint : 1
; COMPUTE_PGM_RSRC2:SCRATCH_EN: 0
; COMPUTE_PGM_RSRC2:USER_SGPR: 6
; COMPUTE_PGM_RSRC2:TRAP_HANDLER: 0
; COMPUTE_PGM_RSRC2:TGID_X_EN: 1
; COMPUTE_PGM_RSRC2:TGID_Y_EN: 1
; COMPUTE_PGM_RSRC2:TGID_Z_EN: 1
; COMPUTE_PGM_RSRC2:TIDIG_COMP_CNT: 0
; COMPUTE_PGM_RSRC3_GFX90A:ACCUM_OFFSET: 9
; COMPUTE_PGM_RSRC3_GFX90A:TG_SPLIT: 0
	.section	.text._ZN2at6native12_GLOBAL__N_112gatherMedianIamLin1EEEvNS_4cuda6detail10TensorInfoIT_T0_EENS5_IlS7_EENS5_IKS6_S7_EES7_S7_S7_b,"axG",@progbits,_ZN2at6native12_GLOBAL__N_112gatherMedianIamLin1EEEvNS_4cuda6detail10TensorInfoIT_T0_EENS5_IlS7_EENS5_IKS6_S7_EES7_S7_S7_b,comdat
	.globl	_ZN2at6native12_GLOBAL__N_112gatherMedianIamLin1EEEvNS_4cuda6detail10TensorInfoIT_T0_EENS5_IlS7_EENS5_IKS6_S7_EES7_S7_S7_b ; -- Begin function _ZN2at6native12_GLOBAL__N_112gatherMedianIamLin1EEEvNS_4cuda6detail10TensorInfoIT_T0_EENS5_IlS7_EENS5_IKS6_S7_EES7_S7_S7_b
	.p2align	8
	.type	_ZN2at6native12_GLOBAL__N_112gatherMedianIamLin1EEEvNS_4cuda6detail10TensorInfoIT_T0_EENS5_IlS7_EENS5_IKS6_S7_EES7_S7_S7_b,@function
_ZN2at6native12_GLOBAL__N_112gatherMedianIamLin1EEEvNS_4cuda6detail10TensorInfoIT_T0_EENS5_IlS7_EENS5_IKS6_S7_EES7_S7_S7_b: ; @_ZN2at6native12_GLOBAL__N_112gatherMedianIamLin1EEEvNS_4cuda6detail10TensorInfoIT_T0_EENS5_IlS7_EENS5_IKS6_S7_EES7_S7_S7_b
; %bb.0:
	s_load_dwordx4 s[52:55], s[4:5], 0x4e0
	s_load_dwordx2 s[10:11], s[4:5], 0x500
	s_add_u32 s12, s4, 0x500
	s_addc_u32 s13, s5, 0
	s_mov_b32 s3, 0
	s_waitcnt lgkmcnt(0)
	v_mov_b32_e32 v2, s54
	s_mul_i32 s0, s11, s8
	s_add_i32 s0, s0, s7
	s_mul_i32 s0, s0, s10
	v_mov_b32_e32 v3, s55
	s_add_i32 s2, s0, s6
	v_cmp_ge_u64_e32 vcc, s[2:3], v[2:3]
	s_cbranch_vccnz .LBB87_305
; %bb.1:
	s_load_dword s0, s[4:5], 0x198
	s_load_dwordx2 s[56:57], s[4:5], 0x4f0
	s_mov_b64 s[54:55], 0
	s_mov_b64 s[20:21], s[2:3]
	s_waitcnt lgkmcnt(0)
	s_cmp_lt_i32 s0, 2
	s_cbranch_scc1 .LBB87_9
; %bb.2:
	s_mov_b32 s8, 0
	s_add_i32 s7, s0, 1
	s_add_i32 s0, s0, -1
	s_mov_b32 s1, s8
	s_lshl_b64 s[0:1], s[0:1], 3
	s_add_u32 s0, s0, s4
	s_addc_u32 s1, s1, s5
	s_add_u32 s14, s0, 8
	s_addc_u32 s15, s1, 0
	s_mov_b64 s[16:17], s[2:3]
.LBB87_3:                               ; =>This Inner Loop Header: Depth=1
	s_load_dwordx2 s[18:19], s[14:15], 0x0
	s_waitcnt lgkmcnt(0)
	s_or_b64 s[0:1], s[16:17], s[18:19]
	s_mov_b32 s9, s1
	s_cmp_lg_u64 s[8:9], 0
	s_cbranch_scc0 .LBB87_8
; %bb.4:                                ;   in Loop: Header=BB87_3 Depth=1
	v_cvt_f32_u32_e32 v1, s18
	v_cvt_f32_u32_e32 v2, s19
	s_sub_u32 s0, 0, s18
	s_subb_u32 s1, 0, s19
	v_mac_f32_e32 v1, 0x4f800000, v2
	v_rcp_f32_e32 v1, v1
	v_mul_f32_e32 v1, 0x5f7ffffc, v1
	v_mul_f32_e32 v2, 0x2f800000, v1
	v_trunc_f32_e32 v2, v2
	v_mac_f32_e32 v1, 0xcf800000, v2
	v_cvt_u32_f32_e32 v2, v2
	v_cvt_u32_f32_e32 v1, v1
	v_readfirstlane_b32 s9, v2
	v_readfirstlane_b32 s11, v1
	s_mul_i32 s20, s0, s9
	s_mul_hi_u32 s22, s0, s11
	s_mul_i32 s21, s1, s11
	s_add_i32 s20, s22, s20
	s_mul_i32 s23, s0, s11
	s_add_i32 s20, s20, s21
	s_mul_hi_u32 s21, s11, s20
	s_mul_i32 s22, s11, s20
	s_mul_hi_u32 s11, s11, s23
	s_add_u32 s11, s11, s22
	s_addc_u32 s21, 0, s21
	s_mul_hi_u32 s24, s9, s23
	s_mul_i32 s23, s9, s23
	s_add_u32 s11, s11, s23
	s_mul_hi_u32 s22, s9, s20
	s_addc_u32 s11, s21, s24
	s_addc_u32 s21, s22, 0
	s_mul_i32 s20, s9, s20
	s_add_u32 s11, s11, s20
	s_addc_u32 s20, 0, s21
	v_add_co_u32_e32 v1, vcc, s11, v1
	s_cmp_lg_u64 vcc, 0
	s_addc_u32 s9, s9, s20
	v_readfirstlane_b32 s20, v1
	s_mul_i32 s11, s0, s9
	s_mul_hi_u32 s21, s0, s20
	s_add_i32 s11, s21, s11
	s_mul_i32 s1, s1, s20
	s_add_i32 s11, s11, s1
	s_mul_i32 s0, s0, s20
	s_mul_hi_u32 s21, s9, s0
	s_mul_i32 s22, s9, s0
	s_mul_i32 s24, s20, s11
	s_mul_hi_u32 s0, s20, s0
	s_mul_hi_u32 s23, s20, s11
	s_add_u32 s0, s0, s24
	s_addc_u32 s20, 0, s23
	s_add_u32 s0, s0, s22
	s_mul_hi_u32 s1, s9, s11
	s_addc_u32 s0, s20, s21
	s_addc_u32 s1, s1, 0
	s_mul_i32 s11, s9, s11
	s_add_u32 s0, s0, s11
	s_addc_u32 s1, 0, s1
	v_add_co_u32_e32 v1, vcc, s0, v1
	s_cmp_lg_u64 vcc, 0
	s_addc_u32 s0, s9, s1
	v_readfirstlane_b32 s11, v1
	s_mul_i32 s9, s16, s0
	s_mul_hi_u32 s20, s16, s11
	s_mul_hi_u32 s1, s16, s0
	s_add_u32 s9, s20, s9
	s_addc_u32 s1, 0, s1
	s_mul_hi_u32 s21, s17, s11
	s_mul_i32 s11, s17, s11
	s_add_u32 s9, s9, s11
	s_mul_hi_u32 s20, s17, s0
	s_addc_u32 s1, s1, s21
	s_addc_u32 s9, s20, 0
	s_mul_i32 s0, s17, s0
	s_add_u32 s11, s1, s0
	s_addc_u32 s9, 0, s9
	s_mul_i32 s0, s18, s9
	s_mul_hi_u32 s1, s18, s11
	s_add_i32 s0, s1, s0
	s_mul_i32 s1, s19, s11
	s_add_i32 s20, s0, s1
	s_mul_i32 s1, s18, s11
	v_mov_b32_e32 v1, s1
	s_sub_i32 s0, s17, s20
	v_sub_co_u32_e32 v1, vcc, s16, v1
	s_cmp_lg_u64 vcc, 0
	s_subb_u32 s21, s0, s19
	v_subrev_co_u32_e64 v2, s[0:1], s18, v1
	s_cmp_lg_u64 s[0:1], 0
	s_subb_u32 s0, s21, 0
	s_cmp_ge_u32 s0, s19
	v_readfirstlane_b32 s21, v2
	s_cselect_b32 s1, -1, 0
	s_cmp_ge_u32 s21, s18
	s_cselect_b32 s21, -1, 0
	s_cmp_eq_u32 s0, s19
	s_cselect_b32 s0, s21, s1
	s_add_u32 s1, s11, 1
	s_addc_u32 s21, s9, 0
	s_add_u32 s22, s11, 2
	s_addc_u32 s23, s9, 0
	s_cmp_lg_u32 s0, 0
	s_cselect_b32 s0, s22, s1
	s_cselect_b32 s1, s23, s21
	s_cmp_lg_u64 vcc, 0
	s_subb_u32 s20, s17, s20
	s_cmp_ge_u32 s20, s19
	v_readfirstlane_b32 s22, v1
	s_cselect_b32 s21, -1, 0
	s_cmp_ge_u32 s22, s18
	s_cselect_b32 s22, -1, 0
	s_cmp_eq_u32 s20, s19
	s_cselect_b32 s20, s22, s21
	s_cmp_lg_u32 s20, 0
	s_cselect_b32 s21, s1, s9
	s_cselect_b32 s20, s0, s11
	s_cbranch_execnz .LBB87_6
.LBB87_5:                               ;   in Loop: Header=BB87_3 Depth=1
	v_cvt_f32_u32_e32 v1, s18
	s_sub_i32 s0, 0, s18
	s_mov_b32 s21, s8
	v_rcp_iflag_f32_e32 v1, v1
	v_mul_f32_e32 v1, 0x4f7ffffe, v1
	v_cvt_u32_f32_e32 v1, v1
	v_readfirstlane_b32 s1, v1
	s_mul_i32 s0, s0, s1
	s_mul_hi_u32 s0, s1, s0
	s_add_i32 s1, s1, s0
	s_mul_hi_u32 s0, s16, s1
	s_mul_i32 s9, s0, s18
	s_sub_i32 s9, s16, s9
	s_add_i32 s1, s0, 1
	s_sub_i32 s11, s9, s18
	s_cmp_ge_u32 s9, s18
	s_cselect_b32 s0, s1, s0
	s_cselect_b32 s9, s11, s9
	s_add_i32 s1, s0, 1
	s_cmp_ge_u32 s9, s18
	s_cselect_b32 s20, s1, s0
.LBB87_6:                               ;   in Loop: Header=BB87_3 Depth=1
	s_mul_i32 s0, s20, s19
	s_mul_hi_u32 s1, s20, s18
	s_add_i32 s9, s1, s0
	s_load_dwordx2 s[0:1], s[14:15], 0xc8
	s_mul_i32 s11, s21, s18
	s_add_i32 s9, s9, s11
	s_mul_i32 s11, s20, s18
	s_sub_u32 s11, s16, s11
	s_subb_u32 s9, s17, s9
	s_waitcnt lgkmcnt(0)
	s_mul_i32 s9, s0, s9
	s_mul_hi_u32 s16, s0, s11
	s_add_i32 s9, s16, s9
	s_mul_i32 s1, s1, s11
	s_add_i32 s9, s9, s1
	s_mul_i32 s0, s0, s11
	s_add_u32 s54, s0, s54
	s_addc_u32 s55, s9, s55
	s_add_i32 s7, s7, -1
	s_add_u32 s14, s14, -8
	s_addc_u32 s15, s15, -1
	s_cmp_gt_u32 s7, 2
	s_cbranch_scc0 .LBB87_9
; %bb.7:                                ;   in Loop: Header=BB87_3 Depth=1
	s_mov_b64 s[16:17], s[20:21]
	s_branch .LBB87_3
.LBB87_8:                               ;   in Loop: Header=BB87_3 Depth=1
                                        ; implicit-def: $sgpr20_sgpr21
	s_branch .LBB87_5
.LBB87_9:
	s_load_dword s0, s[4:5], 0x338
	s_load_dwordx2 s[8:9], s[4:5], 0xd0
                                        ; implicit-def: $vgpr48 : SGPR spill to VGPR lane
	s_mov_b64 s[58:59], 0
	v_writelane_b32 v48, s20, 0
	v_writelane_b32 v48, s21, 1
	s_mov_b64 s[60:61], s[2:3]
	s_waitcnt lgkmcnt(0)
	v_writelane_b32 v48, s8, 2
	v_writelane_b32 v48, s9, 3
	s_add_u32 s8, s4, 0x1a0
	s_addc_u32 s9, s5, 0
	s_cmp_lt_i32 s0, 2
	s_cbranch_scc1 .LBB87_17
; %bb.10:
	s_mov_b32 s14, 0
	s_add_i32 s7, s0, 1
	s_add_i32 s0, s0, -1
	s_mov_b32 s1, s14
	s_lshl_b64 s[0:1], s[0:1], 3
	s_add_u32 s0, s0, s8
	s_addc_u32 s1, s1, s9
	s_add_u32 s16, s0, 8
	s_addc_u32 s17, s1, 0
	s_mov_b64 s[18:19], s[2:3]
.LBB87_11:                              ; =>This Inner Loop Header: Depth=1
	s_load_dwordx2 s[20:21], s[16:17], 0x0
	s_waitcnt lgkmcnt(0)
	s_or_b64 s[0:1], s[18:19], s[20:21]
	s_mov_b32 s15, s1
	s_cmp_lg_u64 s[14:15], 0
	s_cbranch_scc0 .LBB87_16
; %bb.12:                               ;   in Loop: Header=BB87_11 Depth=1
	v_cvt_f32_u32_e32 v1, s20
	v_cvt_f32_u32_e32 v2, s21
	s_sub_u32 s0, 0, s20
	s_subb_u32 s1, 0, s21
	v_mac_f32_e32 v1, 0x4f800000, v2
	v_rcp_f32_e32 v1, v1
	v_mul_f32_e32 v1, 0x5f7ffffc, v1
	v_mul_f32_e32 v2, 0x2f800000, v1
	v_trunc_f32_e32 v2, v2
	v_mac_f32_e32 v1, 0xcf800000, v2
	v_cvt_u32_f32_e32 v2, v2
	v_cvt_u32_f32_e32 v1, v1
	v_readfirstlane_b32 s11, v2
	v_readfirstlane_b32 s15, v1
	s_mul_i32 s22, s0, s11
	s_mul_hi_u32 s24, s0, s15
	s_mul_i32 s23, s1, s15
	s_add_i32 s22, s24, s22
	s_mul_i32 s25, s0, s15
	s_add_i32 s22, s22, s23
	s_mul_hi_u32 s23, s15, s22
	s_mul_i32 s24, s15, s22
	s_mul_hi_u32 s15, s15, s25
	s_add_u32 s15, s15, s24
	s_addc_u32 s23, 0, s23
	s_mul_hi_u32 s26, s11, s25
	s_mul_i32 s25, s11, s25
	s_add_u32 s15, s15, s25
	s_mul_hi_u32 s24, s11, s22
	s_addc_u32 s15, s23, s26
	s_addc_u32 s23, s24, 0
	s_mul_i32 s22, s11, s22
	s_add_u32 s15, s15, s22
	s_addc_u32 s22, 0, s23
	v_add_co_u32_e32 v1, vcc, s15, v1
	s_cmp_lg_u64 vcc, 0
	s_addc_u32 s11, s11, s22
	v_readfirstlane_b32 s22, v1
	s_mul_i32 s15, s0, s11
	s_mul_hi_u32 s23, s0, s22
	s_add_i32 s15, s23, s15
	s_mul_i32 s1, s1, s22
	s_add_i32 s15, s15, s1
	s_mul_i32 s0, s0, s22
	s_mul_hi_u32 s23, s11, s0
	s_mul_i32 s24, s11, s0
	s_mul_i32 s26, s22, s15
	s_mul_hi_u32 s0, s22, s0
	s_mul_hi_u32 s25, s22, s15
	s_add_u32 s0, s0, s26
	s_addc_u32 s22, 0, s25
	s_add_u32 s0, s0, s24
	s_mul_hi_u32 s1, s11, s15
	s_addc_u32 s0, s22, s23
	s_addc_u32 s1, s1, 0
	s_mul_i32 s15, s11, s15
	s_add_u32 s0, s0, s15
	s_addc_u32 s1, 0, s1
	v_add_co_u32_e32 v1, vcc, s0, v1
	s_cmp_lg_u64 vcc, 0
	s_addc_u32 s0, s11, s1
	v_readfirstlane_b32 s15, v1
	s_mul_i32 s11, s18, s0
	s_mul_hi_u32 s22, s18, s15
	s_mul_hi_u32 s1, s18, s0
	s_add_u32 s11, s22, s11
	s_addc_u32 s1, 0, s1
	s_mul_hi_u32 s23, s19, s15
	s_mul_i32 s15, s19, s15
	s_add_u32 s11, s11, s15
	s_mul_hi_u32 s22, s19, s0
	s_addc_u32 s1, s1, s23
	s_addc_u32 s11, s22, 0
	s_mul_i32 s0, s19, s0
	s_add_u32 s15, s1, s0
	s_addc_u32 s11, 0, s11
	s_mul_i32 s0, s20, s11
	s_mul_hi_u32 s1, s20, s15
	s_add_i32 s0, s1, s0
	s_mul_i32 s1, s21, s15
	s_add_i32 s22, s0, s1
	s_mul_i32 s1, s20, s15
	v_mov_b32_e32 v1, s1
	s_sub_i32 s0, s19, s22
	v_sub_co_u32_e32 v1, vcc, s18, v1
	s_cmp_lg_u64 vcc, 0
	s_subb_u32 s23, s0, s21
	v_subrev_co_u32_e64 v2, s[0:1], s20, v1
	s_cmp_lg_u64 s[0:1], 0
	s_subb_u32 s0, s23, 0
	s_cmp_ge_u32 s0, s21
	v_readfirstlane_b32 s23, v2
	s_cselect_b32 s1, -1, 0
	s_cmp_ge_u32 s23, s20
	s_cselect_b32 s23, -1, 0
	s_cmp_eq_u32 s0, s21
	s_cselect_b32 s0, s23, s1
	s_add_u32 s1, s15, 1
	s_addc_u32 s23, s11, 0
	s_add_u32 s24, s15, 2
	s_addc_u32 s25, s11, 0
	s_cmp_lg_u32 s0, 0
	s_cselect_b32 s0, s24, s1
	s_cselect_b32 s1, s25, s23
	s_cmp_lg_u64 vcc, 0
	s_subb_u32 s22, s19, s22
	s_cmp_ge_u32 s22, s21
	v_readfirstlane_b32 s24, v1
	s_cselect_b32 s23, -1, 0
	s_cmp_ge_u32 s24, s20
	s_cselect_b32 s24, -1, 0
	s_cmp_eq_u32 s22, s21
	s_cselect_b32 s22, s24, s23
	s_cmp_lg_u32 s22, 0
	s_cselect_b32 s61, s1, s11
	s_cselect_b32 s60, s0, s15
	s_cbranch_execnz .LBB87_14
.LBB87_13:                              ;   in Loop: Header=BB87_11 Depth=1
	v_cvt_f32_u32_e32 v1, s20
	s_sub_i32 s0, 0, s20
	s_mov_b32 s61, s14
	v_rcp_iflag_f32_e32 v1, v1
	v_mul_f32_e32 v1, 0x4f7ffffe, v1
	v_cvt_u32_f32_e32 v1, v1
	v_readfirstlane_b32 s1, v1
	s_mul_i32 s0, s0, s1
	s_mul_hi_u32 s0, s1, s0
	s_add_i32 s1, s1, s0
	s_mul_hi_u32 s0, s18, s1
	s_mul_i32 s11, s0, s20
	s_sub_i32 s11, s18, s11
	s_add_i32 s1, s0, 1
	s_sub_i32 s15, s11, s20
	s_cmp_ge_u32 s11, s20
	s_cselect_b32 s0, s1, s0
	s_cselect_b32 s11, s15, s11
	s_add_i32 s1, s0, 1
	s_cmp_ge_u32 s11, s20
	s_cselect_b32 s60, s1, s0
.LBB87_14:                              ;   in Loop: Header=BB87_11 Depth=1
	s_mul_i32 s0, s60, s21
	s_mul_hi_u32 s1, s60, s20
	s_add_i32 s11, s1, s0
	s_load_dwordx2 s[0:1], s[16:17], 0xc8
	s_mul_i32 s15, s61, s20
	s_add_i32 s11, s11, s15
	s_mul_i32 s15, s60, s20
	s_sub_u32 s15, s18, s15
	s_subb_u32 s11, s19, s11
	s_waitcnt lgkmcnt(0)
	s_mul_i32 s11, s0, s11
	s_mul_hi_u32 s18, s0, s15
	s_add_i32 s11, s18, s11
	s_mul_i32 s1, s1, s15
	s_add_i32 s11, s11, s1
	s_mul_i32 s0, s0, s15
	s_add_u32 s58, s0, s58
	s_addc_u32 s59, s11, s59
	s_add_i32 s7, s7, -1
	s_add_u32 s16, s16, -8
	s_addc_u32 s17, s17, -1
	s_cmp_gt_u32 s7, 2
	s_cbranch_scc0 .LBB87_17
; %bb.15:                               ;   in Loop: Header=BB87_11 Depth=1
	s_mov_b64 s[18:19], s[60:61]
	s_branch .LBB87_11
.LBB87_16:                              ;   in Loop: Header=BB87_11 Depth=1
                                        ; implicit-def: $sgpr60_sgpr61
	s_branch .LBB87_13
.LBB87_17:
	s_load_dword s11, s[4:5], 0x4d8
	s_load_dwordx2 s[0:1], s[8:9], 0xd0
	s_mov_b64 s[14:15], 0
                                        ; kill: killed $sgpr8 killed $sgpr9
	s_waitcnt lgkmcnt(0)
	v_writelane_b32 v48, s0, 4
	v_writelane_b32 v48, s1, 5
	s_add_u32 s0, s4, 0x340
	s_addc_u32 s1, s5, 0
	s_cmp_lt_i32 s11, 2
	s_cbranch_scc1 .LBB87_25
; %bb.18:
	s_mov_b32 s8, 0
	s_add_i32 s14, s11, -1
	s_mov_b32 s15, s8
	s_add_i32 s7, s11, 1
	s_lshl_b64 s[14:15], s[14:15], 3
	s_add_u32 s0, s14, s0
	s_addc_u32 s1, s15, s1
	s_add_u32 s16, s0, 8
	s_addc_u32 s17, s1, 0
	s_mov_b64 s[14:15], 0
.LBB87_19:                              ; =>This Inner Loop Header: Depth=1
	s_load_dwordx2 s[18:19], s[16:17], 0x0
	s_waitcnt lgkmcnt(0)
	s_or_b64 s[0:1], s[2:3], s[18:19]
	s_mov_b32 s9, s1
	s_cmp_lg_u64 s[8:9], 0
	s_cbranch_scc0 .LBB87_24
; %bb.20:                               ;   in Loop: Header=BB87_19 Depth=1
	v_cvt_f32_u32_e32 v1, s18
	v_cvt_f32_u32_e32 v2, s19
	s_sub_u32 s0, 0, s18
	s_subb_u32 s1, 0, s19
	v_mac_f32_e32 v1, 0x4f800000, v2
	v_rcp_f32_e32 v1, v1
	v_mul_f32_e32 v1, 0x5f7ffffc, v1
	v_mul_f32_e32 v2, 0x2f800000, v1
	v_trunc_f32_e32 v2, v2
	v_mac_f32_e32 v1, 0xcf800000, v2
	v_cvt_u32_f32_e32 v2, v2
	v_cvt_u32_f32_e32 v1, v1
	v_readfirstlane_b32 s9, v2
	v_readfirstlane_b32 s11, v1
	s_mul_i32 s20, s0, s9
	s_mul_hi_u32 s22, s0, s11
	s_mul_i32 s21, s1, s11
	s_add_i32 s20, s22, s20
	s_mul_i32 s23, s0, s11
	s_add_i32 s20, s20, s21
	s_mul_hi_u32 s21, s11, s20
	s_mul_i32 s22, s11, s20
	s_mul_hi_u32 s11, s11, s23
	s_add_u32 s11, s11, s22
	s_addc_u32 s21, 0, s21
	s_mul_hi_u32 s24, s9, s23
	s_mul_i32 s23, s9, s23
	s_add_u32 s11, s11, s23
	s_mul_hi_u32 s22, s9, s20
	s_addc_u32 s11, s21, s24
	s_addc_u32 s21, s22, 0
	s_mul_i32 s20, s9, s20
	s_add_u32 s11, s11, s20
	s_addc_u32 s20, 0, s21
	v_add_co_u32_e32 v1, vcc, s11, v1
	s_cmp_lg_u64 vcc, 0
	s_addc_u32 s9, s9, s20
	v_readfirstlane_b32 s20, v1
	s_mul_i32 s11, s0, s9
	s_mul_hi_u32 s21, s0, s20
	s_add_i32 s11, s21, s11
	s_mul_i32 s1, s1, s20
	s_add_i32 s11, s11, s1
	s_mul_i32 s0, s0, s20
	s_mul_hi_u32 s21, s9, s0
	s_mul_i32 s22, s9, s0
	s_mul_i32 s24, s20, s11
	s_mul_hi_u32 s0, s20, s0
	s_mul_hi_u32 s23, s20, s11
	s_add_u32 s0, s0, s24
	s_addc_u32 s20, 0, s23
	s_add_u32 s0, s0, s22
	s_mul_hi_u32 s1, s9, s11
	s_addc_u32 s0, s20, s21
	s_addc_u32 s1, s1, 0
	s_mul_i32 s11, s9, s11
	s_add_u32 s0, s0, s11
	s_addc_u32 s1, 0, s1
	v_add_co_u32_e32 v1, vcc, s0, v1
	s_cmp_lg_u64 vcc, 0
	s_addc_u32 s0, s9, s1
	v_readfirstlane_b32 s11, v1
	s_mul_i32 s9, s2, s0
	s_mul_hi_u32 s20, s2, s11
	s_mul_hi_u32 s1, s2, s0
	s_add_u32 s9, s20, s9
	s_addc_u32 s1, 0, s1
	s_mul_hi_u32 s21, s3, s11
	s_mul_i32 s11, s3, s11
	s_add_u32 s9, s9, s11
	s_mul_hi_u32 s20, s3, s0
	s_addc_u32 s1, s1, s21
	s_addc_u32 s9, s20, 0
	s_mul_i32 s0, s3, s0
	s_add_u32 s11, s1, s0
	s_addc_u32 s9, 0, s9
	s_mul_i32 s0, s18, s9
	s_mul_hi_u32 s1, s18, s11
	s_add_i32 s0, s1, s0
	s_mul_i32 s1, s19, s11
	s_add_i32 s20, s0, s1
	s_mul_i32 s1, s18, s11
	v_mov_b32_e32 v1, s1
	s_sub_i32 s0, s3, s20
	v_sub_co_u32_e32 v1, vcc, s2, v1
	s_cmp_lg_u64 vcc, 0
	s_subb_u32 s21, s0, s19
	v_subrev_co_u32_e64 v2, s[0:1], s18, v1
	s_cmp_lg_u64 s[0:1], 0
	s_subb_u32 s0, s21, 0
	s_cmp_ge_u32 s0, s19
	v_readfirstlane_b32 s21, v2
	s_cselect_b32 s1, -1, 0
	s_cmp_ge_u32 s21, s18
	s_cselect_b32 s21, -1, 0
	s_cmp_eq_u32 s0, s19
	s_cselect_b32 s0, s21, s1
	s_add_u32 s1, s11, 1
	s_addc_u32 s21, s9, 0
	s_add_u32 s22, s11, 2
	s_addc_u32 s23, s9, 0
	s_cmp_lg_u32 s0, 0
	s_cselect_b32 s0, s22, s1
	s_cselect_b32 s1, s23, s21
	s_cmp_lg_u64 vcc, 0
	s_subb_u32 s20, s3, s20
	s_cmp_ge_u32 s20, s19
	v_readfirstlane_b32 s22, v1
	s_cselect_b32 s21, -1, 0
	s_cmp_ge_u32 s22, s18
	s_cselect_b32 s22, -1, 0
	s_cmp_eq_u32 s20, s19
	s_cselect_b32 s20, s22, s21
	s_cmp_lg_u32 s20, 0
	s_cselect_b32 s21, s1, s9
	s_cselect_b32 s20, s0, s11
	s_cbranch_execnz .LBB87_22
.LBB87_21:                              ;   in Loop: Header=BB87_19 Depth=1
	v_cvt_f32_u32_e32 v1, s18
	s_sub_i32 s0, 0, s18
	s_mov_b32 s21, s8
	v_rcp_iflag_f32_e32 v1, v1
	v_mul_f32_e32 v1, 0x4f7ffffe, v1
	v_cvt_u32_f32_e32 v1, v1
	v_readfirstlane_b32 s1, v1
	s_mul_i32 s0, s0, s1
	s_mul_hi_u32 s0, s1, s0
	s_add_i32 s1, s1, s0
	s_mul_hi_u32 s0, s2, s1
	s_mul_i32 s9, s0, s18
	s_sub_i32 s9, s2, s9
	s_add_i32 s1, s0, 1
	s_sub_i32 s11, s9, s18
	s_cmp_ge_u32 s9, s18
	s_cselect_b32 s0, s1, s0
	s_cselect_b32 s9, s11, s9
	s_add_i32 s1, s0, 1
	s_cmp_ge_u32 s9, s18
	s_cselect_b32 s20, s1, s0
.LBB87_22:                              ;   in Loop: Header=BB87_19 Depth=1
	s_mul_i32 s0, s20, s19
	s_mul_hi_u32 s1, s20, s18
	s_add_i32 s9, s1, s0
	s_load_dwordx2 s[0:1], s[16:17], 0xc8
	s_mul_i32 s11, s21, s18
	s_add_i32 s9, s9, s11
	s_mul_i32 s11, s20, s18
	s_sub_u32 s2, s2, s11
	s_subb_u32 s3, s3, s9
	s_waitcnt lgkmcnt(0)
	s_mul_i32 s3, s0, s3
	s_mul_hi_u32 s9, s0, s2
	s_add_i32 s3, s9, s3
	s_mul_i32 s1, s1, s2
	s_add_i32 s3, s3, s1
	s_mul_i32 s0, s0, s2
	s_add_u32 s14, s0, s14
	s_addc_u32 s15, s3, s15
	s_add_i32 s7, s7, -1
	s_add_u32 s16, s16, -8
	s_addc_u32 s17, s17, -1
	s_cmp_gt_u32 s7, 2
	s_cbranch_scc0 .LBB87_26
; %bb.23:                               ;   in Loop: Header=BB87_19 Depth=1
	s_mov_b64 s[2:3], s[20:21]
	s_branch .LBB87_19
.LBB87_24:                              ;   in Loop: Header=BB87_19 Depth=1
                                        ; implicit-def: $sgpr20_sgpr21
	s_branch .LBB87_21
.LBB87_25:
	s_mov_b64 s[20:21], s[2:3]
.LBB87_26:
	s_load_dwordx2 s[2:3], s[4:5], 0x410
	s_load_dwordx2 s[0:1], s[4:5], 0x340
	v_cmp_eq_u32_e64 s[16:17], 0, v0
	s_mov_b64 s[8:9], exec
	v_writelane_b32 v48, s16, 6
	v_writelane_b32 v48, s17, 7
	s_and_b64 s[16:17], s[8:9], s[16:17]
	s_mov_b64 exec, s[16:17]
	s_cbranch_execz .LBB87_28
; %bb.27:
	v_mov_b32_e32 v2, 0
	v_mov_b32_e32 v3, v2
	ds_write_b64 v2, v[2:3] offset:5136
.LBB87_28:
	s_or_b64 exec, exec, s[8:9]
	s_load_dwordx2 s[8:9], s[4:5], 0x0
	v_mov_b32_e32 v11, 0
	s_waitcnt lgkmcnt(0)
	s_barrier
	v_writelane_b32 v48, s8, 8
	v_writelane_b32 v48, s9, 9
	s_load_dwordx2 s[8:9], s[4:5], 0x1a0
	s_waitcnt lgkmcnt(0)
	s_barrier
	ds_read_b64 v[2:3], v11 offset:5136
	v_writelane_b32 v48, s8, 10
	v_writelane_b32 v48, s9, 11
	s_waitcnt lgkmcnt(0)
	v_readfirstlane_b32 s8, v2
	v_readfirstlane_b32 s9, v3
	s_mov_b64 s[16:17], exec
	v_readlane_b32 s18, v48, 6
	v_readlane_b32 s19, v48, 7
	s_and_b64 s[18:19], s[16:17], s[18:19]
	s_mov_b64 exec, s[18:19]
	s_cbranch_execz .LBB87_30
; %bb.29:
	v_mov_b32_e32 v2, 0
	v_mov_b32_e32 v4, s52
	;; [unrolled: 1-line block ×4, first 2 shown]
	ds_write_b32 v2, v2 offset:5144
	ds_write_b128 v2, v[2:5] offset:5120
.LBB87_30:
	s_or_b64 exec, exec, s[16:17]
	s_load_dword s7, s[4:5], 0x4f8
	v_cmp_lt_i64_e64 s[4:5], s[8:9], 1
	s_mul_i32 s11, s2, s21
	s_mul_i32 s3, s3, s20
	v_mov_b32_e32 v1, 0
	s_waitcnt lgkmcnt(0)
	s_bitcmp1_b32 s7, 0
	s_cselect_b64 s[16:17], -1, 0
	s_not_b64 s[8:9], s[8:9]
	s_or_b64 s[4:5], s[16:17], s[4:5]
	s_add_u32 s8, s8, s52
	s_addc_u32 s9, s9, s53
	s_lshr_b64 s[8:9], s[8:9], 1
	s_add_u32 s7, s8, 1
	s_addc_u32 s8, s9, 0
	s_and_b64 s[4:5], s[4:5], exec
	s_mul_hi_u32 s4, s2, s20
	s_cselect_b32 s47, s8, s53
	s_cselect_b32 s46, s7, s52
	s_add_i32 s4, s4, s11
	s_add_i32 s7, s4, s3
	s_mul_i32 s11, s2, s20
	s_add_u32 s2, s0, s11
	s_addc_u32 s3, s1, s7
	s_add_u32 s72, s2, s14
	s_addc_u32 s73, s3, s15
	v_cmp_gt_u64_e64 s[2:3], s[52:53], v[0:1]
	v_writelane_b32 v48, s2, 12
	v_mbcnt_lo_u32_b32 v2, -1, 0
	v_writelane_b32 v48, s3, 13
	v_mbcnt_hi_u32_b32 v34, -1, v2
	v_cmp_gt_u32_e64 s[2:3], 2, v0
	v_mov_b32_e32 v2, 0xc00
	v_writelane_b32 v48, s2, 14
	v_mov_b32_e32 v3, 0
	v_writelane_b32 v48, s3, 15
	v_cmp_gt_u64_e64 s[2:3], s[52:53], v[2:3]
	v_writelane_b32 v48, s2, 16
	v_pk_mov_b32 v[4:5], s[72:73], s[72:73] op_sel:[0,1]
	v_writelane_b32 v48, s3, 17
	v_mad_u64_u32 v[2:3], s[2:3], v0, s56, 0
	v_mad_u64_u32 v[14:15], s[2:3], v0, s56, v[4:5]
	s_barrier
	s_load_dword s2, s[12:13], 0xc
	v_cmp_gt_u32_e32 vcc, 64, v0
	v_cmp_gt_i32_e64 s[8:9], 4, v34
	s_and_b64 s[44:45], vcc, s[8:9]
	v_lshrrev_b32_e32 v4, 4, v0
	s_waitcnt lgkmcnt(0)
	s_and_b32 s33, s2, 0xffff
	s_bfe_u32 s3, s2, 0xa0006
	v_cmp_gt_u16_e64 s[8:9], s2, 63
	v_writelane_b32 v48, s8, 18
	s_add_u32 s2, s33, -1
	v_writelane_b32 v48, s9, 19
	s_addc_u32 s8, 0, -1
	v_writelane_b32 v48, s2, 20
	s_add_u32 s2, s2, s52
	s_addc_u32 s51, s8, s53
	s_cmp_lt_u32 s6, s10
	v_writelane_b32 v48, s2, 21
	s_cselect_b32 s2, 12, 18
	s_add_u32 s78, s12, s2
	s_addc_u32 s79, s13, 0
	s_add_i32 s2, s3, -1
	s_bfe_u32 s6, s33, 0x30006
	s_cmp_gt_u32 s2, 6
	v_writelane_b32 v48, s8, 22
	s_cselect_b64 s[8:9], -1, 0
	v_writelane_b32 v48, s8, 23
	s_and_b32 s85, s3, 0x3f8
	v_writelane_b32 v48, s9, 24
	s_cmp_lg_u32 s6, 0
	v_writelane_b32 v48, s6, 25
	s_cselect_b64 s[2:3], -1, 0
	v_writelane_b32 v48, s2, 26
	v_and_b32_e32 v35, 60, v4
	v_lshlrev_b32_e32 v4, 2, v34
	v_writelane_b32 v48, s3, 27
	s_add_u32 s2, s14, s11
	v_lshlrev_b32_e32 v16, 2, v0
	v_and_b32_e32 v36, 0x100, v4
	v_lshlrev_b64 v[4:5], v34, -1
	s_addc_u32 s3, s15, s7
	v_not_b32_e32 v19, v5
	s_add_u32 s2, s0, s2
	v_or_b32_e32 v5, 3, v16
	s_addc_u32 s3, s1, s3
	v_mad_u64_u32 v[20:21], s[0:1], s56, v5, 0
	v_not_b32_e32 v18, v4
	v_mov_b32_e32 v4, v21
	v_mad_u64_u32 v[4:5], s[0:1], s57, v5, v[4:5]
	s_lshl_b64 s[0:1], s[56:57], 2
	v_writelane_b32 v48, s0, 28
	v_or_b32_e32 v5, 2, v16
	v_writelane_b32 v48, s1, 29
	v_mad_u64_u32 v[22:23], s[0:1], s56, v5, 0
	v_mov_b32_e32 v21, v4
	v_mov_b32_e32 v4, v23
	v_mul_lo_u32 v6, v0, s57
	v_mad_u64_u32 v[4:5], s[0:1], s57, v5, v[4:5]
	v_writelane_b32 v48, s2, 30
	v_add_u32_e32 v3, v3, v6
	v_mov_b32_e32 v23, v4
	v_pk_mov_b32 v[4:5], s[56:57], s[56:57] op_sel:[0,1]
	v_writelane_b32 v48, s3, 31
	v_mad_u64_u32 v[24:25], s[0:1], s56, v16, v[4:5]
	v_lshlrev_b64 v[26:27], 2, v[2:3]
	v_mov_b32_e32 v2, 0xc00
	v_writelane_b32 v48, s44, 32
	v_mov_b32_e32 v4, v25
	v_lshl_or_b32 v37, v34, 3, v2
	v_pk_mov_b32 v[2:3], s[2:3], s[2:3] op_sel:[0,1]
	v_writelane_b32 v48, s45, 33
	v_mad_u64_u32 v[4:5], s[0:1], s57, v16, v[4:5]
	v_mad_u64_u32 v[12:13], s[0:1], v0, s56, v[2:3]
	v_writelane_b32 v48, s78, 34
	s_mov_b32 s75, 0
	s_mul_i32 s0, s57, s33
	s_mul_hi_u32 s1, s56, s33
	v_writelane_b32 v48, s79, 35
	v_cmp_eq_u32_e64 s[4:5], 0, v34
	v_add_u32_e32 v15, v6, v15
	v_mov_b32_e32 v17, v1
	s_mov_b32 s76, s75
	s_mov_b32 s49, 6
	v_mov_b32_e32 v25, v4
	v_add_u32_e32 v13, v6, v13
	s_add_i32 s77, s1, s0
	s_mul_i32 s48, s56, s33
	s_mov_b64 s[94:95], 0
	s_movk_i32 s82, 0x80
	v_mov_b32_e32 v38, 0x4f800000
	v_mov_b32_e32 v39, 0
	s_mov_b32 s65, 0
	s_mov_b32 s84, 0
	;; [unrolled: 1-line block ×3, first 2 shown]
	v_writelane_b32 v48, s60, 36
                                        ; implicit-def: $sgpr66_sgpr67
                                        ; implicit-def: $sgpr62_sgpr63
                                        ; implicit-def: $sgpr70_sgpr71
                                        ; implicit-def: $sgpr68_sgpr69
                                        ; implicit-def: $sgpr86_sgpr87
                                        ; implicit-def: $sgpr88_sgpr89
	v_writelane_b32 v48, s61, 37
	s_branch .LBB87_35
.LBB87_31:                              ;   in Loop: Header=BB87_35 Depth=1
	s_xor_b32 s65, s65, 1
	s_add_i32 s8, s49, -2
	s_cmp_eq_u32 s49, 0
	s_mov_b64 s[2:3], 0
	s_cselect_b64 s[6:7], -1, 0
	s_mov_b32 s49, s8
.LBB87_32:                              ;   in Loop: Header=BB87_35 Depth=1
	s_andn2_b64 s[8:9], s[18:19], exec
	s_and_b64 s[2:3], s[2:3], exec
	s_or_b64 s[18:19], s[8:9], s[2:3]
	s_andn2_b64 s[20:21], s[20:21], exec
	s_andn2_b64 s[16:17], s[16:17], exec
	s_orn2_b64 s[12:13], s[6:7], exec
.LBB87_33:                              ;   in Loop: Header=BB87_35 Depth=1
	s_or_b64 exec, exec, s[0:1]
	s_andn2_b64 s[0:1], s[88:89], exec
	s_and_b64 s[2:3], s[18:19], exec
	s_or_b64 s[88:89], s[0:1], s[2:3]
	s_andn2_b64 s[0:1], s[86:87], exec
	s_and_b64 s[2:3], s[20:21], exec
	s_or_b64 s[86:87], s[0:1], s[2:3]
	;; [unrolled: 3-line block ×3, first 2 shown]
	s_orn2_b64 s[16:17], s[12:13], exec
.LBB87_34:                              ;   in Loop: Header=BB87_35 Depth=1
	s_or_b64 exec, exec, s[10:11]
	s_and_b64 s[0:1], exec, s[16:17]
	s_or_b64 s[94:95], s[0:1], s[94:95]
	s_andn2_b64 s[0:1], s[70:71], exec
	s_and_b64 s[2:3], s[88:89], exec
	s_or_b64 s[70:71], s[0:1], s[2:3]
	s_andn2_b64 s[0:1], s[62:63], exec
	s_and_b64 s[2:3], s[86:87], exec
	;; [unrolled: 3-line block ×3, first 2 shown]
	v_mov_b32_e32 v2, s84
	s_or_b64 s[66:67], s[0:1], s[2:3]
	s_andn2_b64 exec, exec, s[94:95]
	s_cbranch_execz .LBB87_301
.LBB87_35:                              ; =>This Loop Header: Depth=1
                                        ;     Child Loop BB87_40 Depth 2
                                        ;     Child Loop BB87_55 Depth 2
	;; [unrolled: 1-line block ×16, first 2 shown]
	ds_read_b128 v[2:5], v11 offset:5120
	s_waitcnt lgkmcnt(0)
	v_readfirstlane_b32 s91, v3
	v_readfirstlane_b32 s90, v2
	s_cmp_lg_u64 s[90:91], 0
	s_cbranch_scc1 .LBB87_62
; %bb.36:                               ;   in Loop: Header=BB87_35 Depth=1
	v_readlane_b32 s0, v48, 16
	v_readlane_b32 s1, v48, 17
	s_and_b64 vcc, exec, s[0:1]
	s_cbranch_vccz .LBB87_48
; %bb.37:                               ;   in Loop: Header=BB87_35 Depth=1
	s_mov_b64 s[0:1], 0xc01
	v_cmp_gt_u64_e32 vcc, s[0:1], v[4:5]
	s_mov_b64 s[90:91], 0
	s_mov_b64 s[0:1], 0
	s_cbranch_vccz .LBB87_49
; %bb.38:                               ;   in Loop: Header=BB87_35 Depth=1
	global_load_ushort v6, v11, s[78:79]
	global_load_ubyte v7, v[14:15], off
	v_readlane_b32 s0, v48, 30
	v_readlane_b32 s1, v48, 31
	v_pk_mov_b32 v[2:3], s[0:1], s[0:1] op_sel:[0,1]
	s_mov_b64 s[0:1], 0
	s_waitcnt vmcnt(1)
	v_readfirstlane_b32 s2, v6
	s_and_b32 s2, 0xffff, s2
	v_add_u32_e32 v5, s2, v0
	s_mul_i32 s6, s57, s2
	s_mul_hi_u32 s7, s56, s2
	s_mul_i32 s14, s56, s2
	v_mad_u64_u32 v[2:3], s[2:3], s56, v5, v[2:3]
	v_mov_b32_e32 v4, v3
	v_mad_u64_u32 v[4:5], s[2:3], s57, v5, v[4:5]
	s_add_i32 s15, s7, s6
	v_mov_b32_e32 v3, v4
	v_pk_mov_b32 v[4:5], v[0:1], v[0:1] op_sel:[0,1]
	s_branch .LBB87_40
.LBB87_39:                              ;   in Loop: Header=BB87_40 Depth=2
	s_or_b64 exec, exec, s[2:3]
	v_mov_b32_e32 v7, s15
	v_add_co_u32_e32 v2, vcc, s14, v2
	v_addc_co_u32_e32 v3, vcc, v3, v7, vcc
	v_mov_b32_e32 v7, v8
	s_andn2_b64 exec, exec, s[0:1]
	s_cbranch_execz .LBB87_165
.LBB87_40:                              ;   Parent Loop BB87_35 Depth=1
                                        ; =>  This Inner Loop Header: Depth=2
	v_add_co_u32_sdwa v4, vcc, v4, v6 dst_sel:DWORD dst_unused:UNUSED_PAD src0_sel:DWORD src1_sel:WORD_0
	v_addc_co_u32_e32 v5, vcc, 0, v5, vcc
	v_cmp_gt_u64_e64 s[6:7], s[52:53], v[4:5]
	v_cmp_le_u64_e32 vcc, s[52:53], v[4:5]
	s_waitcnt lgkmcnt(0)
	v_mov_b32_e32 v9, 0
	v_mov_b32_e32 v8, 0
	s_and_saveexec_b64 s[2:3], s[6:7]
	s_cbranch_execz .LBB87_42
; %bb.41:                               ;   in Loop: Header=BB87_40 Depth=2
	global_load_ubyte v8, v[2:3], off
.LBB87_42:                              ;   in Loop: Header=BB87_40 Depth=2
	s_or_b64 exec, exec, s[2:3]
	s_waitcnt vmcnt(0)
	v_add_u32_sdwa v10, sext(v7), s82 dst_sel:DWORD dst_unused:UNUSED_PAD src0_sel:BYTE_0 src1_sel:DWORD
	v_and_b32_e32 v10, s83, v10
	v_cmp_eq_u32_e64 s[10:11], s84, v10
	s_cmp_lg_u64 s[10:11], 0
	s_cselect_b64 s[2:3], -1, 0
	s_and_b64 s[6:7], s[4:5], s[2:3]
	s_and_saveexec_b64 s[2:3], s[6:7]
	s_cbranch_execz .LBB87_46
; %bb.43:                               ;   in Loop: Header=BB87_40 Depth=2
	s_mov_b64 s[12:13], exec
	v_mbcnt_lo_u32_b32 v9, s12, 0
	v_mbcnt_hi_u32_b32 v9, s13, v9
	s_bcnt1_i32_b64 s16, s[10:11]
	v_cmp_eq_u32_e64 s[6:7], 0, v9
                                        ; implicit-def: $vgpr10
	s_and_saveexec_b64 s[8:9], s[6:7]
	s_cbranch_execz .LBB87_45
; %bb.44:                               ;   in Loop: Header=BB87_40 Depth=2
	s_bcnt1_i32_b64 s6, s[12:13]
	s_mul_i32 s6, s16, s6
	v_mov_b32_e32 v10, s6
	ds_add_rtn_u32 v10, v11, v10 offset:5144
.LBB87_45:                              ;   in Loop: Header=BB87_40 Depth=2
	s_or_b64 exec, exec, s[8:9]
	s_waitcnt lgkmcnt(0)
	v_readfirstlane_b32 s6, v10
	v_mov_b32_e32 v10, s6
	v_mad_u32_u24 v9, s16, v9, v10
.LBB87_46:                              ;   in Loop: Header=BB87_40 Depth=2
	s_or_b64 exec, exec, s[2:3]
	ds_bpermute_b32 v9, v36, v9
	s_and_b64 s[2:3], exec, vcc
	s_or_b64 s[0:1], s[2:3], s[0:1]
	s_and_saveexec_b64 s[2:3], s[10:11]
	s_cbranch_execz .LBB87_39
; %bb.47:                               ;   in Loop: Header=BB87_40 Depth=2
	v_and_b32_e32 v28, s10, v18
	v_and_b32_e32 v10, s11, v19
	v_bcnt_u32_b32 v28, v28, 0
	v_bcnt_u32_b32 v10, v10, v28
	s_waitcnt lgkmcnt(0)
	v_add_u32_e32 v9, v9, v10
	ds_write_b8 v9, v7
	s_branch .LBB87_39
.LBB87_48:                              ;   in Loop: Header=BB87_35 Depth=1
	s_mov_b64 s[90:91], -1
	s_mov_b64 s[0:1], 0
.LBB87_49:                              ;   in Loop: Header=BB87_35 Depth=1
	s_and_b64 vcc, exec, s[90:91]
	s_cbranch_vccz .LBB87_60
.LBB87_50:                              ;   in Loop: Header=BB87_35 Depth=1
	v_mov_b32_e32 v6, 0
	s_mov_b64 s[0:1], exec
	v_readlane_b32 s2, v48, 12
	v_readlane_b32 s3, v48, 13
	s_and_b64 s[2:3], s[0:1], s[2:3]
	s_mov_b64 exec, s[2:3]
	s_cbranch_execz .LBB87_52
; %bb.51:                               ;   in Loop: Header=BB87_35 Depth=1
	global_load_ubyte v6, v[14:15], off
.LBB87_52:                              ;   in Loop: Header=BB87_35 Depth=1
	s_or_b64 exec, exec, s[0:1]
	s_mov_b64 s[0:1], exec
	v_readlane_b32 s2, v48, 12
	v_readlane_b32 s3, v48, 13
	s_and_b64 s[2:3], s[0:1], s[2:3]
	s_mov_b64 exec, s[2:3]
	s_cbranch_execz .LBB87_57
; %bb.53:                               ;   in Loop: Header=BB87_35 Depth=1
	global_load_ushort v7, v11, s[78:79]
	v_readlane_b32 s2, v48, 30
	v_readlane_b32 s3, v48, 31
	v_pk_mov_b32 v[2:3], s[2:3], s[2:3] op_sel:[0,1]
	s_mov_b64 s[2:3], 0
	v_mov_b32_e32 v8, v0
	s_waitcnt vmcnt(0)
	v_readfirstlane_b32 s6, v7
	s_and_b32 s10, 0xffff, s6
	v_add_u32_e32 v5, s10, v0
	v_mad_u64_u32 v[2:3], s[6:7], s56, v5, v[2:3]
	v_mov_b32_e32 v4, v3
	s_mul_i32 s8, s57, s10
	s_mul_hi_u32 s9, s56, s10
	v_mad_u64_u32 v[4:5], s[6:7], s57, v5, v[4:5]
	s_mul_i32 s11, s56, s10
	s_add_i32 s12, s9, s8
	v_mov_b32_e32 v3, v4
	v_pk_mov_b32 v[4:5], v[0:1], v[0:1] op_sel:[0,1]
	s_branch .LBB87_55
.LBB87_54:                              ;   in Loop: Header=BB87_55 Depth=2
	s_or_b64 exec, exec, s[8:9]
	s_and_b64 s[6:7], exec, vcc
	ds_write_b8 v8, v6
	v_mov_b32_e32 v6, s12
	v_add_co_u32_e32 v2, vcc, s11, v2
	s_or_b64 s[2:3], s[6:7], s[2:3]
	v_add_u32_e32 v8, s10, v8
	v_addc_co_u32_e32 v3, vcc, v3, v6, vcc
	s_waitcnt vmcnt(0)
	v_mov_b32_e32 v6, v9
	s_andn2_b64 exec, exec, s[2:3]
	s_cbranch_execz .LBB87_57
.LBB87_55:                              ;   Parent Loop BB87_35 Depth=1
                                        ; =>  This Inner Loop Header: Depth=2
	v_add_co_u32_sdwa v4, vcc, v4, v7 dst_sel:DWORD dst_unused:UNUSED_PAD src0_sel:DWORD src1_sel:WORD_0
	v_addc_co_u32_e32 v5, vcc, 0, v5, vcc
	v_cmp_gt_u64_e64 s[6:7], s[52:53], v[4:5]
	v_cmp_le_u64_e32 vcc, s[52:53], v[4:5]
	v_mov_b32_e32 v9, 0
	s_and_saveexec_b64 s[8:9], s[6:7]
	s_cbranch_execz .LBB87_54
; %bb.56:                               ;   in Loop: Header=BB87_55 Depth=2
	global_load_ubyte v9, v[2:3], off
	s_branch .LBB87_54
.LBB87_57:                              ;   in Loop: Header=BB87_35 Depth=1
	s_or_b64 exec, exec, s[0:1]
	s_waitcnt lgkmcnt(0)
	s_barrier
	s_mov_b64 s[0:1], exec
	v_readlane_b32 s2, v48, 6
	v_readlane_b32 s3, v48, 7
	s_and_b64 s[2:3], s[0:1], s[2:3]
	s_mov_b64 exec, s[2:3]
	s_cbranch_execz .LBB87_59
; %bb.58:                               ;   in Loop: Header=BB87_35 Depth=1
	v_pk_mov_b32 v[2:3], s[52:53], s[52:53] op_sel:[0,1]
	ds_write_b64 v11, v[2:3] offset:5120
.LBB87_59:                              ;   in Loop: Header=BB87_35 Depth=1
	s_or_b64 exec, exec, s[0:1]
	s_mov_b64 s[0:1], -1
	s_waitcnt lgkmcnt(0)
	s_barrier
                                        ; implicit-def: $sgpr90_sgpr91
.LBB87_60:                              ;   in Loop: Header=BB87_35 Depth=1
	s_and_b64 vcc, exec, s[0:1]
	s_cbranch_vccz .LBB87_62
; %bb.61:                               ;   in Loop: Header=BB87_35 Depth=1
	ds_read_b64 v[2:3], v11 offset:5120
	s_waitcnt lgkmcnt(0)
	v_readfirstlane_b32 s90, v2
.LBB87_62:                              ;   in Loop: Header=BB87_35 Depth=1
	s_cmp_lt_i32 s90, 1
	s_cbranch_scc0 .LBB87_77
; %bb.63:                               ;   in Loop: Header=BB87_35 Depth=1
	global_load_ushort v4, v11, s[78:79]
	s_mov_b32 s0, s75
	s_waitcnt vmcnt(0)
	v_readfirstlane_b32 s1, v4
	s_and_b32 s1, 0xffff, s1
	s_lshl_b32 s74, s1, 2
	s_mov_b32 s1, s53
	s_cmp_lg_u64 s[0:1], 0
	s_cbranch_scc0 .LBB87_97
; %bb.64:                               ;   in Loop: Header=BB87_35 Depth=1
	v_cvt_f32_u32_e32 v2, s74
	s_sub_u32 s0, 0, s74
	s_subb_u32 s1, 0, 0
	v_mac_f32_e32 v2, 0, v38
	v_rcp_f32_e32 v2, v2
	v_mul_f32_e32 v2, 0x5f7ffffc, v2
	v_mul_f32_e32 v3, 0x2f800000, v2
	v_trunc_f32_e32 v3, v3
	v_mac_f32_e32 v2, 0xcf800000, v3
	v_cvt_u32_f32_e32 v3, v3
	v_cvt_u32_f32_e32 v2, v2
	v_readfirstlane_b32 s2, v3
	v_readfirstlane_b32 s3, v2
	s_mul_i32 s6, s0, s2
	s_mul_hi_u32 s8, s0, s3
	s_mul_i32 s7, s1, s3
	s_add_i32 s6, s8, s6
	s_mul_i32 s9, s0, s3
	s_add_i32 s6, s6, s7
	s_mul_hi_u32 s8, s3, s9
	s_mul_hi_u32 s7, s3, s6
	s_mul_i32 s3, s3, s6
	s_add_u32 s3, s8, s3
	s_addc_u32 s7, 0, s7
	s_mul_hi_u32 s10, s2, s9
	s_mul_i32 s9, s2, s9
	s_add_u32 s3, s3, s9
	s_mul_hi_u32 s8, s2, s6
	s_addc_u32 s3, s7, s10
	s_addc_u32 s7, s8, 0
	s_mul_i32 s6, s2, s6
	s_add_u32 s3, s3, s6
	s_addc_u32 s6, 0, s7
	v_add_co_u32_e32 v2, vcc, s3, v2
	s_cmp_lg_u64 vcc, 0
	s_addc_u32 s2, s2, s6
	v_readfirstlane_b32 s6, v2
	s_mul_i32 s3, s0, s2
	s_mul_hi_u32 s7, s0, s6
	s_add_i32 s3, s7, s3
	s_mul_i32 s1, s1, s6
	s_add_i32 s3, s3, s1
	s_mul_i32 s0, s0, s6
	s_mul_hi_u32 s7, s2, s0
	s_mul_i32 s8, s2, s0
	s_mul_i32 s10, s6, s3
	s_mul_hi_u32 s0, s6, s0
	s_mul_hi_u32 s9, s6, s3
	s_add_u32 s0, s0, s10
	s_addc_u32 s6, 0, s9
	s_add_u32 s0, s0, s8
	s_mul_hi_u32 s1, s2, s3
	s_addc_u32 s0, s6, s7
	s_addc_u32 s1, s1, 0
	s_mul_i32 s3, s2, s3
	s_add_u32 s0, s0, s3
	s_addc_u32 s1, 0, s1
	v_add_co_u32_e32 v2, vcc, s0, v2
	s_cmp_lg_u64 vcc, 0
	s_addc_u32 s0, s2, s1
	v_readfirstlane_b32 s3, v2
	s_mul_i32 s2, s52, s0
	s_mul_hi_u32 s6, s52, s3
	s_mul_hi_u32 s1, s52, s0
	s_add_u32 s2, s6, s2
	s_addc_u32 s1, 0, s1
	s_mul_hi_u32 s7, s53, s3
	s_mul_i32 s3, s53, s3
	s_add_u32 s2, s2, s3
	s_mul_hi_u32 s6, s53, s0
	s_addc_u32 s1, s1, s7
	s_addc_u32 s2, s6, 0
	s_mul_i32 s0, s53, s0
	s_add_u32 s0, s1, s0
	s_addc_u32 s1, 0, s2
	s_mul_hi_u32 s2, s74, s0
	s_mul_i32 s0, s74, s0
	s_mul_i32 s1, s74, s1
	v_mov_b32_e32 v2, s0
	s_add_i32 s2, s2, s1
	v_sub_co_u32_e32 v2, vcc, s52, v2
	s_cmp_lg_u64 vcc, 0
	s_subb_u32 s0, s53, s2
	v_subrev_co_u32_e32 v3, vcc, s74, v2
	s_cmp_lg_u64 vcc, 0
	s_subb_u32 s1, s0, 0
	v_subrev_co_u32_e32 v5, vcc, s74, v3
	s_cmp_lg_u64 vcc, 0
	s_subb_u32 s2, s1, 0
	v_cmp_le_u32_e32 vcc, s74, v3
	s_cmp_eq_u32 s1, 0
	v_cndmask_b32_e64 v6, 0, -1, vcc
	s_cselect_b64 vcc, -1, 0
	v_cndmask_b32_e32 v6, -1, v6, vcc
	v_mov_b32_e32 v7, s1
	v_mov_b32_e32 v8, s2
	v_cmp_ne_u32_e32 vcc, 0, v6
	v_cndmask_b32_e32 v6, v7, v8, vcc
	v_cndmask_b32_e32 v5, v3, v5, vcc
	v_cmp_le_u32_e32 vcc, s74, v2
	s_cmp_eq_u32 s0, 0
	v_cndmask_b32_e64 v3, 0, -1, vcc
	s_cselect_b64 vcc, -1, 0
	v_cndmask_b32_e32 v3, -1, v3, vcc
	v_mov_b32_e32 v7, s0
	v_cmp_ne_u32_e32 vcc, 0, v3
	v_cndmask_b32_e32 v3, v7, v6, vcc
	v_cndmask_b32_e32 v2, v2, v5, vcc
	s_cbranch_execnz .LBB87_66
.LBB87_65:                              ;   in Loop: Header=BB87_35 Depth=1
	v_cvt_f32_u32_e32 v2, s74
	s_sub_i32 s0, 0, s74
	v_rcp_iflag_f32_e32 v2, v2
	v_mul_f32_e32 v2, 0x4f7ffffe, v2
	v_cvt_u32_f32_e32 v2, v2
	v_mul_lo_u32 v3, s0, v2
	v_mul_hi_u32 v3, v2, v3
	v_add_u32_e32 v2, v2, v3
	v_mul_hi_u32 v2, s52, v2
	v_mul_lo_u32 v2, v2, s74
	v_sub_u32_e32 v2, s52, v2
	v_subrev_u32_e32 v3, s74, v2
	v_cmp_le_u32_e32 vcc, s74, v2
	v_cndmask_b32_e32 v2, v2, v3, vcc
	v_subrev_u32_e32 v3, s74, v2
	v_cmp_le_u32_e32 vcc, s74, v2
	v_cndmask_b32_e32 v10, v2, v3, vcc
	v_pk_mov_b32 v[2:3], v[10:11], v[10:11] op_sel:[0,1]
.LBB87_66:                              ;   in Loop: Header=BB87_35 Depth=1
	v_and_b32_e32 v10, 0xffff, v4
	v_mov_b32_e32 v4, s53
	v_sub_co_u32_e32 v28, vcc, s52, v2
	v_subb_co_u32_e32 v29, vcc, v4, v3, vcc
	v_pk_mov_b32 v[2:3], 0, 0
	v_cmp_gt_u64_e32 vcc, v[28:29], v[16:17]
	s_mov_b64 s[2:3], 0
	v_pk_mov_b32 v[4:5], v[2:3], v[2:3] op_sel:[0,1]
	v_pk_mov_b32 v[6:7], v[2:3], v[2:3] op_sel:[0,1]
	;; [unrolled: 1-line block ×3, first 2 shown]
	s_and_saveexec_b64 s[8:9], vcc
	s_cbranch_execz .LBB87_70
; %bb.67:                               ;   in Loop: Header=BB87_35 Depth=1
	v_readlane_b32 s0, v48, 28
	v_readlane_b32 s1, v48, 29
	v_mul_lo_u32 v2, s1, v10
	v_mul_hi_u32 v3, s0, v10
	s_mov_b32 s61, s51
	s_mov_b64 s[78:79], s[46:47]
	s_mov_b32 s60, s49
	s_and_b32 s91, s49, 0xfe
	v_add_u32_e32 v40, v3, v2
	v_mul_lo_u32 v41, s0, v10
	v_pk_mov_b32 v[30:31], s[72:73], s[72:73] op_sel:[0,1]
	s_mov_b64 s[0:1], 0
	s_mov_b64 s[80:81], 0
	s_mov_b64 s[26:27], 0
	s_mov_b64 s[92:93], 0
	v_pk_mov_b32 v[32:33], v[16:17], v[16:17] op_sel:[0,1]
.LBB87_68:                              ;   Parent Loop BB87_35 Depth=1
                                        ; =>  This Inner Loop Header: Depth=2
	v_add_co_u32_e32 v2, vcc, v30, v26
	v_addc_co_u32_e32 v3, vcc, v31, v27, vcc
	v_add_co_u32_e32 v4, vcc, v30, v24
	v_addc_co_u32_e32 v5, vcc, v31, v25, vcc
	;; [unrolled: 2-line block ×4, first 2 shown]
	global_load_sbyte v2, v[2:3], off
	s_nop 0
	global_load_sbyte v3, v[4:5], off
	s_nop 0
	global_load_sbyte v4, v[6:7], off
	global_load_sbyte v5, v[8:9], off
	v_add_co_u32_e32 v32, vcc, s74, v32
	v_addc_co_u32_e32 v33, vcc, 0, v33, vcc
	v_add_co_u32_e32 v30, vcc, v30, v41
	v_addc_co_u32_e32 v31, vcc, v31, v40, vcc
	v_cmp_ge_u64_e32 vcc, v[32:33], v[28:29]
	s_waitcnt vmcnt(3)
	v_add_u32_e32 v2, 0x80, v2
	s_waitcnt vmcnt(2)
	v_add_u32_e32 v3, 0x80, v3
	v_and_b32_e32 v6, s83, v2
	v_bfe_u32 v2, v2, s91, 2
	s_waitcnt vmcnt(1)
	v_add_u32_e32 v4, 0x80, v4
	v_and_b32_e32 v7, s83, v3
	v_bfe_u32 v3, v3, s91, 2
	v_cmp_eq_u32_e64 s[16:17], s84, v6
	v_cmp_eq_u32_e64 s[6:7], 0, v2
	s_waitcnt vmcnt(0)
	v_add_u32_e32 v5, 0x80, v5
	v_and_b32_e32 v8, s83, v4
	v_bfe_u32 v4, v4, s91, 2
	v_cmp_eq_u32_e64 s[14:15], s84, v7
	v_cmp_eq_u32_e64 s[28:29], 0, v3
	s_and_b64 s[6:7], s[16:17], s[6:7]
	v_and_b32_e32 v9, s83, v5
	v_bfe_u32 v5, v5, s91, 2
	v_cmp_eq_u32_e64 s[12:13], s84, v8
	v_cmp_eq_u32_e64 s[30:31], 0, v4
	;; [unrolled: 1-line block ×5, first 2 shown]
	v_cndmask_b32_e64 v2, 0, 1, s[6:7]
	s_and_b64 s[6:7], s[14:15], s[28:29]
	v_cmp_eq_u32_e64 s[10:11], s84, v9
	v_cmp_eq_u32_e64 s[34:35], 0, v5
	;; [unrolled: 1-line block ×5, first 2 shown]
	v_cndmask_b32_e64 v3, 0, 1, s[6:7]
	s_and_b64 s[6:7], s[12:13], s[30:31]
	v_cmp_eq_u32_e64 s[40:41], 1, v4
	v_cmp_eq_u32_e64 s[48:49], 2, v4
	;; [unrolled: 1-line block ×3, first 2 shown]
	v_cndmask_b32_e64 v4, 0, 1, s[6:7]
	s_and_b64 s[6:7], s[10:11], s[34:35]
	v_cmp_eq_u32_e64 s[42:43], 1, v5
	v_cmp_eq_u32_e64 s[50:51], 2, v5
	;; [unrolled: 1-line block ×3, first 2 shown]
	v_cndmask_b32_e64 v5, 0, 1, s[6:7]
	v_cmp_ne_u32_e64 s[6:7], 0, v2
	v_cmp_ne_u32_e64 s[28:29], 0, v3
	v_cmp_ne_u32_e64 s[30:31], 0, v4
	v_cmp_ne_u32_e64 s[34:35], 0, v5
	s_bcnt1_i32_b64 s6, s[6:7]
	s_bcnt1_i32_b64 s7, s[28:29]
	s_bcnt1_i32_b64 s28, s[30:31]
	s_bcnt1_i32_b64 s29, s[34:35]
	s_add_u32 s6, s6, s92
	s_addc_u32 s30, 0, s93
	s_add_u32 s6, s6, s7
	s_addc_u32 s7, s30, 0
	s_add_u32 s6, s6, s28
	s_addc_u32 s7, s7, 0
	s_add_u32 s92, s6, s29
	s_addc_u32 s93, s7, 0
	s_and_b64 s[6:7], s[16:17], s[36:37]
	v_cndmask_b32_e64 v4, 0, 1, s[6:7]
	s_and_b64 s[6:7], s[14:15], s[38:39]
	v_cndmask_b32_e64 v5, 0, 1, s[6:7]
	s_and_b64 s[6:7], s[12:13], s[40:41]
	v_cndmask_b32_e64 v6, 0, 1, s[6:7]
	s_and_b64 s[6:7], s[10:11], s[42:43]
	v_cndmask_b32_e64 v7, 0, 1, s[6:7]
	v_cmp_ne_u32_e64 s[6:7], 0, v4
	v_cmp_ne_u32_e64 s[28:29], 0, v5
	v_cmp_ne_u32_e64 s[30:31], 0, v6
	v_cmp_ne_u32_e64 s[34:35], 0, v7
	s_bcnt1_i32_b64 s6, s[6:7]
	s_bcnt1_i32_b64 s7, s[28:29]
	s_bcnt1_i32_b64 s28, s[30:31]
	s_bcnt1_i32_b64 s29, s[34:35]
	s_add_u32 s6, s6, s26
	s_addc_u32 s26, 0, s27
	s_add_u32 s6, s6, s7
	s_addc_u32 s7, s26, 0
	s_add_u32 s6, s6, s28
	s_addc_u32 s7, s7, 0
	s_add_u32 s26, s6, s29
	s_addc_u32 s27, s7, 0
	s_and_b64 s[6:7], s[16:17], s[44:45]
	v_cndmask_b32_e64 v6, 0, 1, s[6:7]
	s_and_b64 s[6:7], s[14:15], s[46:47]
	v_cndmask_b32_e64 v7, 0, 1, s[6:7]
	s_and_b64 s[6:7], s[12:13], s[48:49]
	v_cndmask_b32_e64 v8, 0, 1, s[6:7]
	s_and_b64 s[6:7], s[10:11], s[50:51]
	;; [unrolled: 24-line block ×3, first 2 shown]
	v_cndmask_b32_e64 v43, 0, 1, s[6:7]
	v_cmp_ne_u32_e64 s[6:7], 0, v8
	v_cmp_ne_u32_e64 s[10:11], 0, v9
	v_cmp_ne_u32_e64 s[12:13], 0, v42
	v_cmp_ne_u32_e64 s[14:15], 0, v43
	s_bcnt1_i32_b64 s6, s[6:7]
	s_bcnt1_i32_b64 s7, s[10:11]
	;; [unrolled: 1-line block ×4, first 2 shown]
	s_add_u32 s0, s6, s0
	s_addc_u32 s1, 0, s1
	s_add_u32 s0, s0, s7
	s_addc_u32 s1, s1, 0
	;; [unrolled: 2-line block ×4, first 2 shown]
	v_pk_mov_b32 v[2:3], s[92:93], s[92:93] op_sel:[0,1]
	v_pk_mov_b32 v[4:5], s[26:27], s[26:27] op_sel:[0,1]
	;; [unrolled: 1-line block ×3, first 2 shown]
	s_or_b64 s[2:3], vcc, s[2:3]
	v_pk_mov_b32 v[8:9], s[0:1], s[0:1] op_sel:[0,1]
	s_andn2_b64 exec, exec, s[2:3]
	s_cbranch_execnz .LBB87_68
; %bb.69:                               ;   in Loop: Header=BB87_35 Depth=1
	s_or_b64 exec, exec, s[2:3]
	v_readlane_b32 s44, v48, 32
	s_mov_b64 s[46:47], s[78:79]
	s_mov_b32 s51, s61
	v_readlane_b32 s78, v48, 34
	s_mov_b32 s49, s60
	v_readlane_b32 s60, v48, 36
	v_readlane_b32 s45, v48, 33
	s_mul_i32 s48, s56, s33
	v_readlane_b32 s79, v48, 35
	v_readlane_b32 s61, v48, 37
.LBB87_70:                              ;   in Loop: Header=BB87_35 Depth=1
	s_or_b64 exec, exec, s[8:9]
	v_add_co_u32_e32 v28, vcc, v28, v0
	v_addc_co_u32_e32 v29, vcc, 0, v29, vcc
	v_cmp_gt_u64_e32 vcc, s[52:53], v[28:29]
	v_mov_b32_e32 v30, 0
	s_and_saveexec_b64 s[0:1], vcc
	s_cbranch_execz .LBB87_72
; %bb.71:                               ;   in Loop: Header=BB87_35 Depth=1
	v_pk_mov_b32 v[30:31], s[72:73], s[72:73] op_sel:[0,1]
	v_mad_u64_u32 v[30:31], s[2:3], v28, s56, v[30:31]
	v_mul_lo_u32 v32, v28, s57
	v_mul_lo_u32 v33, v29, s56
	v_add3_u32 v31, v33, v31, v32
	global_load_ubyte v30, v[30:31], off
.LBB87_72:                              ;   in Loop: Header=BB87_35 Depth=1
	s_or_b64 exec, exec, s[0:1]
	s_and_saveexec_b64 s[0:1], vcc
	s_cbranch_execz .LBB87_79
; %bb.73:                               ;   in Loop: Header=BB87_35 Depth=1
	s_and_b32 s10, s49, 0xfe
	s_mov_b64 s[2:3], 0
	s_branch .LBB87_75
.LBB87_74:                              ;   in Loop: Header=BB87_75 Depth=2
	s_or_b64 exec, exec, s[8:9]
	s_waitcnt vmcnt(0)
	v_add_u32_sdwa v30, sext(v30), s82 dst_sel:DWORD dst_unused:UNUSED_PAD src0_sel:BYTE_0 src1_sel:DWORD
	s_and_b64 s[6:7], exec, vcc
	v_and_b32_e32 v32, s83, v30
	v_bfe_u32 v30, v30, s10, 2
	s_or_b64 s[2:3], s[6:7], s[2:3]
	v_cmp_eq_u32_e32 vcc, s84, v32
	v_cmp_eq_u32_e64 s[6:7], 0, v30
	s_and_b64 s[6:7], vcc, s[6:7]
	v_cndmask_b32_e64 v32, 0, 1, s[6:7]
	v_cmp_ne_u32_e64 s[6:7], 0, v32
	s_bcnt1_i32_b64 s6, s[6:7]
	v_add_co_u32_e64 v2, s[6:7], s6, v2
	v_addc_co_u32_e64 v3, s[6:7], 0, v3, s[6:7]
	v_cmp_eq_u32_e64 s[6:7], 1, v30
	s_and_b64 s[6:7], vcc, s[6:7]
	v_cndmask_b32_e64 v32, 0, 1, s[6:7]
	v_cmp_ne_u32_e64 s[6:7], 0, v32
	s_bcnt1_i32_b64 s6, s[6:7]
	v_add_co_u32_e64 v4, s[6:7], s6, v4
	v_addc_co_u32_e64 v5, s[6:7], 0, v5, s[6:7]
	;; [unrolled: 7-line block ×3, first 2 shown]
	v_cmp_eq_u32_e64 s[6:7], 3, v30
	s_and_b64 s[6:7], vcc, s[6:7]
	v_cndmask_b32_e64 v30, 0, 1, s[6:7]
	v_cmp_ne_u32_e32 vcc, 0, v30
	s_bcnt1_i32_b64 s6, vcc
	v_add_co_u32_e32 v8, vcc, s6, v8
	v_addc_co_u32_e32 v9, vcc, 0, v9, vcc
	v_mov_b32_e32 v30, v31
	s_andn2_b64 exec, exec, s[2:3]
	s_cbranch_execz .LBB87_78
.LBB87_75:                              ;   Parent Loop BB87_35 Depth=1
                                        ; =>  This Inner Loop Header: Depth=2
	v_add_co_u32_e32 v28, vcc, v28, v10
	v_addc_co_u32_e32 v29, vcc, 0, v29, vcc
	v_cmp_gt_u64_e64 s[6:7], s[52:53], v[28:29]
	v_cmp_le_u64_e32 vcc, s[52:53], v[28:29]
	v_mov_b32_e32 v31, 0
	s_and_saveexec_b64 s[8:9], s[6:7]
	s_cbranch_execz .LBB87_74
; %bb.76:                               ;   in Loop: Header=BB87_75 Depth=2
	v_pk_mov_b32 v[32:33], s[72:73], s[72:73] op_sel:[0,1]
	v_mad_u64_u32 v[32:33], s[6:7], v28, s56, v[32:33]
	v_mul_lo_u32 v31, v28, s57
	v_mul_lo_u32 v40, v29, s56
	v_add3_u32 v33, v40, v33, v31
	global_load_ubyte v31, v[32:33], off
	s_branch .LBB87_74
.LBB87_77:                              ;   in Loop: Header=BB87_35 Depth=1
                                        ; implicit-def: $vgpr8_vgpr9
                                        ; implicit-def: $vgpr4_vgpr5
	s_cbranch_execnz .LBB87_80
	s_branch .LBB87_89
.LBB87_78:                              ;   in Loop: Header=BB87_35 Depth=1
	s_or_b64 exec, exec, s[2:3]
.LBB87_79:                              ;   in Loop: Header=BB87_35 Depth=1
	s_or_b64 exec, exec, s[0:1]
	s_branch .LBB87_89
.LBB87_80:                              ;   in Loop: Header=BB87_35 Depth=1
	global_load_ushort v10, v11, s[78:79]
	s_mov_b64 s[2:3], 0
	s_waitcnt vmcnt(0)
	v_readfirstlane_b32 s0, v10
	s_and_b32 s0, 0xffff, s0
	s_lshl_b32 s91, s0, 2
	v_cvt_f32_u32_e32 v2, s91
	s_sub_i32 s0, 0, s91
	v_rcp_iflag_f32_e32 v4, v2
	v_pk_mov_b32 v[2:3], 0, 0
	v_pk_mov_b32 v[6:7], v[2:3], v[2:3] op_sel:[0,1]
	v_mul_f32_e32 v4, 0x4f7ffffe, v4
	v_cvt_u32_f32_e32 v8, v4
	v_pk_mov_b32 v[4:5], v[2:3], v[2:3] op_sel:[0,1]
	v_readfirstlane_b32 s1, v8
	s_mul_i32 s0, s0, s1
	s_mul_hi_u32 s0, s1, s0
	s_add_i32 s1, s1, s0
	s_mul_hi_u32 s0, s90, s1
	s_mul_i32 s0, s0, s91
	s_sub_i32 s0, s90, s0
	s_sub_i32 s1, s0, s91
	s_cmp_ge_u32 s0, s91
	s_cselect_b32 s0, s1, s0
	s_sub_i32 s1, s0, s91
	s_cmp_ge_u32 s0, s91
	s_cselect_b32 s0, s1, s0
	s_sub_i32 s74, s90, s0
	v_cmp_gt_u32_e32 vcc, s74, v16
	v_pk_mov_b32 v[8:9], v[2:3], v[2:3] op_sel:[0,1]
	s_and_saveexec_b64 s[0:1], vcc
	s_cbranch_execz .LBB87_84
; %bb.81:                               ;   in Loop: Header=BB87_35 Depth=1
	s_mov_b32 s79, s51
	s_mov_b64 s[60:61], s[46:47]
	s_mov_b32 s64, s49
	s_and_b32 s78, s49, 0xfe
	v_mov_b32_e32 v30, v16
	s_mov_b64 s[8:9], 0
	s_mov_b64 s[26:27], 0
	;; [unrolled: 1-line block ×4, first 2 shown]
	v_pk_mov_b32 v[28:29], v[16:17], v[16:17] op_sel:[0,1]
.LBB87_82:                              ;   Parent Loop BB87_35 Depth=1
                                        ; =>  This Inner Loop Header: Depth=2
	ds_read_b32 v2, v30
	v_add_co_u32_e32 v28, vcc, s91, v28
	v_addc_co_u32_e32 v29, vcc, 0, v29, vcc
	s_waitcnt lgkmcnt(0)
	v_add_u32_sdwa v3, sext(v2), s82 dst_sel:DWORD dst_unused:UNUSED_PAD src0_sel:BYTE_0 src1_sel:DWORD
	v_add_u32_sdwa v4, sext(v2), s82 dst_sel:DWORD dst_unused:UNUSED_PAD src0_sel:BYTE_1 src1_sel:DWORD
	v_and_b32_e32 v6, s83, v3
	v_bfe_u32 v3, v3, s78, 2
	v_add_u32_sdwa v5, sext(v2), s82 dst_sel:DWORD dst_unused:UNUSED_PAD src0_sel:BYTE_2 src1_sel:DWORD
	v_add_u32_sdwa v2, sext(v2), s82 dst_sel:DWORD dst_unused:UNUSED_PAD src0_sel:BYTE_3 src1_sel:DWORD
	v_and_b32_e32 v7, s83, v4
	v_bfe_u32 v4, v4, s78, 2
	v_cmp_eq_u32_e64 s[16:17], s84, v6
	v_cmp_eq_u32_e64 s[6:7], 0, v3
	v_and_b32_e32 v8, s83, v5
	v_and_b32_e32 v9, s83, v2
	v_bfe_u32 v5, v5, s78, 2
	v_bfe_u32 v2, v2, s78, 2
	v_cmp_eq_u32_e64 s[14:15], s84, v7
	v_cmp_eq_u32_e64 s[28:29], 0, v4
	s_and_b64 s[6:7], s[16:17], s[6:7]
	v_cmp_eq_u32_e64 s[12:13], s84, v8
	v_cmp_eq_u32_e64 s[30:31], 0, v5
	v_cmp_eq_u32_e64 s[34:35], 0, v2
	v_cmp_eq_u32_e64 s[42:43], 1, v2
	v_cmp_eq_u32_e64 s[50:51], 2, v2
	v_cmp_eq_u32_e64 s[18:19], 3, v2
	v_cndmask_b32_e64 v2, 0, 1, s[6:7]
	s_and_b64 s[6:7], s[14:15], s[28:29]
	v_cmp_eq_u32_e64 s[10:11], s84, v9
	v_cmp_eq_u32_e64 s[36:37], 1, v3
	;; [unrolled: 1-line block ×4, first 2 shown]
	v_cndmask_b32_e64 v3, 0, 1, s[6:7]
	s_and_b64 s[6:7], s[12:13], s[30:31]
	v_cmp_eq_u32_e64 s[38:39], 1, v4
	v_cmp_eq_u32_e64 s[46:47], 2, v4
	;; [unrolled: 1-line block ×3, first 2 shown]
	v_cndmask_b32_e64 v4, 0, 1, s[6:7]
	s_and_b64 s[6:7], s[10:11], s[34:35]
	v_cmp_eq_u32_e64 s[40:41], 1, v5
	v_cmp_eq_u32_e64 s[48:49], 2, v5
	;; [unrolled: 1-line block ×3, first 2 shown]
	v_cndmask_b32_e64 v5, 0, 1, s[6:7]
	v_cmp_ne_u32_e64 s[6:7], 0, v2
	v_cmp_ne_u32_e64 s[28:29], 0, v3
	v_cmp_ne_u32_e64 s[30:31], 0, v4
	v_cmp_ne_u32_e64 s[34:35], 0, v5
	s_bcnt1_i32_b64 s6, s[6:7]
	s_bcnt1_i32_b64 s7, s[28:29]
	s_bcnt1_i32_b64 s28, s[30:31]
	s_bcnt1_i32_b64 s29, s[34:35]
	s_add_u32 s6, s6, s92
	s_addc_u32 s30, 0, s93
	s_add_u32 s6, s6, s7
	s_addc_u32 s7, s30, 0
	s_add_u32 s6, s6, s28
	s_addc_u32 s7, s7, 0
	s_add_u32 s92, s6, s29
	s_addc_u32 s93, s7, 0
	s_and_b64 s[6:7], s[16:17], s[36:37]
	v_cndmask_b32_e64 v4, 0, 1, s[6:7]
	s_and_b64 s[6:7], s[14:15], s[38:39]
	v_cndmask_b32_e64 v5, 0, 1, s[6:7]
	s_and_b64 s[6:7], s[12:13], s[40:41]
	v_cndmask_b32_e64 v6, 0, 1, s[6:7]
	s_and_b64 s[6:7], s[10:11], s[42:43]
	v_cndmask_b32_e64 v7, 0, 1, s[6:7]
	v_cmp_ne_u32_e64 s[6:7], 0, v4
	v_cmp_ne_u32_e64 s[28:29], 0, v5
	v_cmp_ne_u32_e64 s[30:31], 0, v6
	v_cmp_ne_u32_e64 s[34:35], 0, v7
	s_bcnt1_i32_b64 s6, s[6:7]
	s_bcnt1_i32_b64 s7, s[28:29]
	s_bcnt1_i32_b64 s28, s[30:31]
	s_bcnt1_i32_b64 s29, s[34:35]
	s_add_u32 s6, s6, s80
	s_addc_u32 s30, 0, s81
	s_add_u32 s6, s6, s7
	s_addc_u32 s7, s30, 0
	s_add_u32 s6, s6, s28
	s_addc_u32 s7, s7, 0
	s_add_u32 s80, s6, s29
	s_addc_u32 s81, s7, 0
	s_and_b64 s[6:7], s[16:17], s[44:45]
	v_cndmask_b32_e64 v6, 0, 1, s[6:7]
	s_and_b64 s[6:7], s[14:15], s[46:47]
	v_cndmask_b32_e64 v7, 0, 1, s[6:7]
	s_and_b64 s[6:7], s[12:13], s[48:49]
	v_cndmask_b32_e64 v8, 0, 1, s[6:7]
	s_and_b64 s[6:7], s[10:11], s[50:51]
	;; [unrolled: 24-line block ×3, first 2 shown]
	v_cndmask_b32_e64 v32, 0, 1, s[6:7]
	v_cmp_ne_u32_e64 s[6:7], 0, v8
	v_cmp_ne_u32_e64 s[10:11], 0, v9
	;; [unrolled: 1-line block ×4, first 2 shown]
	s_bcnt1_i32_b64 s6, s[6:7]
	s_bcnt1_i32_b64 s7, s[10:11]
	;; [unrolled: 1-line block ×4, first 2 shown]
	s_add_u32 s6, s6, s8
	s_addc_u32 s8, 0, s9
	s_add_u32 s6, s6, s7
	s_addc_u32 s7, s8, 0
	;; [unrolled: 2-line block ×3, first 2 shown]
	s_add_u32 s8, s6, s11
	v_cmp_le_u64_e32 vcc, s[74:75], v[28:29]
	s_addc_u32 s9, s7, 0
	v_add_u32_e32 v30, s91, v30
	v_pk_mov_b32 v[2:3], s[92:93], s[92:93] op_sel:[0,1]
	v_pk_mov_b32 v[4:5], s[80:81], s[80:81] op_sel:[0,1]
	;; [unrolled: 1-line block ×3, first 2 shown]
	s_or_b64 s[2:3], vcc, s[2:3]
	v_pk_mov_b32 v[8:9], s[8:9], s[8:9] op_sel:[0,1]
	s_andn2_b64 exec, exec, s[2:3]
	s_cbranch_execnz .LBB87_82
; %bb.83:                               ;   in Loop: Header=BB87_35 Depth=1
	s_or_b64 exec, exec, s[2:3]
	v_readlane_b32 s44, v48, 32
	s_mov_b64 s[46:47], s[60:61]
	s_mov_b32 s51, s79
	v_readlane_b32 s78, v48, 34
	v_readlane_b32 s60, v48, 36
	v_readlane_b32 s45, v48, 33
	s_mul_i32 s48, s56, s33
	v_readlane_b32 s79, v48, 35
	s_mov_b32 s49, s64
	v_readlane_b32 s61, v48, 37
.LBB87_84:                              ;   in Loop: Header=BB87_35 Depth=1
	s_or_b64 exec, exec, s[0:1]
	v_and_b32_e32 v30, 0xffff, v10
	v_add_u32_e32 v10, s74, v0
	v_cmp_gt_u32_e32 vcc, s90, v10
	s_and_saveexec_b64 s[0:1], vcc
	s_cbranch_execz .LBB87_88
; %bb.85:                               ;   in Loop: Header=BB87_35 Depth=1
	s_and_b32 s2, s90, 0x7fffffff
	s_mov_b32 s3, s75
	s_and_b32 s18, s49, 0xfe
	v_add_u32_e32 v31, s74, v0
	s_mov_b64 s[8:9], 0
	v_pk_mov_b32 v[28:29], v[10:11], v[10:11] op_sel:[0,1]
.LBB87_86:                              ;   Parent Loop BB87_35 Depth=1
                                        ; =>  This Inner Loop Header: Depth=2
	ds_read_i8 v10, v31
	v_add_co_u32_e32 v28, vcc, v28, v30
	v_addc_co_u32_e32 v29, vcc, 0, v29, vcc
	s_waitcnt lgkmcnt(0)
	v_add_u32_e32 v10, 0x80, v10
	v_and_b32_e32 v32, s83, v10
	v_bfe_u32 v10, v10, s18, 2
	v_cmp_eq_u32_e64 s[6:7], s84, v32
	v_cmp_eq_u32_e64 s[10:11], 0, v10
	;; [unrolled: 1-line block ×3, first 2 shown]
	s_and_b64 s[10:11], s[6:7], s[10:11]
	v_cmp_eq_u32_e64 s[14:15], 2, v10
	v_cmp_eq_u32_e64 s[16:17], 3, v10
	v_cndmask_b32_e64 v10, 0, 1, s[10:11]
	s_and_b64 s[10:11], s[6:7], s[12:13]
	v_cndmask_b32_e64 v32, 0, 1, s[10:11]
	s_and_b64 s[10:11], s[6:7], s[14:15]
	s_and_b64 s[6:7], s[6:7], s[16:17]
	v_cndmask_b32_e64 v40, 0, 1, s[6:7]
	v_cmp_ne_u32_e64 s[6:7], 0, v10
	s_bcnt1_i32_b64 s6, s[6:7]
	v_cndmask_b32_e64 v33, 0, 1, s[10:11]
	v_cmp_ne_u32_e64 s[10:11], 0, v32
	v_add_co_u32_e64 v2, s[6:7], s6, v2
	s_bcnt1_i32_b64 s10, s[10:11]
	v_addc_co_u32_e64 v3, s[6:7], 0, v3, s[6:7]
	v_cmp_ne_u32_e64 s[12:13], 0, v33
	v_cmp_ne_u32_e64 s[14:15], 0, v40
	v_add_co_u32_e64 v4, s[6:7], s10, v4
	v_cmp_le_u64_e32 vcc, s[2:3], v[28:29]
	s_bcnt1_i32_b64 s11, s[12:13]
	s_bcnt1_i32_b64 s12, s[14:15]
	v_addc_co_u32_e64 v5, s[6:7], 0, v5, s[6:7]
	v_add_co_u32_e64 v6, s[6:7], s11, v6
	s_or_b64 s[8:9], vcc, s[8:9]
	v_add_co_u32_e32 v8, vcc, s12, v8
	v_add_u32_e32 v31, v31, v30
	v_addc_co_u32_e64 v7, s[6:7], 0, v7, s[6:7]
	v_addc_co_u32_e32 v9, vcc, 0, v9, vcc
	s_andn2_b64 exec, exec, s[8:9]
	s_cbranch_execnz .LBB87_86
; %bb.87:                               ;   in Loop: Header=BB87_35 Depth=1
	s_or_b64 exec, exec, s[8:9]
.LBB87_88:                              ;   in Loop: Header=BB87_35 Depth=1
	s_or_b64 exec, exec, s[0:1]
.LBB87_89:                              ;   in Loop: Header=BB87_35 Depth=1
	s_lshl_b32 s2, s65, 6
	s_and_saveexec_b64 s[0:1], s[4:5]
	s_cbranch_execz .LBB87_91
; %bb.90:                               ;   in Loop: Header=BB87_35 Depth=1
	v_or_b32_e32 v10, s2, v35
	v_lshlrev_b32_e32 v10, 3, v10
	ds_write_b128 v10, v[2:5] offset:3072
	s_waitcnt vmcnt(0)
	ds_write_b128 v10, v[6:9] offset:3088
.LBB87_91:                              ;   in Loop: Header=BB87_35 Depth=1
	s_or_b64 exec, exec, s[0:1]
	s_waitcnt lgkmcnt(0)
	s_barrier
	s_and_saveexec_b64 s[0:1], s[44:45]
	s_cbranch_execz .LBB87_103
; %bb.92:                               ;   in Loop: Header=BB87_35 Depth=1
	v_readlane_b32 s6, v48, 18
	v_readlane_b32 s7, v48, 19
	s_andn2_b64 vcc, exec, s[6:7]
	v_pk_mov_b32 v[2:3], 0, 0
	s_cbranch_vccnz .LBB87_102
; %bb.93:                               ;   in Loop: Header=BB87_35 Depth=1
	v_readlane_b32 s6, v48, 23
	v_readlane_b32 s7, v48, 24
	s_andn2_b64 vcc, exec, s[6:7]
	s_cbranch_vccnz .LBB87_98
; %bb.94:                               ;   in Loop: Header=BB87_35 Depth=1
	v_lshl_add_u32 v4, s65, 9, v37
	s_mov_b32 s3, 0
	v_pk_mov_b32 v[2:3], 0, 0
.LBB87_95:                              ;   Parent Loop BB87_35 Depth=1
                                        ; =>  This Inner Loop Header: Depth=2
	s_waitcnt vmcnt(0)
	ds_read2_b64 v[6:9], v4 offset1:4
	ds_read2_b64 v[28:31], v4 offset0:8 offset1:12
	ds_read2_b64 v[40:43], v4 offset0:16 offset1:20
	;; [unrolled: 1-line block ×3, first 2 shown]
	s_add_i32 s3, s3, 8
	s_waitcnt lgkmcnt(3)
	v_add_co_u32_e32 v2, vcc, v6, v2
	v_addc_co_u32_e32 v3, vcc, v7, v3, vcc
	v_add_co_u32_e32 v2, vcc, v8, v2
	v_addc_co_u32_e32 v3, vcc, v9, v3, vcc
	s_waitcnt lgkmcnt(2)
	v_add_co_u32_e32 v2, vcc, v28, v2
	v_addc_co_u32_e32 v3, vcc, v29, v3, vcc
	v_add_co_u32_e32 v2, vcc, v30, v2
	v_addc_co_u32_e32 v3, vcc, v31, v3, vcc
	;; [unrolled: 5-line block ×3, first 2 shown]
	s_waitcnt lgkmcnt(0)
	v_add_co_u32_e32 v2, vcc, v44, v2
	v_addc_co_u32_e32 v3, vcc, v45, v3, vcc
	v_add_co_u32_e32 v2, vcc, v46, v2
	v_add_u32_e32 v4, 0x100, v4
	s_cmp_eq_u32 s85, s3
	v_addc_co_u32_e32 v3, vcc, v47, v3, vcc
	s_cbranch_scc0 .LBB87_95
; %bb.96:                               ;   in Loop: Header=BB87_35 Depth=1
	s_mov_b32 s3, s85
	s_branch .LBB87_99
.LBB87_97:                              ;   in Loop: Header=BB87_35 Depth=1
                                        ; implicit-def: $vgpr2_vgpr3
	s_branch .LBB87_65
.LBB87_98:                              ;   in Loop: Header=BB87_35 Depth=1
	s_mov_b32 s3, 0
	v_pk_mov_b32 v[2:3], 0, 0
.LBB87_99:                              ;   in Loop: Header=BB87_35 Depth=1
	v_readlane_b32 s6, v48, 26
	v_readlane_b32 s7, v48, 27
	s_andn2_b64 vcc, exec, s[6:7]
	s_cbranch_vccnz .LBB87_102
; %bb.100:                              ;   in Loop: Header=BB87_35 Depth=1
	s_lshl_b32 s6, s65, 9
	s_lshl_b32 s3, s3, 5
	s_add_i32 s6, s6, s3
	v_add_u32_e32 v4, s6, v37
	v_readlane_b32 s3, v48, 25
.LBB87_101:                             ;   Parent Loop BB87_35 Depth=1
                                        ; =>  This Inner Loop Header: Depth=2
	s_waitcnt vmcnt(0)
	ds_read_b64 v[6:7], v4
	s_add_i32 s3, s3, -1
	v_add_u32_e32 v4, 32, v4
	s_cmp_lg_u32 s3, 0
	s_waitcnt lgkmcnt(0)
	v_add_co_u32_e32 v2, vcc, v6, v2
	v_addc_co_u32_e32 v3, vcc, v7, v3, vcc
	s_cbranch_scc1 .LBB87_101
.LBB87_102:                             ;   in Loop: Header=BB87_35 Depth=1
	v_add_lshl_u32 v4, s2, v34, 3
	ds_write_b64 v4, v[2:3] offset:3072
.LBB87_103:                             ;   in Loop: Header=BB87_35 Depth=1
	s_or_b64 exec, exec, s[0:1]
	s_lshl_b32 s0, s2, 3
	s_waitcnt vmcnt(0)
	v_mov_b32_e32 v6, s0
	s_waitcnt lgkmcnt(0)
	s_barrier
	ds_read_b128 v[2:5], v6 offset:3072
	ds_read_b128 v[6:9], v6 offset:3088
	s_and_b32 s38, s49, 0xfe
	s_lshl_b32 s42, 3, s38
	s_not_b32 s39, s42
	s_waitcnt lgkmcnt(1)
	v_readfirstlane_b32 s13, v3
	v_readfirstlane_b32 s12, v2
	s_cmp_eq_u64 s[12:13], 1
	s_cselect_b64 s[0:1], -1, 0
	s_cmp_eq_u64 s[46:47], 1
	s_cselect_b64 s[2:3], -1, 0
	s_and_b64 s[18:19], s[0:1], s[2:3]
	v_readfirstlane_b32 s24, v4
	v_readfirstlane_b32 s25, v5
	s_waitcnt lgkmcnt(0)
	v_readfirstlane_b32 s14, v6
	v_readfirstlane_b32 s15, v7
	v_readfirstlane_b32 s6, v8
	v_readfirstlane_b32 s7, v9
	s_mov_b64 s[16:17], -1
	s_and_b64 vcc, exec, s[18:19]
	s_cbranch_vccz .LBB87_118
; %bb.104:                              ;   in Loop: Header=BB87_35 Depth=1
	ds_read_b64 v[2:3], v11 offset:5120
	s_waitcnt lgkmcnt(0)
	s_barrier
	v_readfirstlane_b32 s0, v2
	v_readfirstlane_b32 s1, v3
	s_mov_b64 s[2:3], exec
	v_readlane_b32 s8, v48, 14
	v_readlane_b32 s9, v48, 15
	s_and_b64 s[8:9], s[2:3], s[8:9]
	s_mov_b64 exec, s[8:9]
	s_cbranch_execz .LBB87_106
; %bb.105:                              ;   in Loop: Header=BB87_35 Depth=1
	ds_write_b8 v0, v1 offset:3072
.LBB87_106:                             ;   in Loop: Header=BB87_35 Depth=1
	s_or_b64 exec, exec, s[2:3]
	s_and_b32 s84, s84, s39
	s_or_b32 s83, s83, s42
	s_cmp_eq_u64 s[0:1], 0
	s_waitcnt lgkmcnt(0)
	s_barrier
	s_cbranch_scc1 .LBB87_119
; %bb.107:                              ;   in Loop: Header=BB87_35 Depth=1
	v_readlane_b32 s2, v48, 20
	s_add_u32 s10, s2, s0
	v_readlane_b32 s2, v48, 22
	s_addc_u32 s3, s2, s1
	s_mov_b32 s2, s75
	s_cmp_lg_u64 s[2:3], 0
	s_cbranch_scc0 .LBB87_164
; %bb.108:                              ;   in Loop: Header=BB87_35 Depth=1
	v_cvt_f32_u32_e32 v2, s33
	s_sub_u32 s2, 0, s33
	s_subb_u32 s8, 0, 0
	v_mac_f32_e32 v2, 0, v38
	v_rcp_f32_e32 v2, v2
	v_mul_f32_e32 v2, 0x5f7ffffc, v2
	v_mul_f32_e32 v3, 0x2f800000, v2
	v_trunc_f32_e32 v3, v3
	v_mac_f32_e32 v2, 0xcf800000, v3
	v_cvt_u32_f32_e32 v3, v3
	v_cvt_u32_f32_e32 v2, v2
	v_readfirstlane_b32 s9, v3
	v_readfirstlane_b32 s11, v2
	s_mul_i32 s20, s2, s9
	s_mul_hi_u32 s22, s2, s11
	s_mul_i32 s21, s8, s11
	s_add_i32 s20, s22, s20
	s_mul_i32 s23, s2, s11
	s_add_i32 s20, s20, s21
	s_mul_hi_u32 s22, s11, s23
	s_mul_hi_u32 s21, s11, s20
	s_mul_i32 s11, s11, s20
	s_add_u32 s11, s22, s11
	s_addc_u32 s21, 0, s21
	s_mul_hi_u32 s26, s9, s23
	s_mul_i32 s23, s9, s23
	s_add_u32 s11, s11, s23
	s_mul_hi_u32 s22, s9, s20
	s_addc_u32 s11, s21, s26
	s_addc_u32 s21, s22, 0
	s_mul_i32 s20, s9, s20
	s_add_u32 s11, s11, s20
	s_addc_u32 s20, 0, s21
	v_add_co_u32_e32 v2, vcc, s11, v2
	s_cmp_lg_u64 vcc, 0
	s_addc_u32 s9, s9, s20
	v_readfirstlane_b32 s20, v2
	s_mul_i32 s11, s2, s9
	s_mul_hi_u32 s21, s2, s20
	s_add_i32 s11, s21, s11
	s_mul_i32 s8, s8, s20
	s_add_i32 s11, s11, s8
	s_mul_i32 s2, s2, s20
	s_mul_hi_u32 s21, s9, s2
	s_mul_i32 s22, s9, s2
	s_mul_i32 s26, s20, s11
	s_mul_hi_u32 s2, s20, s2
	s_mul_hi_u32 s23, s20, s11
	s_add_u32 s2, s2, s26
	s_addc_u32 s20, 0, s23
	s_add_u32 s2, s2, s22
	s_mul_hi_u32 s8, s9, s11
	s_addc_u32 s2, s20, s21
	s_addc_u32 s8, s8, 0
	s_mul_i32 s11, s9, s11
	s_add_u32 s2, s2, s11
	s_addc_u32 s8, 0, s8
	v_add_co_u32_e32 v2, vcc, s2, v2
	s_cmp_lg_u64 vcc, 0
	s_addc_u32 s2, s9, s8
	v_readfirstlane_b32 s11, v2
	s_mul_i32 s9, s10, s2
	s_mul_hi_u32 s20, s10, s11
	s_mul_hi_u32 s8, s10, s2
	s_add_u32 s9, s20, s9
	s_addc_u32 s8, 0, s8
	s_mul_hi_u32 s21, s3, s11
	s_mul_i32 s11, s3, s11
	s_add_u32 s9, s9, s11
	s_mul_hi_u32 s20, s3, s2
	s_addc_u32 s8, s8, s21
	s_addc_u32 s9, s20, 0
	s_mul_i32 s2, s3, s2
	s_add_u32 s2, s8, s2
	s_addc_u32 s8, 0, s9
	s_mul_hi_u32 s9, s33, s2
	s_mul_i32 s2, s33, s2
	s_mul_i32 s8, s33, s8
	v_mov_b32_e32 v2, s2
	s_add_i32 s9, s9, s8
	v_sub_co_u32_e32 v2, vcc, s10, v2
	s_cmp_lg_u64 vcc, 0
	s_subb_u32 s2, s3, s9
	v_subrev_co_u32_e32 v3, vcc, s33, v2
	s_cmp_lg_u64 vcc, 0
	s_subb_u32 s8, s2, 0
	v_subrev_co_u32_e32 v4, vcc, s33, v3
	s_cmp_lg_u64 vcc, 0
	s_subb_u32 s9, s8, 0
	v_cmp_le_u32_e32 vcc, s33, v3
	s_cmp_eq_u32 s8, 0
	v_cndmask_b32_e64 v5, 0, -1, vcc
	s_cselect_b64 vcc, -1, 0
	v_cndmask_b32_e32 v5, -1, v5, vcc
	v_mov_b32_e32 v6, s8
	v_mov_b32_e32 v7, s9
	v_cmp_ne_u32_e32 vcc, 0, v5
	v_cndmask_b32_e32 v5, v6, v7, vcc
	v_cndmask_b32_e32 v4, v3, v4, vcc
	v_cmp_le_u32_e32 vcc, s33, v2
	s_cmp_eq_u32 s2, 0
	v_cndmask_b32_e64 v3, 0, -1, vcc
	s_cselect_b64 vcc, -1, 0
	v_cndmask_b32_e32 v3, -1, v3, vcc
	v_mov_b32_e32 v6, s2
	v_cmp_ne_u32_e32 vcc, 0, v3
	v_cndmask_b32_e32 v3, v6, v5, vcc
	v_cndmask_b32_e32 v2, v2, v4, vcc
	s_cbranch_execnz .LBB87_110
.LBB87_109:                             ;   in Loop: Header=BB87_35 Depth=1
	v_cvt_f32_u32_e32 v2, s33
	s_sub_i32 s2, 0, s33
	v_rcp_iflag_f32_e32 v2, v2
	v_mul_f32_e32 v2, 0x4f7ffffe, v2
	v_cvt_u32_f32_e32 v2, v2
	v_mul_lo_u32 v3, s2, v2
	v_mul_hi_u32 v3, v2, v3
	v_add_u32_e32 v2, v2, v3
	v_mul_hi_u32 v2, s10, v2
	v_mul_lo_u32 v2, v2, s33
	v_sub_u32_e32 v2, s10, v2
	v_subrev_u32_e32 v3, s33, v2
	v_cmp_le_u32_e32 vcc, s33, v2
	v_cndmask_b32_e32 v2, v2, v3, vcc
	v_subrev_u32_e32 v3, s33, v2
	v_cmp_le_u32_e32 vcc, s33, v2
	v_cndmask_b32_e32 v10, v2, v3, vcc
	v_pk_mov_b32 v[2:3], v[10:11], v[10:11] op_sel:[0,1]
.LBB87_110:                             ;   in Loop: Header=BB87_35 Depth=1
	v_mov_b32_e32 v4, s3
	v_sub_co_u32_e32 v2, vcc, s10, v2
	v_subb_co_u32_e32 v3, vcc, v4, v3, vcc
	v_cmp_gt_u64_e32 vcc, v[2:3], v[0:1]
	s_mov_b64 s[2:3], 0
                                        ; implicit-def: $vgpr39
	s_and_saveexec_b64 s[8:9], vcc
	s_cbranch_execz .LBB87_121
; %bb.111:                              ;   in Loop: Header=BB87_35 Depth=1
	v_mov_b32_e32 v6, v0
	v_pk_mov_b32 v[4:5], v[0:1], v[0:1] op_sel:[0,1]
                                        ; implicit-def: $sgpr10_sgpr11
	s_branch .LBB87_113
.LBB87_112:                             ;   in Loop: Header=BB87_113 Depth=2
	s_or_b64 exec, exec, s[20:21]
	s_waitcnt lgkmcnt(0)
	s_barrier
	ds_read_u16 v7, v11 offset:3072
	v_mov_b32_e32 v8, s76
	v_add_co_u32_e32 v4, vcc, s33, v4
	v_addc_co_u32_e32 v5, vcc, v5, v8, vcc
	s_waitcnt lgkmcnt(0)
	v_cmp_ne_u16_sdwa s[20:21], v7, v1 src0_sel:BYTE_0 src1_sel:DWORD
	v_cmp_ge_u64_e32 vcc, v[4:5], v[2:3]
	s_or_b64 s[22:23], vcc, s[20:21]
	s_and_b64 s[22:23], exec, s[22:23]
	s_or_b64 s[2:3], s[22:23], s[2:3]
	s_andn2_b64 s[10:11], s[10:11], exec
	s_and_b64 s[20:21], s[20:21], exec
	v_add_u32_e32 v6, s33, v6
	s_or_b64 s[10:11], s[10:11], s[20:21]
	s_barrier
	s_andn2_b64 exec, exec, s[2:3]
	s_cbranch_execz .LBB87_120
.LBB87_113:                             ;   Parent Loop BB87_35 Depth=1
                                        ; =>  This Inner Loop Header: Depth=2
	v_cmp_gt_u64_e32 vcc, s[0:1], v[4:5]
	v_mov_b32_e32 v7, 0
	s_and_saveexec_b64 s[20:21], vcc
	s_cbranch_execz .LBB87_115
; %bb.114:                              ;   in Loop: Header=BB87_113 Depth=2
	ds_read_u8 v7, v6
.LBB87_115:                             ;   in Loop: Header=BB87_113 Depth=2
	s_or_b64 exec, exec, s[20:21]
	s_and_saveexec_b64 s[20:21], vcc
	s_cbranch_execz .LBB87_112
; %bb.116:                              ;   in Loop: Header=BB87_113 Depth=2
	s_waitcnt lgkmcnt(0)
	v_add_u32_sdwa v8, sext(v7), s82 dst_sel:DWORD dst_unused:UNUSED_PAD src0_sel:BYTE_0 src1_sel:DWORD
	v_and_b32_e32 v8, s83, v8
	v_cmp_eq_u32_e32 vcc, s84, v8
	s_and_b64 exec, exec, vcc
	s_cbranch_execz .LBB87_112
; %bb.117:                              ;   in Loop: Header=BB87_113 Depth=2
	v_lshlrev_b16_e32 v7, 8, v7
	v_or_b32_e32 v7, 1, v7
	ds_write_b16 v11, v7 offset:3072
	s_branch .LBB87_112
.LBB87_118:                             ;   in Loop: Header=BB87_35 Depth=1
	s_mov_b64 s[2:3], -1
                                        ; implicit-def: $sgpr0_sgpr1
                                        ; implicit-def: $sgpr10_sgpr11
                                        ; implicit-def: $sgpr8_sgpr9
	s_branch .LBB87_135
.LBB87_119:                             ;   in Loop: Header=BB87_35 Depth=1
	s_mov_b64 s[0:1], -1
	s_mov_b64 s[2:3], 0
                                        ; implicit-def: $sgpr8_sgpr9
                                        ; implicit-def: $vgpr39
	s_mov_b64 s[10:11], s[0:1]
	s_cbranch_execnz .LBB87_122
	s_branch .LBB87_135
.LBB87_120:                             ;   in Loop: Header=BB87_35 Depth=1
	s_or_b64 exec, exec, s[2:3]
	v_lshrrev_b16_e32 v39, 8, v7
	s_and_b64 s[2:3], s[10:11], exec
.LBB87_121:                             ;   in Loop: Header=BB87_35 Depth=1
	s_or_b64 exec, exec, s[8:9]
	s_mov_b64 s[8:9], -1
	s_mov_b64 s[0:1], 0
	s_mov_b64 s[10:11], s[0:1]
	s_branch .LBB87_135
.LBB87_122:                             ;   in Loop: Header=BB87_35 Depth=1
	s_mov_b32 s50, s75
	s_cmp_lg_u64 s[50:51], 0
	s_cbranch_scc0 .LBB87_168
; %bb.123:                              ;   in Loop: Header=BB87_35 Depth=1
	v_cvt_f32_u32_e32 v2, s33
	s_sub_u32 s0, 0, s33
	s_subb_u32 s1, 0, 0
	v_mac_f32_e32 v2, 0, v38
	v_rcp_f32_e32 v2, v2
	v_mul_f32_e32 v2, 0x5f7ffffc, v2
	v_mul_f32_e32 v3, 0x2f800000, v2
	v_trunc_f32_e32 v3, v3
	v_mac_f32_e32 v2, 0xcf800000, v3
	v_cvt_u32_f32_e32 v3, v3
	v_cvt_u32_f32_e32 v2, v2
	v_readfirstlane_b32 s2, v3
	v_readfirstlane_b32 s3, v2
	s_mul_i32 s8, s0, s2
	s_mul_hi_u32 s10, s0, s3
	s_mul_i32 s9, s1, s3
	s_add_i32 s8, s10, s8
	s_mul_i32 s11, s0, s3
	s_add_i32 s8, s8, s9
	s_mul_hi_u32 s10, s3, s11
	s_mul_hi_u32 s9, s3, s8
	s_mul_i32 s3, s3, s8
	s_add_u32 s3, s10, s3
	s_addc_u32 s9, 0, s9
	s_mul_hi_u32 s20, s2, s11
	s_mul_i32 s11, s2, s11
	s_add_u32 s3, s3, s11
	s_mul_hi_u32 s10, s2, s8
	s_addc_u32 s3, s9, s20
	s_addc_u32 s9, s10, 0
	s_mul_i32 s8, s2, s8
	s_add_u32 s3, s3, s8
	s_addc_u32 s8, 0, s9
	v_add_co_u32_e32 v2, vcc, s3, v2
	s_cmp_lg_u64 vcc, 0
	s_addc_u32 s2, s2, s8
	v_readfirstlane_b32 s8, v2
	s_mul_i32 s3, s0, s2
	s_mul_hi_u32 s9, s0, s8
	s_add_i32 s3, s9, s3
	s_mul_i32 s1, s1, s8
	s_add_i32 s3, s3, s1
	s_mul_i32 s0, s0, s8
	s_mul_hi_u32 s9, s2, s0
	s_mul_i32 s10, s2, s0
	s_mul_i32 s20, s8, s3
	s_mul_hi_u32 s0, s8, s0
	s_mul_hi_u32 s11, s8, s3
	s_add_u32 s0, s0, s20
	s_addc_u32 s8, 0, s11
	s_add_u32 s0, s0, s10
	s_mul_hi_u32 s1, s2, s3
	s_addc_u32 s0, s8, s9
	s_addc_u32 s1, s1, 0
	s_mul_i32 s3, s2, s3
	s_add_u32 s0, s0, s3
	s_addc_u32 s1, 0, s1
	v_add_co_u32_e32 v2, vcc, s0, v2
	s_cmp_lg_u64 vcc, 0
	s_addc_u32 s0, s2, s1
	v_readlane_b32 s10, v48, 21
	v_readfirstlane_b32 s3, v2
	s_mul_i32 s2, s10, s0
	s_mul_hi_u32 s8, s10, s3
	s_mul_hi_u32 s1, s10, s0
	s_add_u32 s2, s8, s2
	s_addc_u32 s1, 0, s1
	s_mul_hi_u32 s9, s51, s3
	s_mul_i32 s3, s51, s3
	s_add_u32 s2, s2, s3
	s_mul_hi_u32 s8, s51, s0
	s_addc_u32 s1, s1, s9
	s_addc_u32 s2, s8, 0
	s_mul_i32 s0, s51, s0
	s_add_u32 s0, s1, s0
	s_addc_u32 s1, 0, s2
	s_mul_hi_u32 s2, s33, s0
	s_mul_i32 s0, s33, s0
	s_mul_i32 s1, s33, s1
	v_mov_b32_e32 v2, s0
	s_add_i32 s2, s2, s1
	v_sub_co_u32_e32 v2, vcc, s10, v2
	s_cmp_lg_u64 vcc, 0
	s_subb_u32 s0, s51, s2
	v_subrev_co_u32_e32 v3, vcc, s33, v2
	s_cmp_lg_u64 vcc, 0
	s_subb_u32 s1, s0, 0
	v_subrev_co_u32_e32 v4, vcc, s33, v3
	s_cmp_lg_u64 vcc, 0
	s_subb_u32 s2, s1, 0
	v_cmp_le_u32_e32 vcc, s33, v3
	s_cmp_eq_u32 s1, 0
	v_cndmask_b32_e64 v5, 0, -1, vcc
	s_cselect_b64 vcc, -1, 0
	v_cndmask_b32_e32 v5, -1, v5, vcc
	v_mov_b32_e32 v6, s1
	v_mov_b32_e32 v7, s2
	v_cmp_ne_u32_e32 vcc, 0, v5
	v_cndmask_b32_e32 v5, v6, v7, vcc
	v_cndmask_b32_e32 v4, v3, v4, vcc
	v_cmp_le_u32_e32 vcc, s33, v2
	s_cmp_eq_u32 s0, 0
	v_cndmask_b32_e64 v3, 0, -1, vcc
	s_cselect_b64 vcc, -1, 0
	v_cndmask_b32_e32 v3, -1, v3, vcc
	v_mov_b32_e32 v6, s0
	v_cmp_ne_u32_e32 vcc, 0, v3
	v_cndmask_b32_e32 v3, v6, v5, vcc
	v_cndmask_b32_e32 v2, v2, v4, vcc
	s_cbranch_execnz .LBB87_125
.LBB87_124:                             ;   in Loop: Header=BB87_35 Depth=1
	v_cvt_f32_u32_e32 v2, s33
	s_sub_i32 s0, 0, s33
	v_rcp_iflag_f32_e32 v2, v2
	v_mul_f32_e32 v2, 0x4f7ffffe, v2
	v_cvt_u32_f32_e32 v2, v2
	v_mul_lo_u32 v3, s0, v2
	v_mul_hi_u32 v3, v2, v3
	v_add_u32_e32 v2, v2, v3
	v_readlane_b32 s0, v48, 21
	v_mul_hi_u32 v2, s0, v2
	v_mul_lo_u32 v2, v2, s33
	v_sub_u32_e32 v2, s0, v2
	v_subrev_u32_e32 v3, s33, v2
	v_cmp_le_u32_e32 vcc, s33, v2
	v_cndmask_b32_e32 v2, v2, v3, vcc
	v_subrev_u32_e32 v3, s33, v2
	v_cmp_le_u32_e32 vcc, s33, v2
	v_cndmask_b32_e32 v10, v2, v3, vcc
	v_pk_mov_b32 v[2:3], v[10:11], v[10:11] op_sel:[0,1]
.LBB87_125:                             ;   in Loop: Header=BB87_35 Depth=1
	v_readlane_b32 s0, v48, 21
	v_mov_b32_e32 v4, s51
	v_sub_co_u32_e32 v2, vcc, s0, v2
	v_subb_co_u32_e32 v3, vcc, v4, v3, vcc
	v_cmp_gt_u64_e32 vcc, v[2:3], v[0:1]
	s_mov_b64 s[2:3], 0
                                        ; implicit-def: $vgpr39
	s_and_saveexec_b64 s[0:1], vcc
	s_cbranch_execz .LBB87_134
; %bb.126:                              ;   in Loop: Header=BB87_35 Depth=1
	v_pk_mov_b32 v[4:5], v[12:13], v[12:13] op_sel:[0,1]
	v_pk_mov_b32 v[6:7], v[0:1], v[0:1] op_sel:[0,1]
                                        ; implicit-def: $sgpr8_sgpr9
	s_branch .LBB87_128
.LBB87_127:                             ;   in Loop: Header=BB87_128 Depth=2
	s_or_b64 exec, exec, s[10:11]
	s_waitcnt lgkmcnt(0)
	s_barrier
	s_waitcnt vmcnt(0)
	ds_read_u16 v8, v11 offset:3072
	v_mov_b32_e32 v9, s76
	v_add_co_u32_e32 v6, vcc, s33, v6
	v_addc_co_u32_e32 v7, vcc, v7, v9, vcc
	s_waitcnt lgkmcnt(0)
	v_cmp_ne_u16_sdwa s[10:11], v8, v1 src0_sel:BYTE_0 src1_sel:DWORD
	v_cmp_ge_u64_e32 vcc, v[6:7], v[2:3]
	s_or_b64 s[20:21], vcc, s[10:11]
	s_and_b64 s[20:21], exec, s[20:21]
	s_or_b64 s[2:3], s[20:21], s[2:3]
	v_mov_b32_e32 v9, s77
	v_add_co_u32_e32 v4, vcc, s48, v4
	s_andn2_b64 s[8:9], s[8:9], exec
	s_and_b64 s[10:11], s[10:11], exec
	v_addc_co_u32_e32 v5, vcc, v5, v9, vcc
	s_or_b64 s[8:9], s[8:9], s[10:11]
	s_barrier
	s_andn2_b64 exec, exec, s[2:3]
	s_cbranch_execz .LBB87_133
.LBB87_128:                             ;   Parent Loop BB87_35 Depth=1
                                        ; =>  This Inner Loop Header: Depth=2
	v_cmp_gt_u64_e32 vcc, s[52:53], v[6:7]
	v_mov_b32_e32 v8, 0
	s_and_saveexec_b64 s[10:11], vcc
	s_cbranch_execz .LBB87_130
; %bb.129:                              ;   in Loop: Header=BB87_128 Depth=2
	global_load_ubyte v8, v[4:5], off
.LBB87_130:                             ;   in Loop: Header=BB87_128 Depth=2
	s_or_b64 exec, exec, s[10:11]
	s_and_saveexec_b64 s[10:11], vcc
	s_cbranch_execz .LBB87_127
; %bb.131:                              ;   in Loop: Header=BB87_128 Depth=2
	s_waitcnt vmcnt(0)
	v_add_u32_sdwa v9, sext(v8), s82 dst_sel:DWORD dst_unused:UNUSED_PAD src0_sel:BYTE_0 src1_sel:DWORD
	v_and_b32_e32 v9, s83, v9
	v_cmp_eq_u32_e32 vcc, s84, v9
	s_and_b64 exec, exec, vcc
	s_cbranch_execz .LBB87_127
; %bb.132:                              ;   in Loop: Header=BB87_128 Depth=2
	v_lshlrev_b16_e32 v8, 8, v8
	v_or_b32_e32 v8, 1, v8
	ds_write_b16 v11, v8 offset:3072
	s_branch .LBB87_127
.LBB87_133:                             ;   in Loop: Header=BB87_35 Depth=1
	s_or_b64 exec, exec, s[2:3]
	v_lshrrev_b16_e32 v39, 8, v8
	s_and_b64 s[2:3], s[8:9], exec
.LBB87_134:                             ;   in Loop: Header=BB87_35 Depth=1
	s_or_b64 exec, exec, s[0:1]
	s_mov_b64 s[10:11], -1
	s_mov_b64 s[0:1], 0
	s_mov_b64 s[8:9], 0
.LBB87_135:                             ;   in Loop: Header=BB87_35 Depth=1
	s_andn2_b64 s[20:21], s[88:89], exec
	s_and_b64 s[0:1], s[0:1], exec
	s_or_b64 s[88:89], s[20:21], s[0:1]
	s_andn2_b64 s[0:1], s[86:87], exec
	s_and_b64 s[10:11], s[10:11], exec
	s_or_b64 s[86:87], s[0:1], s[10:11]
	;; [unrolled: 3-line block ×3, first 2 shown]
	s_and_saveexec_b64 s[10:11], s[2:3]
	s_cbranch_execz .LBB87_34
; %bb.136:                              ;   in Loop: Header=BB87_35 Depth=1
	s_xor_b64 s[0:1], s[18:19], -1
	s_andn2_b64 vcc, exec, s[0:1]
	s_mov_b32 s43, 1
	s_cbranch_vccnz .LBB87_147
; %bb.137:                              ;   in Loop: Header=BB87_35 Depth=1
	v_pk_mov_b32 v[2:3], s[12:13], s[12:13] op_sel:[0,1]
	v_cmp_gt_u64_e32 vcc, s[46:47], v[2:3]
	s_mov_b64 s[0:1], -1
                                        ; implicit-def: $sgpr43
                                        ; implicit-def: $sgpr2
                                        ; implicit-def: $sgpr3
	s_cbranch_vccnz .LBB87_143
; %bb.138:                              ;   in Loop: Header=BB87_35 Depth=1
	ds_read_b64 v[2:3], v11 offset:5120
	s_waitcnt lgkmcnt(0)
	v_cmp_ne_u64_e32 vcc, 0, v[2:3]
	s_cbranch_vccnz .LBB87_142
; %bb.139:                              ;   in Loop: Header=BB87_35 Depth=1
	s_mov_b64 s[0:1], exec
	v_readlane_b32 s2, v48, 6
	v_readlane_b32 s3, v48, 7
	s_and_b64 s[2:3], s[0:1], s[2:3]
	s_mov_b64 exec, s[2:3]
	s_cbranch_execz .LBB87_141
; %bb.140:                              ;   in Loop: Header=BB87_35 Depth=1
	v_pk_mov_b32 v[2:3], s[12:13], s[12:13] op_sel:[0,1]
	ds_write_b64 v11, v[2:3] offset:5128
.LBB87_141:                             ;   in Loop: Header=BB87_35 Depth=1
	s_or_b64 exec, exec, s[0:1]
	s_waitcnt lgkmcnt(0)
	s_barrier
.LBB87_142:                             ;   in Loop: Header=BB87_35 Depth=1
	s_and_b32 s2, s84, s39
	s_or_b32 s3, s83, s42
	s_mov_b64 s[0:1], 0
	s_mov_b32 s43, 8
.LBB87_143:                             ;   in Loop: Header=BB87_35 Depth=1
	s_andn2_b64 vcc, exec, s[0:1]
	s_cbranch_vccnz .LBB87_145
; %bb.144:                              ;   in Loop: Header=BB87_35 Depth=1
	s_sub_u32 s46, s46, s12
	s_subb_u32 s47, s47, s13
	s_mov_b64 s[0:1], -1
	s_mov_b32 s43, 0
	s_mov_b32 s2, s84
	;; [unrolled: 1-line block ×3, first 2 shown]
.LBB87_145:                             ;   in Loop: Header=BB87_35 Depth=1
	s_mov_b32 s83, s3
	s_mov_b32 s84, s2
	s_mov_b64 s[12:13], -1
	s_and_b64 vcc, exec, s[0:1]
	s_cbranch_vccnz .LBB87_148
.LBB87_146:                             ;   in Loop: Header=BB87_35 Depth=1
	s_mov_b64 s[0:1], -1
                                        ; implicit-def: $sgpr16_sgpr17
                                        ; implicit-def: $sgpr20_sgpr21
                                        ; implicit-def: $sgpr18_sgpr19
	s_and_saveexec_b64 s[2:3], s[0:1]
	s_xor_b64 s[0:1], exec, s[2:3]
	s_cbranch_execz .LBB87_33
	s_branch .LBB87_297
.LBB87_147:                             ;   in Loop: Header=BB87_35 Depth=1
	s_mov_b64 s[46:47], 1
	s_mov_b64 s[12:13], -1
	s_branch .LBB87_146
.LBB87_148:                             ;   in Loop: Header=BB87_35 Depth=1
	s_cmp_eq_u64 s[24:25], 1
	s_cselect_b64 s[0:1], -1, 0
	s_cmp_eq_u64 s[46:47], 1
	s_cselect_b64 s[2:3], -1, 0
	s_and_b64 s[28:29], s[0:1], s[2:3]
	s_mov_b64 s[2:3], -1
	s_and_b64 vcc, exec, s[28:29]
	s_cbranch_vccz .LBB87_163
; %bb.149:                              ;   in Loop: Header=BB87_35 Depth=1
	ds_read_b64 v[2:3], v11 offset:5120
	s_waitcnt lgkmcnt(0)
	s_barrier
	v_readfirstlane_b32 s0, v2
	v_readfirstlane_b32 s1, v3
	s_mov_b64 s[2:3], exec
	v_readlane_b32 s8, v48, 14
	v_readlane_b32 s9, v48, 15
	s_and_b64 s[8:9], s[2:3], s[8:9]
	s_mov_b64 exec, s[8:9]
	s_cbranch_execz .LBB87_151
; %bb.150:                              ;   in Loop: Header=BB87_35 Depth=1
	ds_write_b8 v0, v1 offset:3072
.LBB87_151:                             ;   in Loop: Header=BB87_35 Depth=1
	s_or_b64 exec, exec, s[2:3]
	s_lshl_b32 s2, 1, s38
	s_and_b32 s3, s84, s39
	s_or_b32 s84, s3, s2
	s_or_b32 s83, s83, s42
	s_cmp_eq_u64 s[0:1], 0
	s_waitcnt lgkmcnt(0)
	s_barrier
	s_cbranch_scc1 .LBB87_169
; %bb.152:                              ;   in Loop: Header=BB87_35 Depth=1
	v_readlane_b32 s2, v48, 20
	s_add_u32 s16, s2, s0
	v_readlane_b32 s2, v48, 22
	s_addc_u32 s3, s2, s1
	s_mov_b32 s2, s75
	s_cmp_lg_u64 s[2:3], 0
	s_cbranch_scc0 .LBB87_214
; %bb.153:                              ;   in Loop: Header=BB87_35 Depth=1
	v_cvt_f32_u32_e32 v2, s33
	s_sub_u32 s2, 0, s33
	s_subb_u32 s8, 0, 0
	v_mac_f32_e32 v2, 0, v38
	v_rcp_f32_e32 v2, v2
	v_mul_f32_e32 v2, 0x5f7ffffc, v2
	v_mul_f32_e32 v3, 0x2f800000, v2
	v_trunc_f32_e32 v3, v3
	v_mac_f32_e32 v2, 0xcf800000, v3
	v_cvt_u32_f32_e32 v3, v3
	v_cvt_u32_f32_e32 v2, v2
	v_readfirstlane_b32 s9, v3
	v_readfirstlane_b32 s17, v2
	s_mul_i32 s18, s2, s9
	s_mul_hi_u32 s20, s2, s17
	s_mul_i32 s19, s8, s17
	s_add_i32 s18, s20, s18
	s_mul_i32 s21, s2, s17
	s_add_i32 s18, s18, s19
	s_mul_hi_u32 s20, s17, s21
	s_mul_hi_u32 s19, s17, s18
	s_mul_i32 s17, s17, s18
	s_add_u32 s17, s20, s17
	s_addc_u32 s19, 0, s19
	s_mul_hi_u32 s22, s9, s21
	s_mul_i32 s21, s9, s21
	s_add_u32 s17, s17, s21
	s_mul_hi_u32 s20, s9, s18
	s_addc_u32 s17, s19, s22
	s_addc_u32 s19, s20, 0
	s_mul_i32 s18, s9, s18
	s_add_u32 s17, s17, s18
	s_addc_u32 s18, 0, s19
	v_add_co_u32_e32 v2, vcc, s17, v2
	s_cmp_lg_u64 vcc, 0
	s_addc_u32 s9, s9, s18
	v_readfirstlane_b32 s18, v2
	s_mul_i32 s17, s2, s9
	s_mul_hi_u32 s19, s2, s18
	s_add_i32 s17, s19, s17
	s_mul_i32 s8, s8, s18
	s_add_i32 s17, s17, s8
	s_mul_i32 s2, s2, s18
	s_mul_hi_u32 s19, s9, s2
	s_mul_i32 s20, s9, s2
	s_mul_i32 s22, s18, s17
	s_mul_hi_u32 s2, s18, s2
	s_mul_hi_u32 s21, s18, s17
	s_add_u32 s2, s2, s22
	s_addc_u32 s18, 0, s21
	s_add_u32 s2, s2, s20
	s_mul_hi_u32 s8, s9, s17
	s_addc_u32 s2, s18, s19
	s_addc_u32 s8, s8, 0
	s_mul_i32 s17, s9, s17
	s_add_u32 s2, s2, s17
	s_addc_u32 s8, 0, s8
	v_add_co_u32_e32 v2, vcc, s2, v2
	s_cmp_lg_u64 vcc, 0
	s_addc_u32 s2, s9, s8
	v_readfirstlane_b32 s17, v2
	s_mul_i32 s9, s16, s2
	s_mul_hi_u32 s18, s16, s17
	s_mul_hi_u32 s8, s16, s2
	s_add_u32 s9, s18, s9
	s_addc_u32 s8, 0, s8
	s_mul_hi_u32 s19, s3, s17
	s_mul_i32 s17, s3, s17
	s_add_u32 s9, s9, s17
	s_mul_hi_u32 s18, s3, s2
	s_addc_u32 s8, s8, s19
	s_addc_u32 s9, s18, 0
	s_mul_i32 s2, s3, s2
	s_add_u32 s2, s8, s2
	s_addc_u32 s8, 0, s9
	s_mul_hi_u32 s9, s33, s2
	s_mul_i32 s2, s33, s2
	s_mul_i32 s8, s33, s8
	v_mov_b32_e32 v2, s2
	s_add_i32 s9, s9, s8
	v_sub_co_u32_e32 v2, vcc, s16, v2
	s_cmp_lg_u64 vcc, 0
	s_subb_u32 s2, s3, s9
	v_subrev_co_u32_e32 v3, vcc, s33, v2
	s_cmp_lg_u64 vcc, 0
	s_subb_u32 s8, s2, 0
	v_subrev_co_u32_e32 v4, vcc, s33, v3
	s_cmp_lg_u64 vcc, 0
	s_subb_u32 s9, s8, 0
	v_cmp_le_u32_e32 vcc, s33, v3
	s_cmp_eq_u32 s8, 0
	v_cndmask_b32_e64 v5, 0, -1, vcc
	s_cselect_b64 vcc, -1, 0
	v_cndmask_b32_e32 v5, -1, v5, vcc
	v_mov_b32_e32 v6, s8
	v_mov_b32_e32 v7, s9
	v_cmp_ne_u32_e32 vcc, 0, v5
	v_cndmask_b32_e32 v5, v6, v7, vcc
	v_cndmask_b32_e32 v4, v3, v4, vcc
	v_cmp_le_u32_e32 vcc, s33, v2
	s_cmp_eq_u32 s2, 0
	v_cndmask_b32_e64 v3, 0, -1, vcc
	s_cselect_b64 vcc, -1, 0
	v_cndmask_b32_e32 v3, -1, v3, vcc
	v_mov_b32_e32 v6, s2
	v_cmp_ne_u32_e32 vcc, 0, v3
	v_cndmask_b32_e32 v3, v6, v5, vcc
	v_cndmask_b32_e32 v2, v2, v4, vcc
	s_cbranch_execnz .LBB87_155
.LBB87_154:                             ;   in Loop: Header=BB87_35 Depth=1
	v_cvt_f32_u32_e32 v2, s33
	s_sub_i32 s2, 0, s33
	v_rcp_iflag_f32_e32 v2, v2
	v_mul_f32_e32 v2, 0x4f7ffffe, v2
	v_cvt_u32_f32_e32 v2, v2
	v_mul_lo_u32 v3, s2, v2
	v_mul_hi_u32 v3, v2, v3
	v_add_u32_e32 v2, v2, v3
	v_mul_hi_u32 v2, s16, v2
	v_mul_lo_u32 v2, v2, s33
	v_sub_u32_e32 v2, s16, v2
	v_subrev_u32_e32 v3, s33, v2
	v_cmp_le_u32_e32 vcc, s33, v2
	v_cndmask_b32_e32 v2, v2, v3, vcc
	v_subrev_u32_e32 v3, s33, v2
	v_cmp_le_u32_e32 vcc, s33, v2
	v_cndmask_b32_e32 v10, v2, v3, vcc
	v_pk_mov_b32 v[2:3], v[10:11], v[10:11] op_sel:[0,1]
.LBB87_155:                             ;   in Loop: Header=BB87_35 Depth=1
	v_mov_b32_e32 v4, s3
	v_sub_co_u32_e32 v2, vcc, s16, v2
	v_subb_co_u32_e32 v3, vcc, v4, v3, vcc
	v_cmp_gt_u64_e32 vcc, v[2:3], v[0:1]
	s_mov_b64 s[2:3], 0
                                        ; implicit-def: $vgpr39
	s_and_saveexec_b64 s[8:9], vcc
	s_cbranch_execz .LBB87_171
; %bb.156:                              ;   in Loop: Header=BB87_35 Depth=1
	v_mov_b32_e32 v6, v0
	v_pk_mov_b32 v[4:5], v[0:1], v[0:1] op_sel:[0,1]
                                        ; implicit-def: $sgpr16_sgpr17
	s_branch .LBB87_158
.LBB87_157:                             ;   in Loop: Header=BB87_158 Depth=2
	s_or_b64 exec, exec, s[18:19]
	s_waitcnt lgkmcnt(0)
	s_barrier
	ds_read_u16 v7, v11 offset:3072
	v_mov_b32_e32 v8, s76
	v_add_co_u32_e32 v4, vcc, s33, v4
	v_addc_co_u32_e32 v5, vcc, v5, v8, vcc
	s_waitcnt lgkmcnt(0)
	v_cmp_ne_u16_sdwa s[18:19], v7, v1 src0_sel:BYTE_0 src1_sel:DWORD
	v_cmp_ge_u64_e32 vcc, v[4:5], v[2:3]
	s_or_b64 s[20:21], vcc, s[18:19]
	s_and_b64 s[20:21], exec, s[20:21]
	s_or_b64 s[2:3], s[20:21], s[2:3]
	s_andn2_b64 s[16:17], s[16:17], exec
	s_and_b64 s[18:19], s[18:19], exec
	v_add_u32_e32 v6, s33, v6
	s_or_b64 s[16:17], s[16:17], s[18:19]
	s_barrier
	s_andn2_b64 exec, exec, s[2:3]
	s_cbranch_execz .LBB87_170
.LBB87_158:                             ;   Parent Loop BB87_35 Depth=1
                                        ; =>  This Inner Loop Header: Depth=2
	v_cmp_gt_u64_e32 vcc, s[0:1], v[4:5]
	v_mov_b32_e32 v7, 0
	s_and_saveexec_b64 s[18:19], vcc
	s_cbranch_execz .LBB87_160
; %bb.159:                              ;   in Loop: Header=BB87_158 Depth=2
	ds_read_u8 v7, v6
.LBB87_160:                             ;   in Loop: Header=BB87_158 Depth=2
	s_or_b64 exec, exec, s[18:19]
	s_and_saveexec_b64 s[18:19], vcc
	s_cbranch_execz .LBB87_157
; %bb.161:                              ;   in Loop: Header=BB87_158 Depth=2
	s_waitcnt lgkmcnt(0)
	v_add_u32_sdwa v8, sext(v7), s82 dst_sel:DWORD dst_unused:UNUSED_PAD src0_sel:BYTE_0 src1_sel:DWORD
	v_and_b32_e32 v8, s83, v8
	v_cmp_eq_u32_e32 vcc, s84, v8
	s_and_b64 exec, exec, vcc
	s_cbranch_execz .LBB87_157
; %bb.162:                              ;   in Loop: Header=BB87_158 Depth=2
	v_lshlrev_b16_e32 v7, 8, v7
	v_or_b32_e32 v7, 1, v7
	ds_write_b16 v11, v7 offset:3072
	s_branch .LBB87_157
.LBB87_163:                             ;   in Loop: Header=BB87_35 Depth=1
                                        ; implicit-def: $sgpr18_sgpr19
                                        ; implicit-def: $sgpr20_sgpr21
                                        ; implicit-def: $sgpr16_sgpr17
	s_branch .LBB87_185
.LBB87_164:                             ;   in Loop: Header=BB87_35 Depth=1
                                        ; implicit-def: $vgpr2_vgpr3
	s_branch .LBB87_109
.LBB87_165:                             ;   in Loop: Header=BB87_35 Depth=1
	s_or_b64 exec, exec, s[0:1]
	s_waitcnt lgkmcnt(0)
	s_barrier
	s_mov_b64 s[0:1], exec
	v_readlane_b32 s2, v48, 6
	v_readlane_b32 s3, v48, 7
	s_and_b64 s[2:3], s[0:1], s[2:3]
	s_mov_b64 exec, s[2:3]
	s_cbranch_execz .LBB87_167
; %bb.166:                              ;   in Loop: Header=BB87_35 Depth=1
	ds_read_b32 v2, v11 offset:5144
	s_waitcnt lgkmcnt(0)
	v_ashrrev_i32_e32 v3, 31, v2
	ds_write_b64 v11, v[2:3] offset:5120
.LBB87_167:                             ;   in Loop: Header=BB87_35 Depth=1
	s_or_b64 exec, exec, s[0:1]
	s_waitcnt lgkmcnt(0)
	s_barrier
	s_mov_b64 s[0:1], -1
	s_and_b64 vcc, exec, s[90:91]
	s_cbranch_vccnz .LBB87_50
	s_branch .LBB87_60
.LBB87_168:                             ;   in Loop: Header=BB87_35 Depth=1
                                        ; implicit-def: $vgpr2_vgpr3
	s_branch .LBB87_124
.LBB87_169:                             ;   in Loop: Header=BB87_35 Depth=1
	s_mov_b64 s[18:19], -1
	s_mov_b64 s[2:3], 0
                                        ; implicit-def: $sgpr16_sgpr17
                                        ; implicit-def: $vgpr39
	s_mov_b64 s[20:21], s[18:19]
	s_cbranch_execnz .LBB87_172
	s_branch .LBB87_185
.LBB87_170:                             ;   in Loop: Header=BB87_35 Depth=1
	s_or_b64 exec, exec, s[2:3]
	v_lshrrev_b16_e32 v39, 8, v7
	s_and_b64 s[2:3], s[16:17], exec
.LBB87_171:                             ;   in Loop: Header=BB87_35 Depth=1
	s_or_b64 exec, exec, s[8:9]
	s_mov_b64 s[16:17], -1
	s_mov_b64 s[18:19], 0
	s_mov_b64 s[20:21], s[18:19]
	s_branch .LBB87_185
.LBB87_172:                             ;   in Loop: Header=BB87_35 Depth=1
	s_mov_b32 s50, s75
	s_cmp_lg_u64 s[50:51], 0
	s_cbranch_scc0 .LBB87_215
; %bb.173:                              ;   in Loop: Header=BB87_35 Depth=1
	v_cvt_f32_u32_e32 v2, s33
	s_sub_u32 s0, 0, s33
	s_subb_u32 s1, 0, 0
	v_mac_f32_e32 v2, 0, v38
	v_rcp_f32_e32 v2, v2
	v_mul_f32_e32 v2, 0x5f7ffffc, v2
	v_mul_f32_e32 v3, 0x2f800000, v2
	v_trunc_f32_e32 v3, v3
	v_mac_f32_e32 v2, 0xcf800000, v3
	v_cvt_u32_f32_e32 v3, v3
	v_cvt_u32_f32_e32 v2, v2
	v_readfirstlane_b32 s2, v3
	v_readfirstlane_b32 s3, v2
	s_mul_i32 s8, s0, s2
	s_mul_hi_u32 s16, s0, s3
	s_mul_i32 s9, s1, s3
	s_add_i32 s8, s16, s8
	s_mul_i32 s17, s0, s3
	s_add_i32 s8, s8, s9
	s_mul_hi_u32 s16, s3, s17
	s_mul_hi_u32 s9, s3, s8
	s_mul_i32 s3, s3, s8
	s_add_u32 s3, s16, s3
	s_addc_u32 s9, 0, s9
	s_mul_hi_u32 s18, s2, s17
	s_mul_i32 s17, s2, s17
	s_add_u32 s3, s3, s17
	s_mul_hi_u32 s16, s2, s8
	s_addc_u32 s3, s9, s18
	s_addc_u32 s9, s16, 0
	s_mul_i32 s8, s2, s8
	s_add_u32 s3, s3, s8
	s_addc_u32 s8, 0, s9
	v_add_co_u32_e32 v2, vcc, s3, v2
	s_cmp_lg_u64 vcc, 0
	s_addc_u32 s2, s2, s8
	v_readfirstlane_b32 s8, v2
	s_mul_i32 s3, s0, s2
	s_mul_hi_u32 s9, s0, s8
	s_add_i32 s3, s9, s3
	s_mul_i32 s1, s1, s8
	s_add_i32 s3, s3, s1
	s_mul_i32 s0, s0, s8
	s_mul_hi_u32 s9, s2, s0
	s_mul_i32 s16, s2, s0
	s_mul_i32 s18, s8, s3
	s_mul_hi_u32 s0, s8, s0
	s_mul_hi_u32 s17, s8, s3
	s_add_u32 s0, s0, s18
	s_addc_u32 s8, 0, s17
	s_add_u32 s0, s0, s16
	s_mul_hi_u32 s1, s2, s3
	s_addc_u32 s0, s8, s9
	s_addc_u32 s1, s1, 0
	s_mul_i32 s3, s2, s3
	s_add_u32 s0, s0, s3
	s_addc_u32 s1, 0, s1
	v_add_co_u32_e32 v2, vcc, s0, v2
	s_cmp_lg_u64 vcc, 0
	s_addc_u32 s0, s2, s1
	v_readlane_b32 s16, v48, 21
	v_readfirstlane_b32 s3, v2
	s_mul_i32 s2, s16, s0
	s_mul_hi_u32 s8, s16, s3
	s_mul_hi_u32 s1, s16, s0
	s_add_u32 s2, s8, s2
	s_addc_u32 s1, 0, s1
	s_mul_hi_u32 s9, s51, s3
	s_mul_i32 s3, s51, s3
	s_add_u32 s2, s2, s3
	s_mul_hi_u32 s8, s51, s0
	s_addc_u32 s1, s1, s9
	s_addc_u32 s2, s8, 0
	s_mul_i32 s0, s51, s0
	s_add_u32 s0, s1, s0
	s_addc_u32 s1, 0, s2
	s_mul_hi_u32 s2, s33, s0
	s_mul_i32 s0, s33, s0
	s_mul_i32 s1, s33, s1
	v_mov_b32_e32 v2, s0
	s_add_i32 s2, s2, s1
	v_sub_co_u32_e32 v2, vcc, s16, v2
	s_cmp_lg_u64 vcc, 0
	s_subb_u32 s0, s51, s2
	v_subrev_co_u32_e32 v3, vcc, s33, v2
	s_cmp_lg_u64 vcc, 0
	s_subb_u32 s1, s0, 0
	v_subrev_co_u32_e32 v4, vcc, s33, v3
	s_cmp_lg_u64 vcc, 0
	s_subb_u32 s2, s1, 0
	v_cmp_le_u32_e32 vcc, s33, v3
	s_cmp_eq_u32 s1, 0
	v_cndmask_b32_e64 v5, 0, -1, vcc
	s_cselect_b64 vcc, -1, 0
	v_cndmask_b32_e32 v5, -1, v5, vcc
	v_mov_b32_e32 v6, s1
	v_mov_b32_e32 v7, s2
	v_cmp_ne_u32_e32 vcc, 0, v5
	v_cndmask_b32_e32 v5, v6, v7, vcc
	v_cndmask_b32_e32 v4, v3, v4, vcc
	v_cmp_le_u32_e32 vcc, s33, v2
	s_cmp_eq_u32 s0, 0
	v_cndmask_b32_e64 v3, 0, -1, vcc
	s_cselect_b64 vcc, -1, 0
	v_cndmask_b32_e32 v3, -1, v3, vcc
	v_mov_b32_e32 v6, s0
	v_cmp_ne_u32_e32 vcc, 0, v3
	v_cndmask_b32_e32 v3, v6, v5, vcc
	v_cndmask_b32_e32 v2, v2, v4, vcc
	s_cbranch_execnz .LBB87_175
.LBB87_174:                             ;   in Loop: Header=BB87_35 Depth=1
	v_cvt_f32_u32_e32 v2, s33
	s_sub_i32 s0, 0, s33
	v_rcp_iflag_f32_e32 v2, v2
	v_mul_f32_e32 v2, 0x4f7ffffe, v2
	v_cvt_u32_f32_e32 v2, v2
	v_mul_lo_u32 v3, s0, v2
	v_mul_hi_u32 v3, v2, v3
	v_add_u32_e32 v2, v2, v3
	v_readlane_b32 s0, v48, 21
	v_mul_hi_u32 v2, s0, v2
	v_mul_lo_u32 v2, v2, s33
	v_sub_u32_e32 v2, s0, v2
	v_subrev_u32_e32 v3, s33, v2
	v_cmp_le_u32_e32 vcc, s33, v2
	v_cndmask_b32_e32 v2, v2, v3, vcc
	v_subrev_u32_e32 v3, s33, v2
	v_cmp_le_u32_e32 vcc, s33, v2
	v_cndmask_b32_e32 v10, v2, v3, vcc
	v_pk_mov_b32 v[2:3], v[10:11], v[10:11] op_sel:[0,1]
.LBB87_175:                             ;   in Loop: Header=BB87_35 Depth=1
	v_readlane_b32 s0, v48, 21
	v_mov_b32_e32 v4, s51
	v_sub_co_u32_e32 v2, vcc, s0, v2
	v_subb_co_u32_e32 v3, vcc, v4, v3, vcc
	v_cmp_gt_u64_e32 vcc, v[2:3], v[0:1]
	s_mov_b64 s[2:3], 0
                                        ; implicit-def: $vgpr39
	s_and_saveexec_b64 s[0:1], vcc
	s_cbranch_execz .LBB87_184
; %bb.176:                              ;   in Loop: Header=BB87_35 Depth=1
	v_pk_mov_b32 v[4:5], v[12:13], v[12:13] op_sel:[0,1]
	v_pk_mov_b32 v[6:7], v[0:1], v[0:1] op_sel:[0,1]
                                        ; implicit-def: $sgpr8_sgpr9
	s_branch .LBB87_178
.LBB87_177:                             ;   in Loop: Header=BB87_178 Depth=2
	s_or_b64 exec, exec, s[16:17]
	s_waitcnt lgkmcnt(0)
	s_barrier
	s_waitcnt vmcnt(0)
	ds_read_u16 v8, v11 offset:3072
	v_mov_b32_e32 v9, s76
	v_add_co_u32_e32 v6, vcc, s33, v6
	v_addc_co_u32_e32 v7, vcc, v7, v9, vcc
	s_waitcnt lgkmcnt(0)
	v_cmp_ne_u16_sdwa s[16:17], v8, v1 src0_sel:BYTE_0 src1_sel:DWORD
	v_cmp_ge_u64_e32 vcc, v[6:7], v[2:3]
	s_or_b64 s[18:19], vcc, s[16:17]
	s_and_b64 s[18:19], exec, s[18:19]
	s_or_b64 s[2:3], s[18:19], s[2:3]
	v_mov_b32_e32 v9, s77
	v_add_co_u32_e32 v4, vcc, s48, v4
	s_andn2_b64 s[8:9], s[8:9], exec
	s_and_b64 s[16:17], s[16:17], exec
	v_addc_co_u32_e32 v5, vcc, v5, v9, vcc
	s_or_b64 s[8:9], s[8:9], s[16:17]
	s_barrier
	s_andn2_b64 exec, exec, s[2:3]
	s_cbranch_execz .LBB87_183
.LBB87_178:                             ;   Parent Loop BB87_35 Depth=1
                                        ; =>  This Inner Loop Header: Depth=2
	v_cmp_gt_u64_e32 vcc, s[52:53], v[6:7]
	v_mov_b32_e32 v8, 0
	s_and_saveexec_b64 s[16:17], vcc
	s_cbranch_execz .LBB87_180
; %bb.179:                              ;   in Loop: Header=BB87_178 Depth=2
	global_load_ubyte v8, v[4:5], off
.LBB87_180:                             ;   in Loop: Header=BB87_178 Depth=2
	s_or_b64 exec, exec, s[16:17]
	s_and_saveexec_b64 s[16:17], vcc
	s_cbranch_execz .LBB87_177
; %bb.181:                              ;   in Loop: Header=BB87_178 Depth=2
	s_waitcnt vmcnt(0)
	v_add_u32_sdwa v9, sext(v8), s82 dst_sel:DWORD dst_unused:UNUSED_PAD src0_sel:BYTE_0 src1_sel:DWORD
	v_and_b32_e32 v9, s83, v9
	v_cmp_eq_u32_e32 vcc, s84, v9
	s_and_b64 exec, exec, vcc
	s_cbranch_execz .LBB87_177
; %bb.182:                              ;   in Loop: Header=BB87_178 Depth=2
	v_lshlrev_b16_e32 v8, 8, v8
	v_or_b32_e32 v8, 1, v8
	ds_write_b16 v11, v8 offset:3072
	s_branch .LBB87_177
.LBB87_183:                             ;   in Loop: Header=BB87_35 Depth=1
	s_or_b64 exec, exec, s[2:3]
	v_lshrrev_b16_e32 v39, 8, v8
	s_and_b64 s[2:3], s[8:9], exec
.LBB87_184:                             ;   in Loop: Header=BB87_35 Depth=1
	s_or_b64 exec, exec, s[0:1]
	s_mov_b64 s[20:21], -1
	s_mov_b64 s[18:19], 0
	s_mov_b64 s[16:17], 0
.LBB87_185:                             ;   in Loop: Header=BB87_35 Depth=1
	s_mov_b64 s[0:1], 0
                                        ; implicit-def: $sgpr43
	s_and_saveexec_b64 s[22:23], s[2:3]
	s_cbranch_execz .LBB87_296
; %bb.186:                              ;   in Loop: Header=BB87_35 Depth=1
	s_xor_b64 s[0:1], s[28:29], -1
	s_andn2_b64 vcc, exec, s[0:1]
	s_mov_b32 s43, 1
	s_cbranch_vccnz .LBB87_197
; %bb.187:                              ;   in Loop: Header=BB87_35 Depth=1
	v_pk_mov_b32 v[2:3], s[24:25], s[24:25] op_sel:[0,1]
	v_cmp_gt_u64_e32 vcc, s[46:47], v[2:3]
	s_mov_b64 s[0:1], -1
                                        ; implicit-def: $sgpr43
                                        ; implicit-def: $sgpr2
                                        ; implicit-def: $sgpr3
	s_cbranch_vccnz .LBB87_193
; %bb.188:                              ;   in Loop: Header=BB87_35 Depth=1
	ds_read_b64 v[2:3], v11 offset:5120
	s_waitcnt lgkmcnt(0)
	v_cmp_ne_u64_e32 vcc, 0, v[2:3]
	s_cbranch_vccnz .LBB87_192
; %bb.189:                              ;   in Loop: Header=BB87_35 Depth=1
	s_mov_b64 s[0:1], exec
	v_readlane_b32 s2, v48, 6
	v_readlane_b32 s3, v48, 7
	s_and_b64 s[2:3], s[0:1], s[2:3]
	s_mov_b64 exec, s[2:3]
	s_cbranch_execz .LBB87_191
; %bb.190:                              ;   in Loop: Header=BB87_35 Depth=1
	v_pk_mov_b32 v[2:3], s[24:25], s[24:25] op_sel:[0,1]
	ds_write_b64 v11, v[2:3] offset:5128
.LBB87_191:                             ;   in Loop: Header=BB87_35 Depth=1
	s_or_b64 exec, exec, s[0:1]
	s_waitcnt lgkmcnt(0)
	s_barrier
.LBB87_192:                             ;   in Loop: Header=BB87_35 Depth=1
	s_lshl_b32 s0, 1, s38
	s_and_b32 s1, s84, s39
	s_or_b32 s2, s1, s0
	s_or_b32 s3, s83, s42
	s_mov_b64 s[0:1], 0
	s_mov_b32 s43, 8
.LBB87_193:                             ;   in Loop: Header=BB87_35 Depth=1
	s_andn2_b64 vcc, exec, s[0:1]
	s_cbranch_vccnz .LBB87_195
; %bb.194:                              ;   in Loop: Header=BB87_35 Depth=1
	s_sub_u32 s46, s46, s24
	s_subb_u32 s47, s47, s25
	s_mov_b64 s[0:1], -1
	s_mov_b32 s43, 0
	s_mov_b32 s2, s84
	;; [unrolled: 1-line block ×3, first 2 shown]
.LBB87_195:                             ;   in Loop: Header=BB87_35 Depth=1
	s_mov_b32 s83, s3
	s_mov_b32 s84, s2
	s_andn2_b64 vcc, exec, s[0:1]
	s_mov_b64 s[0:1], -1
	s_cbranch_vccz .LBB87_198
.LBB87_196:                             ;   in Loop: Header=BB87_35 Depth=1
                                        ; implicit-def: $sgpr28_sgpr29
                                        ; implicit-def: $sgpr30_sgpr31
                                        ; implicit-def: $sgpr24_sgpr25
	s_branch .LBB87_295
.LBB87_197:                             ;   in Loop: Header=BB87_35 Depth=1
	s_mov_b64 s[46:47], 1
	s_mov_b64 s[0:1], -1
	s_cbranch_execnz .LBB87_196
.LBB87_198:                             ;   in Loop: Header=BB87_35 Depth=1
	s_cmp_eq_u64 s[14:15], 1
	s_cselect_b64 s[0:1], -1, 0
	s_cmp_eq_u64 s[46:47], 1
	s_cselect_b64 s[2:3], -1, 0
	s_and_b64 s[36:37], s[0:1], s[2:3]
	s_mov_b64 s[2:3], -1
	s_and_b64 vcc, exec, s[36:37]
	s_cbranch_vccz .LBB87_213
; %bb.199:                              ;   in Loop: Header=BB87_35 Depth=1
	ds_read_b64 v[2:3], v11 offset:5120
	s_waitcnt lgkmcnt(0)
	s_barrier
	v_readfirstlane_b32 s0, v2
	v_readfirstlane_b32 s1, v3
	s_mov_b64 s[2:3], exec
	v_readlane_b32 s8, v48, 14
	v_readlane_b32 s9, v48, 15
	s_and_b64 s[8:9], s[2:3], s[8:9]
	s_mov_b64 exec, s[8:9]
	s_cbranch_execz .LBB87_201
; %bb.200:                              ;   in Loop: Header=BB87_35 Depth=1
	ds_write_b8 v0, v1 offset:3072
.LBB87_201:                             ;   in Loop: Header=BB87_35 Depth=1
	s_or_b64 exec, exec, s[2:3]
	s_lshl_b32 s2, 2, s38
	s_and_b32 s3, s84, s39
	s_or_b32 s84, s3, s2
	s_or_b32 s83, s83, s42
	s_cmp_eq_u64 s[0:1], 0
	s_waitcnt lgkmcnt(0)
	s_barrier
	s_cbranch_scc1 .LBB87_216
; %bb.202:                              ;   in Loop: Header=BB87_35 Depth=1
	v_readlane_b32 s2, v48, 20
	s_add_u32 s24, s2, s0
	v_readlane_b32 s2, v48, 22
	s_addc_u32 s3, s2, s1
	s_mov_b32 s2, s75
	s_cmp_lg_u64 s[2:3], 0
	s_cbranch_scc0 .LBB87_261
; %bb.203:                              ;   in Loop: Header=BB87_35 Depth=1
	v_cvt_f32_u32_e32 v2, s33
	s_sub_u32 s2, 0, s33
	s_subb_u32 s8, 0, 0
	v_mac_f32_e32 v2, 0, v38
	v_rcp_f32_e32 v2, v2
	v_mul_f32_e32 v2, 0x5f7ffffc, v2
	v_mul_f32_e32 v3, 0x2f800000, v2
	v_trunc_f32_e32 v3, v3
	v_mac_f32_e32 v2, 0xcf800000, v3
	v_cvt_u32_f32_e32 v3, v3
	v_cvt_u32_f32_e32 v2, v2
	v_readfirstlane_b32 s9, v3
	v_readfirstlane_b32 s25, v2
	s_mul_i32 s26, s2, s9
	s_mul_hi_u32 s28, s2, s25
	s_mul_i32 s27, s8, s25
	s_add_i32 s26, s28, s26
	s_mul_i32 s29, s2, s25
	s_add_i32 s26, s26, s27
	s_mul_hi_u32 s28, s25, s29
	s_mul_hi_u32 s27, s25, s26
	s_mul_i32 s25, s25, s26
	s_add_u32 s25, s28, s25
	s_addc_u32 s27, 0, s27
	s_mul_hi_u32 s30, s9, s29
	s_mul_i32 s29, s9, s29
	s_add_u32 s25, s25, s29
	s_mul_hi_u32 s28, s9, s26
	s_addc_u32 s25, s27, s30
	s_addc_u32 s27, s28, 0
	s_mul_i32 s26, s9, s26
	s_add_u32 s25, s25, s26
	s_addc_u32 s26, 0, s27
	v_add_co_u32_e32 v2, vcc, s25, v2
	s_cmp_lg_u64 vcc, 0
	s_addc_u32 s9, s9, s26
	v_readfirstlane_b32 s26, v2
	s_mul_i32 s25, s2, s9
	s_mul_hi_u32 s27, s2, s26
	s_add_i32 s25, s27, s25
	s_mul_i32 s8, s8, s26
	s_add_i32 s25, s25, s8
	s_mul_i32 s2, s2, s26
	s_mul_hi_u32 s27, s9, s2
	s_mul_i32 s28, s9, s2
	s_mul_i32 s30, s26, s25
	s_mul_hi_u32 s2, s26, s2
	s_mul_hi_u32 s29, s26, s25
	s_add_u32 s2, s2, s30
	s_addc_u32 s26, 0, s29
	s_add_u32 s2, s2, s28
	s_mul_hi_u32 s8, s9, s25
	s_addc_u32 s2, s26, s27
	s_addc_u32 s8, s8, 0
	s_mul_i32 s25, s9, s25
	s_add_u32 s2, s2, s25
	s_addc_u32 s8, 0, s8
	v_add_co_u32_e32 v2, vcc, s2, v2
	s_cmp_lg_u64 vcc, 0
	s_addc_u32 s2, s9, s8
	v_readfirstlane_b32 s25, v2
	s_mul_i32 s9, s24, s2
	s_mul_hi_u32 s26, s24, s25
	s_mul_hi_u32 s8, s24, s2
	s_add_u32 s9, s26, s9
	s_addc_u32 s8, 0, s8
	s_mul_hi_u32 s27, s3, s25
	s_mul_i32 s25, s3, s25
	s_add_u32 s9, s9, s25
	s_mul_hi_u32 s26, s3, s2
	s_addc_u32 s8, s8, s27
	s_addc_u32 s9, s26, 0
	s_mul_i32 s2, s3, s2
	s_add_u32 s2, s8, s2
	s_addc_u32 s8, 0, s9
	s_mul_hi_u32 s9, s33, s2
	s_mul_i32 s2, s33, s2
	s_mul_i32 s8, s33, s8
	v_mov_b32_e32 v2, s2
	s_add_i32 s9, s9, s8
	v_sub_co_u32_e32 v2, vcc, s24, v2
	s_cmp_lg_u64 vcc, 0
	s_subb_u32 s2, s3, s9
	v_subrev_co_u32_e32 v3, vcc, s33, v2
	s_cmp_lg_u64 vcc, 0
	s_subb_u32 s8, s2, 0
	v_subrev_co_u32_e32 v4, vcc, s33, v3
	s_cmp_lg_u64 vcc, 0
	s_subb_u32 s9, s8, 0
	v_cmp_le_u32_e32 vcc, s33, v3
	s_cmp_eq_u32 s8, 0
	v_cndmask_b32_e64 v5, 0, -1, vcc
	s_cselect_b64 vcc, -1, 0
	v_cndmask_b32_e32 v5, -1, v5, vcc
	v_mov_b32_e32 v6, s8
	v_mov_b32_e32 v7, s9
	v_cmp_ne_u32_e32 vcc, 0, v5
	v_cndmask_b32_e32 v5, v6, v7, vcc
	v_cndmask_b32_e32 v4, v3, v4, vcc
	v_cmp_le_u32_e32 vcc, s33, v2
	s_cmp_eq_u32 s2, 0
	v_cndmask_b32_e64 v3, 0, -1, vcc
	s_cselect_b64 vcc, -1, 0
	v_cndmask_b32_e32 v3, -1, v3, vcc
	v_mov_b32_e32 v6, s2
	v_cmp_ne_u32_e32 vcc, 0, v3
	v_cndmask_b32_e32 v3, v6, v5, vcc
	v_cndmask_b32_e32 v2, v2, v4, vcc
	s_cbranch_execnz .LBB87_205
.LBB87_204:                             ;   in Loop: Header=BB87_35 Depth=1
	v_cvt_f32_u32_e32 v2, s33
	s_sub_i32 s2, 0, s33
	v_rcp_iflag_f32_e32 v2, v2
	v_mul_f32_e32 v2, 0x4f7ffffe, v2
	v_cvt_u32_f32_e32 v2, v2
	v_mul_lo_u32 v3, s2, v2
	v_mul_hi_u32 v3, v2, v3
	v_add_u32_e32 v2, v2, v3
	v_mul_hi_u32 v2, s24, v2
	v_mul_lo_u32 v2, v2, s33
	v_sub_u32_e32 v2, s24, v2
	v_subrev_u32_e32 v3, s33, v2
	v_cmp_le_u32_e32 vcc, s33, v2
	v_cndmask_b32_e32 v2, v2, v3, vcc
	v_subrev_u32_e32 v3, s33, v2
	v_cmp_le_u32_e32 vcc, s33, v2
	v_cndmask_b32_e32 v10, v2, v3, vcc
	v_pk_mov_b32 v[2:3], v[10:11], v[10:11] op_sel:[0,1]
.LBB87_205:                             ;   in Loop: Header=BB87_35 Depth=1
	v_mov_b32_e32 v4, s3
	v_sub_co_u32_e32 v2, vcc, s24, v2
	v_subb_co_u32_e32 v3, vcc, v4, v3, vcc
	v_cmp_gt_u64_e32 vcc, v[2:3], v[0:1]
	s_mov_b64 s[2:3], 0
                                        ; implicit-def: $vgpr39
	s_and_saveexec_b64 s[8:9], vcc
	s_cbranch_execz .LBB87_218
; %bb.206:                              ;   in Loop: Header=BB87_35 Depth=1
	v_mov_b32_e32 v6, v0
	v_pk_mov_b32 v[4:5], v[0:1], v[0:1] op_sel:[0,1]
                                        ; implicit-def: $sgpr24_sgpr25
	s_branch .LBB87_208
.LBB87_207:                             ;   in Loop: Header=BB87_208 Depth=2
	s_or_b64 exec, exec, s[26:27]
	s_waitcnt lgkmcnt(0)
	s_barrier
	ds_read_u16 v7, v11 offset:3072
	v_mov_b32_e32 v8, s76
	v_add_co_u32_e32 v4, vcc, s33, v4
	v_addc_co_u32_e32 v5, vcc, v5, v8, vcc
	s_waitcnt lgkmcnt(0)
	v_cmp_ne_u16_sdwa s[26:27], v7, v1 src0_sel:BYTE_0 src1_sel:DWORD
	v_cmp_ge_u64_e32 vcc, v[4:5], v[2:3]
	s_or_b64 s[28:29], vcc, s[26:27]
	s_and_b64 s[28:29], exec, s[28:29]
	s_or_b64 s[2:3], s[28:29], s[2:3]
	s_andn2_b64 s[24:25], s[24:25], exec
	s_and_b64 s[26:27], s[26:27], exec
	v_add_u32_e32 v6, s33, v6
	s_or_b64 s[24:25], s[24:25], s[26:27]
	s_barrier
	s_andn2_b64 exec, exec, s[2:3]
	s_cbranch_execz .LBB87_217
.LBB87_208:                             ;   Parent Loop BB87_35 Depth=1
                                        ; =>  This Inner Loop Header: Depth=2
	v_cmp_gt_u64_e32 vcc, s[0:1], v[4:5]
	v_mov_b32_e32 v7, 0
	s_and_saveexec_b64 s[26:27], vcc
	s_cbranch_execz .LBB87_210
; %bb.209:                              ;   in Loop: Header=BB87_208 Depth=2
	ds_read_u8 v7, v6
.LBB87_210:                             ;   in Loop: Header=BB87_208 Depth=2
	s_or_b64 exec, exec, s[26:27]
	s_and_saveexec_b64 s[26:27], vcc
	s_cbranch_execz .LBB87_207
; %bb.211:                              ;   in Loop: Header=BB87_208 Depth=2
	s_waitcnt lgkmcnt(0)
	v_add_u32_sdwa v8, sext(v7), s82 dst_sel:DWORD dst_unused:UNUSED_PAD src0_sel:BYTE_0 src1_sel:DWORD
	v_and_b32_e32 v8, s83, v8
	v_cmp_eq_u32_e32 vcc, s84, v8
	s_and_b64 exec, exec, vcc
	s_cbranch_execz .LBB87_207
; %bb.212:                              ;   in Loop: Header=BB87_208 Depth=2
	v_lshlrev_b16_e32 v7, 8, v7
	v_or_b32_e32 v7, 1, v7
	ds_write_b16 v11, v7 offset:3072
	s_branch .LBB87_207
.LBB87_213:                             ;   in Loop: Header=BB87_35 Depth=1
                                        ; implicit-def: $sgpr24_sgpr25
                                        ; implicit-def: $sgpr30_sgpr31
                                        ; implicit-def: $sgpr28_sgpr29
	s_branch .LBB87_232
.LBB87_214:                             ;   in Loop: Header=BB87_35 Depth=1
                                        ; implicit-def: $vgpr2_vgpr3
	s_branch .LBB87_154
.LBB87_215:                             ;   in Loop: Header=BB87_35 Depth=1
                                        ; implicit-def: $vgpr2_vgpr3
	s_branch .LBB87_174
.LBB87_216:                             ;   in Loop: Header=BB87_35 Depth=1
	s_mov_b64 s[24:25], -1
	s_mov_b64 s[2:3], 0
                                        ; implicit-def: $sgpr28_sgpr29
                                        ; implicit-def: $vgpr39
	s_mov_b64 s[30:31], s[24:25]
	s_cbranch_execnz .LBB87_219
	s_branch .LBB87_232
.LBB87_217:                             ;   in Loop: Header=BB87_35 Depth=1
	s_or_b64 exec, exec, s[2:3]
	v_lshrrev_b16_e32 v39, 8, v7
	s_and_b64 s[2:3], s[24:25], exec
.LBB87_218:                             ;   in Loop: Header=BB87_35 Depth=1
	s_or_b64 exec, exec, s[8:9]
	s_mov_b64 s[28:29], -1
	s_mov_b64 s[24:25], 0
	s_mov_b64 s[30:31], s[24:25]
	s_branch .LBB87_232
.LBB87_219:                             ;   in Loop: Header=BB87_35 Depth=1
	s_mov_b32 s50, s75
	s_cmp_lg_u64 s[50:51], 0
	s_cbranch_scc0 .LBB87_262
; %bb.220:                              ;   in Loop: Header=BB87_35 Depth=1
	v_cvt_f32_u32_e32 v2, s33
	s_sub_u32 s0, 0, s33
	s_subb_u32 s1, 0, 0
	v_mac_f32_e32 v2, 0, v38
	v_rcp_f32_e32 v2, v2
	v_mul_f32_e32 v2, 0x5f7ffffc, v2
	v_mul_f32_e32 v3, 0x2f800000, v2
	v_trunc_f32_e32 v3, v3
	v_mac_f32_e32 v2, 0xcf800000, v3
	v_cvt_u32_f32_e32 v3, v3
	v_cvt_u32_f32_e32 v2, v2
	v_readfirstlane_b32 s2, v3
	v_readfirstlane_b32 s3, v2
	s_mul_i32 s8, s0, s2
	s_mul_hi_u32 s24, s0, s3
	s_mul_i32 s9, s1, s3
	s_add_i32 s8, s24, s8
	s_mul_i32 s25, s0, s3
	s_add_i32 s8, s8, s9
	s_mul_hi_u32 s24, s3, s25
	s_mul_hi_u32 s9, s3, s8
	s_mul_i32 s3, s3, s8
	s_add_u32 s3, s24, s3
	s_addc_u32 s9, 0, s9
	s_mul_hi_u32 s26, s2, s25
	s_mul_i32 s25, s2, s25
	s_add_u32 s3, s3, s25
	s_mul_hi_u32 s24, s2, s8
	s_addc_u32 s3, s9, s26
	s_addc_u32 s9, s24, 0
	s_mul_i32 s8, s2, s8
	s_add_u32 s3, s3, s8
	s_addc_u32 s8, 0, s9
	v_add_co_u32_e32 v2, vcc, s3, v2
	s_cmp_lg_u64 vcc, 0
	s_addc_u32 s2, s2, s8
	v_readfirstlane_b32 s8, v2
	s_mul_i32 s3, s0, s2
	s_mul_hi_u32 s9, s0, s8
	s_add_i32 s3, s9, s3
	s_mul_i32 s1, s1, s8
	s_add_i32 s3, s3, s1
	s_mul_i32 s0, s0, s8
	s_mul_hi_u32 s9, s2, s0
	s_mul_i32 s24, s2, s0
	s_mul_i32 s26, s8, s3
	s_mul_hi_u32 s0, s8, s0
	s_mul_hi_u32 s25, s8, s3
	s_add_u32 s0, s0, s26
	s_addc_u32 s8, 0, s25
	s_add_u32 s0, s0, s24
	s_mul_hi_u32 s1, s2, s3
	s_addc_u32 s0, s8, s9
	s_addc_u32 s1, s1, 0
	s_mul_i32 s3, s2, s3
	s_add_u32 s0, s0, s3
	s_addc_u32 s1, 0, s1
	v_add_co_u32_e32 v2, vcc, s0, v2
	s_cmp_lg_u64 vcc, 0
	s_addc_u32 s0, s2, s1
	v_readlane_b32 s24, v48, 21
	v_readfirstlane_b32 s3, v2
	s_mul_i32 s2, s24, s0
	s_mul_hi_u32 s8, s24, s3
	s_mul_hi_u32 s1, s24, s0
	s_add_u32 s2, s8, s2
	s_addc_u32 s1, 0, s1
	s_mul_hi_u32 s9, s51, s3
	s_mul_i32 s3, s51, s3
	s_add_u32 s2, s2, s3
	s_mul_hi_u32 s8, s51, s0
	s_addc_u32 s1, s1, s9
	s_addc_u32 s2, s8, 0
	s_mul_i32 s0, s51, s0
	s_add_u32 s0, s1, s0
	s_addc_u32 s1, 0, s2
	s_mul_hi_u32 s2, s33, s0
	s_mul_i32 s0, s33, s0
	s_mul_i32 s1, s33, s1
	v_mov_b32_e32 v2, s0
	s_add_i32 s2, s2, s1
	v_sub_co_u32_e32 v2, vcc, s24, v2
	s_cmp_lg_u64 vcc, 0
	s_subb_u32 s0, s51, s2
	v_subrev_co_u32_e32 v3, vcc, s33, v2
	s_cmp_lg_u64 vcc, 0
	s_subb_u32 s1, s0, 0
	v_subrev_co_u32_e32 v4, vcc, s33, v3
	s_cmp_lg_u64 vcc, 0
	s_subb_u32 s2, s1, 0
	v_cmp_le_u32_e32 vcc, s33, v3
	s_cmp_eq_u32 s1, 0
	v_cndmask_b32_e64 v5, 0, -1, vcc
	s_cselect_b64 vcc, -1, 0
	v_cndmask_b32_e32 v5, -1, v5, vcc
	v_mov_b32_e32 v6, s1
	v_mov_b32_e32 v7, s2
	v_cmp_ne_u32_e32 vcc, 0, v5
	v_cndmask_b32_e32 v5, v6, v7, vcc
	v_cndmask_b32_e32 v4, v3, v4, vcc
	v_cmp_le_u32_e32 vcc, s33, v2
	s_cmp_eq_u32 s0, 0
	v_cndmask_b32_e64 v3, 0, -1, vcc
	s_cselect_b64 vcc, -1, 0
	v_cndmask_b32_e32 v3, -1, v3, vcc
	v_mov_b32_e32 v6, s0
	v_cmp_ne_u32_e32 vcc, 0, v3
	v_cndmask_b32_e32 v3, v6, v5, vcc
	v_cndmask_b32_e32 v2, v2, v4, vcc
	s_cbranch_execnz .LBB87_222
.LBB87_221:                             ;   in Loop: Header=BB87_35 Depth=1
	v_cvt_f32_u32_e32 v2, s33
	s_sub_i32 s0, 0, s33
	v_rcp_iflag_f32_e32 v2, v2
	v_mul_f32_e32 v2, 0x4f7ffffe, v2
	v_cvt_u32_f32_e32 v2, v2
	v_mul_lo_u32 v3, s0, v2
	v_mul_hi_u32 v3, v2, v3
	v_add_u32_e32 v2, v2, v3
	v_readlane_b32 s0, v48, 21
	v_mul_hi_u32 v2, s0, v2
	v_mul_lo_u32 v2, v2, s33
	v_sub_u32_e32 v2, s0, v2
	v_subrev_u32_e32 v3, s33, v2
	v_cmp_le_u32_e32 vcc, s33, v2
	v_cndmask_b32_e32 v2, v2, v3, vcc
	v_subrev_u32_e32 v3, s33, v2
	v_cmp_le_u32_e32 vcc, s33, v2
	v_cndmask_b32_e32 v10, v2, v3, vcc
	v_pk_mov_b32 v[2:3], v[10:11], v[10:11] op_sel:[0,1]
.LBB87_222:                             ;   in Loop: Header=BB87_35 Depth=1
	v_readlane_b32 s0, v48, 21
	v_mov_b32_e32 v4, s51
	v_sub_co_u32_e32 v2, vcc, s0, v2
	v_subb_co_u32_e32 v3, vcc, v4, v3, vcc
	v_cmp_gt_u64_e32 vcc, v[2:3], v[0:1]
	s_mov_b64 s[2:3], 0
                                        ; implicit-def: $vgpr39
	s_and_saveexec_b64 s[0:1], vcc
	s_cbranch_execz .LBB87_231
; %bb.223:                              ;   in Loop: Header=BB87_35 Depth=1
	v_pk_mov_b32 v[4:5], v[12:13], v[12:13] op_sel:[0,1]
	v_pk_mov_b32 v[6:7], v[0:1], v[0:1] op_sel:[0,1]
                                        ; implicit-def: $sgpr8_sgpr9
	s_branch .LBB87_225
.LBB87_224:                             ;   in Loop: Header=BB87_225 Depth=2
	s_or_b64 exec, exec, s[24:25]
	s_waitcnt lgkmcnt(0)
	s_barrier
	s_waitcnt vmcnt(0)
	ds_read_u16 v8, v11 offset:3072
	v_mov_b32_e32 v9, s76
	v_add_co_u32_e32 v6, vcc, s33, v6
	v_addc_co_u32_e32 v7, vcc, v7, v9, vcc
	s_waitcnt lgkmcnt(0)
	v_cmp_ne_u16_sdwa s[24:25], v8, v1 src0_sel:BYTE_0 src1_sel:DWORD
	v_cmp_ge_u64_e32 vcc, v[6:7], v[2:3]
	s_or_b64 s[26:27], vcc, s[24:25]
	s_and_b64 s[26:27], exec, s[26:27]
	s_or_b64 s[2:3], s[26:27], s[2:3]
	v_mov_b32_e32 v9, s77
	v_add_co_u32_e32 v4, vcc, s48, v4
	s_andn2_b64 s[8:9], s[8:9], exec
	s_and_b64 s[24:25], s[24:25], exec
	v_addc_co_u32_e32 v5, vcc, v5, v9, vcc
	s_or_b64 s[8:9], s[8:9], s[24:25]
	s_barrier
	s_andn2_b64 exec, exec, s[2:3]
	s_cbranch_execz .LBB87_230
.LBB87_225:                             ;   Parent Loop BB87_35 Depth=1
                                        ; =>  This Inner Loop Header: Depth=2
	v_cmp_gt_u64_e32 vcc, s[52:53], v[6:7]
	v_mov_b32_e32 v8, 0
	s_and_saveexec_b64 s[24:25], vcc
	s_cbranch_execz .LBB87_227
; %bb.226:                              ;   in Loop: Header=BB87_225 Depth=2
	global_load_ubyte v8, v[4:5], off
.LBB87_227:                             ;   in Loop: Header=BB87_225 Depth=2
	s_or_b64 exec, exec, s[24:25]
	s_and_saveexec_b64 s[24:25], vcc
	s_cbranch_execz .LBB87_224
; %bb.228:                              ;   in Loop: Header=BB87_225 Depth=2
	s_waitcnt vmcnt(0)
	v_add_u32_sdwa v9, sext(v8), s82 dst_sel:DWORD dst_unused:UNUSED_PAD src0_sel:BYTE_0 src1_sel:DWORD
	v_and_b32_e32 v9, s83, v9
	v_cmp_eq_u32_e32 vcc, s84, v9
	s_and_b64 exec, exec, vcc
	s_cbranch_execz .LBB87_224
; %bb.229:                              ;   in Loop: Header=BB87_225 Depth=2
	v_lshlrev_b16_e32 v8, 8, v8
	v_or_b32_e32 v8, 1, v8
	ds_write_b16 v11, v8 offset:3072
	s_branch .LBB87_224
.LBB87_230:                             ;   in Loop: Header=BB87_35 Depth=1
	s_or_b64 exec, exec, s[2:3]
	v_lshrrev_b16_e32 v39, 8, v8
	s_and_b64 s[2:3], s[8:9], exec
.LBB87_231:                             ;   in Loop: Header=BB87_35 Depth=1
	s_or_b64 exec, exec, s[0:1]
	s_mov_b64 s[30:31], -1
	s_mov_b64 s[24:25], 0
	s_mov_b64 s[28:29], 0
.LBB87_232:                             ;   in Loop: Header=BB87_35 Depth=1
	s_mov_b64 s[0:1], 0
                                        ; implicit-def: $sgpr43
	s_and_saveexec_b64 s[34:35], s[2:3]
	s_cbranch_execz .LBB87_294
; %bb.233:                              ;   in Loop: Header=BB87_35 Depth=1
	s_xor_b64 s[0:1], s[36:37], -1
	s_andn2_b64 vcc, exec, s[0:1]
	s_mov_b32 s43, 1
	s_cbranch_vccnz .LBB87_244
; %bb.234:                              ;   in Loop: Header=BB87_35 Depth=1
	v_pk_mov_b32 v[2:3], s[14:15], s[14:15] op_sel:[0,1]
	v_cmp_gt_u64_e32 vcc, s[46:47], v[2:3]
	s_mov_b64 s[0:1], -1
                                        ; implicit-def: $sgpr43
                                        ; implicit-def: $sgpr2
                                        ; implicit-def: $sgpr3
	s_cbranch_vccnz .LBB87_240
; %bb.235:                              ;   in Loop: Header=BB87_35 Depth=1
	ds_read_b64 v[2:3], v11 offset:5120
	s_waitcnt lgkmcnt(0)
	v_cmp_ne_u64_e32 vcc, 0, v[2:3]
	s_cbranch_vccnz .LBB87_239
; %bb.236:                              ;   in Loop: Header=BB87_35 Depth=1
	s_mov_b64 s[0:1], exec
	v_readlane_b32 s2, v48, 6
	v_readlane_b32 s3, v48, 7
	s_and_b64 s[2:3], s[0:1], s[2:3]
	s_mov_b64 exec, s[2:3]
	s_cbranch_execz .LBB87_238
; %bb.237:                              ;   in Loop: Header=BB87_35 Depth=1
	v_pk_mov_b32 v[2:3], s[14:15], s[14:15] op_sel:[0,1]
	ds_write_b64 v11, v[2:3] offset:5128
.LBB87_238:                             ;   in Loop: Header=BB87_35 Depth=1
	s_or_b64 exec, exec, s[0:1]
	s_waitcnt lgkmcnt(0)
	s_barrier
.LBB87_239:                             ;   in Loop: Header=BB87_35 Depth=1
	s_lshl_b32 s0, 2, s38
	s_and_b32 s1, s84, s39
	s_or_b32 s2, s1, s0
	s_or_b32 s3, s83, s42
	s_mov_b64 s[0:1], 0
	s_mov_b32 s43, 8
.LBB87_240:                             ;   in Loop: Header=BB87_35 Depth=1
	s_andn2_b64 vcc, exec, s[0:1]
	s_cbranch_vccnz .LBB87_242
; %bb.241:                              ;   in Loop: Header=BB87_35 Depth=1
	s_sub_u32 s46, s46, s14
	s_subb_u32 s47, s47, s15
	s_mov_b64 s[0:1], -1
	s_mov_b32 s43, 0
	s_mov_b32 s2, s84
	;; [unrolled: 1-line block ×3, first 2 shown]
.LBB87_242:                             ;   in Loop: Header=BB87_35 Depth=1
	s_mov_b32 s83, s3
	s_mov_b32 s84, s2
	s_andn2_b64 vcc, exec, s[0:1]
	s_mov_b64 s[38:39], -1
	s_cbranch_vccz .LBB87_245
.LBB87_243:                             ;   in Loop: Header=BB87_35 Depth=1
                                        ; implicit-def: $sgpr0_sgpr1
                                        ; implicit-def: $sgpr8_sgpr9
                                        ; implicit-def: $sgpr2_sgpr3
	s_branch .LBB87_293
.LBB87_244:                             ;   in Loop: Header=BB87_35 Depth=1
	s_mov_b64 s[46:47], 1
	s_mov_b64 s[38:39], -1
	s_cbranch_execnz .LBB87_243
.LBB87_245:                             ;   in Loop: Header=BB87_35 Depth=1
	s_cmp_eq_u64 s[6:7], 1
	s_cselect_b64 s[0:1], -1, 0
	s_cmp_eq_u64 s[46:47], 1
	s_cselect_b64 s[2:3], -1, 0
	s_and_b64 s[14:15], s[0:1], s[2:3]
	s_mov_b64 s[26:27], -1
	s_and_b64 vcc, exec, s[14:15]
	s_cbranch_vccz .LBB87_260
; %bb.246:                              ;   in Loop: Header=BB87_35 Depth=1
	ds_read_b64 v[2:3], v11 offset:5120
	s_waitcnt lgkmcnt(0)
	s_barrier
	v_readfirstlane_b32 s0, v2
	v_readfirstlane_b32 s1, v3
	s_mov_b64 s[2:3], exec
	v_readlane_b32 s8, v48, 14
	v_readlane_b32 s9, v48, 15
	s_and_b64 s[8:9], s[2:3], s[8:9]
	s_mov_b64 exec, s[8:9]
	s_cbranch_execz .LBB87_248
; %bb.247:                              ;   in Loop: Header=BB87_35 Depth=1
	ds_write_b8 v0, v1 offset:3072
.LBB87_248:                             ;   in Loop: Header=BB87_35 Depth=1
	s_or_b64 exec, exec, s[2:3]
	s_or_b32 s84, s84, s42
	s_or_b32 s83, s83, s42
	s_cmp_eq_u64 s[0:1], 0
	s_waitcnt lgkmcnt(0)
	s_barrier
	s_cbranch_scc1 .LBB87_263
; %bb.249:                              ;   in Loop: Header=BB87_35 Depth=1
	v_readlane_b32 s2, v48, 20
	s_add_u32 s26, s2, s0
	v_readlane_b32 s2, v48, 22
	s_addc_u32 s3, s2, s1
	s_mov_b32 s2, s75
	s_cmp_lg_u64 s[2:3], 0
	s_cbranch_scc0 .LBB87_299
; %bb.250:                              ;   in Loop: Header=BB87_35 Depth=1
	v_cvt_f32_u32_e32 v2, s33
	s_sub_u32 s2, 0, s33
	s_subb_u32 s8, 0, 0
	v_mac_f32_e32 v2, 0, v38
	v_rcp_f32_e32 v2, v2
	v_mul_f32_e32 v2, 0x5f7ffffc, v2
	v_mul_f32_e32 v3, 0x2f800000, v2
	v_trunc_f32_e32 v3, v3
	v_mac_f32_e32 v2, 0xcf800000, v3
	v_cvt_u32_f32_e32 v3, v3
	v_cvt_u32_f32_e32 v2, v2
	v_readfirstlane_b32 s9, v3
	v_readfirstlane_b32 s27, v2
	s_mul_i32 s36, s2, s9
	s_mul_hi_u32 s38, s2, s27
	s_mul_i32 s37, s8, s27
	s_add_i32 s36, s38, s36
	s_mul_i32 s39, s2, s27
	s_add_i32 s36, s36, s37
	s_mul_hi_u32 s38, s27, s39
	s_mul_hi_u32 s37, s27, s36
	s_mul_i32 s27, s27, s36
	s_add_u32 s27, s38, s27
	s_addc_u32 s37, 0, s37
	s_mul_hi_u32 s40, s9, s39
	s_mul_i32 s39, s9, s39
	s_add_u32 s27, s27, s39
	s_mul_hi_u32 s38, s9, s36
	s_addc_u32 s27, s37, s40
	s_addc_u32 s37, s38, 0
	s_mul_i32 s36, s9, s36
	s_add_u32 s27, s27, s36
	s_addc_u32 s36, 0, s37
	v_add_co_u32_e32 v2, vcc, s27, v2
	s_cmp_lg_u64 vcc, 0
	s_addc_u32 s9, s9, s36
	v_readfirstlane_b32 s36, v2
	s_mul_i32 s27, s2, s9
	s_mul_hi_u32 s37, s2, s36
	s_add_i32 s27, s37, s27
	s_mul_i32 s8, s8, s36
	s_add_i32 s27, s27, s8
	s_mul_i32 s2, s2, s36
	s_mul_hi_u32 s37, s9, s2
	s_mul_i32 s38, s9, s2
	s_mul_i32 s40, s36, s27
	s_mul_hi_u32 s2, s36, s2
	s_mul_hi_u32 s39, s36, s27
	s_add_u32 s2, s2, s40
	s_addc_u32 s36, 0, s39
	s_add_u32 s2, s2, s38
	s_mul_hi_u32 s8, s9, s27
	s_addc_u32 s2, s36, s37
	s_addc_u32 s8, s8, 0
	s_mul_i32 s27, s9, s27
	s_add_u32 s2, s2, s27
	s_addc_u32 s8, 0, s8
	v_add_co_u32_e32 v2, vcc, s2, v2
	s_cmp_lg_u64 vcc, 0
	s_addc_u32 s2, s9, s8
	v_readfirstlane_b32 s27, v2
	s_mul_i32 s9, s26, s2
	s_mul_hi_u32 s36, s26, s27
	s_mul_hi_u32 s8, s26, s2
	s_add_u32 s9, s36, s9
	s_addc_u32 s8, 0, s8
	s_mul_hi_u32 s37, s3, s27
	s_mul_i32 s27, s3, s27
	s_add_u32 s9, s9, s27
	s_mul_hi_u32 s36, s3, s2
	s_addc_u32 s8, s8, s37
	s_addc_u32 s9, s36, 0
	s_mul_i32 s2, s3, s2
	s_add_u32 s2, s8, s2
	s_addc_u32 s8, 0, s9
	s_mul_hi_u32 s9, s33, s2
	s_mul_i32 s2, s33, s2
	s_mul_i32 s8, s33, s8
	v_mov_b32_e32 v2, s2
	s_add_i32 s9, s9, s8
	v_sub_co_u32_e32 v2, vcc, s26, v2
	s_cmp_lg_u64 vcc, 0
	s_subb_u32 s2, s3, s9
	v_subrev_co_u32_e32 v3, vcc, s33, v2
	s_cmp_lg_u64 vcc, 0
	s_subb_u32 s8, s2, 0
	v_subrev_co_u32_e32 v4, vcc, s33, v3
	s_cmp_lg_u64 vcc, 0
	s_subb_u32 s9, s8, 0
	v_cmp_le_u32_e32 vcc, s33, v3
	s_cmp_eq_u32 s8, 0
	v_cndmask_b32_e64 v5, 0, -1, vcc
	s_cselect_b64 vcc, -1, 0
	v_cndmask_b32_e32 v5, -1, v5, vcc
	v_mov_b32_e32 v6, s8
	v_mov_b32_e32 v7, s9
	v_cmp_ne_u32_e32 vcc, 0, v5
	v_cndmask_b32_e32 v5, v6, v7, vcc
	v_cndmask_b32_e32 v4, v3, v4, vcc
	v_cmp_le_u32_e32 vcc, s33, v2
	s_cmp_eq_u32 s2, 0
	v_cndmask_b32_e64 v3, 0, -1, vcc
	s_cselect_b64 vcc, -1, 0
	v_cndmask_b32_e32 v3, -1, v3, vcc
	v_mov_b32_e32 v6, s2
	v_cmp_ne_u32_e32 vcc, 0, v3
	v_cndmask_b32_e32 v3, v6, v5, vcc
	v_cndmask_b32_e32 v2, v2, v4, vcc
	s_cbranch_execnz .LBB87_252
.LBB87_251:                             ;   in Loop: Header=BB87_35 Depth=1
	v_cvt_f32_u32_e32 v2, s33
	s_sub_i32 s2, 0, s33
	v_rcp_iflag_f32_e32 v2, v2
	v_mul_f32_e32 v2, 0x4f7ffffe, v2
	v_cvt_u32_f32_e32 v2, v2
	v_mul_lo_u32 v3, s2, v2
	v_mul_hi_u32 v3, v2, v3
	v_add_u32_e32 v2, v2, v3
	v_mul_hi_u32 v2, s26, v2
	v_mul_lo_u32 v2, v2, s33
	v_sub_u32_e32 v2, s26, v2
	v_subrev_u32_e32 v3, s33, v2
	v_cmp_le_u32_e32 vcc, s33, v2
	v_cndmask_b32_e32 v2, v2, v3, vcc
	v_subrev_u32_e32 v3, s33, v2
	v_cmp_le_u32_e32 vcc, s33, v2
	v_cndmask_b32_e32 v10, v2, v3, vcc
	v_pk_mov_b32 v[2:3], v[10:11], v[10:11] op_sel:[0,1]
.LBB87_252:                             ;   in Loop: Header=BB87_35 Depth=1
	v_mov_b32_e32 v4, s3
	v_sub_co_u32_e32 v2, vcc, s26, v2
	v_subb_co_u32_e32 v3, vcc, v4, v3, vcc
	v_cmp_gt_u64_e32 vcc, v[2:3], v[0:1]
	s_mov_b64 s[26:27], 0
                                        ; implicit-def: $vgpr39
	s_and_saveexec_b64 s[2:3], vcc
	s_cbranch_execz .LBB87_265
; %bb.253:                              ;   in Loop: Header=BB87_35 Depth=1
	s_mov_b64 s[8:9], 0
	v_mov_b32_e32 v6, v0
	v_pk_mov_b32 v[4:5], v[0:1], v[0:1] op_sel:[0,1]
                                        ; implicit-def: $sgpr26_sgpr27
	s_branch .LBB87_255
.LBB87_254:                             ;   in Loop: Header=BB87_255 Depth=2
	s_or_b64 exec, exec, s[36:37]
	s_waitcnt lgkmcnt(0)
	s_barrier
	ds_read_u16 v7, v11 offset:3072
	v_mov_b32_e32 v8, s76
	v_add_co_u32_e32 v4, vcc, s33, v4
	v_addc_co_u32_e32 v5, vcc, v5, v8, vcc
	s_waitcnt lgkmcnt(0)
	v_cmp_ne_u16_sdwa s[36:37], v7, v1 src0_sel:BYTE_0 src1_sel:DWORD
	v_cmp_ge_u64_e32 vcc, v[4:5], v[2:3]
	s_or_b64 s[38:39], vcc, s[36:37]
	s_and_b64 s[38:39], exec, s[38:39]
	s_or_b64 s[8:9], s[38:39], s[8:9]
	s_andn2_b64 s[26:27], s[26:27], exec
	s_and_b64 s[36:37], s[36:37], exec
	v_add_u32_e32 v6, s33, v6
	s_or_b64 s[26:27], s[26:27], s[36:37]
	s_barrier
	s_andn2_b64 exec, exec, s[8:9]
	s_cbranch_execz .LBB87_264
.LBB87_255:                             ;   Parent Loop BB87_35 Depth=1
                                        ; =>  This Inner Loop Header: Depth=2
	v_cmp_gt_u64_e32 vcc, s[0:1], v[4:5]
	v_mov_b32_e32 v7, 0
	s_and_saveexec_b64 s[36:37], vcc
	s_cbranch_execz .LBB87_257
; %bb.256:                              ;   in Loop: Header=BB87_255 Depth=2
	ds_read_u8 v7, v6
.LBB87_257:                             ;   in Loop: Header=BB87_255 Depth=2
	s_or_b64 exec, exec, s[36:37]
	s_and_saveexec_b64 s[36:37], vcc
	s_cbranch_execz .LBB87_254
; %bb.258:                              ;   in Loop: Header=BB87_255 Depth=2
	s_waitcnt lgkmcnt(0)
	v_add_u32_sdwa v8, sext(v7), s82 dst_sel:DWORD dst_unused:UNUSED_PAD src0_sel:BYTE_0 src1_sel:DWORD
	v_and_b32_e32 v8, s83, v8
	v_cmp_eq_u32_e32 vcc, s84, v8
	s_and_b64 exec, exec, vcc
	s_cbranch_execz .LBB87_254
; %bb.259:                              ;   in Loop: Header=BB87_255 Depth=2
	v_lshlrev_b16_e32 v7, 8, v7
	v_or_b32_e32 v7, 1, v7
	ds_write_b16 v11, v7 offset:3072
	s_branch .LBB87_254
.LBB87_260:                             ;   in Loop: Header=BB87_35 Depth=1
                                        ; implicit-def: $sgpr0_sgpr1
                                        ; implicit-def: $sgpr8_sgpr9
                                        ; implicit-def: $sgpr2_sgpr3
	s_branch .LBB87_279
.LBB87_261:                             ;   in Loop: Header=BB87_35 Depth=1
                                        ; implicit-def: $vgpr2_vgpr3
	s_branch .LBB87_204
.LBB87_262:                             ;   in Loop: Header=BB87_35 Depth=1
                                        ; implicit-def: $vgpr2_vgpr3
	s_branch .LBB87_221
.LBB87_263:                             ;   in Loop: Header=BB87_35 Depth=1
	s_mov_b64 s[0:1], -1
	s_mov_b64 s[26:27], 0
                                        ; implicit-def: $sgpr2_sgpr3
                                        ; implicit-def: $vgpr39
	s_mov_b64 s[8:9], s[0:1]
	s_cbranch_execnz .LBB87_266
	s_branch .LBB87_279
.LBB87_264:                             ;   in Loop: Header=BB87_35 Depth=1
	s_or_b64 exec, exec, s[8:9]
	v_lshrrev_b16_e32 v39, 8, v7
	s_and_b64 s[26:27], s[26:27], exec
.LBB87_265:                             ;   in Loop: Header=BB87_35 Depth=1
	s_or_b64 exec, exec, s[2:3]
	s_mov_b64 s[2:3], -1
	s_mov_b64 s[0:1], 0
	s_mov_b64 s[8:9], s[0:1]
	s_branch .LBB87_279
.LBB87_266:                             ;   in Loop: Header=BB87_35 Depth=1
	s_mov_b32 s50, s75
	s_cmp_lg_u64 s[50:51], 0
	s_cbranch_scc0 .LBB87_300
; %bb.267:                              ;   in Loop: Header=BB87_35 Depth=1
	v_cvt_f32_u32_e32 v2, s33
	s_sub_u32 s0, 0, s33
	s_subb_u32 s1, 0, 0
	v_mac_f32_e32 v2, 0, v38
	v_rcp_f32_e32 v2, v2
	v_mul_f32_e32 v2, 0x5f7ffffc, v2
	v_mul_f32_e32 v3, 0x2f800000, v2
	v_trunc_f32_e32 v3, v3
	v_mac_f32_e32 v2, 0xcf800000, v3
	v_cvt_u32_f32_e32 v3, v3
	v_cvt_u32_f32_e32 v2, v2
	v_readfirstlane_b32 s2, v3
	v_readfirstlane_b32 s3, v2
	s_mul_i32 s8, s0, s2
	s_mul_hi_u32 s26, s0, s3
	s_mul_i32 s9, s1, s3
	s_add_i32 s8, s26, s8
	s_mul_i32 s27, s0, s3
	s_add_i32 s8, s8, s9
	s_mul_hi_u32 s26, s3, s27
	s_mul_hi_u32 s9, s3, s8
	s_mul_i32 s3, s3, s8
	s_add_u32 s3, s26, s3
	s_addc_u32 s9, 0, s9
	s_mul_hi_u32 s36, s2, s27
	s_mul_i32 s27, s2, s27
	s_add_u32 s3, s3, s27
	s_mul_hi_u32 s26, s2, s8
	s_addc_u32 s3, s9, s36
	s_addc_u32 s9, s26, 0
	s_mul_i32 s8, s2, s8
	s_add_u32 s3, s3, s8
	s_addc_u32 s8, 0, s9
	v_add_co_u32_e32 v2, vcc, s3, v2
	s_cmp_lg_u64 vcc, 0
	s_addc_u32 s2, s2, s8
	v_readfirstlane_b32 s8, v2
	s_mul_i32 s3, s0, s2
	s_mul_hi_u32 s9, s0, s8
	s_add_i32 s3, s9, s3
	s_mul_i32 s1, s1, s8
	s_add_i32 s3, s3, s1
	s_mul_i32 s0, s0, s8
	s_mul_hi_u32 s9, s2, s0
	s_mul_i32 s26, s2, s0
	s_mul_i32 s36, s8, s3
	s_mul_hi_u32 s0, s8, s0
	s_mul_hi_u32 s27, s8, s3
	s_add_u32 s0, s0, s36
	s_addc_u32 s8, 0, s27
	s_add_u32 s0, s0, s26
	s_mul_hi_u32 s1, s2, s3
	s_addc_u32 s0, s8, s9
	s_addc_u32 s1, s1, 0
	s_mul_i32 s3, s2, s3
	s_add_u32 s0, s0, s3
	s_addc_u32 s1, 0, s1
	v_add_co_u32_e32 v2, vcc, s0, v2
	s_cmp_lg_u64 vcc, 0
	s_addc_u32 s0, s2, s1
	v_readlane_b32 s26, v48, 21
	v_readfirstlane_b32 s3, v2
	s_mul_i32 s2, s26, s0
	s_mul_hi_u32 s8, s26, s3
	s_mul_hi_u32 s1, s26, s0
	s_add_u32 s2, s8, s2
	s_addc_u32 s1, 0, s1
	s_mul_hi_u32 s9, s51, s3
	s_mul_i32 s3, s51, s3
	s_add_u32 s2, s2, s3
	s_mul_hi_u32 s8, s51, s0
	s_addc_u32 s1, s1, s9
	s_addc_u32 s2, s8, 0
	s_mul_i32 s0, s51, s0
	s_add_u32 s0, s1, s0
	s_addc_u32 s1, 0, s2
	s_mul_hi_u32 s2, s33, s0
	s_mul_i32 s0, s33, s0
	s_mul_i32 s1, s33, s1
	v_mov_b32_e32 v2, s0
	s_add_i32 s2, s2, s1
	v_sub_co_u32_e32 v2, vcc, s26, v2
	s_cmp_lg_u64 vcc, 0
	s_subb_u32 s0, s51, s2
	v_subrev_co_u32_e32 v3, vcc, s33, v2
	s_cmp_lg_u64 vcc, 0
	s_subb_u32 s1, s0, 0
	v_subrev_co_u32_e32 v4, vcc, s33, v3
	s_cmp_lg_u64 vcc, 0
	s_subb_u32 s2, s1, 0
	v_cmp_le_u32_e32 vcc, s33, v3
	s_cmp_eq_u32 s1, 0
	v_cndmask_b32_e64 v5, 0, -1, vcc
	s_cselect_b64 vcc, -1, 0
	v_cndmask_b32_e32 v5, -1, v5, vcc
	v_mov_b32_e32 v6, s1
	v_mov_b32_e32 v7, s2
	v_cmp_ne_u32_e32 vcc, 0, v5
	v_cndmask_b32_e32 v5, v6, v7, vcc
	v_cndmask_b32_e32 v4, v3, v4, vcc
	v_cmp_le_u32_e32 vcc, s33, v2
	s_cmp_eq_u32 s0, 0
	v_cndmask_b32_e64 v3, 0, -1, vcc
	s_cselect_b64 vcc, -1, 0
	v_cndmask_b32_e32 v3, -1, v3, vcc
	v_mov_b32_e32 v6, s0
	v_cmp_ne_u32_e32 vcc, 0, v3
	v_cndmask_b32_e32 v3, v6, v5, vcc
	v_cndmask_b32_e32 v2, v2, v4, vcc
	s_cbranch_execnz .LBB87_269
.LBB87_268:                             ;   in Loop: Header=BB87_35 Depth=1
	v_cvt_f32_u32_e32 v2, s33
	s_sub_i32 s0, 0, s33
	v_rcp_iflag_f32_e32 v2, v2
	v_mul_f32_e32 v2, 0x4f7ffffe, v2
	v_cvt_u32_f32_e32 v2, v2
	v_mul_lo_u32 v3, s0, v2
	v_mul_hi_u32 v3, v2, v3
	v_add_u32_e32 v2, v2, v3
	v_readlane_b32 s0, v48, 21
	v_mul_hi_u32 v2, s0, v2
	v_mul_lo_u32 v2, v2, s33
	v_sub_u32_e32 v2, s0, v2
	v_subrev_u32_e32 v3, s33, v2
	v_cmp_le_u32_e32 vcc, s33, v2
	v_cndmask_b32_e32 v2, v2, v3, vcc
	v_subrev_u32_e32 v3, s33, v2
	v_cmp_le_u32_e32 vcc, s33, v2
	v_cndmask_b32_e32 v10, v2, v3, vcc
	v_pk_mov_b32 v[2:3], v[10:11], v[10:11] op_sel:[0,1]
.LBB87_269:                             ;   in Loop: Header=BB87_35 Depth=1
	v_readlane_b32 s0, v48, 21
	v_mov_b32_e32 v4, s51
	v_sub_co_u32_e32 v2, vcc, s0, v2
	v_subb_co_u32_e32 v3, vcc, v4, v3, vcc
	v_cmp_gt_u64_e32 vcc, v[2:3], v[0:1]
	s_mov_b64 s[26:27], 0
                                        ; implicit-def: $vgpr39
	s_and_saveexec_b64 s[0:1], vcc
	s_cbranch_execz .LBB87_278
; %bb.270:                              ;   in Loop: Header=BB87_35 Depth=1
	s_mov_b64 s[2:3], 0
	v_pk_mov_b32 v[4:5], v[12:13], v[12:13] op_sel:[0,1]
	v_pk_mov_b32 v[6:7], v[0:1], v[0:1] op_sel:[0,1]
                                        ; implicit-def: $sgpr8_sgpr9
	s_branch .LBB87_272
.LBB87_271:                             ;   in Loop: Header=BB87_272 Depth=2
	s_or_b64 exec, exec, s[26:27]
	s_waitcnt lgkmcnt(0)
	s_barrier
	s_waitcnt vmcnt(0)
	ds_read_u16 v8, v11 offset:3072
	v_mov_b32_e32 v9, s76
	v_add_co_u32_e32 v6, vcc, s33, v6
	v_addc_co_u32_e32 v7, vcc, v7, v9, vcc
	s_waitcnt lgkmcnt(0)
	v_cmp_ne_u16_sdwa s[26:27], v8, v1 src0_sel:BYTE_0 src1_sel:DWORD
	v_cmp_ge_u64_e32 vcc, v[6:7], v[2:3]
	s_or_b64 s[36:37], vcc, s[26:27]
	s_and_b64 s[36:37], exec, s[36:37]
	s_or_b64 s[2:3], s[36:37], s[2:3]
	v_mov_b32_e32 v9, s77
	v_add_co_u32_e32 v4, vcc, s48, v4
	s_andn2_b64 s[8:9], s[8:9], exec
	s_and_b64 s[26:27], s[26:27], exec
	v_addc_co_u32_e32 v5, vcc, v5, v9, vcc
	s_or_b64 s[8:9], s[8:9], s[26:27]
	s_barrier
	s_andn2_b64 exec, exec, s[2:3]
	s_cbranch_execz .LBB87_277
.LBB87_272:                             ;   Parent Loop BB87_35 Depth=1
                                        ; =>  This Inner Loop Header: Depth=2
	v_cmp_gt_u64_e32 vcc, s[52:53], v[6:7]
	v_mov_b32_e32 v8, 0
	s_and_saveexec_b64 s[26:27], vcc
	s_cbranch_execz .LBB87_274
; %bb.273:                              ;   in Loop: Header=BB87_272 Depth=2
	global_load_ubyte v8, v[4:5], off
.LBB87_274:                             ;   in Loop: Header=BB87_272 Depth=2
	s_or_b64 exec, exec, s[26:27]
	s_and_saveexec_b64 s[26:27], vcc
	s_cbranch_execz .LBB87_271
; %bb.275:                              ;   in Loop: Header=BB87_272 Depth=2
	s_waitcnt vmcnt(0)
	v_add_u32_sdwa v9, sext(v8), s82 dst_sel:DWORD dst_unused:UNUSED_PAD src0_sel:BYTE_0 src1_sel:DWORD
	v_and_b32_e32 v9, s83, v9
	v_cmp_eq_u32_e32 vcc, s84, v9
	s_and_b64 exec, exec, vcc
	s_cbranch_execz .LBB87_271
; %bb.276:                              ;   in Loop: Header=BB87_272 Depth=2
	v_lshlrev_b16_e32 v8, 8, v8
	v_or_b32_e32 v8, 1, v8
	ds_write_b16 v11, v8 offset:3072
	s_branch .LBB87_271
.LBB87_277:                             ;   in Loop: Header=BB87_35 Depth=1
	s_or_b64 exec, exec, s[2:3]
	v_lshrrev_b16_e32 v39, 8, v8
	s_and_b64 s[26:27], s[8:9], exec
.LBB87_278:                             ;   in Loop: Header=BB87_35 Depth=1
	s_or_b64 exec, exec, s[0:1]
	s_mov_b64 s[8:9], -1
	s_mov_b64 s[0:1], 0
	s_mov_b64 s[2:3], 0
.LBB87_279:                             ;   in Loop: Header=BB87_35 Depth=1
	s_mov_b64 s[38:39], 0
                                        ; implicit-def: $sgpr43
                                        ; implicit-def: $sgpr40_sgpr41
	s_and_saveexec_b64 s[36:37], s[26:27]
	s_cbranch_execz .LBB87_292
; %bb.280:                              ;   in Loop: Header=BB87_35 Depth=1
	s_xor_b64 s[14:15], s[14:15], -1
	s_mov_b64 s[40:41], 1
	s_andn2_b64 vcc, exec, s[14:15]
	s_mov_b32 s43, 1
	s_cbranch_vccnz .LBB87_291
; %bb.281:                              ;   in Loop: Header=BB87_35 Depth=1
	v_pk_mov_b32 v[2:3], s[6:7], s[6:7] op_sel:[0,1]
	v_cmp_gt_u64_e32 vcc, s[46:47], v[2:3]
	s_cbranch_vccnz .LBB87_287
; %bb.282:                              ;   in Loop: Header=BB87_35 Depth=1
	ds_read_b64 v[2:3], v11 offset:5120
	s_waitcnt lgkmcnt(0)
	v_cmp_ne_u64_e32 vcc, 0, v[2:3]
	s_cbranch_vccnz .LBB87_286
; %bb.283:                              ;   in Loop: Header=BB87_35 Depth=1
	s_mov_b64 s[14:15], exec
	v_readlane_b32 s26, v48, 6
	v_readlane_b32 s27, v48, 7
	s_and_b64 s[26:27], s[14:15], s[26:27]
	s_mov_b64 exec, s[26:27]
	s_cbranch_execz .LBB87_285
; %bb.284:                              ;   in Loop: Header=BB87_35 Depth=1
	v_pk_mov_b32 v[2:3], s[6:7], s[6:7] op_sel:[0,1]
	ds_write_b64 v11, v[2:3] offset:5128
.LBB87_285:                             ;   in Loop: Header=BB87_35 Depth=1
	s_or_b64 exec, exec, s[14:15]
	s_waitcnt lgkmcnt(0)
	s_barrier
.LBB87_286:                             ;   in Loop: Header=BB87_35 Depth=1
	s_or_b32 s26, s84, s42
	s_or_b32 s27, s83, s42
	s_mov_b64 s[14:15], 0
	s_mov_b32 s43, 8
	s_branch .LBB87_288
.LBB87_287:                             ;   in Loop: Header=BB87_35 Depth=1
	s_mov_b64 s[14:15], -1
                                        ; implicit-def: $sgpr43
                                        ; implicit-def: $sgpr26
                                        ; implicit-def: $sgpr27
.LBB87_288:                             ;   in Loop: Header=BB87_35 Depth=1
	s_andn2_b64 vcc, exec, s[14:15]
	s_cbranch_vccnz .LBB87_290
; %bb.289:                              ;   in Loop: Header=BB87_35 Depth=1
	s_sub_u32 s46, s46, s6
	s_subb_u32 s47, s47, s7
	s_mov_b32 s43, 8
	s_mov_b32 s26, s84
	;; [unrolled: 1-line block ×3, first 2 shown]
.LBB87_290:                             ;   in Loop: Header=BB87_35 Depth=1
	s_mov_b64 s[40:41], s[46:47]
	s_mov_b32 s84, s26
	s_mov_b32 s83, s27
.LBB87_291:                             ;   in Loop: Header=BB87_35 Depth=1
	s_mov_b64 s[38:39], exec
.LBB87_292:                             ;   in Loop: Header=BB87_35 Depth=1
	s_or_b64 exec, exec, s[36:37]
	s_mov_b64 s[46:47], s[40:41]
.LBB87_293:                             ;   in Loop: Header=BB87_35 Depth=1
	s_andn2_b64 s[6:7], s[24:25], exec
	s_and_b64 s[0:1], s[0:1], exec
	s_or_b64 s[24:25], s[6:7], s[0:1]
	s_andn2_b64 s[0:1], s[30:31], exec
	s_and_b64 s[6:7], s[8:9], exec
	s_or_b64 s[30:31], s[0:1], s[6:7]
	;; [unrolled: 3-line block ×3, first 2 shown]
	s_and_b64 s[0:1], s[38:39], exec
.LBB87_294:                             ;   in Loop: Header=BB87_35 Depth=1
	s_or_b64 exec, exec, s[34:35]
.LBB87_295:                             ;   in Loop: Header=BB87_35 Depth=1
	s_andn2_b64 s[2:3], s[18:19], exec
	s_and_b64 s[6:7], s[24:25], exec
	s_or_b64 s[18:19], s[2:3], s[6:7]
	s_andn2_b64 s[2:3], s[20:21], exec
	s_and_b64 s[6:7], s[30:31], exec
	s_or_b64 s[20:21], s[2:3], s[6:7]
	s_andn2_b64 s[2:3], s[16:17], exec
	s_and_b64 s[6:7], s[28:29], exec
	s_or_b64 s[16:17], s[2:3], s[6:7]
	s_and_b64 s[0:1], s[0:1], exec
.LBB87_296:                             ;   in Loop: Header=BB87_35 Depth=1
	s_or_b64 exec, exec, s[22:23]
	s_and_saveexec_b64 s[2:3], s[0:1]
	s_xor_b64 s[0:1], exec, s[2:3]
	s_cbranch_execz .LBB87_33
.LBB87_297:                             ;   in Loop: Header=BB87_35 Depth=1
	s_and_b32 s2, s43, -9
	s_cmp_eq_u32 s2, 0
	s_cbranch_scc1 .LBB87_31
; %bb.298:                              ;   in Loop: Header=BB87_35 Depth=1
	s_mov_b64 s[2:3], -1
                                        ; implicit-def: $sgpr83
                                        ; implicit-def: $sgpr46_sgpr47
                                        ; implicit-def: $sgpr49
                                        ; implicit-def: $sgpr65
	s_mov_b64 s[6:7], -1
	s_branch .LBB87_32
.LBB87_299:                             ;   in Loop: Header=BB87_35 Depth=1
                                        ; implicit-def: $vgpr2_vgpr3
	s_branch .LBB87_251
.LBB87_300:                             ;   in Loop: Header=BB87_35 Depth=1
                                        ; implicit-def: $vgpr2_vgpr3
	s_branch .LBB87_268
.LBB87_301:
	s_or_b64 exec, exec, s[94:95]
	s_xor_b64 s[6:7], s[62:63], -1
	s_xor_b64 s[0:1], s[66:67], -1
	s_xor_b64 s[4:5], s[70:71], -1
	s_mov_b64 s[2:3], 0
	s_and_saveexec_b64 s[8:9], s[0:1]
	s_xor_b64 s[0:1], exec, s[8:9]
	s_cbranch_execnz .LBB87_306
; %bb.302:
	s_andn2_saveexec_b64 s[0:1], s[0:1]
	s_cbranch_execnz .LBB87_319
.LBB87_303:
	s_or_b64 exec, exec, s[0:1]
	s_and_saveexec_b64 s[0:1], s[2:3]
.LBB87_304:
	; divergent unreachable
.LBB87_305:
	s_endpgm
.LBB87_306:
	s_and_saveexec_b64 s[2:3], s[6:7]
	s_xor_b64 s[2:3], exec, s[2:3]
	s_cbranch_execz .LBB87_317
; %bb.307:
	s_and_saveexec_b64 s[6:7], s[4:5]
	s_xor_b64 s[4:5], exec, s[6:7]
; %bb.308:
	v_xor_b32_e32 v39, 0xffffff80, v2
; %bb.309:
	s_or_b64 exec, exec, s[4:5]
	v_readlane_b32 s8, v48, 0
	v_readlane_b32 s6, v48, 2
	;; [unrolled: 1-line block ×4, first 2 shown]
	s_mul_i32 s4, s6, s9
	s_mul_hi_u32 s5, s6, s8
	s_add_i32 s4, s5, s4
	s_mul_i32 s5, s7, s8
	s_add_i32 s4, s4, s5
	s_mul_i32 s5, s6, s8
	v_readlane_b32 s6, v48, 8
	v_readlane_b32 s7, v48, 9
	s_add_u32 s5, s6, s5
	s_addc_u32 s6, s7, s4
	s_add_u32 s4, s5, s54
	s_addc_u32 s5, s6, s55
	v_mov_b32_e32 v2, 0
	global_store_byte v2, v39, s[4:5]
	s_mov_b64 s[4:5], exec
	v_readlane_b32 s6, v48, 12
	v_readlane_b32 s7, v48, 13
	s_and_b64 s[6:7], s[4:5], s[6:7]
	s_mov_b64 exec, s[6:7]
	s_cbranch_execz .LBB87_316
; %bb.310:
	s_mov_b64 s[6:7], 0
                                        ; implicit-def: $sgpr8_sgpr9
                                        ; implicit-def: $sgpr12_sgpr13
                                        ; implicit-def: $sgpr10_sgpr11
	s_branch .LBB87_312
.LBB87_311:                             ;   in Loop: Header=BB87_312 Depth=1
	s_or_b64 exec, exec, s[14:15]
	s_and_b64 s[14:15], exec, s[12:13]
	s_or_b64 s[6:7], s[14:15], s[6:7]
	s_andn2_b64 s[8:9], s[8:9], exec
	s_and_b64 s[14:15], s[10:11], exec
	s_or_b64 s[8:9], s[8:9], s[14:15]
	s_andn2_b64 exec, exec, s[6:7]
	s_cbranch_execz .LBB87_314
.LBB87_312:                             ; =>This Inner Loop Header: Depth=1
	global_load_ubyte v4, v[12:13], off
	v_pk_mov_b32 v[2:3], v[0:1], v[0:1] op_sel:[0,1]
	s_or_b64 s[10:11], s[10:11], exec
	s_or_b64 s[12:13], s[12:13], exec
                                        ; implicit-def: $vgpr0_vgpr1
	s_waitcnt vmcnt(0)
	v_cmp_ne_u16_sdwa s[16:17], v4, v39 src0_sel:DWORD src1_sel:BYTE_0
	s_and_saveexec_b64 s[14:15], s[16:17]
	s_cbranch_execz .LBB87_311
; %bb.313:                              ;   in Loop: Header=BB87_312 Depth=1
	v_mov_b32_e32 v1, s76
	v_add_co_u32_e32 v0, vcc, s33, v2
	v_addc_co_u32_e32 v1, vcc, v3, v1, vcc
	v_mov_b32_e32 v4, s77
	v_add_co_u32_e32 v12, vcc, s48, v12
	v_addc_co_u32_e32 v13, vcc, v13, v4, vcc
	v_cmp_le_u64_e32 vcc, s[52:53], v[0:1]
	s_andn2_b64 s[12:13], s[12:13], exec
	s_and_b64 s[16:17], vcc, exec
	s_andn2_b64 s[10:11], s[10:11], exec
	s_or_b64 s[12:13], s[12:13], s[16:17]
	s_branch .LBB87_311
.LBB87_314:
	s_or_b64 exec, exec, s[6:7]
	s_and_saveexec_b64 s[6:7], s[8:9]
	s_xor_b64 s[6:7], exec, s[6:7]
	s_cbranch_execz .LBB87_316
; %bb.315:
	v_readlane_b32 s8, v48, 4
	v_readlane_b32 s9, v48, 5
	s_mul_i32 s6, s8, s61
	s_mul_hi_u32 s7, s8, s60
	s_add_i32 s6, s7, s6
	s_mul_i32 s7, s9, s60
	s_add_i32 s7, s6, s7
	s_mul_i32 s6, s8, s60
	s_lshl_b64 s[6:7], s[6:7], 3
	v_readlane_b32 s8, v48, 10
	v_readlane_b32 s9, v48, 11
	s_add_u32 s8, s8, s6
	s_addc_u32 s9, s9, s7
	s_lshl_b64 s[6:7], s[58:59], 3
	s_add_u32 s6, s8, s6
	s_addc_u32 s7, s9, s7
	v_mov_b32_e32 v0, 0
	global_store_dwordx2 v0, v[2:3], s[6:7]
.LBB87_316:
	s_or_b64 exec, exec, s[4:5]
.LBB87_317:
	s_or_saveexec_b64 s[2:3], s[2:3]
	s_mov_b64 s[4:5], 0
	s_xor_b64 exec, exec, s[2:3]
	s_cbranch_execnz .LBB87_320
.LBB87_318:
	s_or_b64 exec, exec, s[2:3]
	s_and_b64 s[2:3], s[4:5], exec
	s_andn2_saveexec_b64 s[0:1], s[0:1]
	s_cbranch_execz .LBB87_303
.LBB87_319:
	s_or_b64 s[2:3], s[2:3], exec
	s_trap 2
	s_or_b64 exec, exec, s[0:1]
	s_and_saveexec_b64 s[0:1], s[2:3]
	s_cbranch_execnz .LBB87_304
	s_branch .LBB87_305
.LBB87_320:
	s_mov_b64 s[4:5], exec
	s_trap 2
	s_branch .LBB87_318
	.section	.rodata,"a",@progbits
	.p2align	6, 0x0
	.amdhsa_kernel _ZN2at6native12_GLOBAL__N_112gatherMedianIamLin1EEEvNS_4cuda6detail10TensorInfoIT_T0_EENS5_IlS7_EENS5_IKS6_S7_EES7_S7_S7_b
		.amdhsa_group_segment_fixed_size 5152
		.amdhsa_private_segment_fixed_size 0
		.amdhsa_kernarg_size 1536
		.amdhsa_user_sgpr_count 6
		.amdhsa_user_sgpr_private_segment_buffer 1
		.amdhsa_user_sgpr_dispatch_ptr 0
		.amdhsa_user_sgpr_queue_ptr 0
		.amdhsa_user_sgpr_kernarg_segment_ptr 1
		.amdhsa_user_sgpr_dispatch_id 0
		.amdhsa_user_sgpr_flat_scratch_init 0
		.amdhsa_user_sgpr_kernarg_preload_length 0
		.amdhsa_user_sgpr_kernarg_preload_offset 0
		.amdhsa_user_sgpr_private_segment_size 0
		.amdhsa_uses_dynamic_stack 0
		.amdhsa_system_sgpr_private_segment_wavefront_offset 0
		.amdhsa_system_sgpr_workgroup_id_x 1
		.amdhsa_system_sgpr_workgroup_id_y 1
		.amdhsa_system_sgpr_workgroup_id_z 1
		.amdhsa_system_sgpr_workgroup_info 0
		.amdhsa_system_vgpr_workitem_id 0
		.amdhsa_next_free_vgpr 49
		.amdhsa_next_free_sgpr 96
		.amdhsa_accum_offset 52
		.amdhsa_reserve_vcc 1
		.amdhsa_reserve_flat_scratch 0
		.amdhsa_float_round_mode_32 0
		.amdhsa_float_round_mode_16_64 0
		.amdhsa_float_denorm_mode_32 3
		.amdhsa_float_denorm_mode_16_64 3
		.amdhsa_dx10_clamp 1
		.amdhsa_ieee_mode 1
		.amdhsa_fp16_overflow 0
		.amdhsa_tg_split 0
		.amdhsa_exception_fp_ieee_invalid_op 0
		.amdhsa_exception_fp_denorm_src 0
		.amdhsa_exception_fp_ieee_div_zero 0
		.amdhsa_exception_fp_ieee_overflow 0
		.amdhsa_exception_fp_ieee_underflow 0
		.amdhsa_exception_fp_ieee_inexact 0
		.amdhsa_exception_int_div_zero 0
	.end_amdhsa_kernel
	.section	.text._ZN2at6native12_GLOBAL__N_112gatherMedianIamLin1EEEvNS_4cuda6detail10TensorInfoIT_T0_EENS5_IlS7_EENS5_IKS6_S7_EES7_S7_S7_b,"axG",@progbits,_ZN2at6native12_GLOBAL__N_112gatherMedianIamLin1EEEvNS_4cuda6detail10TensorInfoIT_T0_EENS5_IlS7_EENS5_IKS6_S7_EES7_S7_S7_b,comdat
.Lfunc_end87:
	.size	_ZN2at6native12_GLOBAL__N_112gatherMedianIamLin1EEEvNS_4cuda6detail10TensorInfoIT_T0_EENS5_IlS7_EENS5_IKS6_S7_EES7_S7_S7_b, .Lfunc_end87-_ZN2at6native12_GLOBAL__N_112gatherMedianIamLin1EEEvNS_4cuda6detail10TensorInfoIT_T0_EENS5_IlS7_EENS5_IKS6_S7_EES7_S7_S7_b
                                        ; -- End function
	.section	.AMDGPU.csdata,"",@progbits
; Kernel info:
; codeLenInByte = 17712
; NumSgprs: 100
; NumVgprs: 49
; NumAgprs: 0
; TotalNumVgprs: 49
; ScratchSize: 0
; MemoryBound: 0
; FloatMode: 240
; IeeeMode: 1
; LDSByteSize: 5152 bytes/workgroup (compile time only)
; SGPRBlocks: 12
; VGPRBlocks: 6
; NumSGPRsForWavesPerEU: 100
; NumVGPRsForWavesPerEU: 49
; AccumOffset: 52
; Occupancy: 8
; WaveLimiterHint : 1
; COMPUTE_PGM_RSRC2:SCRATCH_EN: 0
; COMPUTE_PGM_RSRC2:USER_SGPR: 6
; COMPUTE_PGM_RSRC2:TRAP_HANDLER: 0
; COMPUTE_PGM_RSRC2:TGID_X_EN: 1
; COMPUTE_PGM_RSRC2:TGID_Y_EN: 1
; COMPUTE_PGM_RSRC2:TGID_Z_EN: 1
; COMPUTE_PGM_RSRC2:TIDIG_COMP_CNT: 0
; COMPUTE_PGM_RSRC3_GFX90A:ACCUM_OFFSET: 12
; COMPUTE_PGM_RSRC3_GFX90A:TG_SPLIT: 0
	.section	.text._ZN2at6native12_GLOBAL__N_112gatherMedianIijLi1EEEvNS_4cuda6detail10TensorInfoIT_T0_EENS5_IlS7_EENS5_IKS6_S7_EES7_S7_S7_b,"axG",@progbits,_ZN2at6native12_GLOBAL__N_112gatherMedianIijLi1EEEvNS_4cuda6detail10TensorInfoIT_T0_EENS5_IlS7_EENS5_IKS6_S7_EES7_S7_S7_b,comdat
	.globl	_ZN2at6native12_GLOBAL__N_112gatherMedianIijLi1EEEvNS_4cuda6detail10TensorInfoIT_T0_EENS5_IlS7_EENS5_IKS6_S7_EES7_S7_S7_b ; -- Begin function _ZN2at6native12_GLOBAL__N_112gatherMedianIijLi1EEEvNS_4cuda6detail10TensorInfoIT_T0_EENS5_IlS7_EENS5_IKS6_S7_EES7_S7_S7_b
	.p2align	8
	.type	_ZN2at6native12_GLOBAL__N_112gatherMedianIijLi1EEEvNS_4cuda6detail10TensorInfoIT_T0_EENS5_IlS7_EENS5_IKS6_S7_EES7_S7_S7_b,@function
_ZN2at6native12_GLOBAL__N_112gatherMedianIijLi1EEEvNS_4cuda6detail10TensorInfoIT_T0_EENS5_IlS7_EENS5_IKS6_S7_EES7_S7_S7_b: ; @_ZN2at6native12_GLOBAL__N_112gatherMedianIijLi1EEEvNS_4cuda6detail10TensorInfoIT_T0_EENS5_IlS7_EENS5_IKS6_S7_EES7_S7_S7_b
; %bb.0:
	s_load_dwordx2 s[12:13], s[4:5], 0x298
	s_load_dwordx4 s[56:59], s[4:5], 0x288
	s_add_u32 s10, s4, 0x298
	s_addc_u32 s11, s5, 0
	s_waitcnt lgkmcnt(0)
	s_mul_i32 s0, s13, s8
	s_add_i32 s0, s0, s7
	s_mul_i32 s0, s0, s12
	s_add_i32 s7, s0, s6
	s_cmp_ge_u32 s7, s57
	s_cbranch_scc1 .LBB88_253
; %bb.1:
	v_cmp_eq_u32_e64 s[0:1], 0, v0
	s_mov_b64 s[2:3], exec
                                        ; implicit-def: $vgpr50 : SGPR spill to VGPR lane
	v_writelane_b32 v50, s0, 0
	v_writelane_b32 v50, s1, 1
	s_and_b64 s[0:1], s[2:3], s[0:1]
	s_mov_b64 exec, s[0:1]
	s_cbranch_execz .LBB88_3
; %bb.2:
	v_mov_b32_e32 v2, 0
	v_mov_b32_e32 v3, v2
	ds_write_b64 v2, v[2:3] offset:4096
.LBB88_3:
	s_or_b64 exec, exec, s[2:3]
	v_mov_b32_e32 v1, 0
	s_waitcnt lgkmcnt(0)
	s_barrier
	s_barrier
	ds_read_b64 v[2:3], v1 offset:4096
	s_load_dwordx2 s[2:3], s[4:5], 0x1b0
	s_bitcmp1_b32 s59, 0
	s_cselect_b64 s[0:1], -1, 0
	s_mov_b32 s69, s56
	s_waitcnt lgkmcnt(0)
	v_cmp_gt_i64_e32 vcc, 1, v[2:3]
	s_or_b64 s[0:1], s[0:1], vcc
	s_andn2_b64 vcc, exec, s[0:1]
	s_cbranch_vccnz .LBB88_5
; %bb.4:
	v_not_b32_e32 v1, v2
	v_not_b32_e32 v2, v3
	v_add_co_u32_e32 v1, vcc, s56, v1
	v_addc_co_u32_e32 v2, vcc, 0, v2, vcc
	v_lshrrev_b32_e32 v3, 31, v2
	v_add_co_u32_e32 v1, vcc, v1, v3
	v_addc_co_u32_e32 v2, vcc, 0, v2, vcc
	v_alignbit_b32 v1, v2, v1, 1
	v_readfirstlane_b32 s0, v1
	s_add_i32 s69, s0, 1
.LBB88_5:
	s_load_dword s0, s[4:5], 0x21c
	s_load_dwordx2 s[8:9], s[4:5], 0xd8
	s_waitcnt lgkmcnt(0)
	v_writelane_b32 v50, s8, 2
	v_writelane_b32 v50, s9, 3
	s_load_dwordx2 s[8:9], s[4:5], 0x0
	s_waitcnt lgkmcnt(0)
	v_writelane_b32 v50, s8, 4
	v_writelane_b32 v50, s9, 5
	s_mov_b64 s[8:9], exec
	v_readlane_b32 s14, v50, 0
	v_readlane_b32 s15, v50, 1
	s_and_b64 s[14:15], s[8:9], s[14:15]
	s_mov_b64 exec, s[14:15]
	s_cbranch_execz .LBB88_7
; %bb.6:
	v_mov_b32_e32 v2, 0
	v_mov_b32_e32 v3, s56
	ds_write_b32 v2, v2 offset:4112
	ds_write_b64 v2, v[2:3] offset:4104
.LBB88_7:
	s_or_b64 exec, exec, s[8:9]
	s_load_dword s1, s[4:5], 0x144
                                        ; kill: killed $sgpr4 killed $sgpr5
	s_mov_b32 s64, 0
	s_waitcnt lgkmcnt(0)
	s_barrier
	v_writelane_b32 v50, s1, 6
	s_load_dword s1, s[4:5], 0x6c
	s_mul_i32 s0, s0, s7
	s_load_dword s4, s[10:11], 0xc
	v_mbcnt_lo_u32_b32 v1, -1, 0
	v_mbcnt_hi_u32_b32 v13, -1, v1
	s_waitcnt lgkmcnt(0)
	v_writelane_b32 v50, s1, 7
	s_mov_b32 s1, s64
	s_lshl_b64 s[0:1], s[0:1], 2
	s_add_u32 s59, s2, s0
	v_writelane_b32 v50, s7, 8
	s_addc_u32 s33, s3, s1
	v_cmp_gt_u32_e64 s[0:1], s56, v0
	v_writelane_b32 v50, s0, 9
	s_and_b32 s57, s4, 0xffff
	v_writelane_b32 v50, s1, 10
	s_bfe_u32 s9, s4, 0xa0006
	v_cmp_gt_u32_e32 vcc, 64, v0
	v_cmp_gt_i32_e64 s[4:5], 4, v13
	s_add_i32 s0, s57, -1
	s_lshl_b32 s76, s57, 2
	s_and_b64 s[66:67], vcc, s[4:5]
	v_writelane_b32 v50, s0, 11
	s_add_i32 s0, s0, s56
	s_cmpk_gt_u32 s56, 0x300
	s_cselect_b64 s[4:5], -1, 0
	s_cmp_gt_u32 s57, 63
	s_cselect_b64 s[62:63], -1, 0
	s_cmp_lt_u32 s6, s12
	v_writelane_b32 v50, s4, 12
	s_cselect_b32 s1, 12, 18
	v_mov_b32_e32 v9, 0
	v_writelane_b32 v50, s5, 13
	s_add_u32 s4, s10, s1
	s_addc_u32 s5, s11, 0
	v_mul_lo_u32 v6, v0, s58
	v_mov_b32_e32 v7, v9
	v_writelane_b32 v50, s4, 14
	s_add_i32 s1, s9, -2
	v_lshlrev_b64 v[2:3], 2, v[6:7]
	v_writelane_b32 v50, s5, 15
	s_lshr_b32 s4, s1, 1
	v_mov_b32_e32 v7, s33
	v_add_co_u32_e32 v10, vcc, s59, v2
	s_add_i32 s8, s4, 1
	v_addc_co_u32_e32 v11, vcc, v7, v3, vcc
	v_lshlrev_b64 v[2:3], v13, -1
	s_cmpk_gt_u32 s57, 0x7f
	v_not_b32_e32 v12, v2
	v_cvt_f32_u32_e32 v2, s76
	s_cselect_b64 s[4:5], -1, 0
	s_and_b32 s10, s9, 0x3fe
	s_and_b32 s11, s8, 7
	v_writelane_b32 v50, s4, 16
	s_cmp_gt_u32 s1, 13
	v_writelane_b32 v50, s5, 17
	s_cselect_b64 s[12:13], -1, 0
	v_writelane_b32 v50, s12, 18
	v_rcp_iflag_f32_e32 v2, v2
	v_writelane_b32 v50, s13, 19
	s_and_b32 s1, s8, -8
	v_writelane_b32 v50, s1, 20
	s_cmp_lg_u32 s11, 0
	v_writelane_b32 v50, s11, 21
	s_cselect_b64 s[12:13], -1, 0
	v_writelane_b32 v50, s12, 22
	v_mul_f32_e32 v2, 0x4f7ffffe, v2
	v_writelane_b32 v50, s13, 23
	v_cvt_u32_f32_e32 v2, v2
	v_writelane_b32 v50, s9, 24
	s_cmp_lg_u32 s10, s9
	v_writelane_b32 v50, s10, 25
	s_cselect_b64 s[8:9], -1, 0
	v_writelane_b32 v50, s8, 26
	v_writelane_b32 v50, s9, 27
	v_readfirstlane_b32 s8, v2
	v_cvt_f32_u32_e32 v2, s57
	s_sub_i32 s1, 0, s76
	s_mul_i32 s1, s1, s8
	s_mul_hi_u32 s1, s8, s1
	s_add_i32 s80, s8, s1
	v_rcp_iflag_f32_e32 v5, v2
	s_mul_hi_u32 s1, s56, s80
	s_mul_i32 s1, s1, s76
	s_sub_i32 s1, s56, s1
	s_sub_i32 s8, s1, s76
	v_mul_f32_e32 v5, 0x4f7ffffe, v5
	s_cmp_ge_u32 s1, s76
	v_cvt_u32_f32_e32 v5, v5
	s_cselect_b32 s1, s8, s1
	s_sub_i32 s8, s1, s76
	s_cmp_ge_u32 s1, s76
	s_cselect_b32 s1, s8, s1
	s_sub_i32 s12, 0, s57
	v_readfirstlane_b32 s13, v5
	s_mul_i32 s12, s12, s13
	s_mul_hi_u32 s12, s13, s12
	s_add_i32 s2, s13, s12
	s_mul_hi_u32 s12, s0, s2
	s_mul_i32 s12, s12, s57
	s_sub_i32 s12, s0, s12
	s_sub_i32 s81, s56, s1
	;; [unrolled: 1-line block ×3, first 2 shown]
	v_add_u32_e32 v24, s81, v0
	s_cmp_ge_u32 s12, s57
	v_lshrrev_b32_e32 v1, 4, v0
	v_mul_lo_u32 v8, v24, s58
	s_cselect_b32 s12, s13, s12
	v_lshlrev_b32_e32 v20, 2, v0
	v_and_b32_e32 v22, 60, v1
	v_not_b32_e32 v1, v3
	v_lshlrev_b64 v[2:3], 2, v[8:9]
	s_sub_i32 s13, s12, s57
	v_add_co_u32_e32 v14, vcc, s59, v2
	s_cmp_ge_u32 s12, s57
	v_mul_lo_u32 v2, s58, v20
	s_cselect_b32 s12, s13, s12
	v_add_u32_e32 v25, s58, v2
	v_or_b32_e32 v2, 2, v20
	s_sub_i32 s73, s0, s12
	v_mul_lo_u32 v26, s58, v2
	v_or_b32_e32 v2, 3, v20
	s_add_i32 s0, s57, s56
	v_mul_lo_u32 v27, s58, v2
	v_add_u32_e32 v2, s0, v0
	v_lshlrev_b32_e32 v4, 2, v13
	v_mov_b32_e32 v8, s33
	v_writelane_b32 v50, s2, 28
	v_cmp_gt_u32_e64 s[2:3], s73, v0
	s_mul_i32 s78, s58, s57
	v_subrev_u32_e32 v2, s1, v2
	v_cmp_eq_u32_e64 s[4:5], 0, v13
	v_cmp_gt_u32_e64 s[6:7], 2, v0
	v_add_u32_e32 v21, 0xc00, v20
	v_and_b32_e32 v23, 0x100, v4
	v_cmp_gt_u32_e64 s[70:71], s81, v20
	v_cmp_gt_u32_e64 s[10:11], s56, v24
	v_addc_co_u32_e32 v15, vcc, v8, v3, vcc
	v_writelane_b32 v50, s2, 29
	s_lshl_b32 s77, s78, 2
	v_lshlrev_b32_e32 v28, 2, v6
	v_mul_lo_u32 v29, s58, v2
	v_lshlrev_b32_e32 v30, 4, v0
	s_lshl_b32 s74, s57, 4
	v_or_b32_e32 v31, 0xc00, v4
	s_mov_b32 s75, 30
	s_mov_b64 s[82:83], 0
	v_mov_b32_e32 v16, 1
	v_mov_b32_e32 v32, 0xc00
	;; [unrolled: 1-line block ×3, first 2 shown]
	s_mov_b32 s12, 0
	s_mov_b32 s68, 0
	;; [unrolled: 1-line block ×3, first 2 shown]
	v_writelane_b32 v50, s3, 30
                                        ; implicit-def: $sgpr84_sgpr85
                                        ; implicit-def: $sgpr88_sgpr89
                                        ; implicit-def: $sgpr86_sgpr87
                                        ; implicit-def: $sgpr90_sgpr91
                                        ; implicit-def: $sgpr92_sgpr93
                                        ; implicit-def: $sgpr94_sgpr95
	s_branch .LBB88_12
.LBB88_8:                               ;   in Loop: Header=BB88_12 Depth=1
	s_xor_b32 s12, s12, 1
	s_add_i32 s0, s75, -2
	s_cmp_eq_u32 s75, 0
	s_mov_b64 s[18:19], 0
	s_cselect_b64 s[26:27], -1, 0
	s_mov_b32 s75, s0
.LBB88_9:                               ;   in Loop: Header=BB88_12 Depth=1
	s_andn2_b64 s[0:1], s[22:23], exec
	s_and_b64 s[18:19], s[18:19], exec
	s_or_b64 s[22:23], s[0:1], s[18:19]
	s_andn2_b64 s[24:25], s[24:25], exec
	s_andn2_b64 s[20:21], s[20:21], exec
	s_orn2_b64 s[18:19], s[26:27], exec
	s_mov_b32 s69, s35
.LBB88_10:                              ;   in Loop: Header=BB88_12 Depth=1
	s_or_b64 exec, exec, s[14:15]
	s_andn2_b64 s[0:1], s[94:95], exec
	s_and_b64 s[14:15], s[22:23], exec
	s_or_b64 s[94:95], s[0:1], s[14:15]
	s_andn2_b64 s[0:1], s[92:93], exec
	s_and_b64 s[14:15], s[24:25], exec
	s_or_b64 s[92:93], s[0:1], s[14:15]
	;; [unrolled: 3-line block ×3, first 2 shown]
	s_orn2_b64 s[18:19], s[18:19], exec
.LBB88_11:                              ;   in Loop: Header=BB88_12 Depth=1
	s_or_b64 exec, exec, s[16:17]
	s_and_b64 s[0:1], exec, s[18:19]
	s_or_b64 s[82:83], s[0:1], s[82:83]
	s_andn2_b64 s[0:1], s[86:87], exec
	s_and_b64 s[14:15], s[94:95], exec
	s_or_b64 s[86:87], s[0:1], s[14:15]
	s_andn2_b64 s[0:1], s[88:89], exec
	s_and_b64 s[14:15], s[92:93], exec
	;; [unrolled: 3-line block ×3, first 2 shown]
	v_mov_b32_e32 v2, s68
	s_or_b64 s[84:85], s[0:1], s[14:15]
	s_andn2_b64 exec, exec, s[82:83]
	s_cbranch_execz .LBB88_249
.LBB88_12:                              ; =>This Loop Header: Depth=1
                                        ;     Child Loop BB88_20 Depth 2
                                        ;     Child Loop BB88_38 Depth 2
	;; [unrolled: 1-line block ×17, first 2 shown]
	ds_read_b64 v[2:3], v9 offset:4104
	s_waitcnt lgkmcnt(0)
	v_readfirstlane_b32 s65, v2
	s_cmp_lg_u32 s65, 0
	s_cbranch_scc1 .LBB88_45
; %bb.13:                               ;   in Loop: Header=BB88_12 Depth=1
	v_readlane_b32 s0, v50, 12
	v_readlane_b32 s1, v50, 13
	s_and_b64 vcc, exec, s[0:1]
	s_cbranch_vccz .LBB88_28
; %bb.14:                               ;   in Loop: Header=BB88_12 Depth=1
	s_movk_i32 s0, 0x301
	v_cmp_gt_u32_e32 vcc, s0, v3
	s_mov_b64 s[18:19], 0
	s_mov_b64 s[14:15], 0
	s_cbranch_vccz .LBB88_29
; %bb.15:                               ;   in Loop: Header=BB88_12 Depth=1
	v_mov_b32_e32 v2, 0
	s_mov_b64 s[14:15], exec
	v_readlane_b32 s0, v50, 9
	v_readlane_b32 s1, v50, 10
	s_and_b64 s[0:1], s[14:15], s[0:1]
	s_mov_b64 exec, s[0:1]
	s_cbranch_execz .LBB88_17
; %bb.16:                               ;   in Loop: Header=BB88_12 Depth=1
	global_load_dword v2, v[10:11], off
.LBB88_17:                              ;   in Loop: Header=BB88_12 Depth=1
	s_or_b64 exec, exec, s[14:15]
	s_mov_b64 s[20:21], exec
	v_readlane_b32 s0, v50, 9
	v_readlane_b32 s1, v50, 10
	s_and_b64 s[0:1], s[20:21], s[0:1]
	s_mov_b64 exec, s[0:1]
	s_cbranch_execz .LBB88_30
; %bb.18:                               ;   in Loop: Header=BB88_12 Depth=1
	v_readlane_b32 s0, v50, 14
	v_readlane_b32 s1, v50, 15
	s_mov_b64 s[22:23], 0
	s_nop 3
	global_load_ushort v3, v9, s[0:1]
	s_waitcnt vmcnt(0)
	v_add_u32_e32 v5, v0, v3
	v_mul_lo_u32 v4, s58, v3
	v_mul_lo_u32 v8, s58, v5
	v_mov_b32_e32 v5, v0
	s_branch .LBB88_20
.LBB88_19:                              ;   in Loop: Header=BB88_20 Depth=2
	s_or_b64 exec, exec, s[16:17]
	v_add_u32_e32 v8, v8, v4
	s_waitcnt vmcnt(0)
	v_mov_b32_e32 v2, v17
	s_andn2_b64 exec, exec, s[22:23]
	s_cbranch_execz .LBB88_30
.LBB88_20:                              ;   Parent Loop BB88_12 Depth=1
                                        ; =>  This Inner Loop Header: Depth=2
	v_add_u32_e32 v5, v5, v3
	v_cmp_gt_u32_e64 s[14:15], s56, v5
	v_cmp_le_u32_e32 vcc, s56, v5
	s_waitcnt lgkmcnt(0)
	v_mov_b32_e32 v18, 0
	v_mov_b32_e32 v17, 0
	s_and_saveexec_b64 s[16:17], s[14:15]
	s_cbranch_execz .LBB88_22
; %bb.21:                               ;   in Loop: Header=BB88_20 Depth=2
	v_lshlrev_b64 v[34:35], 2, v[8:9]
	v_add_co_u32_e64 v34, s[14:15], s59, v34
	v_addc_co_u32_e64 v35, s[14:15], v7, v35, s[14:15]
	global_load_dword v17, v[34:35], off
.LBB88_22:                              ;   in Loop: Header=BB88_20 Depth=2
	s_or_b64 exec, exec, s[16:17]
	v_xor_b32_e32 v33, 0x80000000, v2
	v_and_b32_e32 v33, s13, v33
	v_cmp_eq_u32_e64 s[14:15], s68, v33
	s_cmp_lg_u64 s[14:15], 0
	s_cselect_b64 s[0:1], -1, 0
	s_and_b64 s[0:1], s[4:5], s[0:1]
	s_and_saveexec_b64 s[24:25], s[0:1]
	s_cbranch_execz .LBB88_26
; %bb.23:                               ;   in Loop: Header=BB88_20 Depth=2
	s_mov_b64 s[28:29], exec
	v_mbcnt_lo_u32_b32 v18, s28, 0
	v_mbcnt_hi_u32_b32 v18, s29, v18
	s_bcnt1_i32_b64 s0, s[14:15]
	v_cmp_eq_u32_e64 s[16:17], 0, v18
                                        ; implicit-def: $vgpr33
	s_and_saveexec_b64 s[26:27], s[16:17]
	s_cbranch_execz .LBB88_25
; %bb.24:                               ;   in Loop: Header=BB88_20 Depth=2
	s_bcnt1_i32_b64 s1, s[28:29]
	s_mul_i32 s1, s0, s1
	v_mov_b32_e32 v33, s1
	ds_add_rtn_u32 v33, v9, v33 offset:4112
.LBB88_25:                              ;   in Loop: Header=BB88_20 Depth=2
	s_or_b64 exec, exec, s[26:27]
	s_waitcnt lgkmcnt(0)
	v_readfirstlane_b32 s1, v33
	v_mov_b32_e32 v33, s1
	v_mad_u32_u24 v18, s0, v18, v33
.LBB88_26:                              ;   in Loop: Header=BB88_20 Depth=2
	s_or_b64 exec, exec, s[24:25]
	ds_bpermute_b32 v18, v23, v18
	s_and_b64 s[0:1], exec, vcc
	s_or_b64 s[22:23], s[0:1], s[22:23]
	s_and_saveexec_b64 s[16:17], s[14:15]
	s_cbranch_execz .LBB88_19
; %bb.27:                               ;   in Loop: Header=BB88_20 Depth=2
	v_and_b32_e32 v34, s14, v12
	v_and_b32_e32 v33, s15, v1
	v_bcnt_u32_b32 v34, v34, 0
	v_bcnt_u32_b32 v33, v33, v34
	v_lshlrev_b32_e32 v33, 2, v33
	s_waitcnt lgkmcnt(0)
	v_lshl_add_u32 v18, v18, 2, v33
	ds_write_b32 v18, v2
	s_branch .LBB88_19
.LBB88_28:                              ;   in Loop: Header=BB88_12 Depth=1
	s_mov_b64 s[14:15], 0
                                        ; implicit-def: $sgpr65
	s_cbranch_execnz .LBB88_33
	s_branch .LBB88_43
.LBB88_29:                              ;   in Loop: Header=BB88_12 Depth=1
	s_mov_b32 s65, 0
	s_and_b64 vcc, exec, s[18:19]
	s_cbranch_vccnz .LBB88_33
	s_branch .LBB88_43
.LBB88_30:                              ;   in Loop: Header=BB88_12 Depth=1
	s_or_b64 exec, exec, s[20:21]
	s_waitcnt lgkmcnt(0)
	s_barrier
	s_mov_b64 s[14:15], exec
	v_readlane_b32 s0, v50, 0
	v_readlane_b32 s1, v50, 1
	s_and_b64 s[0:1], s[14:15], s[0:1]
	s_mov_b64 exec, s[0:1]
	s_cbranch_execz .LBB88_32
; %bb.31:                               ;   in Loop: Header=BB88_12 Depth=1
	s_waitcnt vmcnt(0)
	ds_read_b32 v2, v9 offset:4112
	s_waitcnt lgkmcnt(0)
	ds_write_b32 v9, v2 offset:4104
.LBB88_32:                              ;   in Loop: Header=BB88_12 Depth=1
	s_or_b64 exec, exec, s[14:15]
	s_waitcnt lgkmcnt(0)
	s_barrier
	s_mov_b64 s[14:15], -1
	s_mov_b32 s65, 0
	s_and_b64 vcc, exec, s[18:19]
	s_cbranch_vccz .LBB88_43
.LBB88_33:                              ;   in Loop: Header=BB88_12 Depth=1
	s_waitcnt vmcnt(0)
	v_mov_b32_e32 v2, 0
	s_mov_b64 s[14:15], exec
	v_readlane_b32 s0, v50, 9
	v_readlane_b32 s1, v50, 10
	s_and_b64 s[0:1], s[14:15], s[0:1]
	s_mov_b64 exec, s[0:1]
	s_cbranch_execz .LBB88_35
; %bb.34:                               ;   in Loop: Header=BB88_12 Depth=1
	global_load_dword v2, v[10:11], off
.LBB88_35:                              ;   in Loop: Header=BB88_12 Depth=1
	s_or_b64 exec, exec, s[14:15]
	s_mov_b64 s[16:17], exec
	v_readlane_b32 s0, v50, 9
	v_readlane_b32 s1, v50, 10
	s_and_b64 s[0:1], s[16:17], s[0:1]
	s_mov_b64 exec, s[0:1]
	s_cbranch_execz .LBB88_40
; %bb.36:                               ;   in Loop: Header=BB88_12 Depth=1
	v_readlane_b32 s0, v50, 14
	v_readlane_b32 s1, v50, 15
	s_mov_b64 s[18:19], 0
	v_mov_b32_e32 v4, v20
	v_mov_b32_e32 v18, v0
	s_nop 1
	global_load_ushort v3, v9, s[0:1]
	s_waitcnt vmcnt(0)
	v_add_u32_e32 v8, v0, v3
	v_lshlrev_b32_e32 v5, 2, v3
	v_mul_lo_u32 v17, s58, v3
	v_mul_lo_u32 v8, s58, v8
	s_branch .LBB88_38
.LBB88_37:                              ;   in Loop: Header=BB88_38 Depth=2
	s_or_b64 exec, exec, s[20:21]
	s_and_b64 s[0:1], exec, vcc
	s_or_b64 s[18:19], s[0:1], s[18:19]
	ds_write_b32 v4, v2
	v_add_u32_e32 v4, v4, v5
	v_add_u32_e32 v8, v8, v17
	s_waitcnt vmcnt(0)
	v_mov_b32_e32 v2, v33
	s_andn2_b64 exec, exec, s[18:19]
	s_cbranch_execz .LBB88_40
.LBB88_38:                              ;   Parent Loop BB88_12 Depth=1
                                        ; =>  This Inner Loop Header: Depth=2
	v_add_u32_e32 v18, v18, v3
	v_cmp_gt_u32_e64 s[14:15], s56, v18
	v_cmp_le_u32_e32 vcc, s56, v18
	v_mov_b32_e32 v33, 0
	s_and_saveexec_b64 s[20:21], s[14:15]
	s_cbranch_execz .LBB88_37
; %bb.39:                               ;   in Loop: Header=BB88_38 Depth=2
	v_lshlrev_b64 v[34:35], 2, v[8:9]
	v_mov_b32_e32 v33, s33
	v_add_co_u32_e64 v34, s[14:15], s59, v34
	v_addc_co_u32_e64 v35, s[14:15], v33, v35, s[14:15]
	global_load_dword v33, v[34:35], off
	s_branch .LBB88_37
.LBB88_40:                              ;   in Loop: Header=BB88_12 Depth=1
	s_or_b64 exec, exec, s[16:17]
	s_waitcnt lgkmcnt(0)
	s_barrier
	s_mov_b64 s[14:15], exec
	v_readlane_b32 s0, v50, 0
	v_readlane_b32 s1, v50, 1
	s_and_b64 s[0:1], s[14:15], s[0:1]
	s_mov_b64 exec, s[0:1]
	s_cbranch_execz .LBB88_42
; %bb.41:                               ;   in Loop: Header=BB88_12 Depth=1
	s_waitcnt vmcnt(0)
	v_mov_b32_e32 v2, s56
	ds_write_b32 v9, v2 offset:4104
.LBB88_42:                              ;   in Loop: Header=BB88_12 Depth=1
	s_or_b64 exec, exec, s[14:15]
	s_mov_b64 s[14:15], -1
	s_waitcnt lgkmcnt(0)
	s_barrier
                                        ; implicit-def: $sgpr65
.LBB88_43:                              ;   in Loop: Header=BB88_12 Depth=1
	s_and_b64 vcc, exec, s[14:15]
	s_cbranch_vccz .LBB88_45
; %bb.44:                               ;   in Loop: Header=BB88_12 Depth=1
	s_waitcnt vmcnt(0)
	ds_read_b32 v2, v9 offset:4104
	s_waitcnt lgkmcnt(0)
	v_readfirstlane_b32 s65, v2
.LBB88_45:                              ;   in Loop: Header=BB88_12 Depth=1
	s_cmp_lt_i32 s65, 1
	s_cbranch_scc0 .LBB88_49
; %bb.46:                               ;   in Loop: Header=BB88_12 Depth=1
	s_waitcnt vmcnt(0)
	v_mov_b32_e32 v2, 0
	s_mov_b32 s48, 0
	v_mov_b32_e32 v3, 0
	v_mov_b32_e32 v4, v2
	;; [unrolled: 1-line block ×3, first 2 shown]
	s_and_saveexec_b64 s[44:45], s[70:71]
	s_cbranch_execnz .LBB88_50
; %bb.47:                               ;   in Loop: Header=BB88_12 Depth=1
	s_or_b64 exec, exec, s[44:45]
	v_mov_b32_e32 v18, 0
	s_and_saveexec_b64 s[14:15], s[10:11]
	s_cbranch_execnz .LBB88_53
.LBB88_48:                              ;   in Loop: Header=BB88_12 Depth=1
	s_or_b64 exec, exec, s[14:15]
	s_and_saveexec_b64 s[16:17], s[10:11]
	s_cbranch_execnz .LBB88_54
	s_branch .LBB88_59
.LBB88_49:                              ;   in Loop: Header=BB88_12 Depth=1
                                        ; implicit-def: $vgpr5
	s_cbranch_execnz .LBB88_60
	s_branch .LBB88_69
.LBB88_50:                              ;   in Loop: Header=BB88_12 Depth=1
	s_and_b32 s49, s75, 0xfe
	s_mov_b64 s[46:47], 0
	s_mov_b32 s50, 0
	s_mov_b32 s51, 0
	;; [unrolled: 1-line block ×4, first 2 shown]
	v_mov_b32_e32 v17, v20
.LBB88_51:                              ;   Parent Loop BB88_12 Depth=1
                                        ; =>  This Inner Loop Header: Depth=2
	v_add_u32_e32 v8, s48, v28
	v_lshlrev_b64 v[2:3], 2, v[8:9]
	v_mov_b32_e32 v18, s33
	v_add_u32_e32 v8, s48, v25
	v_add_co_u32_e64 v2, s[14:15], s59, v2
	v_lshlrev_b64 v[4:5], 2, v[8:9]
	v_addc_co_u32_e64 v3, s[14:15], v18, v3, s[14:15]
	v_add_u32_e32 v8, s48, v26
	v_add_co_u32_e64 v4, s[14:15], s59, v4
	v_lshlrev_b64 v[34:35], 2, v[8:9]
	v_add_u32_e32 v8, s48, v27
	v_addc_co_u32_e64 v5, s[14:15], v18, v5, s[14:15]
	global_load_dword v33, v[2:3], off
	v_lshlrev_b64 v[2:3], 2, v[8:9]
	global_load_dword v8, v[4:5], off
	v_add_co_u32_e64 v4, s[14:15], s59, v34
	v_addc_co_u32_e64 v5, s[14:15], v18, v35, s[14:15]
	global_load_dword v4, v[4:5], off
	v_add_co_u32_e64 v2, s[14:15], s59, v2
	v_addc_co_u32_e64 v3, s[14:15], v18, v3, s[14:15]
	global_load_dword v2, v[2:3], off
	v_add_u32_e32 v17, s76, v17
	v_cmp_le_u32_e32 vcc, s81, v17
	s_add_i32 s48, s48, s77
	s_waitcnt vmcnt(3)
	v_xor_b32_e32 v3, 0x80000000, v33
	s_waitcnt vmcnt(2)
	v_xor_b32_e32 v5, 0x80000000, v8
	v_and_b32_e32 v8, s13, v3
	v_bfe_u32 v3, v3, s49, 2
	v_cmp_eq_u32_e64 s[14:15], s68, v8
	v_cmp_eq_u32_e64 s[16:17], 0, v3
	v_and_b32_e32 v8, s13, v5
	v_bfe_u32 v5, v5, s49, 2
	v_cmp_eq_u32_e64 s[18:19], 1, v3
	s_and_b64 s[0:1], s[14:15], s[16:17]
	v_cmp_eq_u32_e64 s[20:21], 2, v3
	v_cmp_eq_u32_e64 s[26:27], 0, v5
	;; [unrolled: 1-line block ×5, first 2 shown]
	v_cndmask_b32_e64 v5, 0, 1, s[0:1]
	s_and_b64 s[0:1], s[14:15], s[18:19]
	v_cmp_eq_u32_e64 s[22:23], 3, v3
	v_cmp_eq_u32_e64 s[24:25], s68, v8
	v_cndmask_b32_e64 v8, 0, 1, s[0:1]
	s_and_b64 s[0:1], s[14:15], s[20:21]
	s_waitcnt vmcnt(1)
	v_xor_b32_e32 v4, 0x80000000, v4
	v_cndmask_b32_e64 v18, 0, 1, s[0:1]
	s_and_b64 s[0:1], s[14:15], s[22:23]
	v_and_b32_e32 v3, s13, v4
	v_bfe_u32 v4, v4, s49, 2
	v_cndmask_b32_e64 v33, 0, 1, s[0:1]
	s_and_b64 s[0:1], s[24:25], s[26:27]
	v_cmp_eq_u32_e64 s[16:17], 0, v4
	v_cmp_eq_u32_e64 s[18:19], 1, v4
	;; [unrolled: 1-line block ×4, first 2 shown]
	v_cndmask_b32_e64 v4, 0, 1, s[0:1]
	s_and_b64 s[0:1], s[24:25], s[28:29]
	v_cmp_ne_u32_e64 s[36:37], 0, v5
	v_cndmask_b32_e64 v5, 0, 1, s[0:1]
	s_and_b64 s[0:1], s[24:25], s[30:31]
	s_waitcnt vmcnt(0)
	v_xor_b32_e32 v2, 0x80000000, v2
	v_cmp_eq_u32_e64 s[14:15], s68, v3
	v_cmp_ne_u32_e64 s[26:27], 0, v8
	v_cndmask_b32_e64 v8, 0, 1, s[0:1]
	s_and_b64 s[0:1], s[24:25], s[34:35]
	v_and_b32_e32 v3, s13, v2
	v_bfe_u32 v2, v2, s49, 2
	v_cmp_ne_u32_e64 s[28:29], 0, v18
	v_cndmask_b32_e64 v18, 0, 1, s[0:1]
	s_and_b64 s[0:1], s[14:15], s[16:17]
	v_cmp_eq_u32_e64 s[34:35], 0, v2
	v_cmp_eq_u32_e64 s[38:39], 1, v2
	;; [unrolled: 1-line block ×4, first 2 shown]
	v_cndmask_b32_e64 v2, 0, 1, s[0:1]
	s_and_b64 s[0:1], s[14:15], s[18:19]
	v_cmp_eq_u32_e64 s[24:25], s68, v3
	v_cndmask_b32_e64 v3, 0, 1, s[0:1]
	s_and_b64 s[0:1], s[14:15], s[20:21]
	s_bcnt1_i32_b64 s54, s[36:37]
	v_cmp_ne_u32_e64 s[36:37], 0, v4
	v_cndmask_b32_e64 v4, 0, 1, s[0:1]
	s_and_b64 s[0:1], s[14:15], s[22:23]
	v_cmp_ne_u32_e64 s[16:17], 0, v5
	v_cndmask_b32_e64 v5, 0, 1, s[0:1]
	s_and_b64 s[0:1], s[24:25], s[34:35]
	;; [unrolled: 3-line block ×3, first 2 shown]
	v_cmp_ne_u32_e64 s[30:31], 0, v33
	s_bcnt1_i32_b64 s26, s[26:27]
	s_bcnt1_i32_b64 s27, s[28:29]
	v_cmp_ne_u32_e64 s[18:19], 0, v8
	s_bcnt1_i32_b64 s29, s[16:17]
	v_cmp_ne_u32_e64 s[16:17], 0, v3
	v_cndmask_b32_e64 v3, 0, 1, s[0:1]
	s_and_b64 s[0:1], s[24:25], s[40:41]
	s_bcnt1_i32_b64 s28, s[30:31]
	v_cmp_ne_u32_e64 s[20:21], 0, v18
	s_bcnt1_i32_b64 s30, s[18:19]
	v_cmp_ne_u32_e64 s[18:19], 0, v4
	v_cndmask_b32_e64 v4, 0, 1, s[0:1]
	s_and_b64 s[0:1], s[24:25], s[42:43]
	s_bcnt1_i32_b64 s22, s[36:37]
	s_add_i32 s23, s53, s54
	s_add_i32 s26, s52, s26
	;; [unrolled: 1-line block ×3, first 2 shown]
	s_bcnt1_i32_b64 s31, s[20:21]
	v_cmp_ne_u32_e64 s[20:21], 0, v5
	v_cndmask_b32_e64 v5, 0, 1, s[0:1]
	s_add_i32 s0, s50, s28
	s_bcnt1_i32_b64 s1, s[14:15]
	v_cmp_ne_u32_e64 s[14:15], 0, v2
	s_add_i32 s22, s23, s22
	s_bcnt1_i32_b64 s23, s[16:17]
	v_cmp_ne_u32_e64 s[16:17], 0, v3
	;; [unrolled: 3-line block ×4, first 2 shown]
	s_add_i32 s0, s0, s31
	s_bcnt1_i32_b64 s14, s[14:15]
	s_add_i32 s1, s22, s1
	s_bcnt1_i32_b64 s15, s[16:17]
	;; [unrolled: 2-line block ×4, first 2 shown]
	s_add_i32 s0, s0, s27
	s_add_i32 s53, s1, s14
	;; [unrolled: 1-line block ×5, first 2 shown]
	s_or_b64 s[46:47], vcc, s[46:47]
	v_mov_b32_e32 v2, s53
	v_mov_b32_e32 v3, s52
	;; [unrolled: 1-line block ×4, first 2 shown]
	s_andn2_b64 exec, exec, s[46:47]
	s_cbranch_execnz .LBB88_51
; %bb.52:                               ;   in Loop: Header=BB88_12 Depth=1
	s_or_b64 exec, exec, s[46:47]
	s_or_b64 exec, exec, s[44:45]
	v_mov_b32_e32 v18, 0
	s_and_saveexec_b64 s[14:15], s[10:11]
	s_cbranch_execz .LBB88_48
.LBB88_53:                              ;   in Loop: Header=BB88_12 Depth=1
	global_load_dword v18, v[14:15], off
	s_or_b64 exec, exec, s[14:15]
	s_and_saveexec_b64 s[16:17], s[10:11]
	s_cbranch_execz .LBB88_59
.LBB88_54:                              ;   in Loop: Header=BB88_12 Depth=1
	s_and_b32 s0, s75, 0xfe
	s_mov_b64 s[18:19], 0
	v_mov_b32_e32 v8, v29
	v_mov_b32_e32 v17, v24
	s_branch .LBB88_56
.LBB88_55:                              ;   in Loop: Header=BB88_56 Depth=2
	s_or_b64 exec, exec, s[20:21]
	s_waitcnt vmcnt(0)
	v_xor_b32_e32 v18, 0x80000000, v18
	s_and_b64 s[14:15], exec, vcc
	v_and_b32_e32 v34, s13, v18
	v_bfe_u32 v18, v18, s0, 2
	s_or_b64 s[18:19], s[14:15], s[18:19]
	v_cmp_eq_u32_e32 vcc, s68, v34
	v_cmp_eq_u32_e64 s[14:15], 0, v18
	s_and_b64 s[14:15], vcc, s[14:15]
	v_cndmask_b32_e64 v34, 0, 1, s[14:15]
	v_cmp_ne_u32_e64 s[14:15], 0, v34
	s_bcnt1_i32_b64 s1, s[14:15]
	v_cmp_eq_u32_e64 s[14:15], 1, v18
	s_and_b64 s[14:15], vcc, s[14:15]
	v_cndmask_b32_e64 v34, 0, 1, s[14:15]
	v_cmp_ne_u32_e64 s[14:15], 0, v34
	v_add_u32_e32 v2, s1, v2
	s_bcnt1_i32_b64 s1, s[14:15]
	v_cmp_eq_u32_e64 s[14:15], 2, v18
	s_and_b64 s[14:15], vcc, s[14:15]
	v_cndmask_b32_e64 v34, 0, 1, s[14:15]
	v_cmp_ne_u32_e64 s[14:15], 0, v34
	v_add_u32_e32 v3, s1, v3
	s_bcnt1_i32_b64 s1, s[14:15]
	v_cmp_eq_u32_e64 s[14:15], 3, v18
	s_and_b64 s[14:15], vcc, s[14:15]
	v_cndmask_b32_e64 v18, 0, 1, s[14:15]
	v_cmp_ne_u32_e32 vcc, 0, v18
	v_add_u32_e32 v4, s1, v4
	s_bcnt1_i32_b64 s1, vcc
	v_add_u32_e32 v5, s1, v5
	v_add_u32_e32 v8, s78, v8
	v_mov_b32_e32 v18, v33
	s_andn2_b64 exec, exec, s[18:19]
	s_cbranch_execz .LBB88_58
.LBB88_56:                              ;   Parent Loop BB88_12 Depth=1
                                        ; =>  This Inner Loop Header: Depth=2
	v_add_u32_e32 v17, s57, v17
	v_cmp_gt_u32_e64 s[14:15], s56, v17
	v_cmp_le_u32_e32 vcc, s56, v17
	v_mov_b32_e32 v33, 0
	s_and_saveexec_b64 s[20:21], s[14:15]
	s_cbranch_execz .LBB88_55
; %bb.57:                               ;   in Loop: Header=BB88_56 Depth=2
	v_lshlrev_b64 v[34:35], 2, v[8:9]
	v_mov_b32_e32 v33, s33
	v_add_co_u32_e64 v34, s[14:15], s59, v34
	v_addc_co_u32_e64 v35, s[14:15], v33, v35, s[14:15]
	global_load_dword v33, v[34:35], off
	s_branch .LBB88_55
.LBB88_58:                              ;   in Loop: Header=BB88_12 Depth=1
	s_or_b64 exec, exec, s[18:19]
.LBB88_59:                              ;   in Loop: Header=BB88_12 Depth=1
	s_or_b64 exec, exec, s[16:17]
	s_branch .LBB88_69
.LBB88_60:                              ;   in Loop: Header=BB88_12 Depth=1
	s_mul_hi_u32 s0, s65, s80
	s_mul_i32 s0, s0, s76
	s_sub_i32 s0, s65, s0
	s_sub_i32 s1, s0, s76
	s_cmp_ge_u32 s0, s76
	s_cselect_b32 s0, s1, s0
	s_sub_i32 s1, s0, s76
	s_cmp_ge_u32 s0, s76
	s_cselect_b32 s0, s1, s0
	s_sub_i32 s0, s65, s0
	v_cmp_gt_u32_e32 vcc, s0, v20
	s_mov_b32 s79, 0
	s_waitcnt vmcnt(0)
	v_mov_b32_e32 v2, 0
	v_mov_b32_e32 v3, 0
	;; [unrolled: 1-line block ×4, first 2 shown]
	s_and_saveexec_b64 s[60:61], vcc
	s_cbranch_execz .LBB88_64
; %bb.61:                               ;   in Loop: Header=BB88_12 Depth=1
	s_mov_b64 s[2:3], s[70:71]
	s_mov_b64 s[8:9], s[62:63]
	s_and_b32 s1, s75, 0xfe
	s_mov_b64 s[62:63], 0
	v_mov_b32_e32 v8, v30
	s_mov_b32 s72, 0
	s_mov_b32 s70, 0
	;; [unrolled: 1-line block ×3, first 2 shown]
	v_mov_b32_e32 v17, v20
.LBB88_62:                              ;   Parent Loop BB88_12 Depth=1
                                        ; =>  This Inner Loop Header: Depth=2
	ds_read_b128 v[2:5], v8
	v_add_u32_e32 v17, s76, v17
	v_cmp_le_u32_e32 vcc, s0, v17
	v_add_u32_e32 v8, s74, v8
	s_waitcnt lgkmcnt(0)
	v_xor_b32_e32 v2, 0x80000000, v2
	v_xor_b32_e32 v3, 0x80000000, v3
	v_and_b32_e32 v18, s13, v2
	v_bfe_u32 v2, v2, s1, 2
	v_xor_b32_e32 v4, 0x80000000, v4
	v_and_b32_e32 v33, s13, v3
	v_bfe_u32 v3, v3, s1, 2
	v_cmp_eq_u32_e64 s[14:15], s68, v18
	v_cmp_eq_u32_e64 s[22:23], 0, v2
	v_xor_b32_e32 v5, 0x80000000, v5
	v_and_b32_e32 v34, s13, v4
	v_bfe_u32 v4, v4, s1, 2
	v_cmp_eq_u32_e64 s[16:17], s68, v33
	v_cmp_eq_u32_e64 s[24:25], 0, v3
	s_and_b64 s[22:23], s[14:15], s[22:23]
	v_and_b32_e32 v35, s13, v5
	v_bfe_u32 v5, v5, s1, 2
	v_cmp_eq_u32_e64 s[18:19], s68, v34
	v_cmp_eq_u32_e64 s[26:27], 0, v4
	;; [unrolled: 1-line block ×5, first 2 shown]
	v_cndmask_b32_e64 v2, 0, 1, s[22:23]
	s_and_b64 s[22:23], s[16:17], s[24:25]
	v_cmp_eq_u32_e64 s[20:21], s68, v35
	v_cmp_eq_u32_e64 s[28:29], 0, v5
	;; [unrolled: 1-line block ×5, first 2 shown]
	v_cndmask_b32_e64 v3, 0, 1, s[22:23]
	s_and_b64 s[22:23], s[18:19], s[26:27]
	v_cmp_eq_u32_e64 s[36:37], 1, v4
	v_cmp_eq_u32_e64 s[44:45], 2, v4
	;; [unrolled: 1-line block ×3, first 2 shown]
	v_cndmask_b32_e64 v4, 0, 1, s[22:23]
	s_and_b64 s[22:23], s[20:21], s[28:29]
	v_cmp_eq_u32_e64 s[38:39], 1, v5
	v_cmp_eq_u32_e64 s[46:47], 2, v5
	;; [unrolled: 1-line block ×3, first 2 shown]
	v_cndmask_b32_e64 v5, 0, 1, s[22:23]
	s_and_b64 s[22:23], s[14:15], s[30:31]
	v_cndmask_b32_e64 v18, 0, 1, s[22:23]
	s_and_b64 s[22:23], s[16:17], s[34:35]
	;; [unrolled: 2-line block ×5, first 2 shown]
	s_and_b64 s[14:15], s[14:15], s[48:49]
	v_cndmask_b32_e64 v36, 0, 1, s[22:23]
	s_and_b64 s[22:23], s[16:17], s[42:43]
	v_cndmask_b32_e64 v40, 0, 1, s[14:15]
	;; [unrolled: 2-line block ×7, first 2 shown]
	v_cndmask_b32_e64 v43, 0, 1, s[14:15]
	v_cmp_ne_u32_e64 s[14:15], 0, v2
	v_cmp_ne_u32_e64 s[16:17], 0, v3
	;; [unrolled: 1-line block ×11, first 2 shown]
	s_bcnt1_i32_b64 s14, s[14:15]
	s_bcnt1_i32_b64 s15, s[16:17]
	;; [unrolled: 1-line block ×8, first 2 shown]
	v_cmp_ne_u32_e64 s[28:29], 0, v35
	v_cmp_ne_u32_e64 s[36:37], 0, v38
	;; [unrolled: 1-line block ×3, first 2 shown]
	s_bcnt1_i32_b64 s19, s[24:25]
	s_bcnt1_i32_b64 s23, s[34:35]
	;; [unrolled: 1-line block ×3, first 2 shown]
	s_add_i32 s14, s71, s14
	s_add_i32 s18, s70, s18
	;; [unrolled: 1-line block ×4, first 2 shown]
	v_cmp_ne_u32_e64 s[38:39], 0, v39
	v_cmp_ne_u32_e64 s[46:47], 0, v43
	s_bcnt1_i32_b64 s21, s[28:29]
	s_bcnt1_i32_b64 s24, s[36:37]
	s_bcnt1_i32_b64 s28, s[44:45]
	s_add_i32 s14, s14, s15
	s_add_i32 s15, s18, s19
	s_add_i32 s18, s22, s23
	s_add_i32 s19, s26, s27
	s_bcnt1_i32_b64 s25, s[38:39]
	s_bcnt1_i32_b64 s29, s[46:47]
	s_add_i32 s14, s14, s16
	s_add_i32 s15, s15, s20
	;; [unrolled: 1-line block ×8, first 2 shown]
	s_or_b64 s[62:63], vcc, s[62:63]
	v_mov_b32_e32 v2, s71
	v_mov_b32_e32 v3, s70
	;; [unrolled: 1-line block ×4, first 2 shown]
	s_andn2_b64 exec, exec, s[62:63]
	s_cbranch_execnz .LBB88_62
; %bb.63:                               ;   in Loop: Header=BB88_12 Depth=1
	s_or_b64 exec, exec, s[62:63]
	s_mov_b64 s[62:63], s[8:9]
	s_mov_b64 s[70:71], s[2:3]
.LBB88_64:                              ;   in Loop: Header=BB88_12 Depth=1
	s_or_b64 exec, exec, s[60:61]
	v_add_u32_e32 v8, s0, v0
	v_cmp_gt_u32_e32 vcc, s65, v8
	s_and_saveexec_b64 s[24:25], vcc
	s_cbranch_execz .LBB88_68
; %bb.65:                               ;   in Loop: Header=BB88_12 Depth=1
	s_and_b32 s0, s75, 0xfe
	v_lshlrev_b32_e32 v17, 2, v8
	s_mov_b64 s[26:27], 0
.LBB88_66:                              ;   Parent Loop BB88_12 Depth=1
                                        ; =>  This Inner Loop Header: Depth=2
	ds_read_b32 v18, v17
	v_add_u32_e32 v8, s57, v8
	v_cmp_le_u32_e32 vcc, s65, v8
	v_add_u32_e32 v17, s76, v17
	s_waitcnt lgkmcnt(0)
	v_xor_b32_e32 v18, 0x80000000, v18
	v_and_b32_e32 v33, s13, v18
	v_bfe_u32 v18, v18, s0, 2
	v_cmp_eq_u32_e64 s[14:15], s68, v33
	v_cmp_eq_u32_e64 s[16:17], 0, v18
	;; [unrolled: 1-line block ×3, first 2 shown]
	s_and_b64 s[16:17], s[14:15], s[16:17]
	v_cmp_eq_u32_e64 s[20:21], 2, v18
	v_cmp_eq_u32_e64 s[22:23], 3, v18
	v_cndmask_b32_e64 v18, 0, 1, s[16:17]
	s_and_b64 s[16:17], s[14:15], s[18:19]
	v_cndmask_b32_e64 v33, 0, 1, s[16:17]
	s_and_b64 s[16:17], s[14:15], s[20:21]
	s_and_b64 s[14:15], s[14:15], s[22:23]
	v_cndmask_b32_e64 v34, 0, 1, s[16:17]
	v_cndmask_b32_e64 v35, 0, 1, s[14:15]
	v_cmp_ne_u32_e64 s[14:15], 0, v18
	v_cmp_ne_u32_e64 s[16:17], 0, v33
	;; [unrolled: 1-line block ×4, first 2 shown]
	s_bcnt1_i32_b64 s1, s[14:15]
	s_bcnt1_i32_b64 s14, s[16:17]
	;; [unrolled: 1-line block ×4, first 2 shown]
	v_add_u32_e32 v2, s1, v2
	v_add_u32_e32 v3, s14, v3
	;; [unrolled: 1-line block ×3, first 2 shown]
	s_or_b64 s[26:27], vcc, s[26:27]
	v_add_u32_e32 v5, s16, v5
	s_andn2_b64 exec, exec, s[26:27]
	s_cbranch_execnz .LBB88_66
; %bb.67:                               ;   in Loop: Header=BB88_12 Depth=1
	s_or_b64 exec, exec, s[26:27]
.LBB88_68:                              ;   in Loop: Header=BB88_12 Depth=1
	s_or_b64 exec, exec, s[24:25]
.LBB88_69:                              ;   in Loop: Header=BB88_12 Depth=1
	s_lshl_b32 s0, s12, 6
	s_and_saveexec_b64 s[14:15], s[4:5]
	s_cbranch_execz .LBB88_71
; %bb.70:                               ;   in Loop: Header=BB88_12 Depth=1
	v_or_b32_e32 v8, s0, v22
	v_lshlrev_b32_e32 v8, 2, v8
	s_waitcnt vmcnt(0)
	ds_write_b128 v8, v[2:5] offset:3072
.LBB88_71:                              ;   in Loop: Header=BB88_12 Depth=1
	s_or_b64 exec, exec, s[14:15]
	s_waitcnt lgkmcnt(0)
	s_barrier
	s_and_saveexec_b64 s[14:15], s[66:67]
	s_cbranch_execz .LBB88_85
; %bb.72:                               ;   in Loop: Header=BB88_12 Depth=1
	v_add_u32_e32 v4, s0, v13
	s_andn2_b64 vcc, exec, s[62:63]
	s_waitcnt vmcnt(0)
	v_mov_b32_e32 v2, 0
	s_cbranch_vccnz .LBB88_84
; %bb.73:                               ;   in Loop: Header=BB88_12 Depth=1
	v_readlane_b32 s8, v50, 16
	v_readlane_b32 s9, v50, 17
	s_mov_b32 s1, 0
	s_and_b64 vcc, exec, s[8:9]
	v_mov_b32_e32 v2, 0
	s_cbranch_vccz .LBB88_77
; %bb.74:                               ;   in Loop: Header=BB88_12 Depth=1
	v_readlane_b32 s8, v50, 18
	v_readlane_b32 s9, v50, 19
	v_lshl_add_u32 v5, v4, 2, v32
	s_andn2_b64 vcc, exec, s[8:9]
	s_cbranch_vccnz .LBB88_78
; %bb.75:                               ;   in Loop: Header=BB88_12 Depth=1
	s_mov_b32 s17, 1
	s_mov_b32 s16, 0
	v_mov_b32_e32 v2, 0
	v_readlane_b32 s1, v50, 20
	v_mov_b32_e32 v3, 0
.LBB88_76:                              ;   Parent Loop BB88_12 Depth=1
                                        ; =>  This Inner Loop Header: Depth=2
	v_lshl_add_u32 v8, s16, 4, v5
	v_lshl_add_u32 v17, s17, 4, v5
	ds_read2_b32 v[34:35], v8 offset1:8
	ds_read2_b32 v[36:37], v17 offset1:8
	ds_read2_b32 v[38:39], v8 offset0:16 offset1:24
	ds_read2_b32 v[40:41], v17 offset0:16 offset1:24
	;; [unrolled: 1-line block ×6, first 2 shown]
	s_waitcnt lgkmcnt(7)
	v_add3_u32 v2, v34, v2, v35
	s_waitcnt lgkmcnt(6)
	v_add3_u32 v3, v36, v3, v37
	;; [unrolled: 2-line block ×3, first 2 shown]
	v_add3_u32 v2, v38, v2, v39
	s_add_i32 s17, s17, 16
	s_add_i32 s16, s16, 16
	s_add_i32 s1, s1, -8
	s_waitcnt lgkmcnt(3)
	v_add3_u32 v2, v42, v2, v43
	s_waitcnt lgkmcnt(2)
	v_add3_u32 v3, v44, v3, v45
	s_cmp_lg_u32 s1, 0
	s_waitcnt lgkmcnt(0)
	v_add3_u32 v3, v48, v3, v49
	v_add3_u32 v2, v46, v2, v47
	s_cbranch_scc1 .LBB88_76
	s_branch .LBB88_79
.LBB88_77:                              ;   in Loop: Header=BB88_12 Depth=1
	s_cbranch_execnz .LBB88_82
	s_branch .LBB88_84
.LBB88_78:                              ;   in Loop: Header=BB88_12 Depth=1
	s_mov_b32 s65, s64
	v_pk_mov_b32 v[2:3], s[64:65], s[64:65] op_sel:[0,1]
	s_mov_b32 s65, 1
	s_mov_b64 s[16:17], s[64:65]
.LBB88_79:                              ;   in Loop: Header=BB88_12 Depth=1
	v_readlane_b32 s8, v50, 22
	v_readlane_b32 s9, v50, 23
	s_andn2_b64 vcc, exec, s[8:9]
	v_readlane_b32 s1, v50, 21
	s_cbranch_vccnz .LBB88_81
.LBB88_80:                              ;   Parent Loop BB88_12 Depth=1
                                        ; =>  This Inner Loop Header: Depth=2
	v_lshl_add_u32 v8, s16, 4, v5
	v_lshl_add_u32 v17, s17, 4, v5
	ds_read_b32 v17, v17
	ds_read_b32 v8, v8
	s_add_i32 s17, s17, 2
	s_add_i32 s16, s16, 2
	s_add_i32 s1, s1, -1
	s_cmp_lg_u32 s1, 0
	s_waitcnt lgkmcnt(1)
	v_add_u32_e32 v3, v17, v3
	s_waitcnt lgkmcnt(0)
	v_add_u32_e32 v2, v8, v2
	s_cbranch_scc1 .LBB88_80
.LBB88_81:                              ;   in Loop: Header=BB88_12 Depth=1
	v_readlane_b32 s16, v50, 26
	v_add_u32_e32 v2, v2, v3
	v_readlane_b32 s1, v50, 25
	v_readlane_b32 s17, v50, 27
	s_and_b64 vcc, exec, s[16:17]
	s_cbranch_vccz .LBB88_84
.LBB88_82:                              ;   in Loop: Header=BB88_12 Depth=1
	s_lshl_b32 s16, s12, 8
	s_lshl_b32 s17, s1, 4
	s_add_i32 s16, s16, s17
	v_add_u32_e32 v3, s16, v31
	v_readlane_b32 s16, v50, 24
	s_sub_i32 s1, s16, s1
.LBB88_83:                              ;   Parent Loop BB88_12 Depth=1
                                        ; =>  This Inner Loop Header: Depth=2
	ds_read_b32 v5, v3
	s_add_i32 s1, s1, -1
	v_add_u32_e32 v3, 16, v3
	s_cmp_eq_u32 s1, 0
	s_waitcnt lgkmcnt(0)
	v_add_u32_e32 v2, v5, v2
	s_cbranch_scc0 .LBB88_83
.LBB88_84:                              ;   in Loop: Header=BB88_12 Depth=1
	v_lshlrev_b32_e32 v3, 2, v4
	ds_write_b32 v3, v2 offset:3072
.LBB88_85:                              ;   in Loop: Header=BB88_12 Depth=1
	s_or_b64 exec, exec, s[14:15]
	s_lshl_b32 s0, s0, 2
	s_waitcnt vmcnt(0)
	v_mov_b32_e32 v2, s0
	s_waitcnt lgkmcnt(0)
	s_barrier
	ds_read_b128 v[2:5], v2 offset:3072
	s_and_b32 s43, s75, 0xfe
	s_lshl_b32 s51, 3, s43
	s_not_b32 s44, s51
	s_mov_b64 s[18:19], -1
	s_waitcnt lgkmcnt(0)
	v_readfirstlane_b32 s28, v2
	s_cmp_eq_u32 s28, 1
	s_cselect_b64 s[0:1], -1, 0
	s_cmp_eq_u32 s69, 1
	s_cselect_b64 s[14:15], -1, 0
	s_and_b64 s[20:21], s[0:1], s[14:15]
	v_readfirstlane_b32 s34, v3
	v_readfirstlane_b32 s42, v4
	;; [unrolled: 1-line block ×3, first 2 shown]
	s_and_b64 vcc, exec, s[20:21]
	s_cbranch_vccz .LBB88_97
; %bb.86:                               ;   in Loop: Header=BB88_12 Depth=1
	ds_read_b32 v2, v9 offset:4104
	s_waitcnt lgkmcnt(0)
	s_barrier
	v_readfirstlane_b32 s0, v2
	s_and_saveexec_b64 s[14:15], s[6:7]
	s_cbranch_execz .LBB88_88
; %bb.87:                               ;   in Loop: Header=BB88_12 Depth=1
	ds_write_b32 v21, v9
.LBB88_88:                              ;   in Loop: Header=BB88_12 Depth=1
	s_or_b64 exec, exec, s[14:15]
	s_and_b32 s68, s68, s44
	s_or_b32 s13, s13, s51
	s_cmp_eq_u32 s0, 0
	s_waitcnt lgkmcnt(0)
	s_barrier
	s_cbranch_scc1 .LBB88_98
; %bb.89:                               ;   in Loop: Header=BB88_12 Depth=1
	v_readlane_b32 s1, v50, 11
	s_add_i32 s1, s0, s1
	v_readlane_b32 s2, v50, 28
	s_mul_hi_u32 s14, s1, s2
	s_mul_i32 s14, s14, s57
	s_sub_i32 s14, s1, s14
	s_sub_i32 s15, s14, s57
	s_cmp_ge_u32 s14, s57
	s_cselect_b32 s14, s15, s14
	s_sub_i32 s15, s14, s57
	s_cmp_ge_u32 s14, s57
	s_cselect_b32 s14, s15, s14
	s_sub_i32 s1, s1, s14
	v_cmp_gt_u32_e32 vcc, s1, v0
	s_mov_b64 s[14:15], 0
                                        ; implicit-def: $vgpr19
	s_and_saveexec_b64 s[16:17], vcc
	s_cbranch_execz .LBB88_100
; %bb.90:                               ;   in Loop: Header=BB88_12 Depth=1
	v_mov_b32_e32 v2, v20
	v_mov_b32_e32 v3, v0
                                        ; implicit-def: $sgpr22_sgpr23
	s_branch .LBB88_92
.LBB88_91:                              ;   in Loop: Header=BB88_92 Depth=2
	s_or_b64 exec, exec, s[24:25]
	s_waitcnt lgkmcnt(0)
	s_barrier
	ds_read_b64 v[18:19], v9 offset:3072
	v_add_u32_e32 v3, s57, v3
	v_cmp_le_u32_e32 vcc, s1, v3
	v_add_u32_e32 v2, s76, v2
	s_waitcnt lgkmcnt(0)
	v_readfirstlane_b32 s24, v18
	s_cmp_lg_u32 s24, 0
	s_cselect_b64 s[24:25], -1, 0
	s_or_b64 s[26:27], vcc, s[24:25]
	s_and_b64 s[26:27], exec, s[26:27]
	s_or_b64 s[14:15], s[26:27], s[14:15]
	s_andn2_b64 s[22:23], s[22:23], exec
	s_and_b64 s[24:25], s[24:25], exec
	s_or_b64 s[22:23], s[22:23], s[24:25]
	s_barrier
	s_andn2_b64 exec, exec, s[14:15]
	s_cbranch_execz .LBB88_99
.LBB88_92:                              ;   Parent Loop BB88_12 Depth=1
                                        ; =>  This Inner Loop Header: Depth=2
	v_cmp_gt_u32_e32 vcc, s0, v3
	v_mov_b32_e32 v17, 0
	s_and_saveexec_b64 s[24:25], vcc
	s_cbranch_execz .LBB88_94
; %bb.93:                               ;   in Loop: Header=BB88_92 Depth=2
	ds_read_b32 v17, v2
.LBB88_94:                              ;   in Loop: Header=BB88_92 Depth=2
	s_or_b64 exec, exec, s[24:25]
	s_and_saveexec_b64 s[24:25], vcc
	s_cbranch_execz .LBB88_91
; %bb.95:                               ;   in Loop: Header=BB88_92 Depth=2
	s_waitcnt lgkmcnt(0)
	v_xor_b32_e32 v4, 0x80000000, v17
	v_and_b32_e32 v4, s13, v4
	v_cmp_eq_u32_e32 vcc, s68, v4
	s_and_b64 exec, exec, vcc
	s_cbranch_execz .LBB88_91
; %bb.96:                               ;   in Loop: Header=BB88_92 Depth=2
	ds_write_b64 v9, v[16:17] offset:3072
	s_branch .LBB88_91
.LBB88_97:                              ;   in Loop: Header=BB88_12 Depth=1
	s_mov_b64 s[14:15], -1
                                        ; implicit-def: $sgpr16_sgpr17
                                        ; implicit-def: $sgpr24_sgpr25
                                        ; implicit-def: $sgpr22_sgpr23
	s_branch .LBB88_111
.LBB88_98:                              ;   in Loop: Header=BB88_12 Depth=1
	s_mov_b64 s[16:17], -1
	s_mov_b64 s[14:15], 0
                                        ; implicit-def: $sgpr22_sgpr23
                                        ; implicit-def: $vgpr19
	s_mov_b64 s[24:25], s[16:17]
	s_cbranch_execnz .LBB88_101
	s_branch .LBB88_111
.LBB88_99:                              ;   in Loop: Header=BB88_12 Depth=1
	s_or_b64 exec, exec, s[14:15]
	s_and_b64 s[14:15], s[22:23], exec
.LBB88_100:                             ;   in Loop: Header=BB88_12 Depth=1
	s_or_b64 exec, exec, s[16:17]
	s_mov_b64 s[22:23], -1
	s_mov_b64 s[16:17], 0
	s_mov_b64 s[24:25], s[16:17]
	s_branch .LBB88_111
.LBB88_101:                             ;   in Loop: Header=BB88_12 Depth=1
	s_mov_b64 s[14:15], 0
                                        ; implicit-def: $vgpr19
	s_mov_b64 s[16:17], exec
	v_readlane_b32 s0, v50, 29
	v_readlane_b32 s1, v50, 30
	s_and_b64 s[0:1], s[16:17], s[0:1]
	s_mov_b64 exec, s[0:1]
	s_cbranch_execz .LBB88_110
; %bb.102:                              ;   in Loop: Header=BB88_12 Depth=1
	s_mov_b64 s[22:23], 0
	v_mov_b32_e32 v8, v6
	v_mov_b32_e32 v2, v0
                                        ; implicit-def: $sgpr24_sgpr25
	s_branch .LBB88_104
.LBB88_103:                             ;   in Loop: Header=BB88_104 Depth=2
	s_or_b64 exec, exec, s[14:15]
	s_waitcnt lgkmcnt(0)
	s_barrier
	ds_read_b64 v[18:19], v9 offset:3072
	v_add_u32_e32 v2, s57, v2
	v_cmp_le_u32_e32 vcc, s73, v2
	v_add_u32_e32 v8, s78, v8
	s_waitcnt lgkmcnt(0)
	v_readfirstlane_b32 s0, v18
	s_cmp_lg_u32 s0, 0
	s_cselect_b64 s[0:1], -1, 0
	s_or_b64 s[14:15], vcc, s[0:1]
	s_and_b64 s[14:15], exec, s[14:15]
	s_or_b64 s[22:23], s[14:15], s[22:23]
	s_andn2_b64 s[14:15], s[24:25], exec
	s_and_b64 s[0:1], s[0:1], exec
	s_or_b64 s[24:25], s[14:15], s[0:1]
	s_barrier
	s_andn2_b64 exec, exec, s[22:23]
	s_cbranch_execz .LBB88_109
.LBB88_104:                             ;   Parent Loop BB88_12 Depth=1
                                        ; =>  This Inner Loop Header: Depth=2
	v_cmp_gt_u32_e32 vcc, s56, v2
	s_waitcnt vmcnt(0)
	v_mov_b32_e32 v17, 0
	s_and_saveexec_b64 s[26:27], vcc
	s_cbranch_execz .LBB88_106
; %bb.105:                              ;   in Loop: Header=BB88_104 Depth=2
	v_lshlrev_b64 v[4:5], 2, v[8:9]
	v_mov_b32_e32 v3, s33
	v_add_co_u32_e64 v4, s[14:15], s59, v4
	v_addc_co_u32_e64 v5, s[14:15], v3, v5, s[14:15]
	global_load_dword v17, v[4:5], off
.LBB88_106:                             ;   in Loop: Header=BB88_104 Depth=2
	s_or_b64 exec, exec, s[26:27]
	s_and_saveexec_b64 s[14:15], vcc
	s_cbranch_execz .LBB88_103
; %bb.107:                              ;   in Loop: Header=BB88_104 Depth=2
	s_waitcnt vmcnt(0)
	v_xor_b32_e32 v3, 0x80000000, v17
	v_and_b32_e32 v3, s13, v3
	v_cmp_eq_u32_e32 vcc, s68, v3
	s_and_b64 exec, exec, vcc
	s_cbranch_execz .LBB88_103
; %bb.108:                              ;   in Loop: Header=BB88_104 Depth=2
	ds_write_b64 v9, v[16:17] offset:3072
	s_branch .LBB88_103
.LBB88_109:                             ;   in Loop: Header=BB88_12 Depth=1
	s_or_b64 exec, exec, s[22:23]
	s_and_b64 s[14:15], s[24:25], exec
.LBB88_110:                             ;   in Loop: Header=BB88_12 Depth=1
	s_or_b64 exec, exec, s[16:17]
	s_mov_b64 s[24:25], -1
	s_mov_b64 s[16:17], 0
	s_mov_b64 s[22:23], 0
.LBB88_111:                             ;   in Loop: Header=BB88_12 Depth=1
	s_andn2_b64 s[0:1], s[94:95], exec
	s_and_b64 s[16:17], s[16:17], exec
	s_or_b64 s[94:95], s[0:1], s[16:17]
	s_andn2_b64 s[0:1], s[92:93], exec
	s_and_b64 s[16:17], s[24:25], exec
	s_or_b64 s[92:93], s[0:1], s[16:17]
	;; [unrolled: 3-line block ×3, first 2 shown]
	s_and_saveexec_b64 s[16:17], s[14:15]
	s_cbranch_execz .LBB88_11
; %bb.112:                              ;   in Loop: Header=BB88_12 Depth=1
	s_xor_b64 s[0:1], s[20:21], -1
	s_mov_b64 s[14:15], 0
	s_andn2_b64 vcc, exec, s[0:1]
	s_mov_b32 s35, 1
	s_cbranch_vccnz .LBB88_123
; %bb.113:                              ;   in Loop: Header=BB88_12 Depth=1
	s_cmp_gt_u32 s69, s28
	s_mov_b64 s[14:15], -1
                                        ; implicit-def: $sgpr53
                                        ; implicit-def: $sgpr0
                                        ; implicit-def: $sgpr1
	s_cbranch_scc1 .LBB88_119
; %bb.114:                              ;   in Loop: Header=BB88_12 Depth=1
	ds_read_b32 v2, v9 offset:4104
	s_waitcnt lgkmcnt(0)
	v_cmp_ne_u32_e32 vcc, 0, v2
	s_cbranch_vccnz .LBB88_118
; %bb.115:                              ;   in Loop: Header=BB88_12 Depth=1
	s_mov_b64 s[14:15], exec
	v_readlane_b32 s0, v50, 0
	v_readlane_b32 s1, v50, 1
	s_and_b64 s[0:1], s[14:15], s[0:1]
	s_mov_b64 exec, s[0:1]
	s_cbranch_execz .LBB88_117
; %bb.116:                              ;   in Loop: Header=BB88_12 Depth=1
	v_mov_b32_e32 v2, s28
	ds_write_b32 v9, v2 offset:4108
.LBB88_117:                             ;   in Loop: Header=BB88_12 Depth=1
	s_or_b64 exec, exec, s[14:15]
	s_waitcnt lgkmcnt(0)
	s_barrier
.LBB88_118:                             ;   in Loop: Header=BB88_12 Depth=1
	s_and_b32 s0, s68, s44
	s_or_b32 s1, s13, s51
	s_mov_b64 s[14:15], 0
	s_mov_b32 s53, 8
.LBB88_119:                             ;   in Loop: Header=BB88_12 Depth=1
	s_andn2_b64 vcc, exec, s[14:15]
	s_cbranch_vccnz .LBB88_121
; %bb.120:                              ;   in Loop: Header=BB88_12 Depth=1
	s_sub_i32 s69, s69, s28
	s_mov_b64 s[14:15], -1
	s_mov_b32 s53, 0
	s_mov_b32 s0, s68
	;; [unrolled: 1-line block ×3, first 2 shown]
.LBB88_121:                             ;   in Loop: Header=BB88_12 Depth=1
	s_mov_b32 s13, s1
	s_mov_b32 s68, s0
	;; [unrolled: 1-line block ×3, first 2 shown]
	s_mov_b64 s[18:19], -1
	s_and_b64 vcc, exec, s[14:15]
	s_cbranch_vccnz .LBB88_124
.LBB88_122:                             ;   in Loop: Header=BB88_12 Depth=1
	s_mov_b64 s[30:31], -1
                                        ; implicit-def: $sgpr20_sgpr21
                                        ; implicit-def: $sgpr24_sgpr25
                                        ; implicit-def: $sgpr22_sgpr23
                                        ; implicit-def: $sgpr69
	s_and_saveexec_b64 s[0:1], s[30:31]
	s_xor_b64 s[14:15], exec, s[0:1]
	s_cbranch_execz .LBB88_10
	s_branch .LBB88_247
.LBB88_123:                             ;   in Loop: Header=BB88_12 Depth=1
	s_mov_b32 s53, 1
	s_mov_b64 s[18:19], -1
	s_and_b64 vcc, exec, s[14:15]
	s_cbranch_vccz .LBB88_122
.LBB88_124:                             ;   in Loop: Header=BB88_12 Depth=1
	s_cmp_eq_u32 s34, 1
	s_cselect_b64 s[0:1], -1, 0
	s_cmp_eq_u32 s35, 1
	s_cselect_b64 s[14:15], -1, 0
	s_and_b64 s[28:29], s[0:1], s[14:15]
	s_mov_b64 s[14:15], -1
	s_and_b64 vcc, exec, s[28:29]
	s_cbranch_vccz .LBB88_136
; %bb.125:                              ;   in Loop: Header=BB88_12 Depth=1
	ds_read_b32 v2, v9 offset:4104
	s_waitcnt lgkmcnt(0)
	s_barrier
	v_readfirstlane_b32 s0, v2
	s_and_saveexec_b64 s[14:15], s[6:7]
	s_cbranch_execz .LBB88_127
; %bb.126:                              ;   in Loop: Header=BB88_12 Depth=1
	ds_write_b32 v21, v9
.LBB88_127:                             ;   in Loop: Header=BB88_12 Depth=1
	s_or_b64 exec, exec, s[14:15]
	s_lshl_b32 s1, 1, s43
	s_and_b32 s14, s68, s44
	s_or_b32 s68, s14, s1
	s_or_b32 s13, s13, s51
	s_cmp_eq_u32 s0, 0
	s_waitcnt lgkmcnt(0)
	s_barrier
	s_cbranch_scc1 .LBB88_137
; %bb.128:                              ;   in Loop: Header=BB88_12 Depth=1
	v_readlane_b32 s1, v50, 11
	s_add_i32 s1, s0, s1
	v_readlane_b32 s2, v50, 28
	s_mul_hi_u32 s14, s1, s2
	s_mul_i32 s14, s14, s57
	s_sub_i32 s14, s1, s14
	s_sub_i32 s15, s14, s57
	s_cmp_ge_u32 s14, s57
	s_cselect_b32 s14, s15, s14
	s_sub_i32 s15, s14, s57
	s_cmp_ge_u32 s14, s57
	s_cselect_b32 s14, s15, s14
	s_sub_i32 s1, s1, s14
	v_cmp_gt_u32_e32 vcc, s1, v0
	s_mov_b64 s[14:15], 0
                                        ; implicit-def: $vgpr19
	s_and_saveexec_b64 s[20:21], vcc
	s_cbranch_execz .LBB88_139
; %bb.129:                              ;   in Loop: Header=BB88_12 Depth=1
	v_mov_b32_e32 v2, v20
	v_mov_b32_e32 v3, v0
                                        ; implicit-def: $sgpr22_sgpr23
	s_branch .LBB88_131
.LBB88_130:                             ;   in Loop: Header=BB88_131 Depth=2
	s_or_b64 exec, exec, s[24:25]
	s_waitcnt lgkmcnt(0)
	s_barrier
	ds_read_b64 v[18:19], v9 offset:3072
	v_add_u32_e32 v3, s57, v3
	v_cmp_le_u32_e32 vcc, s1, v3
	v_add_u32_e32 v2, s76, v2
	s_waitcnt lgkmcnt(0)
	v_readfirstlane_b32 s24, v18
	s_cmp_lg_u32 s24, 0
	s_cselect_b64 s[24:25], -1, 0
	s_or_b64 s[26:27], vcc, s[24:25]
	s_and_b64 s[26:27], exec, s[26:27]
	s_or_b64 s[14:15], s[26:27], s[14:15]
	s_andn2_b64 s[22:23], s[22:23], exec
	s_and_b64 s[24:25], s[24:25], exec
	s_or_b64 s[22:23], s[22:23], s[24:25]
	s_barrier
	s_andn2_b64 exec, exec, s[14:15]
	s_cbranch_execz .LBB88_138
.LBB88_131:                             ;   Parent Loop BB88_12 Depth=1
                                        ; =>  This Inner Loop Header: Depth=2
	v_cmp_gt_u32_e32 vcc, s0, v3
	s_waitcnt vmcnt(0)
	v_mov_b32_e32 v17, 0
	s_and_saveexec_b64 s[24:25], vcc
	s_cbranch_execz .LBB88_133
; %bb.132:                              ;   in Loop: Header=BB88_131 Depth=2
	ds_read_b32 v17, v2
.LBB88_133:                             ;   in Loop: Header=BB88_131 Depth=2
	s_or_b64 exec, exec, s[24:25]
	s_and_saveexec_b64 s[24:25], vcc
	s_cbranch_execz .LBB88_130
; %bb.134:                              ;   in Loop: Header=BB88_131 Depth=2
	s_waitcnt lgkmcnt(0)
	v_xor_b32_e32 v4, 0x80000000, v17
	v_and_b32_e32 v4, s13, v4
	v_cmp_eq_u32_e32 vcc, s68, v4
	s_and_b64 exec, exec, vcc
	s_cbranch_execz .LBB88_130
; %bb.135:                              ;   in Loop: Header=BB88_131 Depth=2
	ds_write_b64 v9, v[16:17] offset:3072
	s_branch .LBB88_130
.LBB88_136:                             ;   in Loop: Header=BB88_12 Depth=1
                                        ; implicit-def: $sgpr22_sgpr23
                                        ; implicit-def: $sgpr24_sgpr25
                                        ; implicit-def: $sgpr20_sgpr21
	s_branch .LBB88_150
.LBB88_137:                             ;   in Loop: Header=BB88_12 Depth=1
	s_mov_b64 s[22:23], -1
	s_mov_b64 s[14:15], 0
                                        ; implicit-def: $sgpr20_sgpr21
                                        ; implicit-def: $vgpr19
	s_mov_b64 s[24:25], s[22:23]
	s_cbranch_execnz .LBB88_140
	s_branch .LBB88_150
.LBB88_138:                             ;   in Loop: Header=BB88_12 Depth=1
	s_or_b64 exec, exec, s[14:15]
	s_and_b64 s[14:15], s[22:23], exec
.LBB88_139:                             ;   in Loop: Header=BB88_12 Depth=1
	s_or_b64 exec, exec, s[20:21]
	s_mov_b64 s[20:21], -1
	s_mov_b64 s[22:23], 0
	s_mov_b64 s[24:25], s[22:23]
	s_branch .LBB88_150
.LBB88_140:                             ;   in Loop: Header=BB88_12 Depth=1
	s_mov_b64 s[14:15], 0
                                        ; implicit-def: $vgpr19
	s_mov_b64 s[20:21], exec
	v_readlane_b32 s0, v50, 29
	v_readlane_b32 s1, v50, 30
	s_and_b64 s[0:1], s[20:21], s[0:1]
	s_mov_b64 exec, s[0:1]
	s_cbranch_execz .LBB88_149
; %bb.141:                              ;   in Loop: Header=BB88_12 Depth=1
	s_mov_b64 s[22:23], 0
	v_mov_b32_e32 v8, v6
	v_mov_b32_e32 v2, v0
                                        ; implicit-def: $sgpr24_sgpr25
	s_branch .LBB88_143
.LBB88_142:                             ;   in Loop: Header=BB88_143 Depth=2
	s_or_b64 exec, exec, s[14:15]
	s_waitcnt lgkmcnt(0)
	s_barrier
	ds_read_b64 v[18:19], v9 offset:3072
	v_add_u32_e32 v2, s57, v2
	v_cmp_le_u32_e32 vcc, s73, v2
	v_add_u32_e32 v8, s78, v8
	s_waitcnt lgkmcnt(0)
	v_readfirstlane_b32 s0, v18
	s_cmp_lg_u32 s0, 0
	s_cselect_b64 s[0:1], -1, 0
	s_or_b64 s[14:15], vcc, s[0:1]
	s_and_b64 s[14:15], exec, s[14:15]
	s_or_b64 s[22:23], s[14:15], s[22:23]
	s_andn2_b64 s[14:15], s[24:25], exec
	s_and_b64 s[0:1], s[0:1], exec
	s_or_b64 s[24:25], s[14:15], s[0:1]
	s_barrier
	s_andn2_b64 exec, exec, s[22:23]
	s_cbranch_execz .LBB88_148
.LBB88_143:                             ;   Parent Loop BB88_12 Depth=1
                                        ; =>  This Inner Loop Header: Depth=2
	v_cmp_gt_u32_e32 vcc, s56, v2
	s_waitcnt vmcnt(0)
	v_mov_b32_e32 v17, 0
	s_and_saveexec_b64 s[26:27], vcc
	s_cbranch_execz .LBB88_145
; %bb.144:                              ;   in Loop: Header=BB88_143 Depth=2
	v_lshlrev_b64 v[4:5], 2, v[8:9]
	v_mov_b32_e32 v3, s33
	v_add_co_u32_e64 v4, s[14:15], s59, v4
	v_addc_co_u32_e64 v5, s[14:15], v3, v5, s[14:15]
	global_load_dword v17, v[4:5], off
.LBB88_145:                             ;   in Loop: Header=BB88_143 Depth=2
	s_or_b64 exec, exec, s[26:27]
	s_and_saveexec_b64 s[14:15], vcc
	s_cbranch_execz .LBB88_142
; %bb.146:                              ;   in Loop: Header=BB88_143 Depth=2
	s_waitcnt vmcnt(0)
	v_xor_b32_e32 v3, 0x80000000, v17
	v_and_b32_e32 v3, s13, v3
	v_cmp_eq_u32_e32 vcc, s68, v3
	s_and_b64 exec, exec, vcc
	s_cbranch_execz .LBB88_142
; %bb.147:                              ;   in Loop: Header=BB88_143 Depth=2
	ds_write_b64 v9, v[16:17] offset:3072
	s_branch .LBB88_142
.LBB88_148:                             ;   in Loop: Header=BB88_12 Depth=1
	s_or_b64 exec, exec, s[22:23]
	s_and_b64 s[14:15], s[24:25], exec
.LBB88_149:                             ;   in Loop: Header=BB88_12 Depth=1
	s_or_b64 exec, exec, s[20:21]
	s_mov_b64 s[24:25], -1
	s_mov_b64 s[22:23], 0
	s_mov_b64 s[20:21], 0
.LBB88_150:                             ;   in Loop: Header=BB88_12 Depth=1
	s_mov_b64 s[30:31], 0
                                        ; implicit-def: $sgpr53
	s_and_saveexec_b64 s[26:27], s[14:15]
	s_cbranch_execz .LBB88_246
; %bb.151:                              ;   in Loop: Header=BB88_12 Depth=1
	s_xor_b64 s[0:1], s[28:29], -1
	s_mov_b64 s[14:15], 0
	s_andn2_b64 vcc, exec, s[0:1]
	s_mov_b32 s45, 1
	s_cbranch_vccnz .LBB88_162
; %bb.152:                              ;   in Loop: Header=BB88_12 Depth=1
	s_cmp_gt_u32 s35, s34
	s_mov_b64 s[14:15], -1
                                        ; implicit-def: $sgpr53
                                        ; implicit-def: $sgpr0
                                        ; implicit-def: $sgpr1
	s_cbranch_scc1 .LBB88_158
; %bb.153:                              ;   in Loop: Header=BB88_12 Depth=1
	ds_read_b32 v2, v9 offset:4104
	s_waitcnt lgkmcnt(0)
	v_cmp_ne_u32_e32 vcc, 0, v2
	s_cbranch_vccnz .LBB88_157
; %bb.154:                              ;   in Loop: Header=BB88_12 Depth=1
	s_mov_b64 s[14:15], exec
	v_readlane_b32 s0, v50, 0
	v_readlane_b32 s1, v50, 1
	s_and_b64 s[0:1], s[14:15], s[0:1]
	s_mov_b64 exec, s[0:1]
	s_cbranch_execz .LBB88_156
; %bb.155:                              ;   in Loop: Header=BB88_12 Depth=1
	v_mov_b32_e32 v2, s34
	ds_write_b32 v9, v2 offset:4108
.LBB88_156:                             ;   in Loop: Header=BB88_12 Depth=1
	s_or_b64 exec, exec, s[14:15]
	s_waitcnt lgkmcnt(0)
	s_barrier
.LBB88_157:                             ;   in Loop: Header=BB88_12 Depth=1
	s_lshl_b32 s0, 1, s43
	s_and_b32 s1, s68, s44
	s_or_b32 s0, s1, s0
	s_or_b32 s1, s13, s51
	s_mov_b64 s[14:15], 0
	s_mov_b32 s53, 8
.LBB88_158:                             ;   in Loop: Header=BB88_12 Depth=1
	s_andn2_b64 vcc, exec, s[14:15]
	s_cbranch_vccnz .LBB88_160
; %bb.159:                              ;   in Loop: Header=BB88_12 Depth=1
	s_sub_i32 s35, s35, s34
	s_mov_b64 s[14:15], -1
	s_mov_b32 s53, 0
	s_mov_b32 s0, s68
	;; [unrolled: 1-line block ×3, first 2 shown]
.LBB88_160:                             ;   in Loop: Header=BB88_12 Depth=1
	s_mov_b32 s13, s1
	s_mov_b32 s68, s0
	;; [unrolled: 1-line block ×3, first 2 shown]
	s_andn2_b64 vcc, exec, s[14:15]
	s_mov_b64 s[40:41], -1
	s_cbranch_vccz .LBB88_163
.LBB88_161:                             ;   in Loop: Header=BB88_12 Depth=1
                                        ; implicit-def: $sgpr30_sgpr31
                                        ; implicit-def: $sgpr34_sgpr35
                                        ; implicit-def: $sgpr28_sgpr29
	s_branch .LBB88_245
.LBB88_162:                             ;   in Loop: Header=BB88_12 Depth=1
	s_mov_b32 s53, 1
	s_andn2_b64 vcc, exec, s[14:15]
	s_mov_b64 s[40:41], -1
	s_cbranch_vccnz .LBB88_161
.LBB88_163:                             ;   in Loop: Header=BB88_12 Depth=1
	s_cmp_eq_u32 s42, 1
	s_cselect_b64 s[0:1], -1, 0
	s_cmp_eq_u32 s45, 1
	s_cselect_b64 s[14:15], -1, 0
	s_and_b64 s[38:39], s[0:1], s[14:15]
	s_mov_b64 s[14:15], -1
	s_and_b64 vcc, exec, s[38:39]
	s_cbranch_vccz .LBB88_175
; %bb.164:                              ;   in Loop: Header=BB88_12 Depth=1
	ds_read_b32 v2, v9 offset:4104
	s_waitcnt lgkmcnt(0)
	s_barrier
	v_readfirstlane_b32 s0, v2
	s_and_saveexec_b64 s[14:15], s[6:7]
	s_cbranch_execz .LBB88_166
; %bb.165:                              ;   in Loop: Header=BB88_12 Depth=1
	ds_write_b32 v21, v9
.LBB88_166:                             ;   in Loop: Header=BB88_12 Depth=1
	s_or_b64 exec, exec, s[14:15]
	s_lshl_b32 s1, 2, s43
	s_and_b32 s14, s68, s44
	s_or_b32 s68, s14, s1
	s_or_b32 s13, s13, s51
	s_cmp_eq_u32 s0, 0
	s_waitcnt lgkmcnt(0)
	s_barrier
	s_cbranch_scc1 .LBB88_176
; %bb.167:                              ;   in Loop: Header=BB88_12 Depth=1
	v_readlane_b32 s1, v50, 11
	s_add_i32 s1, s0, s1
	v_readlane_b32 s2, v50, 28
	s_mul_hi_u32 s14, s1, s2
	s_mul_i32 s14, s14, s57
	s_sub_i32 s14, s1, s14
	s_sub_i32 s15, s14, s57
	s_cmp_ge_u32 s14, s57
	s_cselect_b32 s14, s15, s14
	s_sub_i32 s15, s14, s57
	s_cmp_ge_u32 s14, s57
	s_cselect_b32 s14, s15, s14
	s_sub_i32 s1, s1, s14
	v_cmp_gt_u32_e32 vcc, s1, v0
	s_mov_b64 s[14:15], 0
                                        ; implicit-def: $vgpr19
	s_and_saveexec_b64 s[28:29], vcc
	s_cbranch_execz .LBB88_178
; %bb.168:                              ;   in Loop: Header=BB88_12 Depth=1
	v_mov_b32_e32 v2, v20
	v_mov_b32_e32 v3, v0
                                        ; implicit-def: $sgpr30_sgpr31
	s_branch .LBB88_170
.LBB88_169:                             ;   in Loop: Header=BB88_170 Depth=2
	s_or_b64 exec, exec, s[34:35]
	s_waitcnt lgkmcnt(0)
	s_barrier
	ds_read_b64 v[18:19], v9 offset:3072
	v_add_u32_e32 v3, s57, v3
	v_cmp_le_u32_e32 vcc, s1, v3
	v_add_u32_e32 v2, s76, v2
	s_waitcnt lgkmcnt(0)
	v_readfirstlane_b32 s34, v18
	s_cmp_lg_u32 s34, 0
	s_cselect_b64 s[34:35], -1, 0
	s_or_b64 s[36:37], vcc, s[34:35]
	s_and_b64 s[36:37], exec, s[36:37]
	s_or_b64 s[14:15], s[36:37], s[14:15]
	s_andn2_b64 s[30:31], s[30:31], exec
	s_and_b64 s[34:35], s[34:35], exec
	s_or_b64 s[30:31], s[30:31], s[34:35]
	s_barrier
	s_andn2_b64 exec, exec, s[14:15]
	s_cbranch_execz .LBB88_177
.LBB88_170:                             ;   Parent Loop BB88_12 Depth=1
                                        ; =>  This Inner Loop Header: Depth=2
	v_cmp_gt_u32_e32 vcc, s0, v3
	s_waitcnt vmcnt(0)
	v_mov_b32_e32 v17, 0
	s_and_saveexec_b64 s[34:35], vcc
	s_cbranch_execz .LBB88_172
; %bb.171:                              ;   in Loop: Header=BB88_170 Depth=2
	ds_read_b32 v17, v2
.LBB88_172:                             ;   in Loop: Header=BB88_170 Depth=2
	s_or_b64 exec, exec, s[34:35]
	s_and_saveexec_b64 s[34:35], vcc
	s_cbranch_execz .LBB88_169
; %bb.173:                              ;   in Loop: Header=BB88_170 Depth=2
	s_waitcnt lgkmcnt(0)
	v_xor_b32_e32 v4, 0x80000000, v17
	v_and_b32_e32 v4, s13, v4
	v_cmp_eq_u32_e32 vcc, s68, v4
	s_and_b64 exec, exec, vcc
	s_cbranch_execz .LBB88_169
; %bb.174:                              ;   in Loop: Header=BB88_170 Depth=2
	ds_write_b64 v9, v[16:17] offset:3072
	s_branch .LBB88_169
.LBB88_175:                             ;   in Loop: Header=BB88_12 Depth=1
                                        ; implicit-def: $sgpr28_sgpr29
                                        ; implicit-def: $sgpr34_sgpr35
                                        ; implicit-def: $sgpr30_sgpr31
	s_branch .LBB88_189
.LBB88_176:                             ;   in Loop: Header=BB88_12 Depth=1
	s_mov_b64 s[28:29], -1
	s_mov_b64 s[14:15], 0
                                        ; implicit-def: $sgpr30_sgpr31
                                        ; implicit-def: $vgpr19
	s_mov_b64 s[34:35], s[28:29]
	s_cbranch_execnz .LBB88_179
	s_branch .LBB88_189
.LBB88_177:                             ;   in Loop: Header=BB88_12 Depth=1
	s_or_b64 exec, exec, s[14:15]
	s_and_b64 s[14:15], s[30:31], exec
.LBB88_178:                             ;   in Loop: Header=BB88_12 Depth=1
	s_or_b64 exec, exec, s[28:29]
	s_mov_b64 s[30:31], -1
	s_mov_b64 s[28:29], 0
	s_mov_b64 s[34:35], s[28:29]
	s_branch .LBB88_189
.LBB88_179:                             ;   in Loop: Header=BB88_12 Depth=1
	s_mov_b64 s[14:15], 0
                                        ; implicit-def: $vgpr19
	s_mov_b64 s[28:29], exec
	v_readlane_b32 s0, v50, 29
	v_readlane_b32 s1, v50, 30
	s_and_b64 s[0:1], s[28:29], s[0:1]
	s_mov_b64 exec, s[0:1]
	s_cbranch_execz .LBB88_188
; %bb.180:                              ;   in Loop: Header=BB88_12 Depth=1
	s_mov_b64 s[30:31], 0
	v_mov_b32_e32 v8, v6
	v_mov_b32_e32 v2, v0
                                        ; implicit-def: $sgpr34_sgpr35
	s_branch .LBB88_182
.LBB88_181:                             ;   in Loop: Header=BB88_182 Depth=2
	s_or_b64 exec, exec, s[14:15]
	s_waitcnt lgkmcnt(0)
	s_barrier
	ds_read_b64 v[18:19], v9 offset:3072
	v_add_u32_e32 v2, s57, v2
	v_cmp_le_u32_e32 vcc, s73, v2
	v_add_u32_e32 v8, s78, v8
	s_waitcnt lgkmcnt(0)
	v_readfirstlane_b32 s0, v18
	s_cmp_lg_u32 s0, 0
	s_cselect_b64 s[0:1], -1, 0
	s_or_b64 s[14:15], vcc, s[0:1]
	s_and_b64 s[14:15], exec, s[14:15]
	s_or_b64 s[30:31], s[14:15], s[30:31]
	s_andn2_b64 s[14:15], s[34:35], exec
	s_and_b64 s[0:1], s[0:1], exec
	s_or_b64 s[34:35], s[14:15], s[0:1]
	s_barrier
	s_andn2_b64 exec, exec, s[30:31]
	s_cbranch_execz .LBB88_187
.LBB88_182:                             ;   Parent Loop BB88_12 Depth=1
                                        ; =>  This Inner Loop Header: Depth=2
	v_cmp_gt_u32_e32 vcc, s56, v2
	s_waitcnt vmcnt(0)
	v_mov_b32_e32 v17, 0
	s_and_saveexec_b64 s[36:37], vcc
	s_cbranch_execz .LBB88_184
; %bb.183:                              ;   in Loop: Header=BB88_182 Depth=2
	v_lshlrev_b64 v[4:5], 2, v[8:9]
	v_mov_b32_e32 v3, s33
	v_add_co_u32_e64 v4, s[14:15], s59, v4
	v_addc_co_u32_e64 v5, s[14:15], v3, v5, s[14:15]
	global_load_dword v17, v[4:5], off
.LBB88_184:                             ;   in Loop: Header=BB88_182 Depth=2
	s_or_b64 exec, exec, s[36:37]
	s_and_saveexec_b64 s[14:15], vcc
	s_cbranch_execz .LBB88_181
; %bb.185:                              ;   in Loop: Header=BB88_182 Depth=2
	s_waitcnt vmcnt(0)
	v_xor_b32_e32 v3, 0x80000000, v17
	v_and_b32_e32 v3, s13, v3
	v_cmp_eq_u32_e32 vcc, s68, v3
	s_and_b64 exec, exec, vcc
	s_cbranch_execz .LBB88_181
; %bb.186:                              ;   in Loop: Header=BB88_182 Depth=2
	ds_write_b64 v9, v[16:17] offset:3072
	s_branch .LBB88_181
.LBB88_187:                             ;   in Loop: Header=BB88_12 Depth=1
	s_or_b64 exec, exec, s[30:31]
	s_and_b64 s[14:15], s[34:35], exec
.LBB88_188:                             ;   in Loop: Header=BB88_12 Depth=1
	s_or_b64 exec, exec, s[28:29]
	s_mov_b64 s[34:35], -1
	s_mov_b64 s[28:29], 0
	s_mov_b64 s[30:31], 0
.LBB88_189:                             ;   in Loop: Header=BB88_12 Depth=1
	s_mov_b64 s[40:41], 0
                                        ; implicit-def: $sgpr53
	s_and_saveexec_b64 s[36:37], s[14:15]
	s_cbranch_execz .LBB88_244
; %bb.190:                              ;   in Loop: Header=BB88_12 Depth=1
	s_xor_b64 s[0:1], s[38:39], -1
	s_mov_b64 s[14:15], 0
	s_andn2_b64 vcc, exec, s[0:1]
	s_mov_b32 s52, 1
	s_cbranch_vccnz .LBB88_201
; %bb.191:                              ;   in Loop: Header=BB88_12 Depth=1
	s_cmp_gt_u32 s45, s42
	s_mov_b64 s[14:15], -1
                                        ; implicit-def: $sgpr53
                                        ; implicit-def: $sgpr0
                                        ; implicit-def: $sgpr1
	s_cbranch_scc1 .LBB88_197
; %bb.192:                              ;   in Loop: Header=BB88_12 Depth=1
	ds_read_b32 v2, v9 offset:4104
	s_waitcnt lgkmcnt(0)
	v_cmp_ne_u32_e32 vcc, 0, v2
	s_cbranch_vccnz .LBB88_196
; %bb.193:                              ;   in Loop: Header=BB88_12 Depth=1
	s_mov_b64 s[14:15], exec
	v_readlane_b32 s0, v50, 0
	v_readlane_b32 s1, v50, 1
	s_and_b64 s[0:1], s[14:15], s[0:1]
	s_mov_b64 exec, s[0:1]
	s_cbranch_execz .LBB88_195
; %bb.194:                              ;   in Loop: Header=BB88_12 Depth=1
	v_mov_b32_e32 v2, s42
	ds_write_b32 v9, v2 offset:4108
.LBB88_195:                             ;   in Loop: Header=BB88_12 Depth=1
	s_or_b64 exec, exec, s[14:15]
	s_waitcnt lgkmcnt(0)
	s_barrier
.LBB88_196:                             ;   in Loop: Header=BB88_12 Depth=1
	s_lshl_b32 s0, 2, s43
	s_and_b32 s1, s68, s44
	s_or_b32 s0, s1, s0
	s_or_b32 s1, s13, s51
	s_mov_b64 s[14:15], 0
	s_mov_b32 s53, 8
.LBB88_197:                             ;   in Loop: Header=BB88_12 Depth=1
	s_andn2_b64 vcc, exec, s[14:15]
	s_cbranch_vccnz .LBB88_199
; %bb.198:                              ;   in Loop: Header=BB88_12 Depth=1
	s_sub_i32 s45, s45, s42
	s_mov_b64 s[14:15], -1
	s_mov_b32 s53, 0
	s_mov_b32 s0, s68
	;; [unrolled: 1-line block ×3, first 2 shown]
.LBB88_199:                             ;   in Loop: Header=BB88_12 Depth=1
	s_mov_b32 s13, s1
	s_mov_b32 s68, s0
	;; [unrolled: 1-line block ×3, first 2 shown]
	s_andn2_b64 vcc, exec, s[14:15]
	s_mov_b64 s[48:49], -1
	s_cbranch_vccz .LBB88_202
.LBB88_200:                             ;   in Loop: Header=BB88_12 Depth=1
                                        ; implicit-def: $sgpr14_sgpr15
                                        ; implicit-def: $sgpr42_sgpr43
                                        ; implicit-def: $sgpr40_sgpr41
	s_branch .LBB88_243
.LBB88_201:                             ;   in Loop: Header=BB88_12 Depth=1
	s_mov_b32 s53, 1
	s_andn2_b64 vcc, exec, s[14:15]
	s_mov_b64 s[48:49], -1
	s_cbranch_vccnz .LBB88_200
.LBB88_202:                             ;   in Loop: Header=BB88_12 Depth=1
	s_cmp_eq_u32 s50, 1
	s_cselect_b64 s[0:1], -1, 0
	s_cmp_eq_u32 s52, 1
	s_cselect_b64 s[14:15], -1, 0
	s_and_b64 s[38:39], s[0:1], s[14:15]
	s_mov_b64 s[44:45], -1
	s_and_b64 vcc, exec, s[38:39]
	s_cbranch_vccz .LBB88_214
; %bb.203:                              ;   in Loop: Header=BB88_12 Depth=1
	ds_read_b32 v2, v9 offset:4104
	s_waitcnt lgkmcnt(0)
	s_barrier
	v_readfirstlane_b32 s0, v2
	s_and_saveexec_b64 s[14:15], s[6:7]
	s_cbranch_execz .LBB88_205
; %bb.204:                              ;   in Loop: Header=BB88_12 Depth=1
	ds_write_b32 v21, v9
.LBB88_205:                             ;   in Loop: Header=BB88_12 Depth=1
	s_or_b64 exec, exec, s[14:15]
	s_or_b32 s68, s68, s51
	s_or_b32 s13, s13, s51
	s_cmp_eq_u32 s0, 0
	s_waitcnt lgkmcnt(0)
	s_barrier
	s_cbranch_scc1 .LBB88_215
; %bb.206:                              ;   in Loop: Header=BB88_12 Depth=1
	v_readlane_b32 s1, v50, 11
	s_add_i32 s1, s0, s1
	v_readlane_b32 s2, v50, 28
	s_mul_hi_u32 s14, s1, s2
	s_mul_i32 s14, s14, s57
	s_sub_i32 s14, s1, s14
	s_sub_i32 s15, s14, s57
	s_cmp_ge_u32 s14, s57
	s_cselect_b32 s14, s15, s14
	s_sub_i32 s15, s14, s57
	s_cmp_ge_u32 s14, s57
	s_cselect_b32 s14, s15, s14
	s_sub_i32 s1, s1, s14
	v_cmp_gt_u32_e32 vcc, s1, v0
	s_mov_b64 s[44:45], 0
                                        ; implicit-def: $vgpr19
	s_and_saveexec_b64 s[14:15], vcc
	s_cbranch_execz .LBB88_217
; %bb.207:                              ;   in Loop: Header=BB88_12 Depth=1
	v_mov_b32_e32 v2, v20
	v_mov_b32_e32 v3, v0
                                        ; implicit-def: $sgpr42_sgpr43
	s_branch .LBB88_209
.LBB88_208:                             ;   in Loop: Header=BB88_209 Depth=2
	s_or_b64 exec, exec, s[44:45]
	s_waitcnt lgkmcnt(0)
	s_barrier
	ds_read_b64 v[18:19], v9 offset:3072
	v_add_u32_e32 v3, s57, v3
	v_cmp_le_u32_e32 vcc, s1, v3
	v_add_u32_e32 v2, s76, v2
	s_waitcnt lgkmcnt(0)
	v_readfirstlane_b32 s44, v18
	s_cmp_lg_u32 s44, 0
	s_cselect_b64 s[44:45], -1, 0
	s_or_b64 s[46:47], vcc, s[44:45]
	s_and_b64 s[46:47], exec, s[46:47]
	s_or_b64 s[40:41], s[46:47], s[40:41]
	s_andn2_b64 s[42:43], s[42:43], exec
	s_and_b64 s[44:45], s[44:45], exec
	s_or_b64 s[42:43], s[42:43], s[44:45]
	s_barrier
	s_andn2_b64 exec, exec, s[40:41]
	s_cbranch_execz .LBB88_216
.LBB88_209:                             ;   Parent Loop BB88_12 Depth=1
                                        ; =>  This Inner Loop Header: Depth=2
	v_cmp_gt_u32_e32 vcc, s0, v3
	s_waitcnt vmcnt(0)
	v_mov_b32_e32 v17, 0
	s_and_saveexec_b64 s[44:45], vcc
	s_cbranch_execz .LBB88_211
; %bb.210:                              ;   in Loop: Header=BB88_209 Depth=2
	ds_read_b32 v17, v2
.LBB88_211:                             ;   in Loop: Header=BB88_209 Depth=2
	s_or_b64 exec, exec, s[44:45]
	s_and_saveexec_b64 s[44:45], vcc
	s_cbranch_execz .LBB88_208
; %bb.212:                              ;   in Loop: Header=BB88_209 Depth=2
	s_waitcnt lgkmcnt(0)
	v_xor_b32_e32 v4, 0x80000000, v17
	v_and_b32_e32 v4, s13, v4
	v_cmp_eq_u32_e32 vcc, s68, v4
	s_and_b64 exec, exec, vcc
	s_cbranch_execz .LBB88_208
; %bb.213:                              ;   in Loop: Header=BB88_209 Depth=2
	ds_write_b64 v9, v[16:17] offset:3072
	s_branch .LBB88_208
.LBB88_214:                             ;   in Loop: Header=BB88_12 Depth=1
                                        ; implicit-def: $sgpr14_sgpr15
                                        ; implicit-def: $sgpr42_sgpr43
                                        ; implicit-def: $sgpr40_sgpr41
	s_branch .LBB88_228
.LBB88_215:                             ;   in Loop: Header=BB88_12 Depth=1
	s_mov_b64 s[14:15], -1
	s_mov_b64 s[44:45], 0
                                        ; implicit-def: $sgpr40_sgpr41
                                        ; implicit-def: $vgpr19
	s_mov_b64 s[42:43], s[14:15]
	s_cbranch_execnz .LBB88_218
	s_branch .LBB88_228
.LBB88_216:                             ;   in Loop: Header=BB88_12 Depth=1
	s_or_b64 exec, exec, s[40:41]
	s_and_b64 s[44:45], s[42:43], exec
.LBB88_217:                             ;   in Loop: Header=BB88_12 Depth=1
	s_or_b64 exec, exec, s[14:15]
	s_mov_b64 s[40:41], -1
	s_mov_b64 s[14:15], 0
	s_mov_b64 s[42:43], s[14:15]
	s_branch .LBB88_228
.LBB88_218:                             ;   in Loop: Header=BB88_12 Depth=1
	s_mov_b64 s[44:45], 0
                                        ; implicit-def: $vgpr19
	s_mov_b64 s[40:41], exec
	v_readlane_b32 s0, v50, 29
	v_readlane_b32 s1, v50, 30
	s_and_b64 s[0:1], s[40:41], s[0:1]
	s_mov_b64 exec, s[0:1]
	s_cbranch_execz .LBB88_227
; %bb.219:                              ;   in Loop: Header=BB88_12 Depth=1
	s_mov_b64 s[42:43], 0
	v_mov_b32_e32 v8, v6
	v_mov_b32_e32 v2, v0
                                        ; implicit-def: $sgpr44_sgpr45
	s_branch .LBB88_221
.LBB88_220:                             ;   in Loop: Header=BB88_221 Depth=2
	s_or_b64 exec, exec, s[14:15]
	s_waitcnt lgkmcnt(0)
	s_barrier
	ds_read_b64 v[18:19], v9 offset:3072
	v_add_u32_e32 v2, s57, v2
	v_cmp_le_u32_e32 vcc, s73, v2
	v_add_u32_e32 v8, s78, v8
	s_waitcnt lgkmcnt(0)
	v_readfirstlane_b32 s0, v18
	s_cmp_lg_u32 s0, 0
	s_cselect_b64 s[0:1], -1, 0
	s_or_b64 s[14:15], vcc, s[0:1]
	s_and_b64 s[14:15], exec, s[14:15]
	s_or_b64 s[42:43], s[14:15], s[42:43]
	s_andn2_b64 s[14:15], s[44:45], exec
	s_and_b64 s[0:1], s[0:1], exec
	s_or_b64 s[44:45], s[14:15], s[0:1]
	s_barrier
	s_andn2_b64 exec, exec, s[42:43]
	s_cbranch_execz .LBB88_226
.LBB88_221:                             ;   Parent Loop BB88_12 Depth=1
                                        ; =>  This Inner Loop Header: Depth=2
	v_cmp_gt_u32_e32 vcc, s56, v2
	s_waitcnt vmcnt(0)
	v_mov_b32_e32 v17, 0
	s_and_saveexec_b64 s[46:47], vcc
	s_cbranch_execz .LBB88_223
; %bb.222:                              ;   in Loop: Header=BB88_221 Depth=2
	v_lshlrev_b64 v[4:5], 2, v[8:9]
	v_mov_b32_e32 v3, s33
	v_add_co_u32_e64 v4, s[14:15], s59, v4
	v_addc_co_u32_e64 v5, s[14:15], v3, v5, s[14:15]
	global_load_dword v17, v[4:5], off
.LBB88_223:                             ;   in Loop: Header=BB88_221 Depth=2
	s_or_b64 exec, exec, s[46:47]
	s_and_saveexec_b64 s[14:15], vcc
	s_cbranch_execz .LBB88_220
; %bb.224:                              ;   in Loop: Header=BB88_221 Depth=2
	s_waitcnt vmcnt(0)
	v_xor_b32_e32 v3, 0x80000000, v17
	v_and_b32_e32 v3, s13, v3
	v_cmp_eq_u32_e32 vcc, s68, v3
	s_and_b64 exec, exec, vcc
	s_cbranch_execz .LBB88_220
; %bb.225:                              ;   in Loop: Header=BB88_221 Depth=2
	ds_write_b64 v9, v[16:17] offset:3072
	s_branch .LBB88_220
.LBB88_226:                             ;   in Loop: Header=BB88_12 Depth=1
	s_or_b64 exec, exec, s[42:43]
	s_and_b64 s[44:45], s[44:45], exec
.LBB88_227:                             ;   in Loop: Header=BB88_12 Depth=1
	s_or_b64 exec, exec, s[40:41]
	s_mov_b64 s[42:43], -1
	s_mov_b64 s[14:15], 0
	s_mov_b64 s[40:41], 0
.LBB88_228:                             ;   in Loop: Header=BB88_12 Depth=1
	s_mov_b64 s[48:49], 0
                                        ; implicit-def: $sgpr53
	s_and_saveexec_b64 s[46:47], s[44:45]
	s_cbranch_execz .LBB88_242
; %bb.229:                              ;   in Loop: Header=BB88_12 Depth=1
	s_xor_b64 s[0:1], s[38:39], -1
	s_andn2_b64 vcc, exec, s[0:1]
	s_mov_b32 s53, 1
	s_cbranch_vccnz .LBB88_236
; %bb.230:                              ;   in Loop: Header=BB88_12 Depth=1
	s_cmp_gt_u32 s52, s50
	s_cbranch_scc1 .LBB88_237
; %bb.231:                              ;   in Loop: Header=BB88_12 Depth=1
	ds_read_b32 v2, v9 offset:4104
	s_waitcnt lgkmcnt(0)
	v_cmp_ne_u32_e32 vcc, 0, v2
	s_cbranch_vccnz .LBB88_235
; %bb.232:                              ;   in Loop: Header=BB88_12 Depth=1
	s_mov_b64 s[38:39], exec
	v_readlane_b32 s0, v50, 0
	v_readlane_b32 s1, v50, 1
	s_and_b64 s[0:1], s[38:39], s[0:1]
	s_mov_b64 exec, s[0:1]
	s_cbranch_execz .LBB88_234
; %bb.233:                              ;   in Loop: Header=BB88_12 Depth=1
	v_mov_b32_e32 v2, s50
	ds_write_b32 v9, v2 offset:4108
.LBB88_234:                             ;   in Loop: Header=BB88_12 Depth=1
	s_or_b64 exec, exec, s[38:39]
	s_waitcnt lgkmcnt(0)
	s_barrier
.LBB88_235:                             ;   in Loop: Header=BB88_12 Depth=1
	s_or_b32 s0, s68, s51
	s_or_b32 s1, s13, s51
	s_mov_b64 s[38:39], 0
	s_mov_b32 s53, 8
	s_branch .LBB88_238
.LBB88_236:                             ;   in Loop: Header=BB88_12 Depth=1
	s_mov_b32 s52, 1
	s_branch .LBB88_241
.LBB88_237:                             ;   in Loop: Header=BB88_12 Depth=1
	s_mov_b64 s[38:39], -1
                                        ; implicit-def: $sgpr53
                                        ; implicit-def: $sgpr0
                                        ; implicit-def: $sgpr1
.LBB88_238:                             ;   in Loop: Header=BB88_12 Depth=1
	s_andn2_b64 vcc, exec, s[38:39]
	s_cbranch_vccnz .LBB88_240
; %bb.239:                              ;   in Loop: Header=BB88_12 Depth=1
	s_sub_i32 s52, s52, s50
	s_mov_b32 s53, 8
	s_mov_b32 s0, s68
	;; [unrolled: 1-line block ×3, first 2 shown]
.LBB88_240:                             ;   in Loop: Header=BB88_12 Depth=1
	s_mov_b32 s68, s0
	s_mov_b32 s13, s1
.LBB88_241:                             ;   in Loop: Header=BB88_12 Depth=1
	s_mov_b64 s[48:49], exec
.LBB88_242:                             ;   in Loop: Header=BB88_12 Depth=1
	s_or_b64 exec, exec, s[46:47]
.LBB88_243:                             ;   in Loop: Header=BB88_12 Depth=1
	s_andn2_b64 s[0:1], s[28:29], exec
	s_and_b64 s[14:15], s[14:15], exec
	s_or_b64 s[28:29], s[0:1], s[14:15]
	s_andn2_b64 s[0:1], s[34:35], exec
	s_and_b64 s[14:15], s[42:43], exec
	s_or_b64 s[34:35], s[0:1], s[14:15]
	;; [unrolled: 3-line block ×3, first 2 shown]
	s_and_b64 s[40:41], s[48:49], exec
	s_mov_b32 s45, s52
.LBB88_244:                             ;   in Loop: Header=BB88_12 Depth=1
	s_or_b64 exec, exec, s[36:37]
.LBB88_245:                             ;   in Loop: Header=BB88_12 Depth=1
	s_andn2_b64 s[0:1], s[22:23], exec
	s_and_b64 s[14:15], s[28:29], exec
	s_or_b64 s[22:23], s[0:1], s[14:15]
	s_andn2_b64 s[0:1], s[24:25], exec
	s_and_b64 s[14:15], s[34:35], exec
	s_or_b64 s[24:25], s[0:1], s[14:15]
	;; [unrolled: 3-line block ×3, first 2 shown]
	s_and_b64 s[30:31], s[40:41], exec
	s_mov_b32 s35, s45
.LBB88_246:                             ;   in Loop: Header=BB88_12 Depth=1
	s_or_b64 exec, exec, s[26:27]
                                        ; implicit-def: $sgpr69
	s_and_saveexec_b64 s[0:1], s[30:31]
	s_xor_b64 s[14:15], exec, s[0:1]
	s_cbranch_execz .LBB88_10
.LBB88_247:                             ;   in Loop: Header=BB88_12 Depth=1
	s_and_b32 s0, s53, -9
	s_cmp_eq_u32 s0, 0
	s_cbranch_scc1 .LBB88_8
; %bb.248:                              ;   in Loop: Header=BB88_12 Depth=1
	s_mov_b64 s[18:19], -1
                                        ; implicit-def: $sgpr13
                                        ; implicit-def: $sgpr35
                                        ; implicit-def: $sgpr75
                                        ; implicit-def: $sgpr12
	s_mov_b64 s[26:27], -1
	s_branch .LBB88_9
.LBB88_249:
	s_or_b64 exec, exec, s[82:83]
	s_xor_b64 s[8:9], s[88:89], -1
	s_xor_b64 s[0:1], s[84:85], -1
	;; [unrolled: 1-line block ×3, first 2 shown]
	s_mov_b64 s[4:5], 0
	s_and_saveexec_b64 s[10:11], s[0:1]
	s_xor_b64 s[0:1], exec, s[10:11]
	s_cbranch_execnz .LBB88_254
; %bb.250:
	s_andn2_saveexec_b64 s[0:1], s[0:1]
	s_cbranch_execnz .LBB88_267
.LBB88_251:
	s_or_b64 exec, exec, s[0:1]
	s_and_saveexec_b64 s[0:1], s[4:5]
.LBB88_252:
	; divergent unreachable
.LBB88_253:
	s_endpgm
.LBB88_254:
	s_and_saveexec_b64 s[4:5], s[8:9]
	s_xor_b64 s[4:5], exec, s[4:5]
	s_cbranch_execz .LBB88_265
; %bb.255:
	s_and_saveexec_b64 s[8:9], s[6:7]
	s_xor_b64 s[6:7], exec, s[8:9]
; %bb.256:
	v_xor_b32_e32 v19, 0x80000000, v2
; %bb.257:
	s_or_b64 exec, exec, s[6:7]
	v_readlane_b32 s18, v50, 8
	v_readlane_b32 s6, v50, 7
	s_mul_i32 s6, s6, s18
	s_mov_b32 s7, 0
	s_lshl_b64 s[6:7], s[6:7], 2
	v_readlane_b32 s8, v50, 4
	v_readlane_b32 s9, v50, 5
	s_add_u32 s6, s8, s6
	s_addc_u32 s7, s9, s7
	v_mov_b32_e32 v7, 0
	global_store_dword v7, v19, s[6:7]
	s_mov_b64 s[6:7], exec
	v_readlane_b32 s2, v50, 9
	v_readlane_b32 s3, v50, 10
	s_and_b64 s[2:3], s[6:7], s[2:3]
	s_mov_b64 exec, s[2:3]
	s_cbranch_execz .LBB88_264
; %bb.258:
	s_mov_b64 s[2:3], 0
	v_mov_b32_e32 v1, s33
                                        ; implicit-def: $sgpr8_sgpr9
                                        ; implicit-def: $sgpr12_sgpr13
                                        ; implicit-def: $sgpr10_sgpr11
	s_branch .LBB88_260
.LBB88_259:                             ;   in Loop: Header=BB88_260 Depth=1
	s_or_b64 exec, exec, s[14:15]
	s_and_b64 s[14:15], exec, s[12:13]
	s_or_b64 s[2:3], s[14:15], s[2:3]
	s_andn2_b64 s[8:9], s[8:9], exec
	s_and_b64 s[14:15], s[10:11], exec
	s_or_b64 s[8:9], s[8:9], s[14:15]
	s_andn2_b64 exec, exec, s[2:3]
	s_cbranch_execz .LBB88_262
.LBB88_260:                             ; =>This Inner Loop Header: Depth=1
	v_lshlrev_b64 v[2:3], 2, v[6:7]
	v_add_co_u32_e32 v2, vcc, s59, v2
	v_addc_co_u32_e32 v3, vcc, v1, v3, vcc
	global_load_dword v3, v[2:3], off
	v_mov_b32_e32 v2, v0
	s_or_b64 s[10:11], s[10:11], exec
	s_or_b64 s[12:13], s[12:13], exec
                                        ; implicit-def: $vgpr0
	s_waitcnt vmcnt(0)
	v_cmp_ne_u32_e32 vcc, v3, v19
	s_and_saveexec_b64 s[14:15], vcc
	s_cbranch_execz .LBB88_259
; %bb.261:                              ;   in Loop: Header=BB88_260 Depth=1
	v_add_u32_e32 v0, s57, v2
	v_cmp_le_u32_e32 vcc, s56, v0
	s_andn2_b64 s[12:13], s[12:13], exec
	s_and_b64 s[16:17], vcc, exec
	v_add_u32_e32 v6, s78, v6
	s_andn2_b64 s[10:11], s[10:11], exec
	s_or_b64 s[12:13], s[12:13], s[16:17]
	s_branch .LBB88_259
.LBB88_262:
	s_or_b64 exec, exec, s[2:3]
	s_and_saveexec_b64 s[2:3], s[8:9]
	s_xor_b64 s[2:3], exec, s[2:3]
	s_cbranch_execz .LBB88_264
; %bb.263:
	v_readlane_b32 s2, v50, 6
	s_mul_i32 s2, s2, s18
	s_mov_b32 s3, 0
	s_lshl_b64 s[2:3], s[2:3], 3
	v_readlane_b32 s8, v50, 2
	v_readlane_b32 s9, v50, 3
	s_add_u32 s2, s8, s2
	s_addc_u32 s3, s9, s3
	v_mov_b32_e32 v3, 0
	global_store_dwordx2 v3, v[2:3], s[2:3]
.LBB88_264:
	s_or_b64 exec, exec, s[6:7]
.LBB88_265:
	s_or_saveexec_b64 s[2:3], s[4:5]
	s_mov_b64 s[4:5], 0
	s_xor_b64 exec, exec, s[2:3]
	s_cbranch_execnz .LBB88_268
.LBB88_266:
	s_or_b64 exec, exec, s[2:3]
	s_and_b64 s[4:5], s[4:5], exec
	s_andn2_saveexec_b64 s[0:1], s[0:1]
	s_cbranch_execz .LBB88_251
.LBB88_267:
	s_or_b64 s[4:5], s[4:5], exec
	s_trap 2
	s_or_b64 exec, exec, s[0:1]
	s_and_saveexec_b64 s[0:1], s[4:5]
	s_cbranch_execnz .LBB88_252
	s_branch .LBB88_253
.LBB88_268:
	s_mov_b64 s[4:5], exec
	s_trap 2
	s_branch .LBB88_266
	.section	.rodata,"a",@progbits
	.p2align	6, 0x0
	.amdhsa_kernel _ZN2at6native12_GLOBAL__N_112gatherMedianIijLi1EEEvNS_4cuda6detail10TensorInfoIT_T0_EENS5_IlS7_EENS5_IKS6_S7_EES7_S7_S7_b
		.amdhsa_group_segment_fixed_size 4120
		.amdhsa_private_segment_fixed_size 0
		.amdhsa_kernarg_size 920
		.amdhsa_user_sgpr_count 6
		.amdhsa_user_sgpr_private_segment_buffer 1
		.amdhsa_user_sgpr_dispatch_ptr 0
		.amdhsa_user_sgpr_queue_ptr 0
		.amdhsa_user_sgpr_kernarg_segment_ptr 1
		.amdhsa_user_sgpr_dispatch_id 0
		.amdhsa_user_sgpr_flat_scratch_init 0
		.amdhsa_user_sgpr_kernarg_preload_length 0
		.amdhsa_user_sgpr_kernarg_preload_offset 0
		.amdhsa_user_sgpr_private_segment_size 0
		.amdhsa_uses_dynamic_stack 0
		.amdhsa_system_sgpr_private_segment_wavefront_offset 0
		.amdhsa_system_sgpr_workgroup_id_x 1
		.amdhsa_system_sgpr_workgroup_id_y 1
		.amdhsa_system_sgpr_workgroup_id_z 1
		.amdhsa_system_sgpr_workgroup_info 0
		.amdhsa_system_vgpr_workitem_id 0
		.amdhsa_next_free_vgpr 51
		.amdhsa_next_free_sgpr 96
		.amdhsa_accum_offset 52
		.amdhsa_reserve_vcc 1
		.amdhsa_reserve_flat_scratch 0
		.amdhsa_float_round_mode_32 0
		.amdhsa_float_round_mode_16_64 0
		.amdhsa_float_denorm_mode_32 3
		.amdhsa_float_denorm_mode_16_64 3
		.amdhsa_dx10_clamp 1
		.amdhsa_ieee_mode 1
		.amdhsa_fp16_overflow 0
		.amdhsa_tg_split 0
		.amdhsa_exception_fp_ieee_invalid_op 0
		.amdhsa_exception_fp_denorm_src 0
		.amdhsa_exception_fp_ieee_div_zero 0
		.amdhsa_exception_fp_ieee_overflow 0
		.amdhsa_exception_fp_ieee_underflow 0
		.amdhsa_exception_fp_ieee_inexact 0
		.amdhsa_exception_int_div_zero 0
	.end_amdhsa_kernel
	.section	.text._ZN2at6native12_GLOBAL__N_112gatherMedianIijLi1EEEvNS_4cuda6detail10TensorInfoIT_T0_EENS5_IlS7_EENS5_IKS6_S7_EES7_S7_S7_b,"axG",@progbits,_ZN2at6native12_GLOBAL__N_112gatherMedianIijLi1EEEvNS_4cuda6detail10TensorInfoIT_T0_EENS5_IlS7_EENS5_IKS6_S7_EES7_S7_S7_b,comdat
.Lfunc_end88:
	.size	_ZN2at6native12_GLOBAL__N_112gatherMedianIijLi1EEEvNS_4cuda6detail10TensorInfoIT_T0_EENS5_IlS7_EENS5_IKS6_S7_EES7_S7_S7_b, .Lfunc_end88-_ZN2at6native12_GLOBAL__N_112gatherMedianIijLi1EEEvNS_4cuda6detail10TensorInfoIT_T0_EENS5_IlS7_EENS5_IKS6_S7_EES7_S7_S7_b
                                        ; -- End function
	.section	.AMDGPU.csdata,"",@progbits
; Kernel info:
; codeLenInByte = 9636
; NumSgprs: 100
; NumVgprs: 51
; NumAgprs: 0
; TotalNumVgprs: 51
; ScratchSize: 0
; MemoryBound: 0
; FloatMode: 240
; IeeeMode: 1
; LDSByteSize: 4120 bytes/workgroup (compile time only)
; SGPRBlocks: 12
; VGPRBlocks: 6
; NumSGPRsForWavesPerEU: 100
; NumVGPRsForWavesPerEU: 51
; AccumOffset: 52
; Occupancy: 8
; WaveLimiterHint : 1
; COMPUTE_PGM_RSRC2:SCRATCH_EN: 0
; COMPUTE_PGM_RSRC2:USER_SGPR: 6
; COMPUTE_PGM_RSRC2:TRAP_HANDLER: 0
; COMPUTE_PGM_RSRC2:TGID_X_EN: 1
; COMPUTE_PGM_RSRC2:TGID_Y_EN: 1
; COMPUTE_PGM_RSRC2:TGID_Z_EN: 1
; COMPUTE_PGM_RSRC2:TIDIG_COMP_CNT: 0
; COMPUTE_PGM_RSRC3_GFX90A:ACCUM_OFFSET: 12
; COMPUTE_PGM_RSRC3_GFX90A:TG_SPLIT: 0
	.section	.text._ZN2at6native12_GLOBAL__N_112gatherMedianIijLi2EEEvNS_4cuda6detail10TensorInfoIT_T0_EENS5_IlS7_EENS5_IKS6_S7_EES7_S7_S7_b,"axG",@progbits,_ZN2at6native12_GLOBAL__N_112gatherMedianIijLi2EEEvNS_4cuda6detail10TensorInfoIT_T0_EENS5_IlS7_EENS5_IKS6_S7_EES7_S7_S7_b,comdat
	.globl	_ZN2at6native12_GLOBAL__N_112gatherMedianIijLi2EEEvNS_4cuda6detail10TensorInfoIT_T0_EENS5_IlS7_EENS5_IKS6_S7_EES7_S7_S7_b ; -- Begin function _ZN2at6native12_GLOBAL__N_112gatherMedianIijLi2EEEvNS_4cuda6detail10TensorInfoIT_T0_EENS5_IlS7_EENS5_IKS6_S7_EES7_S7_S7_b
	.p2align	8
	.type	_ZN2at6native12_GLOBAL__N_112gatherMedianIijLi2EEEvNS_4cuda6detail10TensorInfoIT_T0_EENS5_IlS7_EENS5_IKS6_S7_EES7_S7_S7_b,@function
_ZN2at6native12_GLOBAL__N_112gatherMedianIijLi2EEEvNS_4cuda6detail10TensorInfoIT_T0_EENS5_IlS7_EENS5_IKS6_S7_EES7_S7_S7_b: ; @_ZN2at6native12_GLOBAL__N_112gatherMedianIijLi2EEEvNS_4cuda6detail10TensorInfoIT_T0_EENS5_IlS7_EENS5_IKS6_S7_EES7_S7_S7_b
; %bb.0:
	s_load_dwordx2 s[12:13], s[4:5], 0x298
	s_load_dwordx4 s[56:59], s[4:5], 0x288
	s_add_u32 s10, s4, 0x298
	s_addc_u32 s11, s5, 0
	s_waitcnt lgkmcnt(0)
	s_mul_i32 s0, s13, s8
	s_add_i32 s0, s0, s7
	s_mul_i32 s0, s0, s12
	s_add_i32 s16, s0, s6
	s_cmp_ge_u32 s16, s57
	s_cbranch_scc1 .LBB89_253
; %bb.1:
	s_load_dword s1, s[4:5], 0xc
	s_load_dword s2, s[4:5], 0xe4
	s_load_dword s0, s[4:5], 0x1bc
                                        ; implicit-def: $vgpr50 : SGPR spill to VGPR lane
	v_cmp_eq_u32_e64 s[14:15], 0, v0
	s_waitcnt lgkmcnt(0)
	v_cvt_f32_u32_e32 v1, s1
	v_cvt_f32_u32_e32 v2, s2
	;; [unrolled: 1-line block ×3, first 2 shown]
	v_writelane_b32 v50, s1, 0
	v_rcp_iflag_f32_e32 v1, v1
	v_rcp_iflag_f32_e32 v2, v2
	;; [unrolled: 1-line block ×3, first 2 shown]
	s_sub_i32 s1, 0, s1
	v_mul_f32_e32 v1, 0x4f7ffffe, v1
	v_mul_f32_e32 v2, 0x4f7ffffe, v2
	v_cvt_u32_f32_e32 v1, v1
	v_cvt_u32_f32_e32 v2, v2
	v_mul_f32_e32 v3, 0x4f7ffffe, v3
	v_cvt_u32_f32_e32 v3, v3
	v_writelane_b32 v50, s2, 1
	s_sub_i32 s2, 0, s2
	v_readfirstlane_b32 s7, v1
	v_readfirstlane_b32 s13, v2
	s_mul_i32 s1, s1, s7
	s_mul_i32 s2, s2, s13
	s_mul_hi_u32 s8, s7, s1
	s_mul_hi_u32 s9, s13, s2
	s_sub_i32 s1, 0, s0
	v_readfirstlane_b32 s2, v3
	s_mul_i32 s1, s1, s2
	s_mul_hi_u32 s1, s2, s1
	s_add_i32 s1, s2, s1
	s_mov_b64 s[2:3], exec
	v_writelane_b32 v50, s14, 2
	v_writelane_b32 v50, s15, 3
	s_and_b64 s[14:15], s[2:3], s[14:15]
	s_mov_b64 exec, s[14:15]
	s_cbranch_execz .LBB89_3
; %bb.2:
	v_mov_b32_e32 v2, 0
	v_mov_b32_e32 v3, v2
	ds_write_b64 v2, v[2:3] offset:4096
.LBB89_3:
	s_or_b64 exec, exec, s[2:3]
	v_mov_b32_e32 v1, 0
	s_waitcnt lgkmcnt(0)
	s_barrier
	s_barrier
	ds_read_b64 v[2:3], v1 offset:4096
	s_add_i32 s7, s7, s8
	s_add_i32 s13, s13, s9
	s_load_dwordx2 s[8:9], s[4:5], 0x21c
	s_load_dwordx2 s[2:3], s[4:5], 0x1b0
	s_bitcmp1_b32 s59, 0
	s_cselect_b64 s[14:15], -1, 0
	s_waitcnt lgkmcnt(0)
	v_cmp_gt_i64_e32 vcc, 1, v[2:3]
	s_or_b64 s[14:15], s[14:15], vcc
	s_mul_hi_u32 s1, s16, s1
	s_andn2_b64 vcc, exec, s[14:15]
	s_mov_b32 s73, s56
	s_cbranch_vccnz .LBB89_5
; %bb.4:
	v_not_b32_e32 v1, v2
	v_not_b32_e32 v2, v3
	v_add_co_u32_e32 v1, vcc, s56, v1
	v_addc_co_u32_e32 v2, vcc, 0, v2, vcc
	v_lshrrev_b32_e32 v3, 31, v2
	v_add_co_u32_e32 v1, vcc, v1, v3
	v_addc_co_u32_e32 v2, vcc, 0, v2, vcc
	v_alignbit_b32 v1, v2, v1, 1
	v_readfirstlane_b32 s14, v1
	s_add_i32 s73, s14, 1
.LBB89_5:
	s_load_dwordx2 s[14:15], s[4:5], 0x144
                                        ; kill: killed $sgpr4 killed $sgpr5
	s_waitcnt lgkmcnt(0)
	v_writelane_b32 v50, s14, 4
	v_writelane_b32 v50, s15, 5
	s_load_dwordx2 s[14:15], s[4:5], 0xd8
	s_waitcnt lgkmcnt(0)
	v_writelane_b32 v50, s14, 6
	v_writelane_b32 v50, s15, 7
	s_load_dwordx2 s[14:15], s[4:5], 0x6c
	;; [unrolled: 4-line block ×3, first 2 shown]
	s_mul_hi_u32 s4, s16, s7
	s_waitcnt lgkmcnt(0)
	v_writelane_b32 v50, s14, 10
	v_writelane_b32 v50, s15, 11
	;; [unrolled: 1-line block ×3, first 2 shown]
	s_mul_hi_u32 s4, s16, s13
	v_writelane_b32 v50, s4, 13
	s_mov_b64 s[4:5], exec
	v_readlane_b32 s14, v50, 2
	v_readlane_b32 s15, v50, 3
	s_and_b64 s[14:15], s[4:5], s[14:15]
	s_mov_b64 exec, s[14:15]
	s_cbranch_execz .LBB89_7
; %bb.6:
	v_mov_b32_e32 v2, 0
	v_mov_b32_e32 v3, s56
	ds_write_b32 v2, v2 offset:4112
	ds_write_b64 v2, v[2:3] offset:4104
.LBB89_7:
	s_or_b64 exec, exec, s[4:5]
	s_mul_i32 s4, s1, s0
	s_sub_i32 s4, s16, s4
	s_add_i32 s5, s1, 1
	s_sub_i32 s7, s4, s0
	s_cmp_ge_u32 s4, s0
	s_cselect_b32 s1, s5, s1
	s_cselect_b32 s4, s7, s4
	s_add_i32 s5, s1, 1
	s_cmp_ge_u32 s4, s0
	s_cselect_b32 s1, s5, s1
	s_mul_i32 s0, s1, s0
	s_sub_i32 s0, s16, s0
	s_mul_i32 s0, s0, s9
	s_mul_i32 s1, s1, s8
	s_mov_b32 s68, 0
	s_waitcnt lgkmcnt(0)
	s_barrier
	s_load_dword s4, s[10:11], 0xc
	s_add_i32 s0, s1, s0
	s_mov_b32 s1, s68
	s_lshl_b64 s[0:1], s[0:1], 2
	s_add_u32 s59, s2, s0
	v_writelane_b32 v50, s16, 14
	s_addc_u32 s80, s3, s1
	v_cmp_gt_u32_e64 s[0:1], s56, v0
	v_mbcnt_lo_u32_b32 v1, -1, 0
	v_writelane_b32 v50, s0, 15
	s_waitcnt lgkmcnt(0)
	s_and_b32 s57, s4, 0xffff
	v_mbcnt_hi_u32_b32 v13, -1, v1
	v_writelane_b32 v50, s1, 16
	s_bfe_u32 s9, s4, 0xa0006
	v_cmp_gt_u32_e32 vcc, 64, v0
	v_cmp_gt_i32_e64 s[4:5], 4, v13
	s_add_i32 s0, s57, -1
	s_lshl_b32 s82, s57, 2
	s_and_b64 s[70:71], vcc, s[4:5]
	v_writelane_b32 v50, s0, 17
	s_add_i32 s0, s0, s56
	s_cmpk_gt_u32 s56, 0x300
	s_cselect_b64 s[4:5], -1, 0
	s_cmp_gt_u32 s57, 63
	s_cselect_b64 s[66:67], -1, 0
	s_cmp_lt_u32 s6, s12
	v_writelane_b32 v50, s4, 18
	s_cselect_b32 s1, 12, 18
	v_mov_b32_e32 v9, 0
	v_writelane_b32 v50, s5, 19
	s_add_u32 s4, s10, s1
	s_addc_u32 s5, s11, 0
	v_mul_lo_u32 v6, v0, s58
	v_mov_b32_e32 v7, v9
	v_writelane_b32 v50, s4, 20
	s_add_i32 s1, s9, -2
	v_lshlrev_b64 v[2:3], 2, v[6:7]
	v_writelane_b32 v50, s5, 21
	s_lshr_b32 s4, s1, 1
	v_mov_b32_e32 v7, s80
	v_add_co_u32_e32 v10, vcc, s59, v2
	s_add_i32 s8, s4, 1
	v_addc_co_u32_e32 v11, vcc, v7, v3, vcc
	v_lshlrev_b64 v[2:3], v13, -1
	s_cmpk_gt_u32 s57, 0x7f
	v_not_b32_e32 v12, v2
	v_cvt_f32_u32_e32 v2, s82
	s_cselect_b64 s[4:5], -1, 0
	s_and_b32 s10, s9, 0x3fe
	s_and_b32 s11, s8, 7
	v_writelane_b32 v50, s4, 22
	s_cmp_gt_u32 s1, 13
	v_writelane_b32 v50, s5, 23
	s_cselect_b64 s[12:13], -1, 0
	v_writelane_b32 v50, s12, 24
	v_rcp_iflag_f32_e32 v2, v2
	v_writelane_b32 v50, s13, 25
	s_and_b32 s1, s8, -8
	v_writelane_b32 v50, s1, 26
	s_cmp_lg_u32 s11, 0
	v_writelane_b32 v50, s11, 27
	s_cselect_b64 s[12:13], -1, 0
	v_writelane_b32 v50, s12, 28
	v_mul_f32_e32 v2, 0x4f7ffffe, v2
	v_writelane_b32 v50, s13, 29
	v_cvt_u32_f32_e32 v2, v2
	v_writelane_b32 v50, s9, 30
	s_cmp_lg_u32 s10, s9
	v_writelane_b32 v50, s10, 31
	s_cselect_b64 s[8:9], -1, 0
	v_writelane_b32 v50, s8, 32
	v_writelane_b32 v50, s9, 33
	v_readfirstlane_b32 s8, v2
	v_cvt_f32_u32_e32 v2, s57
	s_sub_i32 s1, 0, s82
	s_mul_i32 s1, s1, s8
	s_mul_hi_u32 s1, s8, s1
	s_add_i32 s85, s8, s1
	v_rcp_iflag_f32_e32 v5, v2
	s_mul_hi_u32 s1, s56, s85
	s_mul_i32 s1, s1, s82
	s_sub_i32 s1, s56, s1
	s_sub_i32 s8, s1, s82
	v_mul_f32_e32 v5, 0x4f7ffffe, v5
	s_cmp_ge_u32 s1, s82
	v_cvt_u32_f32_e32 v5, v5
	s_cselect_b32 s1, s8, s1
	s_sub_i32 s8, s1, s82
	s_cmp_ge_u32 s1, s82
	s_cselect_b32 s1, s8, s1
	s_sub_i32 s12, 0, s57
	v_readfirstlane_b32 s13, v5
	s_mul_i32 s12, s12, s13
	s_mul_hi_u32 s12, s13, s12
	s_add_i32 s2, s13, s12
	s_mul_hi_u32 s12, s0, s2
	s_mul_i32 s12, s12, s57
	s_sub_i32 s12, s0, s12
	s_sub_i32 s76, s56, s1
	;; [unrolled: 1-line block ×3, first 2 shown]
	v_add_u32_e32 v24, s76, v0
	s_cmp_ge_u32 s12, s57
	v_lshrrev_b32_e32 v1, 4, v0
	v_mul_lo_u32 v8, v24, s58
	s_cselect_b32 s12, s13, s12
	v_lshlrev_b32_e32 v20, 2, v0
	v_and_b32_e32 v22, 60, v1
	v_not_b32_e32 v1, v3
	v_lshlrev_b64 v[2:3], 2, v[8:9]
	s_sub_i32 s13, s12, s57
	v_add_co_u32_e32 v14, vcc, s59, v2
	s_cmp_ge_u32 s12, s57
	v_mul_lo_u32 v2, s58, v20
	s_cselect_b32 s12, s13, s12
	v_add_u32_e32 v25, s58, v2
	v_or_b32_e32 v2, 2, v20
	s_sub_i32 s83, s0, s12
	v_mul_lo_u32 v26, s58, v2
	v_or_b32_e32 v2, 3, v20
	s_add_i32 s0, s57, s56
	v_mul_lo_u32 v27, s58, v2
	v_add_u32_e32 v2, s0, v0
	v_lshlrev_b32_e32 v4, 2, v13
	v_mov_b32_e32 v8, s80
	v_writelane_b32 v50, s2, 34
	v_cmp_gt_u32_e64 s[2:3], s83, v0
	s_mul_i32 s81, s58, s57
	v_subrev_u32_e32 v2, s1, v2
	v_cmp_eq_u32_e64 s[4:5], 0, v13
	v_cmp_gt_u32_e64 s[6:7], 2, v0
	v_add_u32_e32 v21, 0xc00, v20
	v_and_b32_e32 v23, 0x100, v4
	v_cmp_gt_u32_e64 s[74:75], s76, v20
	v_cmp_gt_u32_e64 s[10:11], s56, v24
	v_addc_co_u32_e32 v15, vcc, v8, v3, vcc
	v_writelane_b32 v50, s2, 35
	s_lshl_b32 s33, s81, 2
	v_lshlrev_b32_e32 v28, 2, v6
	v_mul_lo_u32 v29, s58, v2
	v_lshlrev_b32_e32 v30, 4, v0
	s_lshl_b32 s78, s57, 4
	v_or_b32_e32 v31, 0xc00, v4
	s_mov_b32 s79, 30
	s_mov_b64 s[86:87], 0
	v_mov_b32_e32 v16, 1
	v_mov_b32_e32 v32, 0xc00
	;; [unrolled: 1-line block ×3, first 2 shown]
	s_mov_b32 s12, 0
	s_mov_b32 s72, 0
	;; [unrolled: 1-line block ×3, first 2 shown]
	v_writelane_b32 v50, s3, 36
                                        ; implicit-def: $sgpr88_sgpr89
                                        ; implicit-def: $sgpr92_sgpr93
                                        ; implicit-def: $sgpr90_sgpr91
                                        ; implicit-def: $sgpr94_sgpr95
                                        ; implicit-def: $sgpr60_sgpr61
                                        ; implicit-def: $sgpr62_sgpr63
	s_branch .LBB89_12
.LBB89_8:                               ;   in Loop: Header=BB89_12 Depth=1
	s_xor_b32 s12, s12, 1
	s_add_i32 s0, s79, -2
	s_cmp_eq_u32 s79, 0
	s_mov_b64 s[18:19], 0
	s_cselect_b64 s[26:27], -1, 0
	s_mov_b32 s79, s0
.LBB89_9:                               ;   in Loop: Header=BB89_12 Depth=1
	s_andn2_b64 s[0:1], s[22:23], exec
	s_and_b64 s[18:19], s[18:19], exec
	s_or_b64 s[22:23], s[0:1], s[18:19]
	s_andn2_b64 s[24:25], s[24:25], exec
	s_andn2_b64 s[20:21], s[20:21], exec
	s_orn2_b64 s[18:19], s[26:27], exec
	s_mov_b32 s73, s35
.LBB89_10:                              ;   in Loop: Header=BB89_12 Depth=1
	s_or_b64 exec, exec, s[14:15]
	s_andn2_b64 s[0:1], s[62:63], exec
	s_and_b64 s[14:15], s[22:23], exec
	s_or_b64 s[62:63], s[0:1], s[14:15]
	s_andn2_b64 s[0:1], s[60:61], exec
	s_and_b64 s[14:15], s[24:25], exec
	s_or_b64 s[60:61], s[0:1], s[14:15]
	;; [unrolled: 3-line block ×3, first 2 shown]
	s_orn2_b64 s[18:19], s[18:19], exec
.LBB89_11:                              ;   in Loop: Header=BB89_12 Depth=1
	s_or_b64 exec, exec, s[16:17]
	s_and_b64 s[0:1], exec, s[18:19]
	s_or_b64 s[86:87], s[0:1], s[86:87]
	s_andn2_b64 s[0:1], s[90:91], exec
	s_and_b64 s[14:15], s[62:63], exec
	s_or_b64 s[90:91], s[0:1], s[14:15]
	s_andn2_b64 s[0:1], s[92:93], exec
	s_and_b64 s[14:15], s[60:61], exec
	;; [unrolled: 3-line block ×3, first 2 shown]
	v_mov_b32_e32 v2, s72
	s_or_b64 s[88:89], s[0:1], s[14:15]
	s_andn2_b64 exec, exec, s[86:87]
	s_cbranch_execz .LBB89_249
.LBB89_12:                              ; =>This Loop Header: Depth=1
                                        ;     Child Loop BB89_20 Depth 2
                                        ;     Child Loop BB89_38 Depth 2
	;; [unrolled: 1-line block ×17, first 2 shown]
	ds_read_b64 v[2:3], v9 offset:4104
	s_waitcnt lgkmcnt(0)
	v_readfirstlane_b32 s69, v2
	s_cmp_lg_u32 s69, 0
	s_cbranch_scc1 .LBB89_45
; %bb.13:                               ;   in Loop: Header=BB89_12 Depth=1
	v_readlane_b32 s0, v50, 18
	v_readlane_b32 s1, v50, 19
	s_and_b64 vcc, exec, s[0:1]
	s_cbranch_vccz .LBB89_28
; %bb.14:                               ;   in Loop: Header=BB89_12 Depth=1
	s_movk_i32 s0, 0x301
	v_cmp_gt_u32_e32 vcc, s0, v3
	s_mov_b64 s[18:19], 0
	s_mov_b64 s[14:15], 0
	s_cbranch_vccz .LBB89_29
; %bb.15:                               ;   in Loop: Header=BB89_12 Depth=1
	v_mov_b32_e32 v2, 0
	s_mov_b64 s[14:15], exec
	v_readlane_b32 s0, v50, 15
	v_readlane_b32 s1, v50, 16
	s_and_b64 s[0:1], s[14:15], s[0:1]
	s_mov_b64 exec, s[0:1]
	s_cbranch_execz .LBB89_17
; %bb.16:                               ;   in Loop: Header=BB89_12 Depth=1
	global_load_dword v2, v[10:11], off
.LBB89_17:                              ;   in Loop: Header=BB89_12 Depth=1
	s_or_b64 exec, exec, s[14:15]
	s_mov_b64 s[20:21], exec
	v_readlane_b32 s0, v50, 15
	v_readlane_b32 s1, v50, 16
	s_and_b64 s[0:1], s[20:21], s[0:1]
	s_mov_b64 exec, s[0:1]
	s_cbranch_execz .LBB89_30
; %bb.18:                               ;   in Loop: Header=BB89_12 Depth=1
	v_readlane_b32 s0, v50, 20
	v_readlane_b32 s1, v50, 21
	s_mov_b64 s[22:23], 0
	s_nop 3
	global_load_ushort v3, v9, s[0:1]
	s_waitcnt vmcnt(0)
	v_add_u32_e32 v5, v0, v3
	v_mul_lo_u32 v4, s58, v3
	v_mul_lo_u32 v8, s58, v5
	v_mov_b32_e32 v5, v0
	s_branch .LBB89_20
.LBB89_19:                              ;   in Loop: Header=BB89_20 Depth=2
	s_or_b64 exec, exec, s[16:17]
	v_add_u32_e32 v8, v8, v4
	s_waitcnt vmcnt(0)
	v_mov_b32_e32 v2, v17
	s_andn2_b64 exec, exec, s[22:23]
	s_cbranch_execz .LBB89_30
.LBB89_20:                              ;   Parent Loop BB89_12 Depth=1
                                        ; =>  This Inner Loop Header: Depth=2
	v_add_u32_e32 v5, v5, v3
	v_cmp_gt_u32_e64 s[14:15], s56, v5
	v_cmp_le_u32_e32 vcc, s56, v5
	s_waitcnt lgkmcnt(0)
	v_mov_b32_e32 v18, 0
	v_mov_b32_e32 v17, 0
	s_and_saveexec_b64 s[16:17], s[14:15]
	s_cbranch_execz .LBB89_22
; %bb.21:                               ;   in Loop: Header=BB89_20 Depth=2
	v_lshlrev_b64 v[34:35], 2, v[8:9]
	v_add_co_u32_e64 v34, s[14:15], s59, v34
	v_addc_co_u32_e64 v35, s[14:15], v7, v35, s[14:15]
	global_load_dword v17, v[34:35], off
.LBB89_22:                              ;   in Loop: Header=BB89_20 Depth=2
	s_or_b64 exec, exec, s[16:17]
	v_xor_b32_e32 v33, 0x80000000, v2
	v_and_b32_e32 v33, s13, v33
	v_cmp_eq_u32_e64 s[14:15], s72, v33
	s_cmp_lg_u64 s[14:15], 0
	s_cselect_b64 s[0:1], -1, 0
	s_and_b64 s[0:1], s[4:5], s[0:1]
	s_and_saveexec_b64 s[24:25], s[0:1]
	s_cbranch_execz .LBB89_26
; %bb.23:                               ;   in Loop: Header=BB89_20 Depth=2
	s_mov_b64 s[28:29], exec
	v_mbcnt_lo_u32_b32 v18, s28, 0
	v_mbcnt_hi_u32_b32 v18, s29, v18
	s_bcnt1_i32_b64 s0, s[14:15]
	v_cmp_eq_u32_e64 s[16:17], 0, v18
                                        ; implicit-def: $vgpr33
	s_and_saveexec_b64 s[26:27], s[16:17]
	s_cbranch_execz .LBB89_25
; %bb.24:                               ;   in Loop: Header=BB89_20 Depth=2
	s_bcnt1_i32_b64 s1, s[28:29]
	s_mul_i32 s1, s0, s1
	v_mov_b32_e32 v33, s1
	ds_add_rtn_u32 v33, v9, v33 offset:4112
.LBB89_25:                              ;   in Loop: Header=BB89_20 Depth=2
	s_or_b64 exec, exec, s[26:27]
	s_waitcnt lgkmcnt(0)
	v_readfirstlane_b32 s1, v33
	v_mov_b32_e32 v33, s1
	v_mad_u32_u24 v18, s0, v18, v33
.LBB89_26:                              ;   in Loop: Header=BB89_20 Depth=2
	s_or_b64 exec, exec, s[24:25]
	ds_bpermute_b32 v18, v23, v18
	s_and_b64 s[0:1], exec, vcc
	s_or_b64 s[22:23], s[0:1], s[22:23]
	s_and_saveexec_b64 s[16:17], s[14:15]
	s_cbranch_execz .LBB89_19
; %bb.27:                               ;   in Loop: Header=BB89_20 Depth=2
	v_and_b32_e32 v34, s14, v12
	v_and_b32_e32 v33, s15, v1
	v_bcnt_u32_b32 v34, v34, 0
	v_bcnt_u32_b32 v33, v33, v34
	v_lshlrev_b32_e32 v33, 2, v33
	s_waitcnt lgkmcnt(0)
	v_lshl_add_u32 v18, v18, 2, v33
	ds_write_b32 v18, v2
	s_branch .LBB89_19
.LBB89_28:                              ;   in Loop: Header=BB89_12 Depth=1
	s_mov_b64 s[14:15], 0
                                        ; implicit-def: $sgpr69
	s_cbranch_execnz .LBB89_33
	s_branch .LBB89_43
.LBB89_29:                              ;   in Loop: Header=BB89_12 Depth=1
	s_mov_b32 s69, 0
	s_and_b64 vcc, exec, s[18:19]
	s_cbranch_vccnz .LBB89_33
	s_branch .LBB89_43
.LBB89_30:                              ;   in Loop: Header=BB89_12 Depth=1
	s_or_b64 exec, exec, s[20:21]
	s_waitcnt lgkmcnt(0)
	s_barrier
	s_mov_b64 s[14:15], exec
	v_readlane_b32 s0, v50, 2
	v_readlane_b32 s1, v50, 3
	s_and_b64 s[0:1], s[14:15], s[0:1]
	s_mov_b64 exec, s[0:1]
	s_cbranch_execz .LBB89_32
; %bb.31:                               ;   in Loop: Header=BB89_12 Depth=1
	s_waitcnt vmcnt(0)
	ds_read_b32 v2, v9 offset:4112
	s_waitcnt lgkmcnt(0)
	ds_write_b32 v9, v2 offset:4104
.LBB89_32:                              ;   in Loop: Header=BB89_12 Depth=1
	s_or_b64 exec, exec, s[14:15]
	s_waitcnt lgkmcnt(0)
	s_barrier
	s_mov_b64 s[14:15], -1
	s_mov_b32 s69, 0
	s_and_b64 vcc, exec, s[18:19]
	s_cbranch_vccz .LBB89_43
.LBB89_33:                              ;   in Loop: Header=BB89_12 Depth=1
	s_waitcnt vmcnt(0)
	v_mov_b32_e32 v2, 0
	s_mov_b64 s[14:15], exec
	v_readlane_b32 s0, v50, 15
	v_readlane_b32 s1, v50, 16
	s_and_b64 s[0:1], s[14:15], s[0:1]
	s_mov_b64 exec, s[0:1]
	s_cbranch_execz .LBB89_35
; %bb.34:                               ;   in Loop: Header=BB89_12 Depth=1
	global_load_dword v2, v[10:11], off
.LBB89_35:                              ;   in Loop: Header=BB89_12 Depth=1
	s_or_b64 exec, exec, s[14:15]
	s_mov_b64 s[16:17], exec
	v_readlane_b32 s0, v50, 15
	v_readlane_b32 s1, v50, 16
	s_and_b64 s[0:1], s[16:17], s[0:1]
	s_mov_b64 exec, s[0:1]
	s_cbranch_execz .LBB89_40
; %bb.36:                               ;   in Loop: Header=BB89_12 Depth=1
	v_readlane_b32 s0, v50, 20
	v_readlane_b32 s1, v50, 21
	s_mov_b64 s[18:19], 0
	v_mov_b32_e32 v4, v20
	v_mov_b32_e32 v18, v0
	s_nop 1
	global_load_ushort v3, v9, s[0:1]
	s_waitcnt vmcnt(0)
	v_add_u32_e32 v8, v0, v3
	v_lshlrev_b32_e32 v5, 2, v3
	v_mul_lo_u32 v17, s58, v3
	v_mul_lo_u32 v8, s58, v8
	s_branch .LBB89_38
.LBB89_37:                              ;   in Loop: Header=BB89_38 Depth=2
	s_or_b64 exec, exec, s[20:21]
	s_and_b64 s[0:1], exec, vcc
	s_or_b64 s[18:19], s[0:1], s[18:19]
	ds_write_b32 v4, v2
	v_add_u32_e32 v4, v4, v5
	v_add_u32_e32 v8, v8, v17
	s_waitcnt vmcnt(0)
	v_mov_b32_e32 v2, v33
	s_andn2_b64 exec, exec, s[18:19]
	s_cbranch_execz .LBB89_40
.LBB89_38:                              ;   Parent Loop BB89_12 Depth=1
                                        ; =>  This Inner Loop Header: Depth=2
	v_add_u32_e32 v18, v18, v3
	v_cmp_gt_u32_e64 s[14:15], s56, v18
	v_cmp_le_u32_e32 vcc, s56, v18
	v_mov_b32_e32 v33, 0
	s_and_saveexec_b64 s[20:21], s[14:15]
	s_cbranch_execz .LBB89_37
; %bb.39:                               ;   in Loop: Header=BB89_38 Depth=2
	v_lshlrev_b64 v[34:35], 2, v[8:9]
	v_mov_b32_e32 v33, s80
	v_add_co_u32_e64 v34, s[14:15], s59, v34
	v_addc_co_u32_e64 v35, s[14:15], v33, v35, s[14:15]
	global_load_dword v33, v[34:35], off
	s_branch .LBB89_37
.LBB89_40:                              ;   in Loop: Header=BB89_12 Depth=1
	s_or_b64 exec, exec, s[16:17]
	s_waitcnt lgkmcnt(0)
	s_barrier
	s_mov_b64 s[14:15], exec
	v_readlane_b32 s0, v50, 2
	v_readlane_b32 s1, v50, 3
	s_and_b64 s[0:1], s[14:15], s[0:1]
	s_mov_b64 exec, s[0:1]
	s_cbranch_execz .LBB89_42
; %bb.41:                               ;   in Loop: Header=BB89_12 Depth=1
	s_waitcnt vmcnt(0)
	v_mov_b32_e32 v2, s56
	ds_write_b32 v9, v2 offset:4104
.LBB89_42:                              ;   in Loop: Header=BB89_12 Depth=1
	s_or_b64 exec, exec, s[14:15]
	s_mov_b64 s[14:15], -1
	s_waitcnt lgkmcnt(0)
	s_barrier
                                        ; implicit-def: $sgpr69
.LBB89_43:                              ;   in Loop: Header=BB89_12 Depth=1
	s_and_b64 vcc, exec, s[14:15]
	s_cbranch_vccz .LBB89_45
; %bb.44:                               ;   in Loop: Header=BB89_12 Depth=1
	s_waitcnt vmcnt(0)
	ds_read_b32 v2, v9 offset:4104
	s_waitcnt lgkmcnt(0)
	v_readfirstlane_b32 s69, v2
.LBB89_45:                              ;   in Loop: Header=BB89_12 Depth=1
	s_cmp_lt_i32 s69, 1
	s_cbranch_scc0 .LBB89_49
; %bb.46:                               ;   in Loop: Header=BB89_12 Depth=1
	s_waitcnt vmcnt(0)
	v_mov_b32_e32 v2, 0
	s_mov_b32 s48, 0
	v_mov_b32_e32 v3, 0
	v_mov_b32_e32 v4, v2
	;; [unrolled: 1-line block ×3, first 2 shown]
	s_and_saveexec_b64 s[44:45], s[74:75]
	s_cbranch_execnz .LBB89_50
; %bb.47:                               ;   in Loop: Header=BB89_12 Depth=1
	s_or_b64 exec, exec, s[44:45]
	v_mov_b32_e32 v18, 0
	s_and_saveexec_b64 s[14:15], s[10:11]
	s_cbranch_execnz .LBB89_53
.LBB89_48:                              ;   in Loop: Header=BB89_12 Depth=1
	s_or_b64 exec, exec, s[14:15]
	s_and_saveexec_b64 s[16:17], s[10:11]
	s_cbranch_execnz .LBB89_54
	s_branch .LBB89_59
.LBB89_49:                              ;   in Loop: Header=BB89_12 Depth=1
                                        ; implicit-def: $vgpr5
	s_cbranch_execnz .LBB89_60
	s_branch .LBB89_69
.LBB89_50:                              ;   in Loop: Header=BB89_12 Depth=1
	s_and_b32 s49, s79, 0xfe
	s_mov_b64 s[46:47], 0
	s_mov_b32 s50, 0
	s_mov_b32 s51, 0
	;; [unrolled: 1-line block ×4, first 2 shown]
	v_mov_b32_e32 v17, v20
.LBB89_51:                              ;   Parent Loop BB89_12 Depth=1
                                        ; =>  This Inner Loop Header: Depth=2
	v_add_u32_e32 v8, s48, v28
	v_lshlrev_b64 v[2:3], 2, v[8:9]
	v_mov_b32_e32 v18, s80
	v_add_u32_e32 v8, s48, v25
	v_add_co_u32_e64 v2, s[14:15], s59, v2
	v_lshlrev_b64 v[4:5], 2, v[8:9]
	v_addc_co_u32_e64 v3, s[14:15], v18, v3, s[14:15]
	v_add_u32_e32 v8, s48, v26
	v_add_co_u32_e64 v4, s[14:15], s59, v4
	v_lshlrev_b64 v[34:35], 2, v[8:9]
	v_add_u32_e32 v8, s48, v27
	v_addc_co_u32_e64 v5, s[14:15], v18, v5, s[14:15]
	global_load_dword v33, v[2:3], off
	v_lshlrev_b64 v[2:3], 2, v[8:9]
	global_load_dword v8, v[4:5], off
	v_add_co_u32_e64 v4, s[14:15], s59, v34
	v_addc_co_u32_e64 v5, s[14:15], v18, v35, s[14:15]
	global_load_dword v4, v[4:5], off
	v_add_co_u32_e64 v2, s[14:15], s59, v2
	v_addc_co_u32_e64 v3, s[14:15], v18, v3, s[14:15]
	global_load_dword v2, v[2:3], off
	v_add_u32_e32 v17, s82, v17
	v_cmp_le_u32_e32 vcc, s76, v17
	s_add_i32 s48, s48, s33
	s_waitcnt vmcnt(3)
	v_xor_b32_e32 v3, 0x80000000, v33
	s_waitcnt vmcnt(2)
	v_xor_b32_e32 v5, 0x80000000, v8
	v_and_b32_e32 v8, s13, v3
	v_bfe_u32 v3, v3, s49, 2
	v_cmp_eq_u32_e64 s[14:15], s72, v8
	v_cmp_eq_u32_e64 s[16:17], 0, v3
	v_and_b32_e32 v8, s13, v5
	v_bfe_u32 v5, v5, s49, 2
	v_cmp_eq_u32_e64 s[18:19], 1, v3
	s_and_b64 s[0:1], s[14:15], s[16:17]
	v_cmp_eq_u32_e64 s[20:21], 2, v3
	v_cmp_eq_u32_e64 s[26:27], 0, v5
	;; [unrolled: 1-line block ×5, first 2 shown]
	v_cndmask_b32_e64 v5, 0, 1, s[0:1]
	s_and_b64 s[0:1], s[14:15], s[18:19]
	v_cmp_eq_u32_e64 s[22:23], 3, v3
	v_cmp_eq_u32_e64 s[24:25], s72, v8
	v_cndmask_b32_e64 v8, 0, 1, s[0:1]
	s_and_b64 s[0:1], s[14:15], s[20:21]
	s_waitcnt vmcnt(1)
	v_xor_b32_e32 v4, 0x80000000, v4
	v_cndmask_b32_e64 v18, 0, 1, s[0:1]
	s_and_b64 s[0:1], s[14:15], s[22:23]
	v_and_b32_e32 v3, s13, v4
	v_bfe_u32 v4, v4, s49, 2
	v_cndmask_b32_e64 v33, 0, 1, s[0:1]
	s_and_b64 s[0:1], s[24:25], s[26:27]
	v_cmp_eq_u32_e64 s[16:17], 0, v4
	v_cmp_eq_u32_e64 s[18:19], 1, v4
	v_cmp_eq_u32_e64 s[20:21], 2, v4
	v_cmp_eq_u32_e64 s[22:23], 3, v4
	v_cndmask_b32_e64 v4, 0, 1, s[0:1]
	s_and_b64 s[0:1], s[24:25], s[28:29]
	v_cmp_ne_u32_e64 s[36:37], 0, v5
	v_cndmask_b32_e64 v5, 0, 1, s[0:1]
	s_and_b64 s[0:1], s[24:25], s[30:31]
	s_waitcnt vmcnt(0)
	v_xor_b32_e32 v2, 0x80000000, v2
	v_cmp_eq_u32_e64 s[14:15], s72, v3
	v_cmp_ne_u32_e64 s[26:27], 0, v8
	v_cndmask_b32_e64 v8, 0, 1, s[0:1]
	s_and_b64 s[0:1], s[24:25], s[34:35]
	v_and_b32_e32 v3, s13, v2
	v_bfe_u32 v2, v2, s49, 2
	v_cmp_ne_u32_e64 s[28:29], 0, v18
	v_cndmask_b32_e64 v18, 0, 1, s[0:1]
	s_and_b64 s[0:1], s[14:15], s[16:17]
	v_cmp_eq_u32_e64 s[34:35], 0, v2
	v_cmp_eq_u32_e64 s[38:39], 1, v2
	;; [unrolled: 1-line block ×4, first 2 shown]
	v_cndmask_b32_e64 v2, 0, 1, s[0:1]
	s_and_b64 s[0:1], s[14:15], s[18:19]
	v_cmp_eq_u32_e64 s[24:25], s72, v3
	v_cndmask_b32_e64 v3, 0, 1, s[0:1]
	s_and_b64 s[0:1], s[14:15], s[20:21]
	s_bcnt1_i32_b64 s54, s[36:37]
	v_cmp_ne_u32_e64 s[36:37], 0, v4
	v_cndmask_b32_e64 v4, 0, 1, s[0:1]
	s_and_b64 s[0:1], s[14:15], s[22:23]
	v_cmp_ne_u32_e64 s[16:17], 0, v5
	v_cndmask_b32_e64 v5, 0, 1, s[0:1]
	s_and_b64 s[0:1], s[24:25], s[34:35]
	;; [unrolled: 3-line block ×3, first 2 shown]
	v_cmp_ne_u32_e64 s[30:31], 0, v33
	s_bcnt1_i32_b64 s26, s[26:27]
	s_bcnt1_i32_b64 s27, s[28:29]
	v_cmp_ne_u32_e64 s[18:19], 0, v8
	s_bcnt1_i32_b64 s29, s[16:17]
	v_cmp_ne_u32_e64 s[16:17], 0, v3
	v_cndmask_b32_e64 v3, 0, 1, s[0:1]
	s_and_b64 s[0:1], s[24:25], s[40:41]
	s_bcnt1_i32_b64 s28, s[30:31]
	v_cmp_ne_u32_e64 s[20:21], 0, v18
	s_bcnt1_i32_b64 s30, s[18:19]
	v_cmp_ne_u32_e64 s[18:19], 0, v4
	v_cndmask_b32_e64 v4, 0, 1, s[0:1]
	s_and_b64 s[0:1], s[24:25], s[42:43]
	s_bcnt1_i32_b64 s22, s[36:37]
	s_add_i32 s23, s53, s54
	s_add_i32 s26, s52, s26
	;; [unrolled: 1-line block ×3, first 2 shown]
	s_bcnt1_i32_b64 s31, s[20:21]
	v_cmp_ne_u32_e64 s[20:21], 0, v5
	v_cndmask_b32_e64 v5, 0, 1, s[0:1]
	s_add_i32 s0, s50, s28
	s_bcnt1_i32_b64 s1, s[14:15]
	v_cmp_ne_u32_e64 s[14:15], 0, v2
	s_add_i32 s22, s23, s22
	s_bcnt1_i32_b64 s23, s[16:17]
	v_cmp_ne_u32_e64 s[16:17], 0, v3
	;; [unrolled: 3-line block ×4, first 2 shown]
	s_add_i32 s0, s0, s31
	s_bcnt1_i32_b64 s14, s[14:15]
	s_add_i32 s1, s22, s1
	s_bcnt1_i32_b64 s15, s[16:17]
	;; [unrolled: 2-line block ×4, first 2 shown]
	s_add_i32 s0, s0, s27
	s_add_i32 s53, s1, s14
	;; [unrolled: 1-line block ×5, first 2 shown]
	s_or_b64 s[46:47], vcc, s[46:47]
	v_mov_b32_e32 v2, s53
	v_mov_b32_e32 v3, s52
	;; [unrolled: 1-line block ×4, first 2 shown]
	s_andn2_b64 exec, exec, s[46:47]
	s_cbranch_execnz .LBB89_51
; %bb.52:                               ;   in Loop: Header=BB89_12 Depth=1
	s_or_b64 exec, exec, s[46:47]
	s_or_b64 exec, exec, s[44:45]
	v_mov_b32_e32 v18, 0
	s_and_saveexec_b64 s[14:15], s[10:11]
	s_cbranch_execz .LBB89_48
.LBB89_53:                              ;   in Loop: Header=BB89_12 Depth=1
	global_load_dword v18, v[14:15], off
	s_or_b64 exec, exec, s[14:15]
	s_and_saveexec_b64 s[16:17], s[10:11]
	s_cbranch_execz .LBB89_59
.LBB89_54:                              ;   in Loop: Header=BB89_12 Depth=1
	s_and_b32 s0, s79, 0xfe
	s_mov_b64 s[18:19], 0
	v_mov_b32_e32 v8, v29
	v_mov_b32_e32 v17, v24
	s_branch .LBB89_56
.LBB89_55:                              ;   in Loop: Header=BB89_56 Depth=2
	s_or_b64 exec, exec, s[20:21]
	s_waitcnt vmcnt(0)
	v_xor_b32_e32 v18, 0x80000000, v18
	s_and_b64 s[14:15], exec, vcc
	v_and_b32_e32 v34, s13, v18
	v_bfe_u32 v18, v18, s0, 2
	s_or_b64 s[18:19], s[14:15], s[18:19]
	v_cmp_eq_u32_e32 vcc, s72, v34
	v_cmp_eq_u32_e64 s[14:15], 0, v18
	s_and_b64 s[14:15], vcc, s[14:15]
	v_cndmask_b32_e64 v34, 0, 1, s[14:15]
	v_cmp_ne_u32_e64 s[14:15], 0, v34
	s_bcnt1_i32_b64 s1, s[14:15]
	v_cmp_eq_u32_e64 s[14:15], 1, v18
	s_and_b64 s[14:15], vcc, s[14:15]
	v_cndmask_b32_e64 v34, 0, 1, s[14:15]
	v_cmp_ne_u32_e64 s[14:15], 0, v34
	v_add_u32_e32 v2, s1, v2
	s_bcnt1_i32_b64 s1, s[14:15]
	v_cmp_eq_u32_e64 s[14:15], 2, v18
	s_and_b64 s[14:15], vcc, s[14:15]
	v_cndmask_b32_e64 v34, 0, 1, s[14:15]
	v_cmp_ne_u32_e64 s[14:15], 0, v34
	v_add_u32_e32 v3, s1, v3
	s_bcnt1_i32_b64 s1, s[14:15]
	v_cmp_eq_u32_e64 s[14:15], 3, v18
	s_and_b64 s[14:15], vcc, s[14:15]
	v_cndmask_b32_e64 v18, 0, 1, s[14:15]
	v_cmp_ne_u32_e32 vcc, 0, v18
	v_add_u32_e32 v4, s1, v4
	s_bcnt1_i32_b64 s1, vcc
	v_add_u32_e32 v5, s1, v5
	v_add_u32_e32 v8, s81, v8
	v_mov_b32_e32 v18, v33
	s_andn2_b64 exec, exec, s[18:19]
	s_cbranch_execz .LBB89_58
.LBB89_56:                              ;   Parent Loop BB89_12 Depth=1
                                        ; =>  This Inner Loop Header: Depth=2
	v_add_u32_e32 v17, s57, v17
	v_cmp_gt_u32_e64 s[14:15], s56, v17
	v_cmp_le_u32_e32 vcc, s56, v17
	v_mov_b32_e32 v33, 0
	s_and_saveexec_b64 s[20:21], s[14:15]
	s_cbranch_execz .LBB89_55
; %bb.57:                               ;   in Loop: Header=BB89_56 Depth=2
	v_lshlrev_b64 v[34:35], 2, v[8:9]
	v_mov_b32_e32 v33, s80
	v_add_co_u32_e64 v34, s[14:15], s59, v34
	v_addc_co_u32_e64 v35, s[14:15], v33, v35, s[14:15]
	global_load_dword v33, v[34:35], off
	s_branch .LBB89_55
.LBB89_58:                              ;   in Loop: Header=BB89_12 Depth=1
	s_or_b64 exec, exec, s[18:19]
.LBB89_59:                              ;   in Loop: Header=BB89_12 Depth=1
	s_or_b64 exec, exec, s[16:17]
	s_branch .LBB89_69
.LBB89_60:                              ;   in Loop: Header=BB89_12 Depth=1
	s_mul_hi_u32 s0, s69, s85
	s_mul_i32 s0, s0, s82
	s_sub_i32 s0, s69, s0
	s_sub_i32 s1, s0, s82
	s_cmp_ge_u32 s0, s82
	s_cselect_b32 s0, s1, s0
	s_sub_i32 s1, s0, s82
	s_cmp_ge_u32 s0, s82
	s_cselect_b32 s0, s1, s0
	s_sub_i32 s0, s69, s0
	v_cmp_gt_u32_e32 vcc, s0, v20
	s_mov_b32 s84, 0
	s_waitcnt vmcnt(0)
	v_mov_b32_e32 v2, 0
	v_mov_b32_e32 v3, 0
	;; [unrolled: 1-line block ×4, first 2 shown]
	s_and_saveexec_b64 s[64:65], vcc
	s_cbranch_execz .LBB89_64
; %bb.61:                               ;   in Loop: Header=BB89_12 Depth=1
	s_mov_b64 s[2:3], s[74:75]
	s_mov_b64 s[8:9], s[66:67]
	s_and_b32 s1, s79, 0xfe
	s_mov_b64 s[66:67], 0
	v_mov_b32_e32 v8, v30
	s_mov_b32 s77, 0
	s_mov_b32 s74, 0
	;; [unrolled: 1-line block ×3, first 2 shown]
	v_mov_b32_e32 v17, v20
.LBB89_62:                              ;   Parent Loop BB89_12 Depth=1
                                        ; =>  This Inner Loop Header: Depth=2
	ds_read_b128 v[2:5], v8
	v_add_u32_e32 v17, s82, v17
	v_cmp_le_u32_e32 vcc, s0, v17
	v_add_u32_e32 v8, s78, v8
	s_waitcnt lgkmcnt(0)
	v_xor_b32_e32 v2, 0x80000000, v2
	v_xor_b32_e32 v3, 0x80000000, v3
	v_and_b32_e32 v18, s13, v2
	v_bfe_u32 v2, v2, s1, 2
	v_xor_b32_e32 v4, 0x80000000, v4
	v_and_b32_e32 v33, s13, v3
	v_bfe_u32 v3, v3, s1, 2
	v_cmp_eq_u32_e64 s[14:15], s72, v18
	v_cmp_eq_u32_e64 s[22:23], 0, v2
	v_xor_b32_e32 v5, 0x80000000, v5
	v_and_b32_e32 v34, s13, v4
	v_bfe_u32 v4, v4, s1, 2
	v_cmp_eq_u32_e64 s[16:17], s72, v33
	v_cmp_eq_u32_e64 s[24:25], 0, v3
	s_and_b64 s[22:23], s[14:15], s[22:23]
	v_and_b32_e32 v35, s13, v5
	v_bfe_u32 v5, v5, s1, 2
	v_cmp_eq_u32_e64 s[18:19], s72, v34
	v_cmp_eq_u32_e64 s[26:27], 0, v4
	;; [unrolled: 1-line block ×5, first 2 shown]
	v_cndmask_b32_e64 v2, 0, 1, s[22:23]
	s_and_b64 s[22:23], s[16:17], s[24:25]
	v_cmp_eq_u32_e64 s[20:21], s72, v35
	v_cmp_eq_u32_e64 s[28:29], 0, v5
	;; [unrolled: 1-line block ×5, first 2 shown]
	v_cndmask_b32_e64 v3, 0, 1, s[22:23]
	s_and_b64 s[22:23], s[18:19], s[26:27]
	v_cmp_eq_u32_e64 s[36:37], 1, v4
	v_cmp_eq_u32_e64 s[44:45], 2, v4
	;; [unrolled: 1-line block ×3, first 2 shown]
	v_cndmask_b32_e64 v4, 0, 1, s[22:23]
	s_and_b64 s[22:23], s[20:21], s[28:29]
	v_cmp_eq_u32_e64 s[38:39], 1, v5
	v_cmp_eq_u32_e64 s[46:47], 2, v5
	;; [unrolled: 1-line block ×3, first 2 shown]
	v_cndmask_b32_e64 v5, 0, 1, s[22:23]
	s_and_b64 s[22:23], s[14:15], s[30:31]
	v_cndmask_b32_e64 v18, 0, 1, s[22:23]
	s_and_b64 s[22:23], s[16:17], s[34:35]
	v_cndmask_b32_e64 v33, 0, 1, s[22:23]
	s_and_b64 s[22:23], s[18:19], s[36:37]
	v_cndmask_b32_e64 v34, 0, 1, s[22:23]
	s_and_b64 s[22:23], s[20:21], s[38:39]
	v_cndmask_b32_e64 v35, 0, 1, s[22:23]
	s_and_b64 s[22:23], s[14:15], s[40:41]
	s_and_b64 s[14:15], s[14:15], s[48:49]
	v_cndmask_b32_e64 v36, 0, 1, s[22:23]
	s_and_b64 s[22:23], s[16:17], s[42:43]
	v_cndmask_b32_e64 v40, 0, 1, s[14:15]
	;; [unrolled: 2-line block ×7, first 2 shown]
	v_cndmask_b32_e64 v43, 0, 1, s[14:15]
	v_cmp_ne_u32_e64 s[14:15], 0, v2
	v_cmp_ne_u32_e64 s[16:17], 0, v3
	;; [unrolled: 1-line block ×11, first 2 shown]
	s_bcnt1_i32_b64 s14, s[14:15]
	s_bcnt1_i32_b64 s15, s[16:17]
	;; [unrolled: 1-line block ×8, first 2 shown]
	v_cmp_ne_u32_e64 s[28:29], 0, v35
	v_cmp_ne_u32_e64 s[36:37], 0, v38
	;; [unrolled: 1-line block ×3, first 2 shown]
	s_bcnt1_i32_b64 s19, s[24:25]
	s_bcnt1_i32_b64 s23, s[34:35]
	s_bcnt1_i32_b64 s27, s[42:43]
	s_add_i32 s14, s75, s14
	s_add_i32 s18, s74, s18
	;; [unrolled: 1-line block ×4, first 2 shown]
	v_cmp_ne_u32_e64 s[38:39], 0, v39
	v_cmp_ne_u32_e64 s[46:47], 0, v43
	s_bcnt1_i32_b64 s21, s[28:29]
	s_bcnt1_i32_b64 s24, s[36:37]
	;; [unrolled: 1-line block ×3, first 2 shown]
	s_add_i32 s14, s14, s15
	s_add_i32 s15, s18, s19
	;; [unrolled: 1-line block ×4, first 2 shown]
	s_bcnt1_i32_b64 s25, s[38:39]
	s_bcnt1_i32_b64 s29, s[46:47]
	s_add_i32 s14, s14, s16
	s_add_i32 s15, s15, s20
	;; [unrolled: 1-line block ×8, first 2 shown]
	s_or_b64 s[66:67], vcc, s[66:67]
	v_mov_b32_e32 v2, s75
	v_mov_b32_e32 v3, s74
	;; [unrolled: 1-line block ×4, first 2 shown]
	s_andn2_b64 exec, exec, s[66:67]
	s_cbranch_execnz .LBB89_62
; %bb.63:                               ;   in Loop: Header=BB89_12 Depth=1
	s_or_b64 exec, exec, s[66:67]
	s_mov_b64 s[66:67], s[8:9]
	s_mov_b64 s[74:75], s[2:3]
.LBB89_64:                              ;   in Loop: Header=BB89_12 Depth=1
	s_or_b64 exec, exec, s[64:65]
	v_add_u32_e32 v8, s0, v0
	v_cmp_gt_u32_e32 vcc, s69, v8
	s_and_saveexec_b64 s[24:25], vcc
	s_cbranch_execz .LBB89_68
; %bb.65:                               ;   in Loop: Header=BB89_12 Depth=1
	s_and_b32 s0, s79, 0xfe
	v_lshlrev_b32_e32 v17, 2, v8
	s_mov_b64 s[26:27], 0
.LBB89_66:                              ;   Parent Loop BB89_12 Depth=1
                                        ; =>  This Inner Loop Header: Depth=2
	ds_read_b32 v18, v17
	v_add_u32_e32 v8, s57, v8
	v_cmp_le_u32_e32 vcc, s69, v8
	v_add_u32_e32 v17, s82, v17
	s_waitcnt lgkmcnt(0)
	v_xor_b32_e32 v18, 0x80000000, v18
	v_and_b32_e32 v33, s13, v18
	v_bfe_u32 v18, v18, s0, 2
	v_cmp_eq_u32_e64 s[14:15], s72, v33
	v_cmp_eq_u32_e64 s[16:17], 0, v18
	;; [unrolled: 1-line block ×3, first 2 shown]
	s_and_b64 s[16:17], s[14:15], s[16:17]
	v_cmp_eq_u32_e64 s[20:21], 2, v18
	v_cmp_eq_u32_e64 s[22:23], 3, v18
	v_cndmask_b32_e64 v18, 0, 1, s[16:17]
	s_and_b64 s[16:17], s[14:15], s[18:19]
	v_cndmask_b32_e64 v33, 0, 1, s[16:17]
	s_and_b64 s[16:17], s[14:15], s[20:21]
	s_and_b64 s[14:15], s[14:15], s[22:23]
	v_cndmask_b32_e64 v34, 0, 1, s[16:17]
	v_cndmask_b32_e64 v35, 0, 1, s[14:15]
	v_cmp_ne_u32_e64 s[14:15], 0, v18
	v_cmp_ne_u32_e64 s[16:17], 0, v33
	;; [unrolled: 1-line block ×4, first 2 shown]
	s_bcnt1_i32_b64 s1, s[14:15]
	s_bcnt1_i32_b64 s14, s[16:17]
	;; [unrolled: 1-line block ×4, first 2 shown]
	v_add_u32_e32 v2, s1, v2
	v_add_u32_e32 v3, s14, v3
	;; [unrolled: 1-line block ×3, first 2 shown]
	s_or_b64 s[26:27], vcc, s[26:27]
	v_add_u32_e32 v5, s16, v5
	s_andn2_b64 exec, exec, s[26:27]
	s_cbranch_execnz .LBB89_66
; %bb.67:                               ;   in Loop: Header=BB89_12 Depth=1
	s_or_b64 exec, exec, s[26:27]
.LBB89_68:                              ;   in Loop: Header=BB89_12 Depth=1
	s_or_b64 exec, exec, s[24:25]
.LBB89_69:                              ;   in Loop: Header=BB89_12 Depth=1
	s_lshl_b32 s0, s12, 6
	s_and_saveexec_b64 s[14:15], s[4:5]
	s_cbranch_execz .LBB89_71
; %bb.70:                               ;   in Loop: Header=BB89_12 Depth=1
	v_or_b32_e32 v8, s0, v22
	v_lshlrev_b32_e32 v8, 2, v8
	s_waitcnt vmcnt(0)
	ds_write_b128 v8, v[2:5] offset:3072
.LBB89_71:                              ;   in Loop: Header=BB89_12 Depth=1
	s_or_b64 exec, exec, s[14:15]
	s_waitcnt lgkmcnt(0)
	s_barrier
	s_and_saveexec_b64 s[14:15], s[70:71]
	s_cbranch_execz .LBB89_85
; %bb.72:                               ;   in Loop: Header=BB89_12 Depth=1
	v_add_u32_e32 v4, s0, v13
	s_andn2_b64 vcc, exec, s[66:67]
	s_waitcnt vmcnt(0)
	v_mov_b32_e32 v2, 0
	s_cbranch_vccnz .LBB89_84
; %bb.73:                               ;   in Loop: Header=BB89_12 Depth=1
	v_readlane_b32 s8, v50, 22
	v_readlane_b32 s9, v50, 23
	s_mov_b32 s1, 0
	s_and_b64 vcc, exec, s[8:9]
	v_mov_b32_e32 v2, 0
	s_cbranch_vccz .LBB89_77
; %bb.74:                               ;   in Loop: Header=BB89_12 Depth=1
	v_readlane_b32 s8, v50, 24
	v_readlane_b32 s9, v50, 25
	v_lshl_add_u32 v5, v4, 2, v32
	s_andn2_b64 vcc, exec, s[8:9]
	s_cbranch_vccnz .LBB89_78
; %bb.75:                               ;   in Loop: Header=BB89_12 Depth=1
	s_mov_b32 s17, 1
	s_mov_b32 s16, 0
	v_mov_b32_e32 v2, 0
	v_readlane_b32 s1, v50, 26
	v_mov_b32_e32 v3, 0
.LBB89_76:                              ;   Parent Loop BB89_12 Depth=1
                                        ; =>  This Inner Loop Header: Depth=2
	v_lshl_add_u32 v8, s16, 4, v5
	v_lshl_add_u32 v17, s17, 4, v5
	ds_read2_b32 v[34:35], v8 offset1:8
	ds_read2_b32 v[36:37], v17 offset1:8
	ds_read2_b32 v[38:39], v8 offset0:16 offset1:24
	ds_read2_b32 v[40:41], v17 offset0:16 offset1:24
	;; [unrolled: 1-line block ×6, first 2 shown]
	s_waitcnt lgkmcnt(7)
	v_add3_u32 v2, v34, v2, v35
	s_waitcnt lgkmcnt(6)
	v_add3_u32 v3, v36, v3, v37
	;; [unrolled: 2-line block ×3, first 2 shown]
	v_add3_u32 v2, v38, v2, v39
	s_add_i32 s17, s17, 16
	s_add_i32 s16, s16, 16
	s_add_i32 s1, s1, -8
	s_waitcnt lgkmcnt(3)
	v_add3_u32 v2, v42, v2, v43
	s_waitcnt lgkmcnt(2)
	v_add3_u32 v3, v44, v3, v45
	s_cmp_lg_u32 s1, 0
	s_waitcnt lgkmcnt(0)
	v_add3_u32 v3, v48, v3, v49
	v_add3_u32 v2, v46, v2, v47
	s_cbranch_scc1 .LBB89_76
	s_branch .LBB89_79
.LBB89_77:                              ;   in Loop: Header=BB89_12 Depth=1
	s_cbranch_execnz .LBB89_82
	s_branch .LBB89_84
.LBB89_78:                              ;   in Loop: Header=BB89_12 Depth=1
	s_mov_b32 s69, s68
	v_pk_mov_b32 v[2:3], s[68:69], s[68:69] op_sel:[0,1]
	s_mov_b32 s69, 1
	s_mov_b64 s[16:17], s[68:69]
.LBB89_79:                              ;   in Loop: Header=BB89_12 Depth=1
	v_readlane_b32 s8, v50, 28
	v_readlane_b32 s9, v50, 29
	s_andn2_b64 vcc, exec, s[8:9]
	v_readlane_b32 s1, v50, 27
	s_cbranch_vccnz .LBB89_81
.LBB89_80:                              ;   Parent Loop BB89_12 Depth=1
                                        ; =>  This Inner Loop Header: Depth=2
	v_lshl_add_u32 v8, s16, 4, v5
	v_lshl_add_u32 v17, s17, 4, v5
	ds_read_b32 v17, v17
	ds_read_b32 v8, v8
	s_add_i32 s17, s17, 2
	s_add_i32 s16, s16, 2
	s_add_i32 s1, s1, -1
	s_cmp_lg_u32 s1, 0
	s_waitcnt lgkmcnt(1)
	v_add_u32_e32 v3, v17, v3
	s_waitcnt lgkmcnt(0)
	v_add_u32_e32 v2, v8, v2
	s_cbranch_scc1 .LBB89_80
.LBB89_81:                              ;   in Loop: Header=BB89_12 Depth=1
	v_readlane_b32 s16, v50, 32
	v_add_u32_e32 v2, v2, v3
	v_readlane_b32 s1, v50, 31
	v_readlane_b32 s17, v50, 33
	s_and_b64 vcc, exec, s[16:17]
	s_cbranch_vccz .LBB89_84
.LBB89_82:                              ;   in Loop: Header=BB89_12 Depth=1
	s_lshl_b32 s16, s12, 8
	s_lshl_b32 s17, s1, 4
	s_add_i32 s16, s16, s17
	v_add_u32_e32 v3, s16, v31
	v_readlane_b32 s16, v50, 30
	s_sub_i32 s1, s16, s1
.LBB89_83:                              ;   Parent Loop BB89_12 Depth=1
                                        ; =>  This Inner Loop Header: Depth=2
	ds_read_b32 v5, v3
	s_add_i32 s1, s1, -1
	v_add_u32_e32 v3, 16, v3
	s_cmp_eq_u32 s1, 0
	s_waitcnt lgkmcnt(0)
	v_add_u32_e32 v2, v5, v2
	s_cbranch_scc0 .LBB89_83
.LBB89_84:                              ;   in Loop: Header=BB89_12 Depth=1
	v_lshlrev_b32_e32 v3, 2, v4
	ds_write_b32 v3, v2 offset:3072
.LBB89_85:                              ;   in Loop: Header=BB89_12 Depth=1
	s_or_b64 exec, exec, s[14:15]
	s_lshl_b32 s0, s0, 2
	s_waitcnt vmcnt(0)
	v_mov_b32_e32 v2, s0
	s_waitcnt lgkmcnt(0)
	s_barrier
	ds_read_b128 v[2:5], v2 offset:3072
	s_and_b32 s43, s79, 0xfe
	s_lshl_b32 s51, 3, s43
	s_not_b32 s44, s51
	s_mov_b64 s[18:19], -1
	s_waitcnt lgkmcnt(0)
	v_readfirstlane_b32 s28, v2
	s_cmp_eq_u32 s28, 1
	s_cselect_b64 s[0:1], -1, 0
	s_cmp_eq_u32 s73, 1
	s_cselect_b64 s[14:15], -1, 0
	s_and_b64 s[20:21], s[0:1], s[14:15]
	v_readfirstlane_b32 s34, v3
	v_readfirstlane_b32 s42, v4
	v_readfirstlane_b32 s50, v5
	s_and_b64 vcc, exec, s[20:21]
	s_cbranch_vccz .LBB89_97
; %bb.86:                               ;   in Loop: Header=BB89_12 Depth=1
	ds_read_b32 v2, v9 offset:4104
	s_waitcnt lgkmcnt(0)
	s_barrier
	v_readfirstlane_b32 s0, v2
	s_and_saveexec_b64 s[14:15], s[6:7]
	s_cbranch_execz .LBB89_88
; %bb.87:                               ;   in Loop: Header=BB89_12 Depth=1
	ds_write_b32 v21, v9
.LBB89_88:                              ;   in Loop: Header=BB89_12 Depth=1
	s_or_b64 exec, exec, s[14:15]
	s_and_b32 s72, s72, s44
	s_or_b32 s13, s13, s51
	s_cmp_eq_u32 s0, 0
	s_waitcnt lgkmcnt(0)
	s_barrier
	s_cbranch_scc1 .LBB89_98
; %bb.89:                               ;   in Loop: Header=BB89_12 Depth=1
	v_readlane_b32 s1, v50, 17
	s_add_i32 s1, s0, s1
	v_readlane_b32 s2, v50, 34
	s_mul_hi_u32 s14, s1, s2
	s_mul_i32 s14, s14, s57
	s_sub_i32 s14, s1, s14
	s_sub_i32 s15, s14, s57
	s_cmp_ge_u32 s14, s57
	s_cselect_b32 s14, s15, s14
	s_sub_i32 s15, s14, s57
	s_cmp_ge_u32 s14, s57
	s_cselect_b32 s14, s15, s14
	s_sub_i32 s1, s1, s14
	v_cmp_gt_u32_e32 vcc, s1, v0
	s_mov_b64 s[14:15], 0
                                        ; implicit-def: $vgpr19
	s_and_saveexec_b64 s[16:17], vcc
	s_cbranch_execz .LBB89_100
; %bb.90:                               ;   in Loop: Header=BB89_12 Depth=1
	v_mov_b32_e32 v2, v20
	v_mov_b32_e32 v3, v0
                                        ; implicit-def: $sgpr22_sgpr23
	s_branch .LBB89_92
.LBB89_91:                              ;   in Loop: Header=BB89_92 Depth=2
	s_or_b64 exec, exec, s[24:25]
	s_waitcnt lgkmcnt(0)
	s_barrier
	ds_read_b64 v[18:19], v9 offset:3072
	v_add_u32_e32 v3, s57, v3
	v_cmp_le_u32_e32 vcc, s1, v3
	v_add_u32_e32 v2, s82, v2
	s_waitcnt lgkmcnt(0)
	v_readfirstlane_b32 s24, v18
	s_cmp_lg_u32 s24, 0
	s_cselect_b64 s[24:25], -1, 0
	s_or_b64 s[26:27], vcc, s[24:25]
	s_and_b64 s[26:27], exec, s[26:27]
	s_or_b64 s[14:15], s[26:27], s[14:15]
	s_andn2_b64 s[22:23], s[22:23], exec
	s_and_b64 s[24:25], s[24:25], exec
	s_or_b64 s[22:23], s[22:23], s[24:25]
	s_barrier
	s_andn2_b64 exec, exec, s[14:15]
	s_cbranch_execz .LBB89_99
.LBB89_92:                              ;   Parent Loop BB89_12 Depth=1
                                        ; =>  This Inner Loop Header: Depth=2
	v_cmp_gt_u32_e32 vcc, s0, v3
	v_mov_b32_e32 v17, 0
	s_and_saveexec_b64 s[24:25], vcc
	s_cbranch_execz .LBB89_94
; %bb.93:                               ;   in Loop: Header=BB89_92 Depth=2
	ds_read_b32 v17, v2
.LBB89_94:                              ;   in Loop: Header=BB89_92 Depth=2
	s_or_b64 exec, exec, s[24:25]
	s_and_saveexec_b64 s[24:25], vcc
	s_cbranch_execz .LBB89_91
; %bb.95:                               ;   in Loop: Header=BB89_92 Depth=2
	s_waitcnt lgkmcnt(0)
	v_xor_b32_e32 v4, 0x80000000, v17
	v_and_b32_e32 v4, s13, v4
	v_cmp_eq_u32_e32 vcc, s72, v4
	s_and_b64 exec, exec, vcc
	s_cbranch_execz .LBB89_91
; %bb.96:                               ;   in Loop: Header=BB89_92 Depth=2
	ds_write_b64 v9, v[16:17] offset:3072
	s_branch .LBB89_91
.LBB89_97:                              ;   in Loop: Header=BB89_12 Depth=1
	s_mov_b64 s[14:15], -1
                                        ; implicit-def: $sgpr16_sgpr17
                                        ; implicit-def: $sgpr24_sgpr25
                                        ; implicit-def: $sgpr22_sgpr23
	s_branch .LBB89_111
.LBB89_98:                              ;   in Loop: Header=BB89_12 Depth=1
	s_mov_b64 s[16:17], -1
	s_mov_b64 s[14:15], 0
                                        ; implicit-def: $sgpr22_sgpr23
                                        ; implicit-def: $vgpr19
	s_mov_b64 s[24:25], s[16:17]
	s_cbranch_execnz .LBB89_101
	s_branch .LBB89_111
.LBB89_99:                              ;   in Loop: Header=BB89_12 Depth=1
	s_or_b64 exec, exec, s[14:15]
	s_and_b64 s[14:15], s[22:23], exec
.LBB89_100:                             ;   in Loop: Header=BB89_12 Depth=1
	s_or_b64 exec, exec, s[16:17]
	s_mov_b64 s[22:23], -1
	s_mov_b64 s[16:17], 0
	s_mov_b64 s[24:25], s[16:17]
	s_branch .LBB89_111
.LBB89_101:                             ;   in Loop: Header=BB89_12 Depth=1
	s_mov_b64 s[14:15], 0
                                        ; implicit-def: $vgpr19
	s_mov_b64 s[16:17], exec
	v_readlane_b32 s0, v50, 35
	v_readlane_b32 s1, v50, 36
	s_and_b64 s[0:1], s[16:17], s[0:1]
	s_mov_b64 exec, s[0:1]
	s_cbranch_execz .LBB89_110
; %bb.102:                              ;   in Loop: Header=BB89_12 Depth=1
	s_mov_b64 s[22:23], 0
	v_mov_b32_e32 v8, v6
	v_mov_b32_e32 v2, v0
                                        ; implicit-def: $sgpr24_sgpr25
	s_branch .LBB89_104
.LBB89_103:                             ;   in Loop: Header=BB89_104 Depth=2
	s_or_b64 exec, exec, s[14:15]
	s_waitcnt lgkmcnt(0)
	s_barrier
	ds_read_b64 v[18:19], v9 offset:3072
	v_add_u32_e32 v2, s57, v2
	v_cmp_le_u32_e32 vcc, s83, v2
	v_add_u32_e32 v8, s81, v8
	s_waitcnt lgkmcnt(0)
	v_readfirstlane_b32 s0, v18
	s_cmp_lg_u32 s0, 0
	s_cselect_b64 s[0:1], -1, 0
	s_or_b64 s[14:15], vcc, s[0:1]
	s_and_b64 s[14:15], exec, s[14:15]
	s_or_b64 s[22:23], s[14:15], s[22:23]
	s_andn2_b64 s[14:15], s[24:25], exec
	s_and_b64 s[0:1], s[0:1], exec
	s_or_b64 s[24:25], s[14:15], s[0:1]
	s_barrier
	s_andn2_b64 exec, exec, s[22:23]
	s_cbranch_execz .LBB89_109
.LBB89_104:                             ;   Parent Loop BB89_12 Depth=1
                                        ; =>  This Inner Loop Header: Depth=2
	v_cmp_gt_u32_e32 vcc, s56, v2
	s_waitcnt vmcnt(0)
	v_mov_b32_e32 v17, 0
	s_and_saveexec_b64 s[26:27], vcc
	s_cbranch_execz .LBB89_106
; %bb.105:                              ;   in Loop: Header=BB89_104 Depth=2
	v_lshlrev_b64 v[4:5], 2, v[8:9]
	v_mov_b32_e32 v3, s80
	v_add_co_u32_e64 v4, s[14:15], s59, v4
	v_addc_co_u32_e64 v5, s[14:15], v3, v5, s[14:15]
	global_load_dword v17, v[4:5], off
.LBB89_106:                             ;   in Loop: Header=BB89_104 Depth=2
	s_or_b64 exec, exec, s[26:27]
	s_and_saveexec_b64 s[14:15], vcc
	s_cbranch_execz .LBB89_103
; %bb.107:                              ;   in Loop: Header=BB89_104 Depth=2
	s_waitcnt vmcnt(0)
	v_xor_b32_e32 v3, 0x80000000, v17
	v_and_b32_e32 v3, s13, v3
	v_cmp_eq_u32_e32 vcc, s72, v3
	s_and_b64 exec, exec, vcc
	s_cbranch_execz .LBB89_103
; %bb.108:                              ;   in Loop: Header=BB89_104 Depth=2
	ds_write_b64 v9, v[16:17] offset:3072
	s_branch .LBB89_103
.LBB89_109:                             ;   in Loop: Header=BB89_12 Depth=1
	s_or_b64 exec, exec, s[22:23]
	s_and_b64 s[14:15], s[24:25], exec
.LBB89_110:                             ;   in Loop: Header=BB89_12 Depth=1
	s_or_b64 exec, exec, s[16:17]
	s_mov_b64 s[24:25], -1
	s_mov_b64 s[16:17], 0
	s_mov_b64 s[22:23], 0
.LBB89_111:                             ;   in Loop: Header=BB89_12 Depth=1
	s_andn2_b64 s[0:1], s[62:63], exec
	s_and_b64 s[16:17], s[16:17], exec
	s_or_b64 s[62:63], s[0:1], s[16:17]
	s_andn2_b64 s[0:1], s[60:61], exec
	s_and_b64 s[16:17], s[24:25], exec
	s_or_b64 s[60:61], s[0:1], s[16:17]
	;; [unrolled: 3-line block ×3, first 2 shown]
	s_and_saveexec_b64 s[16:17], s[14:15]
	s_cbranch_execz .LBB89_11
; %bb.112:                              ;   in Loop: Header=BB89_12 Depth=1
	s_xor_b64 s[0:1], s[20:21], -1
	s_mov_b64 s[14:15], 0
	s_andn2_b64 vcc, exec, s[0:1]
	s_mov_b32 s35, 1
	s_cbranch_vccnz .LBB89_123
; %bb.113:                              ;   in Loop: Header=BB89_12 Depth=1
	s_cmp_gt_u32 s73, s28
	s_mov_b64 s[14:15], -1
                                        ; implicit-def: $sgpr53
                                        ; implicit-def: $sgpr0
                                        ; implicit-def: $sgpr1
	s_cbranch_scc1 .LBB89_119
; %bb.114:                              ;   in Loop: Header=BB89_12 Depth=1
	ds_read_b32 v2, v9 offset:4104
	s_waitcnt lgkmcnt(0)
	v_cmp_ne_u32_e32 vcc, 0, v2
	s_cbranch_vccnz .LBB89_118
; %bb.115:                              ;   in Loop: Header=BB89_12 Depth=1
	s_mov_b64 s[14:15], exec
	v_readlane_b32 s0, v50, 2
	v_readlane_b32 s1, v50, 3
	s_and_b64 s[0:1], s[14:15], s[0:1]
	s_mov_b64 exec, s[0:1]
	s_cbranch_execz .LBB89_117
; %bb.116:                              ;   in Loop: Header=BB89_12 Depth=1
	v_mov_b32_e32 v2, s28
	ds_write_b32 v9, v2 offset:4108
.LBB89_117:                             ;   in Loop: Header=BB89_12 Depth=1
	s_or_b64 exec, exec, s[14:15]
	s_waitcnt lgkmcnt(0)
	s_barrier
.LBB89_118:                             ;   in Loop: Header=BB89_12 Depth=1
	s_and_b32 s0, s72, s44
	s_or_b32 s1, s13, s51
	s_mov_b64 s[14:15], 0
	s_mov_b32 s53, 8
.LBB89_119:                             ;   in Loop: Header=BB89_12 Depth=1
	s_andn2_b64 vcc, exec, s[14:15]
	s_cbranch_vccnz .LBB89_121
; %bb.120:                              ;   in Loop: Header=BB89_12 Depth=1
	s_sub_i32 s73, s73, s28
	s_mov_b64 s[14:15], -1
	s_mov_b32 s53, 0
	s_mov_b32 s0, s72
	;; [unrolled: 1-line block ×3, first 2 shown]
.LBB89_121:                             ;   in Loop: Header=BB89_12 Depth=1
	s_mov_b32 s13, s1
	s_mov_b32 s72, s0
	;; [unrolled: 1-line block ×3, first 2 shown]
	s_mov_b64 s[18:19], -1
	s_and_b64 vcc, exec, s[14:15]
	s_cbranch_vccnz .LBB89_124
.LBB89_122:                             ;   in Loop: Header=BB89_12 Depth=1
	s_mov_b64 s[30:31], -1
                                        ; implicit-def: $sgpr20_sgpr21
                                        ; implicit-def: $sgpr24_sgpr25
                                        ; implicit-def: $sgpr22_sgpr23
                                        ; implicit-def: $sgpr73
	s_and_saveexec_b64 s[0:1], s[30:31]
	s_xor_b64 s[14:15], exec, s[0:1]
	s_cbranch_execz .LBB89_10
	s_branch .LBB89_247
.LBB89_123:                             ;   in Loop: Header=BB89_12 Depth=1
	s_mov_b32 s53, 1
	s_mov_b64 s[18:19], -1
	s_and_b64 vcc, exec, s[14:15]
	s_cbranch_vccz .LBB89_122
.LBB89_124:                             ;   in Loop: Header=BB89_12 Depth=1
	s_cmp_eq_u32 s34, 1
	s_cselect_b64 s[0:1], -1, 0
	s_cmp_eq_u32 s35, 1
	s_cselect_b64 s[14:15], -1, 0
	s_and_b64 s[28:29], s[0:1], s[14:15]
	s_mov_b64 s[14:15], -1
	s_and_b64 vcc, exec, s[28:29]
	s_cbranch_vccz .LBB89_136
; %bb.125:                              ;   in Loop: Header=BB89_12 Depth=1
	ds_read_b32 v2, v9 offset:4104
	s_waitcnt lgkmcnt(0)
	s_barrier
	v_readfirstlane_b32 s0, v2
	s_and_saveexec_b64 s[14:15], s[6:7]
	s_cbranch_execz .LBB89_127
; %bb.126:                              ;   in Loop: Header=BB89_12 Depth=1
	ds_write_b32 v21, v9
.LBB89_127:                             ;   in Loop: Header=BB89_12 Depth=1
	s_or_b64 exec, exec, s[14:15]
	s_lshl_b32 s1, 1, s43
	s_and_b32 s14, s72, s44
	s_or_b32 s72, s14, s1
	s_or_b32 s13, s13, s51
	s_cmp_eq_u32 s0, 0
	s_waitcnt lgkmcnt(0)
	s_barrier
	s_cbranch_scc1 .LBB89_137
; %bb.128:                              ;   in Loop: Header=BB89_12 Depth=1
	v_readlane_b32 s1, v50, 17
	s_add_i32 s1, s0, s1
	v_readlane_b32 s2, v50, 34
	s_mul_hi_u32 s14, s1, s2
	s_mul_i32 s14, s14, s57
	s_sub_i32 s14, s1, s14
	s_sub_i32 s15, s14, s57
	s_cmp_ge_u32 s14, s57
	s_cselect_b32 s14, s15, s14
	s_sub_i32 s15, s14, s57
	s_cmp_ge_u32 s14, s57
	s_cselect_b32 s14, s15, s14
	s_sub_i32 s1, s1, s14
	v_cmp_gt_u32_e32 vcc, s1, v0
	s_mov_b64 s[14:15], 0
                                        ; implicit-def: $vgpr19
	s_and_saveexec_b64 s[20:21], vcc
	s_cbranch_execz .LBB89_139
; %bb.129:                              ;   in Loop: Header=BB89_12 Depth=1
	v_mov_b32_e32 v2, v20
	v_mov_b32_e32 v3, v0
                                        ; implicit-def: $sgpr22_sgpr23
	s_branch .LBB89_131
.LBB89_130:                             ;   in Loop: Header=BB89_131 Depth=2
	s_or_b64 exec, exec, s[24:25]
	s_waitcnt lgkmcnt(0)
	s_barrier
	ds_read_b64 v[18:19], v9 offset:3072
	v_add_u32_e32 v3, s57, v3
	v_cmp_le_u32_e32 vcc, s1, v3
	v_add_u32_e32 v2, s82, v2
	s_waitcnt lgkmcnt(0)
	v_readfirstlane_b32 s24, v18
	s_cmp_lg_u32 s24, 0
	s_cselect_b64 s[24:25], -1, 0
	s_or_b64 s[26:27], vcc, s[24:25]
	s_and_b64 s[26:27], exec, s[26:27]
	s_or_b64 s[14:15], s[26:27], s[14:15]
	s_andn2_b64 s[22:23], s[22:23], exec
	s_and_b64 s[24:25], s[24:25], exec
	s_or_b64 s[22:23], s[22:23], s[24:25]
	s_barrier
	s_andn2_b64 exec, exec, s[14:15]
	s_cbranch_execz .LBB89_138
.LBB89_131:                             ;   Parent Loop BB89_12 Depth=1
                                        ; =>  This Inner Loop Header: Depth=2
	v_cmp_gt_u32_e32 vcc, s0, v3
	s_waitcnt vmcnt(0)
	v_mov_b32_e32 v17, 0
	s_and_saveexec_b64 s[24:25], vcc
	s_cbranch_execz .LBB89_133
; %bb.132:                              ;   in Loop: Header=BB89_131 Depth=2
	ds_read_b32 v17, v2
.LBB89_133:                             ;   in Loop: Header=BB89_131 Depth=2
	s_or_b64 exec, exec, s[24:25]
	s_and_saveexec_b64 s[24:25], vcc
	s_cbranch_execz .LBB89_130
; %bb.134:                              ;   in Loop: Header=BB89_131 Depth=2
	s_waitcnt lgkmcnt(0)
	v_xor_b32_e32 v4, 0x80000000, v17
	v_and_b32_e32 v4, s13, v4
	v_cmp_eq_u32_e32 vcc, s72, v4
	s_and_b64 exec, exec, vcc
	s_cbranch_execz .LBB89_130
; %bb.135:                              ;   in Loop: Header=BB89_131 Depth=2
	ds_write_b64 v9, v[16:17] offset:3072
	s_branch .LBB89_130
.LBB89_136:                             ;   in Loop: Header=BB89_12 Depth=1
                                        ; implicit-def: $sgpr22_sgpr23
                                        ; implicit-def: $sgpr24_sgpr25
                                        ; implicit-def: $sgpr20_sgpr21
	s_branch .LBB89_150
.LBB89_137:                             ;   in Loop: Header=BB89_12 Depth=1
	s_mov_b64 s[22:23], -1
	s_mov_b64 s[14:15], 0
                                        ; implicit-def: $sgpr20_sgpr21
                                        ; implicit-def: $vgpr19
	s_mov_b64 s[24:25], s[22:23]
	s_cbranch_execnz .LBB89_140
	s_branch .LBB89_150
.LBB89_138:                             ;   in Loop: Header=BB89_12 Depth=1
	s_or_b64 exec, exec, s[14:15]
	s_and_b64 s[14:15], s[22:23], exec
.LBB89_139:                             ;   in Loop: Header=BB89_12 Depth=1
	s_or_b64 exec, exec, s[20:21]
	s_mov_b64 s[20:21], -1
	s_mov_b64 s[22:23], 0
	s_mov_b64 s[24:25], s[22:23]
	s_branch .LBB89_150
.LBB89_140:                             ;   in Loop: Header=BB89_12 Depth=1
	s_mov_b64 s[14:15], 0
                                        ; implicit-def: $vgpr19
	s_mov_b64 s[20:21], exec
	v_readlane_b32 s0, v50, 35
	v_readlane_b32 s1, v50, 36
	s_and_b64 s[0:1], s[20:21], s[0:1]
	s_mov_b64 exec, s[0:1]
	s_cbranch_execz .LBB89_149
; %bb.141:                              ;   in Loop: Header=BB89_12 Depth=1
	s_mov_b64 s[22:23], 0
	v_mov_b32_e32 v8, v6
	v_mov_b32_e32 v2, v0
                                        ; implicit-def: $sgpr24_sgpr25
	s_branch .LBB89_143
.LBB89_142:                             ;   in Loop: Header=BB89_143 Depth=2
	s_or_b64 exec, exec, s[14:15]
	s_waitcnt lgkmcnt(0)
	s_barrier
	ds_read_b64 v[18:19], v9 offset:3072
	v_add_u32_e32 v2, s57, v2
	v_cmp_le_u32_e32 vcc, s83, v2
	v_add_u32_e32 v8, s81, v8
	s_waitcnt lgkmcnt(0)
	v_readfirstlane_b32 s0, v18
	s_cmp_lg_u32 s0, 0
	s_cselect_b64 s[0:1], -1, 0
	s_or_b64 s[14:15], vcc, s[0:1]
	s_and_b64 s[14:15], exec, s[14:15]
	s_or_b64 s[22:23], s[14:15], s[22:23]
	s_andn2_b64 s[14:15], s[24:25], exec
	s_and_b64 s[0:1], s[0:1], exec
	s_or_b64 s[24:25], s[14:15], s[0:1]
	s_barrier
	s_andn2_b64 exec, exec, s[22:23]
	s_cbranch_execz .LBB89_148
.LBB89_143:                             ;   Parent Loop BB89_12 Depth=1
                                        ; =>  This Inner Loop Header: Depth=2
	v_cmp_gt_u32_e32 vcc, s56, v2
	s_waitcnt vmcnt(0)
	v_mov_b32_e32 v17, 0
	s_and_saveexec_b64 s[26:27], vcc
	s_cbranch_execz .LBB89_145
; %bb.144:                              ;   in Loop: Header=BB89_143 Depth=2
	v_lshlrev_b64 v[4:5], 2, v[8:9]
	v_mov_b32_e32 v3, s80
	v_add_co_u32_e64 v4, s[14:15], s59, v4
	v_addc_co_u32_e64 v5, s[14:15], v3, v5, s[14:15]
	global_load_dword v17, v[4:5], off
.LBB89_145:                             ;   in Loop: Header=BB89_143 Depth=2
	s_or_b64 exec, exec, s[26:27]
	s_and_saveexec_b64 s[14:15], vcc
	s_cbranch_execz .LBB89_142
; %bb.146:                              ;   in Loop: Header=BB89_143 Depth=2
	s_waitcnt vmcnt(0)
	v_xor_b32_e32 v3, 0x80000000, v17
	v_and_b32_e32 v3, s13, v3
	v_cmp_eq_u32_e32 vcc, s72, v3
	s_and_b64 exec, exec, vcc
	s_cbranch_execz .LBB89_142
; %bb.147:                              ;   in Loop: Header=BB89_143 Depth=2
	ds_write_b64 v9, v[16:17] offset:3072
	s_branch .LBB89_142
.LBB89_148:                             ;   in Loop: Header=BB89_12 Depth=1
	s_or_b64 exec, exec, s[22:23]
	s_and_b64 s[14:15], s[24:25], exec
.LBB89_149:                             ;   in Loop: Header=BB89_12 Depth=1
	s_or_b64 exec, exec, s[20:21]
	s_mov_b64 s[24:25], -1
	s_mov_b64 s[22:23], 0
	s_mov_b64 s[20:21], 0
.LBB89_150:                             ;   in Loop: Header=BB89_12 Depth=1
	s_mov_b64 s[30:31], 0
                                        ; implicit-def: $sgpr53
	s_and_saveexec_b64 s[26:27], s[14:15]
	s_cbranch_execz .LBB89_246
; %bb.151:                              ;   in Loop: Header=BB89_12 Depth=1
	s_xor_b64 s[0:1], s[28:29], -1
	s_mov_b64 s[14:15], 0
	s_andn2_b64 vcc, exec, s[0:1]
	s_mov_b32 s45, 1
	s_cbranch_vccnz .LBB89_162
; %bb.152:                              ;   in Loop: Header=BB89_12 Depth=1
	s_cmp_gt_u32 s35, s34
	s_mov_b64 s[14:15], -1
                                        ; implicit-def: $sgpr53
                                        ; implicit-def: $sgpr0
                                        ; implicit-def: $sgpr1
	s_cbranch_scc1 .LBB89_158
; %bb.153:                              ;   in Loop: Header=BB89_12 Depth=1
	ds_read_b32 v2, v9 offset:4104
	s_waitcnt lgkmcnt(0)
	v_cmp_ne_u32_e32 vcc, 0, v2
	s_cbranch_vccnz .LBB89_157
; %bb.154:                              ;   in Loop: Header=BB89_12 Depth=1
	s_mov_b64 s[14:15], exec
	v_readlane_b32 s0, v50, 2
	v_readlane_b32 s1, v50, 3
	s_and_b64 s[0:1], s[14:15], s[0:1]
	s_mov_b64 exec, s[0:1]
	s_cbranch_execz .LBB89_156
; %bb.155:                              ;   in Loop: Header=BB89_12 Depth=1
	v_mov_b32_e32 v2, s34
	ds_write_b32 v9, v2 offset:4108
.LBB89_156:                             ;   in Loop: Header=BB89_12 Depth=1
	s_or_b64 exec, exec, s[14:15]
	s_waitcnt lgkmcnt(0)
	s_barrier
.LBB89_157:                             ;   in Loop: Header=BB89_12 Depth=1
	s_lshl_b32 s0, 1, s43
	s_and_b32 s1, s72, s44
	s_or_b32 s0, s1, s0
	s_or_b32 s1, s13, s51
	s_mov_b64 s[14:15], 0
	s_mov_b32 s53, 8
.LBB89_158:                             ;   in Loop: Header=BB89_12 Depth=1
	s_andn2_b64 vcc, exec, s[14:15]
	s_cbranch_vccnz .LBB89_160
; %bb.159:                              ;   in Loop: Header=BB89_12 Depth=1
	s_sub_i32 s35, s35, s34
	s_mov_b64 s[14:15], -1
	s_mov_b32 s53, 0
	s_mov_b32 s0, s72
	;; [unrolled: 1-line block ×3, first 2 shown]
.LBB89_160:                             ;   in Loop: Header=BB89_12 Depth=1
	s_mov_b32 s13, s1
	s_mov_b32 s72, s0
	s_mov_b32 s45, s35
	s_andn2_b64 vcc, exec, s[14:15]
	s_mov_b64 s[40:41], -1
	s_cbranch_vccz .LBB89_163
.LBB89_161:                             ;   in Loop: Header=BB89_12 Depth=1
                                        ; implicit-def: $sgpr30_sgpr31
                                        ; implicit-def: $sgpr34_sgpr35
                                        ; implicit-def: $sgpr28_sgpr29
	s_branch .LBB89_245
.LBB89_162:                             ;   in Loop: Header=BB89_12 Depth=1
	s_mov_b32 s53, 1
	s_andn2_b64 vcc, exec, s[14:15]
	s_mov_b64 s[40:41], -1
	s_cbranch_vccnz .LBB89_161
.LBB89_163:                             ;   in Loop: Header=BB89_12 Depth=1
	s_cmp_eq_u32 s42, 1
	s_cselect_b64 s[0:1], -1, 0
	s_cmp_eq_u32 s45, 1
	s_cselect_b64 s[14:15], -1, 0
	s_and_b64 s[38:39], s[0:1], s[14:15]
	s_mov_b64 s[14:15], -1
	s_and_b64 vcc, exec, s[38:39]
	s_cbranch_vccz .LBB89_175
; %bb.164:                              ;   in Loop: Header=BB89_12 Depth=1
	ds_read_b32 v2, v9 offset:4104
	s_waitcnt lgkmcnt(0)
	s_barrier
	v_readfirstlane_b32 s0, v2
	s_and_saveexec_b64 s[14:15], s[6:7]
	s_cbranch_execz .LBB89_166
; %bb.165:                              ;   in Loop: Header=BB89_12 Depth=1
	ds_write_b32 v21, v9
.LBB89_166:                             ;   in Loop: Header=BB89_12 Depth=1
	s_or_b64 exec, exec, s[14:15]
	s_lshl_b32 s1, 2, s43
	s_and_b32 s14, s72, s44
	s_or_b32 s72, s14, s1
	s_or_b32 s13, s13, s51
	s_cmp_eq_u32 s0, 0
	s_waitcnt lgkmcnt(0)
	s_barrier
	s_cbranch_scc1 .LBB89_176
; %bb.167:                              ;   in Loop: Header=BB89_12 Depth=1
	v_readlane_b32 s1, v50, 17
	s_add_i32 s1, s0, s1
	v_readlane_b32 s2, v50, 34
	s_mul_hi_u32 s14, s1, s2
	s_mul_i32 s14, s14, s57
	s_sub_i32 s14, s1, s14
	s_sub_i32 s15, s14, s57
	s_cmp_ge_u32 s14, s57
	s_cselect_b32 s14, s15, s14
	s_sub_i32 s15, s14, s57
	s_cmp_ge_u32 s14, s57
	s_cselect_b32 s14, s15, s14
	s_sub_i32 s1, s1, s14
	v_cmp_gt_u32_e32 vcc, s1, v0
	s_mov_b64 s[14:15], 0
                                        ; implicit-def: $vgpr19
	s_and_saveexec_b64 s[28:29], vcc
	s_cbranch_execz .LBB89_178
; %bb.168:                              ;   in Loop: Header=BB89_12 Depth=1
	v_mov_b32_e32 v2, v20
	v_mov_b32_e32 v3, v0
                                        ; implicit-def: $sgpr30_sgpr31
	s_branch .LBB89_170
.LBB89_169:                             ;   in Loop: Header=BB89_170 Depth=2
	s_or_b64 exec, exec, s[34:35]
	s_waitcnt lgkmcnt(0)
	s_barrier
	ds_read_b64 v[18:19], v9 offset:3072
	v_add_u32_e32 v3, s57, v3
	v_cmp_le_u32_e32 vcc, s1, v3
	v_add_u32_e32 v2, s82, v2
	s_waitcnt lgkmcnt(0)
	v_readfirstlane_b32 s34, v18
	s_cmp_lg_u32 s34, 0
	s_cselect_b64 s[34:35], -1, 0
	s_or_b64 s[36:37], vcc, s[34:35]
	s_and_b64 s[36:37], exec, s[36:37]
	s_or_b64 s[14:15], s[36:37], s[14:15]
	s_andn2_b64 s[30:31], s[30:31], exec
	s_and_b64 s[34:35], s[34:35], exec
	s_or_b64 s[30:31], s[30:31], s[34:35]
	s_barrier
	s_andn2_b64 exec, exec, s[14:15]
	s_cbranch_execz .LBB89_177
.LBB89_170:                             ;   Parent Loop BB89_12 Depth=1
                                        ; =>  This Inner Loop Header: Depth=2
	v_cmp_gt_u32_e32 vcc, s0, v3
	s_waitcnt vmcnt(0)
	v_mov_b32_e32 v17, 0
	s_and_saveexec_b64 s[34:35], vcc
	s_cbranch_execz .LBB89_172
; %bb.171:                              ;   in Loop: Header=BB89_170 Depth=2
	ds_read_b32 v17, v2
.LBB89_172:                             ;   in Loop: Header=BB89_170 Depth=2
	s_or_b64 exec, exec, s[34:35]
	s_and_saveexec_b64 s[34:35], vcc
	s_cbranch_execz .LBB89_169
; %bb.173:                              ;   in Loop: Header=BB89_170 Depth=2
	s_waitcnt lgkmcnt(0)
	v_xor_b32_e32 v4, 0x80000000, v17
	v_and_b32_e32 v4, s13, v4
	v_cmp_eq_u32_e32 vcc, s72, v4
	s_and_b64 exec, exec, vcc
	s_cbranch_execz .LBB89_169
; %bb.174:                              ;   in Loop: Header=BB89_170 Depth=2
	ds_write_b64 v9, v[16:17] offset:3072
	s_branch .LBB89_169
.LBB89_175:                             ;   in Loop: Header=BB89_12 Depth=1
                                        ; implicit-def: $sgpr28_sgpr29
                                        ; implicit-def: $sgpr34_sgpr35
                                        ; implicit-def: $sgpr30_sgpr31
	s_branch .LBB89_189
.LBB89_176:                             ;   in Loop: Header=BB89_12 Depth=1
	s_mov_b64 s[28:29], -1
	s_mov_b64 s[14:15], 0
                                        ; implicit-def: $sgpr30_sgpr31
                                        ; implicit-def: $vgpr19
	s_mov_b64 s[34:35], s[28:29]
	s_cbranch_execnz .LBB89_179
	s_branch .LBB89_189
.LBB89_177:                             ;   in Loop: Header=BB89_12 Depth=1
	s_or_b64 exec, exec, s[14:15]
	s_and_b64 s[14:15], s[30:31], exec
.LBB89_178:                             ;   in Loop: Header=BB89_12 Depth=1
	s_or_b64 exec, exec, s[28:29]
	s_mov_b64 s[30:31], -1
	s_mov_b64 s[28:29], 0
	s_mov_b64 s[34:35], s[28:29]
	s_branch .LBB89_189
.LBB89_179:                             ;   in Loop: Header=BB89_12 Depth=1
	s_mov_b64 s[14:15], 0
                                        ; implicit-def: $vgpr19
	s_mov_b64 s[28:29], exec
	v_readlane_b32 s0, v50, 35
	v_readlane_b32 s1, v50, 36
	s_and_b64 s[0:1], s[28:29], s[0:1]
	s_mov_b64 exec, s[0:1]
	s_cbranch_execz .LBB89_188
; %bb.180:                              ;   in Loop: Header=BB89_12 Depth=1
	s_mov_b64 s[30:31], 0
	v_mov_b32_e32 v8, v6
	v_mov_b32_e32 v2, v0
                                        ; implicit-def: $sgpr34_sgpr35
	s_branch .LBB89_182
.LBB89_181:                             ;   in Loop: Header=BB89_182 Depth=2
	s_or_b64 exec, exec, s[14:15]
	s_waitcnt lgkmcnt(0)
	s_barrier
	ds_read_b64 v[18:19], v9 offset:3072
	v_add_u32_e32 v2, s57, v2
	v_cmp_le_u32_e32 vcc, s83, v2
	v_add_u32_e32 v8, s81, v8
	s_waitcnt lgkmcnt(0)
	v_readfirstlane_b32 s0, v18
	s_cmp_lg_u32 s0, 0
	s_cselect_b64 s[0:1], -1, 0
	s_or_b64 s[14:15], vcc, s[0:1]
	s_and_b64 s[14:15], exec, s[14:15]
	s_or_b64 s[30:31], s[14:15], s[30:31]
	s_andn2_b64 s[14:15], s[34:35], exec
	s_and_b64 s[0:1], s[0:1], exec
	s_or_b64 s[34:35], s[14:15], s[0:1]
	s_barrier
	s_andn2_b64 exec, exec, s[30:31]
	s_cbranch_execz .LBB89_187
.LBB89_182:                             ;   Parent Loop BB89_12 Depth=1
                                        ; =>  This Inner Loop Header: Depth=2
	v_cmp_gt_u32_e32 vcc, s56, v2
	s_waitcnt vmcnt(0)
	v_mov_b32_e32 v17, 0
	s_and_saveexec_b64 s[36:37], vcc
	s_cbranch_execz .LBB89_184
; %bb.183:                              ;   in Loop: Header=BB89_182 Depth=2
	v_lshlrev_b64 v[4:5], 2, v[8:9]
	v_mov_b32_e32 v3, s80
	v_add_co_u32_e64 v4, s[14:15], s59, v4
	v_addc_co_u32_e64 v5, s[14:15], v3, v5, s[14:15]
	global_load_dword v17, v[4:5], off
.LBB89_184:                             ;   in Loop: Header=BB89_182 Depth=2
	s_or_b64 exec, exec, s[36:37]
	s_and_saveexec_b64 s[14:15], vcc
	s_cbranch_execz .LBB89_181
; %bb.185:                              ;   in Loop: Header=BB89_182 Depth=2
	s_waitcnt vmcnt(0)
	v_xor_b32_e32 v3, 0x80000000, v17
	v_and_b32_e32 v3, s13, v3
	v_cmp_eq_u32_e32 vcc, s72, v3
	s_and_b64 exec, exec, vcc
	s_cbranch_execz .LBB89_181
; %bb.186:                              ;   in Loop: Header=BB89_182 Depth=2
	ds_write_b64 v9, v[16:17] offset:3072
	s_branch .LBB89_181
.LBB89_187:                             ;   in Loop: Header=BB89_12 Depth=1
	s_or_b64 exec, exec, s[30:31]
	s_and_b64 s[14:15], s[34:35], exec
.LBB89_188:                             ;   in Loop: Header=BB89_12 Depth=1
	s_or_b64 exec, exec, s[28:29]
	s_mov_b64 s[34:35], -1
	s_mov_b64 s[28:29], 0
	s_mov_b64 s[30:31], 0
.LBB89_189:                             ;   in Loop: Header=BB89_12 Depth=1
	s_mov_b64 s[40:41], 0
                                        ; implicit-def: $sgpr53
	s_and_saveexec_b64 s[36:37], s[14:15]
	s_cbranch_execz .LBB89_244
; %bb.190:                              ;   in Loop: Header=BB89_12 Depth=1
	s_xor_b64 s[0:1], s[38:39], -1
	s_mov_b64 s[14:15], 0
	s_andn2_b64 vcc, exec, s[0:1]
	s_mov_b32 s52, 1
	s_cbranch_vccnz .LBB89_201
; %bb.191:                              ;   in Loop: Header=BB89_12 Depth=1
	s_cmp_gt_u32 s45, s42
	s_mov_b64 s[14:15], -1
                                        ; implicit-def: $sgpr53
                                        ; implicit-def: $sgpr0
                                        ; implicit-def: $sgpr1
	s_cbranch_scc1 .LBB89_197
; %bb.192:                              ;   in Loop: Header=BB89_12 Depth=1
	ds_read_b32 v2, v9 offset:4104
	s_waitcnt lgkmcnt(0)
	v_cmp_ne_u32_e32 vcc, 0, v2
	s_cbranch_vccnz .LBB89_196
; %bb.193:                              ;   in Loop: Header=BB89_12 Depth=1
	s_mov_b64 s[14:15], exec
	v_readlane_b32 s0, v50, 2
	v_readlane_b32 s1, v50, 3
	s_and_b64 s[0:1], s[14:15], s[0:1]
	s_mov_b64 exec, s[0:1]
	s_cbranch_execz .LBB89_195
; %bb.194:                              ;   in Loop: Header=BB89_12 Depth=1
	v_mov_b32_e32 v2, s42
	ds_write_b32 v9, v2 offset:4108
.LBB89_195:                             ;   in Loop: Header=BB89_12 Depth=1
	s_or_b64 exec, exec, s[14:15]
	s_waitcnt lgkmcnt(0)
	s_barrier
.LBB89_196:                             ;   in Loop: Header=BB89_12 Depth=1
	s_lshl_b32 s0, 2, s43
	s_and_b32 s1, s72, s44
	s_or_b32 s0, s1, s0
	s_or_b32 s1, s13, s51
	s_mov_b64 s[14:15], 0
	s_mov_b32 s53, 8
.LBB89_197:                             ;   in Loop: Header=BB89_12 Depth=1
	s_andn2_b64 vcc, exec, s[14:15]
	s_cbranch_vccnz .LBB89_199
; %bb.198:                              ;   in Loop: Header=BB89_12 Depth=1
	s_sub_i32 s45, s45, s42
	s_mov_b64 s[14:15], -1
	s_mov_b32 s53, 0
	s_mov_b32 s0, s72
	;; [unrolled: 1-line block ×3, first 2 shown]
.LBB89_199:                             ;   in Loop: Header=BB89_12 Depth=1
	s_mov_b32 s13, s1
	s_mov_b32 s72, s0
	;; [unrolled: 1-line block ×3, first 2 shown]
	s_andn2_b64 vcc, exec, s[14:15]
	s_mov_b64 s[48:49], -1
	s_cbranch_vccz .LBB89_202
.LBB89_200:                             ;   in Loop: Header=BB89_12 Depth=1
                                        ; implicit-def: $sgpr14_sgpr15
                                        ; implicit-def: $sgpr42_sgpr43
                                        ; implicit-def: $sgpr40_sgpr41
	s_branch .LBB89_243
.LBB89_201:                             ;   in Loop: Header=BB89_12 Depth=1
	s_mov_b32 s53, 1
	s_andn2_b64 vcc, exec, s[14:15]
	s_mov_b64 s[48:49], -1
	s_cbranch_vccnz .LBB89_200
.LBB89_202:                             ;   in Loop: Header=BB89_12 Depth=1
	s_cmp_eq_u32 s50, 1
	s_cselect_b64 s[0:1], -1, 0
	s_cmp_eq_u32 s52, 1
	s_cselect_b64 s[14:15], -1, 0
	s_and_b64 s[38:39], s[0:1], s[14:15]
	s_mov_b64 s[44:45], -1
	s_and_b64 vcc, exec, s[38:39]
	s_cbranch_vccz .LBB89_214
; %bb.203:                              ;   in Loop: Header=BB89_12 Depth=1
	ds_read_b32 v2, v9 offset:4104
	s_waitcnt lgkmcnt(0)
	s_barrier
	v_readfirstlane_b32 s0, v2
	s_and_saveexec_b64 s[14:15], s[6:7]
	s_cbranch_execz .LBB89_205
; %bb.204:                              ;   in Loop: Header=BB89_12 Depth=1
	ds_write_b32 v21, v9
.LBB89_205:                             ;   in Loop: Header=BB89_12 Depth=1
	s_or_b64 exec, exec, s[14:15]
	s_or_b32 s72, s72, s51
	s_or_b32 s13, s13, s51
	s_cmp_eq_u32 s0, 0
	s_waitcnt lgkmcnt(0)
	s_barrier
	s_cbranch_scc1 .LBB89_215
; %bb.206:                              ;   in Loop: Header=BB89_12 Depth=1
	v_readlane_b32 s1, v50, 17
	s_add_i32 s1, s0, s1
	v_readlane_b32 s2, v50, 34
	s_mul_hi_u32 s14, s1, s2
	s_mul_i32 s14, s14, s57
	s_sub_i32 s14, s1, s14
	s_sub_i32 s15, s14, s57
	s_cmp_ge_u32 s14, s57
	s_cselect_b32 s14, s15, s14
	s_sub_i32 s15, s14, s57
	s_cmp_ge_u32 s14, s57
	s_cselect_b32 s14, s15, s14
	s_sub_i32 s1, s1, s14
	v_cmp_gt_u32_e32 vcc, s1, v0
	s_mov_b64 s[44:45], 0
                                        ; implicit-def: $vgpr19
	s_and_saveexec_b64 s[14:15], vcc
	s_cbranch_execz .LBB89_217
; %bb.207:                              ;   in Loop: Header=BB89_12 Depth=1
	v_mov_b32_e32 v2, v20
	v_mov_b32_e32 v3, v0
                                        ; implicit-def: $sgpr42_sgpr43
	s_branch .LBB89_209
.LBB89_208:                             ;   in Loop: Header=BB89_209 Depth=2
	s_or_b64 exec, exec, s[44:45]
	s_waitcnt lgkmcnt(0)
	s_barrier
	ds_read_b64 v[18:19], v9 offset:3072
	v_add_u32_e32 v3, s57, v3
	v_cmp_le_u32_e32 vcc, s1, v3
	v_add_u32_e32 v2, s82, v2
	s_waitcnt lgkmcnt(0)
	v_readfirstlane_b32 s44, v18
	s_cmp_lg_u32 s44, 0
	s_cselect_b64 s[44:45], -1, 0
	s_or_b64 s[46:47], vcc, s[44:45]
	s_and_b64 s[46:47], exec, s[46:47]
	s_or_b64 s[40:41], s[46:47], s[40:41]
	s_andn2_b64 s[42:43], s[42:43], exec
	s_and_b64 s[44:45], s[44:45], exec
	s_or_b64 s[42:43], s[42:43], s[44:45]
	s_barrier
	s_andn2_b64 exec, exec, s[40:41]
	s_cbranch_execz .LBB89_216
.LBB89_209:                             ;   Parent Loop BB89_12 Depth=1
                                        ; =>  This Inner Loop Header: Depth=2
	v_cmp_gt_u32_e32 vcc, s0, v3
	s_waitcnt vmcnt(0)
	v_mov_b32_e32 v17, 0
	s_and_saveexec_b64 s[44:45], vcc
	s_cbranch_execz .LBB89_211
; %bb.210:                              ;   in Loop: Header=BB89_209 Depth=2
	ds_read_b32 v17, v2
.LBB89_211:                             ;   in Loop: Header=BB89_209 Depth=2
	s_or_b64 exec, exec, s[44:45]
	s_and_saveexec_b64 s[44:45], vcc
	s_cbranch_execz .LBB89_208
; %bb.212:                              ;   in Loop: Header=BB89_209 Depth=2
	s_waitcnt lgkmcnt(0)
	v_xor_b32_e32 v4, 0x80000000, v17
	v_and_b32_e32 v4, s13, v4
	v_cmp_eq_u32_e32 vcc, s72, v4
	s_and_b64 exec, exec, vcc
	s_cbranch_execz .LBB89_208
; %bb.213:                              ;   in Loop: Header=BB89_209 Depth=2
	ds_write_b64 v9, v[16:17] offset:3072
	s_branch .LBB89_208
.LBB89_214:                             ;   in Loop: Header=BB89_12 Depth=1
                                        ; implicit-def: $sgpr14_sgpr15
                                        ; implicit-def: $sgpr42_sgpr43
                                        ; implicit-def: $sgpr40_sgpr41
	s_branch .LBB89_228
.LBB89_215:                             ;   in Loop: Header=BB89_12 Depth=1
	s_mov_b64 s[14:15], -1
	s_mov_b64 s[44:45], 0
                                        ; implicit-def: $sgpr40_sgpr41
                                        ; implicit-def: $vgpr19
	s_mov_b64 s[42:43], s[14:15]
	s_cbranch_execnz .LBB89_218
	s_branch .LBB89_228
.LBB89_216:                             ;   in Loop: Header=BB89_12 Depth=1
	s_or_b64 exec, exec, s[40:41]
	s_and_b64 s[44:45], s[42:43], exec
.LBB89_217:                             ;   in Loop: Header=BB89_12 Depth=1
	s_or_b64 exec, exec, s[14:15]
	s_mov_b64 s[40:41], -1
	s_mov_b64 s[14:15], 0
	s_mov_b64 s[42:43], s[14:15]
	s_branch .LBB89_228
.LBB89_218:                             ;   in Loop: Header=BB89_12 Depth=1
	s_mov_b64 s[44:45], 0
                                        ; implicit-def: $vgpr19
	s_mov_b64 s[40:41], exec
	v_readlane_b32 s0, v50, 35
	v_readlane_b32 s1, v50, 36
	s_and_b64 s[0:1], s[40:41], s[0:1]
	s_mov_b64 exec, s[0:1]
	s_cbranch_execz .LBB89_227
; %bb.219:                              ;   in Loop: Header=BB89_12 Depth=1
	s_mov_b64 s[42:43], 0
	v_mov_b32_e32 v8, v6
	v_mov_b32_e32 v2, v0
                                        ; implicit-def: $sgpr44_sgpr45
	s_branch .LBB89_221
.LBB89_220:                             ;   in Loop: Header=BB89_221 Depth=2
	s_or_b64 exec, exec, s[14:15]
	s_waitcnt lgkmcnt(0)
	s_barrier
	ds_read_b64 v[18:19], v9 offset:3072
	v_add_u32_e32 v2, s57, v2
	v_cmp_le_u32_e32 vcc, s83, v2
	v_add_u32_e32 v8, s81, v8
	s_waitcnt lgkmcnt(0)
	v_readfirstlane_b32 s0, v18
	s_cmp_lg_u32 s0, 0
	s_cselect_b64 s[0:1], -1, 0
	s_or_b64 s[14:15], vcc, s[0:1]
	s_and_b64 s[14:15], exec, s[14:15]
	s_or_b64 s[42:43], s[14:15], s[42:43]
	s_andn2_b64 s[14:15], s[44:45], exec
	s_and_b64 s[0:1], s[0:1], exec
	s_or_b64 s[44:45], s[14:15], s[0:1]
	s_barrier
	s_andn2_b64 exec, exec, s[42:43]
	s_cbranch_execz .LBB89_226
.LBB89_221:                             ;   Parent Loop BB89_12 Depth=1
                                        ; =>  This Inner Loop Header: Depth=2
	v_cmp_gt_u32_e32 vcc, s56, v2
	s_waitcnt vmcnt(0)
	v_mov_b32_e32 v17, 0
	s_and_saveexec_b64 s[46:47], vcc
	s_cbranch_execz .LBB89_223
; %bb.222:                              ;   in Loop: Header=BB89_221 Depth=2
	v_lshlrev_b64 v[4:5], 2, v[8:9]
	v_mov_b32_e32 v3, s80
	v_add_co_u32_e64 v4, s[14:15], s59, v4
	v_addc_co_u32_e64 v5, s[14:15], v3, v5, s[14:15]
	global_load_dword v17, v[4:5], off
.LBB89_223:                             ;   in Loop: Header=BB89_221 Depth=2
	s_or_b64 exec, exec, s[46:47]
	s_and_saveexec_b64 s[14:15], vcc
	s_cbranch_execz .LBB89_220
; %bb.224:                              ;   in Loop: Header=BB89_221 Depth=2
	s_waitcnt vmcnt(0)
	v_xor_b32_e32 v3, 0x80000000, v17
	v_and_b32_e32 v3, s13, v3
	v_cmp_eq_u32_e32 vcc, s72, v3
	s_and_b64 exec, exec, vcc
	s_cbranch_execz .LBB89_220
; %bb.225:                              ;   in Loop: Header=BB89_221 Depth=2
	ds_write_b64 v9, v[16:17] offset:3072
	s_branch .LBB89_220
.LBB89_226:                             ;   in Loop: Header=BB89_12 Depth=1
	s_or_b64 exec, exec, s[42:43]
	s_and_b64 s[44:45], s[44:45], exec
.LBB89_227:                             ;   in Loop: Header=BB89_12 Depth=1
	s_or_b64 exec, exec, s[40:41]
	s_mov_b64 s[42:43], -1
	s_mov_b64 s[14:15], 0
	s_mov_b64 s[40:41], 0
.LBB89_228:                             ;   in Loop: Header=BB89_12 Depth=1
	s_mov_b64 s[48:49], 0
                                        ; implicit-def: $sgpr53
	s_and_saveexec_b64 s[46:47], s[44:45]
	s_cbranch_execz .LBB89_242
; %bb.229:                              ;   in Loop: Header=BB89_12 Depth=1
	s_xor_b64 s[0:1], s[38:39], -1
	s_andn2_b64 vcc, exec, s[0:1]
	s_mov_b32 s53, 1
	s_cbranch_vccnz .LBB89_236
; %bb.230:                              ;   in Loop: Header=BB89_12 Depth=1
	s_cmp_gt_u32 s52, s50
	s_cbranch_scc1 .LBB89_237
; %bb.231:                              ;   in Loop: Header=BB89_12 Depth=1
	ds_read_b32 v2, v9 offset:4104
	s_waitcnt lgkmcnt(0)
	v_cmp_ne_u32_e32 vcc, 0, v2
	s_cbranch_vccnz .LBB89_235
; %bb.232:                              ;   in Loop: Header=BB89_12 Depth=1
	s_mov_b64 s[38:39], exec
	v_readlane_b32 s0, v50, 2
	v_readlane_b32 s1, v50, 3
	s_and_b64 s[0:1], s[38:39], s[0:1]
	s_mov_b64 exec, s[0:1]
	s_cbranch_execz .LBB89_234
; %bb.233:                              ;   in Loop: Header=BB89_12 Depth=1
	v_mov_b32_e32 v2, s50
	ds_write_b32 v9, v2 offset:4108
.LBB89_234:                             ;   in Loop: Header=BB89_12 Depth=1
	s_or_b64 exec, exec, s[38:39]
	s_waitcnt lgkmcnt(0)
	s_barrier
.LBB89_235:                             ;   in Loop: Header=BB89_12 Depth=1
	s_or_b32 s0, s72, s51
	s_or_b32 s1, s13, s51
	s_mov_b64 s[38:39], 0
	s_mov_b32 s53, 8
	s_branch .LBB89_238
.LBB89_236:                             ;   in Loop: Header=BB89_12 Depth=1
	s_mov_b32 s52, 1
	s_branch .LBB89_241
.LBB89_237:                             ;   in Loop: Header=BB89_12 Depth=1
	s_mov_b64 s[38:39], -1
                                        ; implicit-def: $sgpr53
                                        ; implicit-def: $sgpr0
                                        ; implicit-def: $sgpr1
.LBB89_238:                             ;   in Loop: Header=BB89_12 Depth=1
	s_andn2_b64 vcc, exec, s[38:39]
	s_cbranch_vccnz .LBB89_240
; %bb.239:                              ;   in Loop: Header=BB89_12 Depth=1
	s_sub_i32 s52, s52, s50
	s_mov_b32 s53, 8
	s_mov_b32 s0, s72
	;; [unrolled: 1-line block ×3, first 2 shown]
.LBB89_240:                             ;   in Loop: Header=BB89_12 Depth=1
	s_mov_b32 s72, s0
	s_mov_b32 s13, s1
.LBB89_241:                             ;   in Loop: Header=BB89_12 Depth=1
	s_mov_b64 s[48:49], exec
.LBB89_242:                             ;   in Loop: Header=BB89_12 Depth=1
	s_or_b64 exec, exec, s[46:47]
.LBB89_243:                             ;   in Loop: Header=BB89_12 Depth=1
	s_andn2_b64 s[0:1], s[28:29], exec
	s_and_b64 s[14:15], s[14:15], exec
	s_or_b64 s[28:29], s[0:1], s[14:15]
	s_andn2_b64 s[0:1], s[34:35], exec
	s_and_b64 s[14:15], s[42:43], exec
	s_or_b64 s[34:35], s[0:1], s[14:15]
	;; [unrolled: 3-line block ×3, first 2 shown]
	s_and_b64 s[40:41], s[48:49], exec
	s_mov_b32 s45, s52
.LBB89_244:                             ;   in Loop: Header=BB89_12 Depth=1
	s_or_b64 exec, exec, s[36:37]
.LBB89_245:                             ;   in Loop: Header=BB89_12 Depth=1
	s_andn2_b64 s[0:1], s[22:23], exec
	s_and_b64 s[14:15], s[28:29], exec
	s_or_b64 s[22:23], s[0:1], s[14:15]
	s_andn2_b64 s[0:1], s[24:25], exec
	s_and_b64 s[14:15], s[34:35], exec
	s_or_b64 s[24:25], s[0:1], s[14:15]
	;; [unrolled: 3-line block ×3, first 2 shown]
	s_and_b64 s[30:31], s[40:41], exec
	s_mov_b32 s35, s45
.LBB89_246:                             ;   in Loop: Header=BB89_12 Depth=1
	s_or_b64 exec, exec, s[26:27]
                                        ; implicit-def: $sgpr73
	s_and_saveexec_b64 s[0:1], s[30:31]
	s_xor_b64 s[14:15], exec, s[0:1]
	s_cbranch_execz .LBB89_10
.LBB89_247:                             ;   in Loop: Header=BB89_12 Depth=1
	s_and_b32 s0, s53, -9
	s_cmp_eq_u32 s0, 0
	s_cbranch_scc1 .LBB89_8
; %bb.248:                              ;   in Loop: Header=BB89_12 Depth=1
	s_mov_b64 s[18:19], -1
                                        ; implicit-def: $sgpr13
                                        ; implicit-def: $sgpr35
                                        ; implicit-def: $sgpr79
                                        ; implicit-def: $sgpr12
	s_mov_b64 s[26:27], -1
	s_branch .LBB89_9
.LBB89_249:
	s_or_b64 exec, exec, s[86:87]
	s_xor_b64 s[8:9], s[92:93], -1
	s_xor_b64 s[0:1], s[88:89], -1
	;; [unrolled: 1-line block ×3, first 2 shown]
	s_mov_b64 s[4:5], 0
	s_and_saveexec_b64 s[10:11], s[0:1]
	s_xor_b64 s[0:1], exec, s[10:11]
	s_cbranch_execnz .LBB89_254
; %bb.250:
	s_andn2_saveexec_b64 s[0:1], s[0:1]
	s_cbranch_execnz .LBB89_267
.LBB89_251:
	s_or_b64 exec, exec, s[0:1]
	s_and_saveexec_b64 s[0:1], s[4:5]
.LBB89_252:
	; divergent unreachable
.LBB89_253:
	s_endpgm
.LBB89_254:
	s_and_saveexec_b64 s[4:5], s[8:9]
	s_xor_b64 s[4:5], exec, s[4:5]
	s_cbranch_execz .LBB89_265
; %bb.255:
	s_and_saveexec_b64 s[8:9], s[6:7]
	s_xor_b64 s[6:7], exec, s[8:9]
; %bb.256:
	v_xor_b32_e32 v19, 0x80000000, v2
; %bb.257:
	s_or_b64 exec, exec, s[6:7]
	v_readlane_b32 s9, v50, 0
	v_readlane_b32 s10, v50, 12
	s_mul_i32 s6, s10, s9
	v_readlane_b32 s18, v50, 14
	s_sub_i32 s6, s18, s6
	s_add_i32 s7, s10, 1
	s_sub_i32 s8, s6, s9
	s_cmp_ge_u32 s6, s9
	s_cselect_b32 s7, s7, s10
	s_cselect_b32 s6, s8, s6
	s_add_i32 s8, s7, 1
	s_cmp_ge_u32 s6, s9
	s_cselect_b32 s6, s8, s7
	s_mul_i32 s7, s6, s9
	v_readlane_b32 s8, v50, 8
	s_sub_i32 s7, s18, s7
	v_readlane_b32 s9, v50, 9
	s_mul_i32 s7, s7, s9
	s_mul_i32 s6, s6, s8
	s_add_i32 s6, s6, s7
	s_mov_b32 s7, 0
	s_lshl_b64 s[6:7], s[6:7], 2
	v_readlane_b32 s8, v50, 10
	v_readlane_b32 s9, v50, 11
	s_add_u32 s6, s8, s6
	s_addc_u32 s7, s9, s7
	v_mov_b32_e32 v7, 0
	global_store_dword v7, v19, s[6:7]
	s_mov_b64 s[6:7], exec
	v_readlane_b32 s2, v50, 15
	v_readlane_b32 s3, v50, 16
	s_and_b64 s[2:3], s[6:7], s[2:3]
	s_mov_b64 exec, s[2:3]
	s_cbranch_execz .LBB89_264
; %bb.258:
	s_mov_b64 s[2:3], 0
	v_mov_b32_e32 v1, s80
                                        ; implicit-def: $sgpr8_sgpr9
                                        ; implicit-def: $sgpr12_sgpr13
                                        ; implicit-def: $sgpr10_sgpr11
	s_branch .LBB89_260
.LBB89_259:                             ;   in Loop: Header=BB89_260 Depth=1
	s_or_b64 exec, exec, s[14:15]
	s_and_b64 s[14:15], exec, s[12:13]
	s_or_b64 s[2:3], s[14:15], s[2:3]
	s_andn2_b64 s[8:9], s[8:9], exec
	s_and_b64 s[14:15], s[10:11], exec
	s_or_b64 s[8:9], s[8:9], s[14:15]
	s_andn2_b64 exec, exec, s[2:3]
	s_cbranch_execz .LBB89_262
.LBB89_260:                             ; =>This Inner Loop Header: Depth=1
	v_lshlrev_b64 v[2:3], 2, v[6:7]
	v_add_co_u32_e32 v2, vcc, s59, v2
	v_addc_co_u32_e32 v3, vcc, v1, v3, vcc
	global_load_dword v3, v[2:3], off
	v_mov_b32_e32 v2, v0
	s_or_b64 s[10:11], s[10:11], exec
	s_or_b64 s[12:13], s[12:13], exec
                                        ; implicit-def: $vgpr0
	s_waitcnt vmcnt(0)
	v_cmp_ne_u32_e32 vcc, v3, v19
	s_and_saveexec_b64 s[14:15], vcc
	s_cbranch_execz .LBB89_259
; %bb.261:                              ;   in Loop: Header=BB89_260 Depth=1
	v_add_u32_e32 v0, s57, v2
	v_cmp_le_u32_e32 vcc, s56, v0
	s_andn2_b64 s[12:13], s[12:13], exec
	s_and_b64 s[16:17], vcc, exec
	v_add_u32_e32 v6, s81, v6
	s_andn2_b64 s[10:11], s[10:11], exec
	s_or_b64 s[12:13], s[12:13], s[16:17]
	s_branch .LBB89_259
.LBB89_262:
	s_or_b64 exec, exec, s[2:3]
	s_and_saveexec_b64 s[2:3], s[8:9]
	s_xor_b64 s[2:3], exec, s[2:3]
	s_cbranch_execz .LBB89_264
; %bb.263:
	v_readlane_b32 s9, v50, 1
	v_readlane_b32 s10, v50, 13
	s_mul_i32 s2, s10, s9
	s_sub_i32 s2, s18, s2
	s_add_i32 s3, s10, 1
	s_sub_i32 s8, s2, s9
	s_cmp_ge_u32 s2, s9
	s_cselect_b32 s3, s3, s10
	s_cselect_b32 s2, s8, s2
	s_add_i32 s8, s3, 1
	s_cmp_ge_u32 s2, s9
	s_cselect_b32 s2, s8, s3
	s_mul_i32 s3, s2, s9
	v_readlane_b32 s8, v50, 4
	s_sub_i32 s3, s18, s3
	v_readlane_b32 s9, v50, 5
	s_mul_i32 s3, s3, s9
	s_mul_i32 s2, s2, s8
	s_add_i32 s2, s2, s3
	s_mov_b32 s3, 0
	s_lshl_b64 s[2:3], s[2:3], 3
	v_readlane_b32 s8, v50, 6
	v_readlane_b32 s9, v50, 7
	s_add_u32 s2, s8, s2
	s_addc_u32 s3, s9, s3
	v_mov_b32_e32 v3, 0
	global_store_dwordx2 v3, v[2:3], s[2:3]
.LBB89_264:
	s_or_b64 exec, exec, s[6:7]
.LBB89_265:
	s_or_saveexec_b64 s[2:3], s[4:5]
	s_mov_b64 s[4:5], 0
	s_xor_b64 exec, exec, s[2:3]
	s_cbranch_execnz .LBB89_268
.LBB89_266:
	s_or_b64 exec, exec, s[2:3]
	s_and_b64 s[4:5], s[4:5], exec
	s_andn2_saveexec_b64 s[0:1], s[0:1]
	s_cbranch_execz .LBB89_251
.LBB89_267:
	s_or_b64 s[4:5], s[4:5], exec
	s_trap 2
	s_or_b64 exec, exec, s[0:1]
	s_and_saveexec_b64 s[0:1], s[4:5]
	s_cbranch_execnz .LBB89_252
	s_branch .LBB89_253
.LBB89_268:
	s_mov_b64 s[4:5], exec
	s_trap 2
	s_branch .LBB89_266
	.section	.rodata,"a",@progbits
	.p2align	6, 0x0
	.amdhsa_kernel _ZN2at6native12_GLOBAL__N_112gatherMedianIijLi2EEEvNS_4cuda6detail10TensorInfoIT_T0_EENS5_IlS7_EENS5_IKS6_S7_EES7_S7_S7_b
		.amdhsa_group_segment_fixed_size 4120
		.amdhsa_private_segment_fixed_size 0
		.amdhsa_kernarg_size 920
		.amdhsa_user_sgpr_count 6
		.amdhsa_user_sgpr_private_segment_buffer 1
		.amdhsa_user_sgpr_dispatch_ptr 0
		.amdhsa_user_sgpr_queue_ptr 0
		.amdhsa_user_sgpr_kernarg_segment_ptr 1
		.amdhsa_user_sgpr_dispatch_id 0
		.amdhsa_user_sgpr_flat_scratch_init 0
		.amdhsa_user_sgpr_kernarg_preload_length 0
		.amdhsa_user_sgpr_kernarg_preload_offset 0
		.amdhsa_user_sgpr_private_segment_size 0
		.amdhsa_uses_dynamic_stack 0
		.amdhsa_system_sgpr_private_segment_wavefront_offset 0
		.amdhsa_system_sgpr_workgroup_id_x 1
		.amdhsa_system_sgpr_workgroup_id_y 1
		.amdhsa_system_sgpr_workgroup_id_z 1
		.amdhsa_system_sgpr_workgroup_info 0
		.amdhsa_system_vgpr_workitem_id 0
		.amdhsa_next_free_vgpr 51
		.amdhsa_next_free_sgpr 96
		.amdhsa_accum_offset 52
		.amdhsa_reserve_vcc 1
		.amdhsa_reserve_flat_scratch 0
		.amdhsa_float_round_mode_32 0
		.amdhsa_float_round_mode_16_64 0
		.amdhsa_float_denorm_mode_32 3
		.amdhsa_float_denorm_mode_16_64 3
		.amdhsa_dx10_clamp 1
		.amdhsa_ieee_mode 1
		.amdhsa_fp16_overflow 0
		.amdhsa_tg_split 0
		.amdhsa_exception_fp_ieee_invalid_op 0
		.amdhsa_exception_fp_denorm_src 0
		.amdhsa_exception_fp_ieee_div_zero 0
		.amdhsa_exception_fp_ieee_overflow 0
		.amdhsa_exception_fp_ieee_underflow 0
		.amdhsa_exception_fp_ieee_inexact 0
		.amdhsa_exception_int_div_zero 0
	.end_amdhsa_kernel
	.section	.text._ZN2at6native12_GLOBAL__N_112gatherMedianIijLi2EEEvNS_4cuda6detail10TensorInfoIT_T0_EENS5_IlS7_EENS5_IKS6_S7_EES7_S7_S7_b,"axG",@progbits,_ZN2at6native12_GLOBAL__N_112gatherMedianIijLi2EEEvNS_4cuda6detail10TensorInfoIT_T0_EENS5_IlS7_EENS5_IKS6_S7_EES7_S7_S7_b,comdat
.Lfunc_end89:
	.size	_ZN2at6native12_GLOBAL__N_112gatherMedianIijLi2EEEvNS_4cuda6detail10TensorInfoIT_T0_EENS5_IlS7_EENS5_IKS6_S7_EES7_S7_S7_b, .Lfunc_end89-_ZN2at6native12_GLOBAL__N_112gatherMedianIijLi2EEEvNS_4cuda6detail10TensorInfoIT_T0_EENS5_IlS7_EENS5_IKS6_S7_EES7_S7_S7_b
                                        ; -- End function
	.section	.AMDGPU.csdata,"",@progbits
; Kernel info:
; codeLenInByte = 10068
; NumSgprs: 100
; NumVgprs: 51
; NumAgprs: 0
; TotalNumVgprs: 51
; ScratchSize: 0
; MemoryBound: 0
; FloatMode: 240
; IeeeMode: 1
; LDSByteSize: 4120 bytes/workgroup (compile time only)
; SGPRBlocks: 12
; VGPRBlocks: 6
; NumSGPRsForWavesPerEU: 100
; NumVGPRsForWavesPerEU: 51
; AccumOffset: 52
; Occupancy: 8
; WaveLimiterHint : 1
; COMPUTE_PGM_RSRC2:SCRATCH_EN: 0
; COMPUTE_PGM_RSRC2:USER_SGPR: 6
; COMPUTE_PGM_RSRC2:TRAP_HANDLER: 0
; COMPUTE_PGM_RSRC2:TGID_X_EN: 1
; COMPUTE_PGM_RSRC2:TGID_Y_EN: 1
; COMPUTE_PGM_RSRC2:TGID_Z_EN: 1
; COMPUTE_PGM_RSRC2:TIDIG_COMP_CNT: 0
; COMPUTE_PGM_RSRC3_GFX90A:ACCUM_OFFSET: 12
; COMPUTE_PGM_RSRC3_GFX90A:TG_SPLIT: 0
	.section	.text._ZN2at6native12_GLOBAL__N_112gatherMedianIijLi3EEEvNS_4cuda6detail10TensorInfoIT_T0_EENS5_IlS7_EENS5_IKS6_S7_EES7_S7_S7_b,"axG",@progbits,_ZN2at6native12_GLOBAL__N_112gatherMedianIijLi3EEEvNS_4cuda6detail10TensorInfoIT_T0_EENS5_IlS7_EENS5_IKS6_S7_EES7_S7_S7_b,comdat
	.globl	_ZN2at6native12_GLOBAL__N_112gatherMedianIijLi3EEEvNS_4cuda6detail10TensorInfoIT_T0_EENS5_IlS7_EENS5_IKS6_S7_EES7_S7_S7_b ; -- Begin function _ZN2at6native12_GLOBAL__N_112gatherMedianIijLi3EEEvNS_4cuda6detail10TensorInfoIT_T0_EENS5_IlS7_EENS5_IKS6_S7_EES7_S7_S7_b
	.p2align	8
	.type	_ZN2at6native12_GLOBAL__N_112gatherMedianIijLi3EEEvNS_4cuda6detail10TensorInfoIT_T0_EENS5_IlS7_EENS5_IKS6_S7_EES7_S7_S7_b,@function
_ZN2at6native12_GLOBAL__N_112gatherMedianIijLi3EEEvNS_4cuda6detail10TensorInfoIT_T0_EENS5_IlS7_EENS5_IKS6_S7_EES7_S7_S7_b: ; @_ZN2at6native12_GLOBAL__N_112gatherMedianIijLi3EEEvNS_4cuda6detail10TensorInfoIT_T0_EENS5_IlS7_EENS5_IKS6_S7_EES7_S7_S7_b
; %bb.0:
	s_load_dwordx2 s[14:15], s[4:5], 0x298
	s_load_dwordx4 s[56:59], s[4:5], 0x288
	s_add_u32 s12, s4, 0x298
	s_addc_u32 s13, s5, 0
	s_waitcnt lgkmcnt(0)
	s_mul_i32 s0, s15, s8
	s_add_i32 s0, s0, s7
	s_mul_i32 s0, s0, s14
	s_add_i32 s22, s0, s6
	s_cmp_ge_u32 s22, s57
	s_cbranch_scc1 .LBB90_253
; %bb.1:
	s_load_dwordx2 s[16:17], s[4:5], 0xc
	s_load_dwordx2 s[2:3], s[4:5], 0x1bc
	;; [unrolled: 1-line block ×3, first 2 shown]
	s_load_dwordx4 s[8:11], s[4:5], 0x21c
                                        ; implicit-def: $vgpr50 : SGPR spill to VGPR lane
	v_cmp_eq_u32_e64 s[20:21], 0, v0
	s_waitcnt lgkmcnt(0)
	v_cvt_f32_u32_e32 v3, s19
	v_cvt_f32_u32_e32 v1, s17
	s_sub_i32 s0, 0, s17
	v_cvt_f32_u32_e32 v2, s16
	v_rcp_iflag_f32_e32 v3, v3
	v_rcp_iflag_f32_e32 v1, v1
	;; [unrolled: 1-line block ×3, first 2 shown]
	v_mul_f32_e32 v1, 0x4f7ffffe, v1
	v_cvt_u32_f32_e32 v1, v1
	v_mul_f32_e32 v2, 0x4f7ffffe, v2
	v_cvt_u32_f32_e32 v2, v2
	v_readfirstlane_b32 s1, v1
	s_mul_i32 s0, s0, s1
	s_mul_hi_u32 s0, s1, s0
	s_add_i32 s1, s1, s0
	s_mul_hi_u32 s0, s22, s1
	s_mul_i32 s1, s0, s17
	s_sub_i32 s1, s22, s1
	s_add_i32 s7, s0, 1
	s_sub_i32 s11, s1, s17
	s_cmp_ge_u32 s1, s17
	s_cselect_b32 s0, s7, s0
	v_mul_f32_e32 v1, 0x4f7ffffe, v3
	s_cselect_b32 s1, s11, s1
	s_add_i32 s7, s0, 1
	v_cvt_u32_f32_e32 v1, v1
	s_cmp_ge_u32 s1, s17
	s_cselect_b32 s0, s7, s0
	v_writelane_b32 v50, s0, 0
	v_writelane_b32 v50, s16, 1
	s_sub_i32 s0, 0, s16
	v_readfirstlane_b32 s1, v2
	v_readfirstlane_b32 s11, v1
	v_cvt_f32_u32_e32 v1, s18
	s_mul_i32 s0, s0, s1
	s_mul_hi_u32 s7, s1, s0
	s_sub_i32 s0, 0, s19
	s_mul_i32 s0, s0, s11
	s_mul_hi_u32 s0, s11, s0
	v_rcp_iflag_f32_e32 v1, v1
	s_add_i32 s11, s11, s0
	v_cvt_f32_u32_e32 v2, s3
	s_mul_hi_u32 s0, s22, s11
	s_mul_i32 s11, s0, s19
	s_sub_i32 s11, s22, s11
	v_mul_f32_e32 v1, 0x4f7ffffe, v1
	v_writelane_b32 v50, s17, 2
	s_add_i32 s15, s0, 1
	s_sub_i32 s16, s11, s19
	v_cvt_u32_f32_e32 v1, v1
	v_rcp_iflag_f32_e32 v2, v2
	s_cmp_ge_u32 s11, s19
	s_cselect_b32 s0, s15, s0
	s_cselect_b32 s11, s16, s11
	s_add_i32 s15, s0, 1
	s_cmp_ge_u32 s11, s19
	v_readfirstlane_b32 s11, v1
	v_mul_f32_e32 v1, 0x4f7ffffe, v2
	v_cvt_u32_f32_e32 v1, v1
	s_cselect_b32 s0, s15, s0
	v_writelane_b32 v50, s0, 3
	v_writelane_b32 v50, s18, 4
	s_sub_i32 s0, 0, s18
	s_mul_i32 s0, s0, s11
	v_readfirstlane_b32 s16, v1
	v_cvt_f32_u32_e32 v1, s2
	s_mul_hi_u32 s15, s11, s0
	s_sub_i32 s0, 0, s3
	s_mul_i32 s0, s0, s16
	s_mul_hi_u32 s0, s16, s0
	s_add_i32 s16, s16, s0
	v_rcp_iflag_f32_e32 v1, v1
	s_mul_hi_u32 s0, s22, s16
	s_mul_i32 s16, s0, s3
	s_sub_i32 s16, s22, s16
	v_writelane_b32 v50, s19, 5
	s_add_i32 s17, s0, 1
	s_sub_i32 s18, s16, s3
	v_mul_f32_e32 v1, 0x4f7ffffe, v1
	s_cmp_ge_u32 s16, s3
	v_cvt_u32_f32_e32 v1, v1
	s_cselect_b32 s0, s17, s0
	s_cselect_b32 s16, s18, s16
	s_add_i32 s17, s0, 1
	s_cmp_ge_u32 s16, s3
	s_cselect_b32 s0, s17, s0
	s_sub_i32 s16, 0, s2
	v_readfirstlane_b32 s18, v1
	s_mul_i32 s16, s16, s18
	s_mul_hi_u32 s16, s18, s16
	s_add_i32 s18, s18, s16
	s_mov_b64 s[16:17], exec
	v_writelane_b32 v50, s20, 6
	v_writelane_b32 v50, s21, 7
	s_and_b64 s[20:21], s[16:17], s[20:21]
	s_mov_b64 exec, s[20:21]
	s_cbranch_execz .LBB90_3
; %bb.2:
	v_mov_b32_e32 v2, 0
	v_mov_b32_e32 v3, v2
	ds_write_b64 v2, v[2:3] offset:4096
.LBB90_3:
	s_or_b64 exec, exec, s[16:17]
	s_load_dwordx4 s[24:27], s[4:5], 0x144
	v_mov_b32_e32 v1, 0
	s_waitcnt lgkmcnt(0)
	s_barrier
	v_writelane_b32 v50, s24, 8
	v_writelane_b32 v50, s25, 9
	;; [unrolled: 1-line block ×4, first 2 shown]
	s_load_dwordx4 s[24:27], s[4:5], 0x6c
	s_load_dwordx2 s[16:17], s[4:5], 0x1b0
	s_waitcnt lgkmcnt(0)
	s_barrier
	ds_read_b64 v[2:3], v1 offset:4096
	s_add_i32 s7, s1, s7
	s_add_i32 s11, s11, s15
	s_bitcmp1_b32 s59, 0
	v_writelane_b32 v50, s24, 12
	s_mul_hi_u32 s1, s0, s18
	s_cselect_b64 s[18:19], -1, 0
	s_waitcnt lgkmcnt(0)
	v_cmp_gt_i64_e32 vcc, 1, v[2:3]
	v_writelane_b32 v50, s25, 13
	s_or_b64 s[18:19], s[18:19], vcc
	v_writelane_b32 v50, s26, 14
	s_andn2_b64 vcc, exec, s[18:19]
	s_mov_b32 s81, s56
	v_writelane_b32 v50, s27, 15
	s_cbranch_vccnz .LBB90_5
; %bb.4:
	v_not_b32_e32 v1, v2
	v_not_b32_e32 v2, v3
	v_add_co_u32_e32 v1, vcc, s56, v1
	v_addc_co_u32_e32 v2, vcc, 0, v2, vcc
	v_lshrrev_b32_e32 v3, 31, v2
	v_add_co_u32_e32 v1, vcc, v1, v3
	v_addc_co_u32_e32 v2, vcc, 0, v2, vcc
	v_alignbit_b32 v1, v2, v1, 1
	v_readfirstlane_b32 s15, v1
	s_add_i32 s81, s15, 1
.LBB90_5:
	s_load_dwordx2 s[18:19], s[4:5], 0xd8
                                        ; kill: killed $sgpr4 killed $sgpr5
	s_waitcnt lgkmcnt(0)
	v_writelane_b32 v50, s18, 16
	v_writelane_b32 v50, s19, 17
	s_load_dwordx2 s[18:19], s[4:5], 0x0
	s_waitcnt lgkmcnt(0)
	v_writelane_b32 v50, s18, 18
	v_writelane_b32 v50, s19, 19
	v_readlane_b32 s4, v50, 0
	s_mul_hi_u32 s4, s4, s7
	v_writelane_b32 v50, s4, 20
	v_readlane_b32 s4, v50, 3
	s_mul_hi_u32 s4, s4, s11
	v_writelane_b32 v50, s4, 21
	s_mov_b64 s[4:5], exec
	v_readlane_b32 s18, v50, 6
	v_readlane_b32 s19, v50, 7
	s_and_b64 s[18:19], s[4:5], s[18:19]
	s_mov_b64 exec, s[18:19]
	s_cbranch_execz .LBB90_7
; %bb.6:
	v_mov_b32_e32 v2, 0
	v_mov_b32_e32 v3, s56
	ds_write_b32 v2, v2 offset:4112
	ds_write_b64 v2, v[2:3] offset:4104
.LBB90_7:
	s_or_b64 exec, exec, s[4:5]
	s_mul_i32 s4, s1, s2
	s_mul_i32 s3, s0, s3
	s_sub_i32 s4, s0, s4
	s_sub_i32 s3, s22, s3
	s_add_i32 s5, s1, 1
	s_sub_i32 s7, s4, s2
	s_cmp_ge_u32 s4, s2
	s_cselect_b32 s1, s5, s1
	s_cselect_b32 s4, s7, s4
	s_add_i32 s5, s1, 1
	s_cmp_ge_u32 s4, s2
	s_cselect_b32 s1, s5, s1
	s_mul_i32 s2, s1, s2
	s_sub_i32 s0, s0, s2
	s_mul_i32 s3, s3, s10
	s_mul_i32 s0, s0, s9
	s_add_i32 s0, s0, s3
	s_mul_i32 s1, s1, s8
	s_mov_b32 s76, 0
	s_waitcnt lgkmcnt(0)
	s_barrier
	s_load_dword s4, s[12:13], 0xc
	s_add_i32 s0, s0, s1
	s_mov_b32 s1, s76
	s_lshl_b64 s[0:1], s[0:1], 2
	s_add_u32 s59, s16, s0
	v_writelane_b32 v50, s22, 22
	s_addc_u32 s88, s17, s1
	v_cmp_gt_u32_e64 s[0:1], s56, v0
	v_mbcnt_lo_u32_b32 v1, -1, 0
	v_writelane_b32 v50, s0, 23
	s_waitcnt lgkmcnt(0)
	s_and_b32 s57, s4, 0xffff
	v_mbcnt_hi_u32_b32 v13, -1, v1
	v_writelane_b32 v50, s1, 24
	s_bfe_u32 s9, s4, 0xa0006
	v_cmp_gt_u32_e32 vcc, 64, v0
	v_cmp_gt_i32_e64 s[4:5], 4, v13
	s_add_i32 s0, s57, -1
	s_lshl_b32 s90, s57, 2
	s_and_b64 s[78:79], vcc, s[4:5]
	v_writelane_b32 v50, s0, 25
	s_add_i32 s0, s0, s56
	s_cmpk_gt_u32 s56, 0x300
	s_cselect_b64 s[4:5], -1, 0
	s_cmp_gt_u32 s57, 63
	s_cselect_b64 s[70:71], -1, 0
	s_cmp_lt_u32 s6, s14
	v_writelane_b32 v50, s4, 26
	s_cselect_b32 s1, 12, 18
	v_mov_b32_e32 v9, 0
	v_writelane_b32 v50, s5, 27
	s_add_u32 s4, s12, s1
	s_addc_u32 s5, s13, 0
	v_mul_lo_u32 v6, v0, s58
	v_mov_b32_e32 v7, v9
	v_writelane_b32 v50, s4, 28
	s_add_i32 s1, s9, -2
	v_lshlrev_b64 v[2:3], 2, v[6:7]
	v_writelane_b32 v50, s5, 29
	s_lshr_b32 s4, s1, 1
	v_mov_b32_e32 v7, s88
	v_add_co_u32_e32 v10, vcc, s59, v2
	s_add_i32 s8, s4, 1
	v_addc_co_u32_e32 v11, vcc, v7, v3, vcc
	v_lshlrev_b64 v[2:3], v13, -1
	s_cmpk_gt_u32 s57, 0x7f
	v_not_b32_e32 v12, v2
	v_cvt_f32_u32_e32 v2, s90
	s_cselect_b64 s[4:5], -1, 0
	s_and_b32 s10, s9, 0x3fe
	s_and_b32 s11, s8, 7
	v_writelane_b32 v50, s4, 30
	s_cmp_gt_u32 s1, 13
	v_writelane_b32 v50, s5, 31
	s_cselect_b64 s[12:13], -1, 0
	v_writelane_b32 v50, s12, 32
	v_rcp_iflag_f32_e32 v2, v2
	v_writelane_b32 v50, s13, 33
	s_and_b32 s1, s8, -8
	v_writelane_b32 v50, s1, 34
	s_cmp_lg_u32 s11, 0
	v_writelane_b32 v50, s11, 35
	s_cselect_b64 s[12:13], -1, 0
	v_writelane_b32 v50, s12, 36
	v_mul_f32_e32 v2, 0x4f7ffffe, v2
	v_writelane_b32 v50, s13, 37
	v_cvt_u32_f32_e32 v2, v2
	v_writelane_b32 v50, s9, 38
	s_cmp_lg_u32 s10, s9
	v_writelane_b32 v50, s10, 39
	s_cselect_b64 s[8:9], -1, 0
	v_writelane_b32 v50, s8, 40
	v_writelane_b32 v50, s9, 41
	v_readfirstlane_b32 s8, v2
	v_cvt_f32_u32_e32 v2, s57
	s_sub_i32 s1, 0, s90
	s_mul_i32 s1, s1, s8
	s_mul_hi_u32 s1, s8, s1
	s_add_i32 s93, s8, s1
	v_rcp_iflag_f32_e32 v5, v2
	s_mul_hi_u32 s1, s56, s93
	s_mul_i32 s1, s1, s90
	s_sub_i32 s1, s56, s1
	s_sub_i32 s8, s1, s90
	v_mul_f32_e32 v5, 0x4f7ffffe, v5
	s_cmp_ge_u32 s1, s90
	v_cvt_u32_f32_e32 v5, v5
	s_cselect_b32 s1, s8, s1
	s_sub_i32 s8, s1, s90
	s_cmp_ge_u32 s1, s90
	s_cselect_b32 s1, s8, s1
	s_sub_i32 s12, 0, s57
	v_readfirstlane_b32 s13, v5
	s_mul_i32 s12, s12, s13
	s_mul_hi_u32 s12, s13, s12
	s_add_i32 s2, s13, s12
	s_mul_hi_u32 s12, s0, s2
	s_mul_i32 s12, s12, s57
	s_sub_i32 s12, s0, s12
	s_sub_i32 s84, s56, s1
	;; [unrolled: 1-line block ×3, first 2 shown]
	v_add_u32_e32 v24, s84, v0
	s_cmp_ge_u32 s12, s57
	v_lshrrev_b32_e32 v1, 4, v0
	v_mul_lo_u32 v8, v24, s58
	s_cselect_b32 s12, s13, s12
	v_lshlrev_b32_e32 v20, 2, v0
	v_and_b32_e32 v22, 60, v1
	v_not_b32_e32 v1, v3
	v_lshlrev_b64 v[2:3], 2, v[8:9]
	s_sub_i32 s13, s12, s57
	v_add_co_u32_e32 v14, vcc, s59, v2
	s_cmp_ge_u32 s12, s57
	v_mul_lo_u32 v2, s58, v20
	s_cselect_b32 s12, s13, s12
	v_add_u32_e32 v25, s58, v2
	v_or_b32_e32 v2, 2, v20
	s_sub_i32 s91, s0, s12
	v_mul_lo_u32 v26, s58, v2
	v_or_b32_e32 v2, 3, v20
	s_add_i32 s0, s57, s56
	v_mul_lo_u32 v27, s58, v2
	v_add_u32_e32 v2, s0, v0
	v_lshlrev_b32_e32 v4, 2, v13
	v_mov_b32_e32 v8, s88
	v_writelane_b32 v50, s2, 42
	v_cmp_gt_u32_e64 s[2:3], s91, v0
	s_mul_i32 s89, s58, s57
	v_subrev_u32_e32 v2, s1, v2
	v_cmp_eq_u32_e64 s[4:5], 0, v13
	v_cmp_gt_u32_e64 s[6:7], 2, v0
	v_add_u32_e32 v21, 0xc00, v20
	v_and_b32_e32 v23, 0x100, v4
	v_cmp_gt_u32_e64 s[82:83], s84, v20
	v_cmp_gt_u32_e64 s[10:11], s56, v24
	v_addc_co_u32_e32 v15, vcc, v8, v3, vcc
	v_writelane_b32 v50, s2, 43
	s_lshl_b32 s86, s89, 2
	v_lshlrev_b32_e32 v28, 2, v6
	v_mul_lo_u32 v29, s58, v2
	v_lshlrev_b32_e32 v30, 4, v0
	s_lshl_b32 s87, s57, 4
	v_or_b32_e32 v31, 0xc00, v4
	s_mov_b32 s33, 30
	s_mov_b64 s[94:95], 0
	v_mov_b32_e32 v16, 1
	v_mov_b32_e32 v32, 0xc00
	;; [unrolled: 1-line block ×3, first 2 shown]
	s_mov_b32 s12, 0
	s_mov_b32 s80, 0
	;; [unrolled: 1-line block ×3, first 2 shown]
	v_writelane_b32 v50, s3, 44
                                        ; implicit-def: $sgpr72_sgpr73
                                        ; implicit-def: $sgpr62_sgpr63
                                        ; implicit-def: $sgpr60_sgpr61
                                        ; implicit-def: $sgpr74_sgpr75
                                        ; implicit-def: $sgpr64_sgpr65
                                        ; implicit-def: $sgpr66_sgpr67
	s_branch .LBB90_12
.LBB90_8:                               ;   in Loop: Header=BB90_12 Depth=1
	s_xor_b32 s12, s12, 1
	s_add_i32 s0, s33, -2
	s_cmp_eq_u32 s33, 0
	s_mov_b64 s[18:19], 0
	s_cselect_b64 s[26:27], -1, 0
	s_mov_b32 s33, s0
.LBB90_9:                               ;   in Loop: Header=BB90_12 Depth=1
	s_andn2_b64 s[0:1], s[22:23], exec
	s_and_b64 s[18:19], s[18:19], exec
	s_or_b64 s[22:23], s[0:1], s[18:19]
	s_andn2_b64 s[24:25], s[24:25], exec
	s_andn2_b64 s[20:21], s[20:21], exec
	s_orn2_b64 s[18:19], s[26:27], exec
	s_mov_b32 s81, s35
.LBB90_10:                              ;   in Loop: Header=BB90_12 Depth=1
	s_or_b64 exec, exec, s[14:15]
	s_andn2_b64 s[0:1], s[66:67], exec
	s_and_b64 s[14:15], s[22:23], exec
	s_or_b64 s[66:67], s[0:1], s[14:15]
	s_andn2_b64 s[0:1], s[64:65], exec
	s_and_b64 s[14:15], s[24:25], exec
	s_or_b64 s[64:65], s[0:1], s[14:15]
	;; [unrolled: 3-line block ×3, first 2 shown]
	s_orn2_b64 s[18:19], s[18:19], exec
.LBB90_11:                              ;   in Loop: Header=BB90_12 Depth=1
	s_or_b64 exec, exec, s[16:17]
	s_and_b64 s[0:1], exec, s[18:19]
	s_or_b64 s[94:95], s[0:1], s[94:95]
	s_andn2_b64 s[0:1], s[60:61], exec
	s_and_b64 s[14:15], s[66:67], exec
	s_or_b64 s[60:61], s[0:1], s[14:15]
	s_andn2_b64 s[0:1], s[62:63], exec
	s_and_b64 s[14:15], s[64:65], exec
	;; [unrolled: 3-line block ×3, first 2 shown]
	v_mov_b32_e32 v2, s80
	s_or_b64 s[72:73], s[0:1], s[14:15]
	s_andn2_b64 exec, exec, s[94:95]
	s_cbranch_execz .LBB90_249
.LBB90_12:                              ; =>This Loop Header: Depth=1
                                        ;     Child Loop BB90_20 Depth 2
                                        ;     Child Loop BB90_38 Depth 2
	;; [unrolled: 1-line block ×17, first 2 shown]
	ds_read_b64 v[2:3], v9 offset:4104
	s_waitcnt lgkmcnt(0)
	v_readfirstlane_b32 s77, v2
	s_cmp_lg_u32 s77, 0
	s_cbranch_scc1 .LBB90_45
; %bb.13:                               ;   in Loop: Header=BB90_12 Depth=1
	v_readlane_b32 s0, v50, 26
	v_readlane_b32 s1, v50, 27
	s_and_b64 vcc, exec, s[0:1]
	s_cbranch_vccz .LBB90_28
; %bb.14:                               ;   in Loop: Header=BB90_12 Depth=1
	s_movk_i32 s0, 0x301
	v_cmp_gt_u32_e32 vcc, s0, v3
	s_mov_b64 s[18:19], 0
	s_mov_b64 s[14:15], 0
	s_cbranch_vccz .LBB90_29
; %bb.15:                               ;   in Loop: Header=BB90_12 Depth=1
	v_mov_b32_e32 v2, 0
	s_mov_b64 s[14:15], exec
	v_readlane_b32 s0, v50, 23
	v_readlane_b32 s1, v50, 24
	s_and_b64 s[0:1], s[14:15], s[0:1]
	s_mov_b64 exec, s[0:1]
	s_cbranch_execz .LBB90_17
; %bb.16:                               ;   in Loop: Header=BB90_12 Depth=1
	global_load_dword v2, v[10:11], off
.LBB90_17:                              ;   in Loop: Header=BB90_12 Depth=1
	s_or_b64 exec, exec, s[14:15]
	s_mov_b64 s[20:21], exec
	v_readlane_b32 s0, v50, 23
	v_readlane_b32 s1, v50, 24
	s_and_b64 s[0:1], s[20:21], s[0:1]
	s_mov_b64 exec, s[0:1]
	s_cbranch_execz .LBB90_30
; %bb.18:                               ;   in Loop: Header=BB90_12 Depth=1
	v_readlane_b32 s0, v50, 28
	v_readlane_b32 s1, v50, 29
	s_mov_b64 s[22:23], 0
	s_nop 3
	global_load_ushort v3, v9, s[0:1]
	s_waitcnt vmcnt(0)
	v_add_u32_e32 v5, v0, v3
	v_mul_lo_u32 v4, s58, v3
	v_mul_lo_u32 v8, s58, v5
	v_mov_b32_e32 v5, v0
	s_branch .LBB90_20
.LBB90_19:                              ;   in Loop: Header=BB90_20 Depth=2
	s_or_b64 exec, exec, s[16:17]
	v_add_u32_e32 v8, v8, v4
	s_waitcnt vmcnt(0)
	v_mov_b32_e32 v2, v17
	s_andn2_b64 exec, exec, s[22:23]
	s_cbranch_execz .LBB90_30
.LBB90_20:                              ;   Parent Loop BB90_12 Depth=1
                                        ; =>  This Inner Loop Header: Depth=2
	v_add_u32_e32 v5, v5, v3
	v_cmp_gt_u32_e64 s[14:15], s56, v5
	v_cmp_le_u32_e32 vcc, s56, v5
	s_waitcnt lgkmcnt(0)
	v_mov_b32_e32 v18, 0
	v_mov_b32_e32 v17, 0
	s_and_saveexec_b64 s[16:17], s[14:15]
	s_cbranch_execz .LBB90_22
; %bb.21:                               ;   in Loop: Header=BB90_20 Depth=2
	v_lshlrev_b64 v[34:35], 2, v[8:9]
	v_add_co_u32_e64 v34, s[14:15], s59, v34
	v_addc_co_u32_e64 v35, s[14:15], v7, v35, s[14:15]
	global_load_dword v17, v[34:35], off
.LBB90_22:                              ;   in Loop: Header=BB90_20 Depth=2
	s_or_b64 exec, exec, s[16:17]
	v_xor_b32_e32 v33, 0x80000000, v2
	v_and_b32_e32 v33, s13, v33
	v_cmp_eq_u32_e64 s[14:15], s80, v33
	s_cmp_lg_u64 s[14:15], 0
	s_cselect_b64 s[0:1], -1, 0
	s_and_b64 s[0:1], s[4:5], s[0:1]
	s_and_saveexec_b64 s[24:25], s[0:1]
	s_cbranch_execz .LBB90_26
; %bb.23:                               ;   in Loop: Header=BB90_20 Depth=2
	s_mov_b64 s[28:29], exec
	v_mbcnt_lo_u32_b32 v18, s28, 0
	v_mbcnt_hi_u32_b32 v18, s29, v18
	s_bcnt1_i32_b64 s0, s[14:15]
	v_cmp_eq_u32_e64 s[16:17], 0, v18
                                        ; implicit-def: $vgpr33
	s_and_saveexec_b64 s[26:27], s[16:17]
	s_cbranch_execz .LBB90_25
; %bb.24:                               ;   in Loop: Header=BB90_20 Depth=2
	s_bcnt1_i32_b64 s1, s[28:29]
	s_mul_i32 s1, s0, s1
	v_mov_b32_e32 v33, s1
	ds_add_rtn_u32 v33, v9, v33 offset:4112
.LBB90_25:                              ;   in Loop: Header=BB90_20 Depth=2
	s_or_b64 exec, exec, s[26:27]
	s_waitcnt lgkmcnt(0)
	v_readfirstlane_b32 s1, v33
	v_mov_b32_e32 v33, s1
	v_mad_u32_u24 v18, s0, v18, v33
.LBB90_26:                              ;   in Loop: Header=BB90_20 Depth=2
	s_or_b64 exec, exec, s[24:25]
	ds_bpermute_b32 v18, v23, v18
	s_and_b64 s[0:1], exec, vcc
	s_or_b64 s[22:23], s[0:1], s[22:23]
	s_and_saveexec_b64 s[16:17], s[14:15]
	s_cbranch_execz .LBB90_19
; %bb.27:                               ;   in Loop: Header=BB90_20 Depth=2
	v_and_b32_e32 v34, s14, v12
	v_and_b32_e32 v33, s15, v1
	v_bcnt_u32_b32 v34, v34, 0
	v_bcnt_u32_b32 v33, v33, v34
	v_lshlrev_b32_e32 v33, 2, v33
	s_waitcnt lgkmcnt(0)
	v_lshl_add_u32 v18, v18, 2, v33
	ds_write_b32 v18, v2
	s_branch .LBB90_19
.LBB90_28:                              ;   in Loop: Header=BB90_12 Depth=1
	s_mov_b64 s[14:15], 0
                                        ; implicit-def: $sgpr77
	s_cbranch_execnz .LBB90_33
	s_branch .LBB90_43
.LBB90_29:                              ;   in Loop: Header=BB90_12 Depth=1
	s_mov_b32 s77, 0
	s_and_b64 vcc, exec, s[18:19]
	s_cbranch_vccnz .LBB90_33
	s_branch .LBB90_43
.LBB90_30:                              ;   in Loop: Header=BB90_12 Depth=1
	s_or_b64 exec, exec, s[20:21]
	s_waitcnt lgkmcnt(0)
	s_barrier
	s_mov_b64 s[14:15], exec
	v_readlane_b32 s0, v50, 6
	v_readlane_b32 s1, v50, 7
	s_and_b64 s[0:1], s[14:15], s[0:1]
	s_mov_b64 exec, s[0:1]
	s_cbranch_execz .LBB90_32
; %bb.31:                               ;   in Loop: Header=BB90_12 Depth=1
	s_waitcnt vmcnt(0)
	ds_read_b32 v2, v9 offset:4112
	s_waitcnt lgkmcnt(0)
	ds_write_b32 v9, v2 offset:4104
.LBB90_32:                              ;   in Loop: Header=BB90_12 Depth=1
	s_or_b64 exec, exec, s[14:15]
	s_waitcnt lgkmcnt(0)
	s_barrier
	s_mov_b64 s[14:15], -1
	s_mov_b32 s77, 0
	s_and_b64 vcc, exec, s[18:19]
	s_cbranch_vccz .LBB90_43
.LBB90_33:                              ;   in Loop: Header=BB90_12 Depth=1
	s_waitcnt vmcnt(0)
	v_mov_b32_e32 v2, 0
	s_mov_b64 s[14:15], exec
	v_readlane_b32 s0, v50, 23
	v_readlane_b32 s1, v50, 24
	s_and_b64 s[0:1], s[14:15], s[0:1]
	s_mov_b64 exec, s[0:1]
	s_cbranch_execz .LBB90_35
; %bb.34:                               ;   in Loop: Header=BB90_12 Depth=1
	global_load_dword v2, v[10:11], off
.LBB90_35:                              ;   in Loop: Header=BB90_12 Depth=1
	s_or_b64 exec, exec, s[14:15]
	s_mov_b64 s[16:17], exec
	v_readlane_b32 s0, v50, 23
	v_readlane_b32 s1, v50, 24
	s_and_b64 s[0:1], s[16:17], s[0:1]
	s_mov_b64 exec, s[0:1]
	s_cbranch_execz .LBB90_40
; %bb.36:                               ;   in Loop: Header=BB90_12 Depth=1
	v_readlane_b32 s0, v50, 28
	v_readlane_b32 s1, v50, 29
	s_mov_b64 s[18:19], 0
	v_mov_b32_e32 v4, v20
	v_mov_b32_e32 v18, v0
	s_nop 1
	global_load_ushort v3, v9, s[0:1]
	s_waitcnt vmcnt(0)
	v_add_u32_e32 v8, v0, v3
	v_lshlrev_b32_e32 v5, 2, v3
	v_mul_lo_u32 v17, s58, v3
	v_mul_lo_u32 v8, s58, v8
	s_branch .LBB90_38
.LBB90_37:                              ;   in Loop: Header=BB90_38 Depth=2
	s_or_b64 exec, exec, s[20:21]
	s_and_b64 s[0:1], exec, vcc
	s_or_b64 s[18:19], s[0:1], s[18:19]
	ds_write_b32 v4, v2
	v_add_u32_e32 v4, v4, v5
	v_add_u32_e32 v8, v8, v17
	s_waitcnt vmcnt(0)
	v_mov_b32_e32 v2, v33
	s_andn2_b64 exec, exec, s[18:19]
	s_cbranch_execz .LBB90_40
.LBB90_38:                              ;   Parent Loop BB90_12 Depth=1
                                        ; =>  This Inner Loop Header: Depth=2
	v_add_u32_e32 v18, v18, v3
	v_cmp_gt_u32_e64 s[14:15], s56, v18
	v_cmp_le_u32_e32 vcc, s56, v18
	v_mov_b32_e32 v33, 0
	s_and_saveexec_b64 s[20:21], s[14:15]
	s_cbranch_execz .LBB90_37
; %bb.39:                               ;   in Loop: Header=BB90_38 Depth=2
	v_lshlrev_b64 v[34:35], 2, v[8:9]
	v_mov_b32_e32 v33, s88
	v_add_co_u32_e64 v34, s[14:15], s59, v34
	v_addc_co_u32_e64 v35, s[14:15], v33, v35, s[14:15]
	global_load_dword v33, v[34:35], off
	s_branch .LBB90_37
.LBB90_40:                              ;   in Loop: Header=BB90_12 Depth=1
	s_or_b64 exec, exec, s[16:17]
	s_waitcnt lgkmcnt(0)
	s_barrier
	s_mov_b64 s[14:15], exec
	v_readlane_b32 s0, v50, 6
	v_readlane_b32 s1, v50, 7
	s_and_b64 s[0:1], s[14:15], s[0:1]
	s_mov_b64 exec, s[0:1]
	s_cbranch_execz .LBB90_42
; %bb.41:                               ;   in Loop: Header=BB90_12 Depth=1
	s_waitcnt vmcnt(0)
	v_mov_b32_e32 v2, s56
	ds_write_b32 v9, v2 offset:4104
.LBB90_42:                              ;   in Loop: Header=BB90_12 Depth=1
	s_or_b64 exec, exec, s[14:15]
	s_mov_b64 s[14:15], -1
	s_waitcnt lgkmcnt(0)
	s_barrier
                                        ; implicit-def: $sgpr77
.LBB90_43:                              ;   in Loop: Header=BB90_12 Depth=1
	s_and_b64 vcc, exec, s[14:15]
	s_cbranch_vccz .LBB90_45
; %bb.44:                               ;   in Loop: Header=BB90_12 Depth=1
	s_waitcnt vmcnt(0)
	ds_read_b32 v2, v9 offset:4104
	s_waitcnt lgkmcnt(0)
	v_readfirstlane_b32 s77, v2
.LBB90_45:                              ;   in Loop: Header=BB90_12 Depth=1
	s_cmp_lt_i32 s77, 1
	s_cbranch_scc0 .LBB90_49
; %bb.46:                               ;   in Loop: Header=BB90_12 Depth=1
	s_waitcnt vmcnt(0)
	v_mov_b32_e32 v2, 0
	s_mov_b32 s48, 0
	v_mov_b32_e32 v3, 0
	v_mov_b32_e32 v4, v2
	;; [unrolled: 1-line block ×3, first 2 shown]
	s_and_saveexec_b64 s[44:45], s[82:83]
	s_cbranch_execnz .LBB90_50
; %bb.47:                               ;   in Loop: Header=BB90_12 Depth=1
	s_or_b64 exec, exec, s[44:45]
	v_mov_b32_e32 v18, 0
	s_and_saveexec_b64 s[14:15], s[10:11]
	s_cbranch_execnz .LBB90_53
.LBB90_48:                              ;   in Loop: Header=BB90_12 Depth=1
	s_or_b64 exec, exec, s[14:15]
	s_and_saveexec_b64 s[16:17], s[10:11]
	s_cbranch_execnz .LBB90_54
	s_branch .LBB90_59
.LBB90_49:                              ;   in Loop: Header=BB90_12 Depth=1
                                        ; implicit-def: $vgpr5
	s_cbranch_execnz .LBB90_60
	s_branch .LBB90_69
.LBB90_50:                              ;   in Loop: Header=BB90_12 Depth=1
	s_and_b32 s49, s33, 0xfe
	s_mov_b64 s[46:47], 0
	s_mov_b32 s50, 0
	s_mov_b32 s51, 0
	s_mov_b32 s52, 0
	s_mov_b32 s53, 0
	v_mov_b32_e32 v17, v20
.LBB90_51:                              ;   Parent Loop BB90_12 Depth=1
                                        ; =>  This Inner Loop Header: Depth=2
	v_add_u32_e32 v8, s48, v28
	v_lshlrev_b64 v[2:3], 2, v[8:9]
	v_mov_b32_e32 v18, s88
	v_add_u32_e32 v8, s48, v25
	v_add_co_u32_e64 v2, s[14:15], s59, v2
	v_lshlrev_b64 v[4:5], 2, v[8:9]
	v_addc_co_u32_e64 v3, s[14:15], v18, v3, s[14:15]
	v_add_u32_e32 v8, s48, v26
	v_add_co_u32_e64 v4, s[14:15], s59, v4
	v_lshlrev_b64 v[34:35], 2, v[8:9]
	v_add_u32_e32 v8, s48, v27
	v_addc_co_u32_e64 v5, s[14:15], v18, v5, s[14:15]
	global_load_dword v33, v[2:3], off
	v_lshlrev_b64 v[2:3], 2, v[8:9]
	global_load_dword v8, v[4:5], off
	v_add_co_u32_e64 v4, s[14:15], s59, v34
	v_addc_co_u32_e64 v5, s[14:15], v18, v35, s[14:15]
	global_load_dword v4, v[4:5], off
	v_add_co_u32_e64 v2, s[14:15], s59, v2
	v_addc_co_u32_e64 v3, s[14:15], v18, v3, s[14:15]
	global_load_dword v2, v[2:3], off
	v_add_u32_e32 v17, s90, v17
	v_cmp_le_u32_e32 vcc, s84, v17
	s_add_i32 s48, s48, s86
	s_waitcnt vmcnt(3)
	v_xor_b32_e32 v3, 0x80000000, v33
	s_waitcnt vmcnt(2)
	v_xor_b32_e32 v5, 0x80000000, v8
	v_and_b32_e32 v8, s13, v3
	v_bfe_u32 v3, v3, s49, 2
	v_cmp_eq_u32_e64 s[14:15], s80, v8
	v_cmp_eq_u32_e64 s[16:17], 0, v3
	v_and_b32_e32 v8, s13, v5
	v_bfe_u32 v5, v5, s49, 2
	v_cmp_eq_u32_e64 s[18:19], 1, v3
	s_and_b64 s[0:1], s[14:15], s[16:17]
	v_cmp_eq_u32_e64 s[20:21], 2, v3
	v_cmp_eq_u32_e64 s[26:27], 0, v5
	;; [unrolled: 1-line block ×5, first 2 shown]
	v_cndmask_b32_e64 v5, 0, 1, s[0:1]
	s_and_b64 s[0:1], s[14:15], s[18:19]
	v_cmp_eq_u32_e64 s[22:23], 3, v3
	v_cmp_eq_u32_e64 s[24:25], s80, v8
	v_cndmask_b32_e64 v8, 0, 1, s[0:1]
	s_and_b64 s[0:1], s[14:15], s[20:21]
	s_waitcnt vmcnt(1)
	v_xor_b32_e32 v4, 0x80000000, v4
	v_cndmask_b32_e64 v18, 0, 1, s[0:1]
	s_and_b64 s[0:1], s[14:15], s[22:23]
	v_and_b32_e32 v3, s13, v4
	v_bfe_u32 v4, v4, s49, 2
	v_cndmask_b32_e64 v33, 0, 1, s[0:1]
	s_and_b64 s[0:1], s[24:25], s[26:27]
	v_cmp_eq_u32_e64 s[16:17], 0, v4
	v_cmp_eq_u32_e64 s[18:19], 1, v4
	;; [unrolled: 1-line block ×4, first 2 shown]
	v_cndmask_b32_e64 v4, 0, 1, s[0:1]
	s_and_b64 s[0:1], s[24:25], s[28:29]
	v_cmp_ne_u32_e64 s[36:37], 0, v5
	v_cndmask_b32_e64 v5, 0, 1, s[0:1]
	s_and_b64 s[0:1], s[24:25], s[30:31]
	s_waitcnt vmcnt(0)
	v_xor_b32_e32 v2, 0x80000000, v2
	v_cmp_eq_u32_e64 s[14:15], s80, v3
	v_cmp_ne_u32_e64 s[26:27], 0, v8
	v_cndmask_b32_e64 v8, 0, 1, s[0:1]
	s_and_b64 s[0:1], s[24:25], s[34:35]
	v_and_b32_e32 v3, s13, v2
	v_bfe_u32 v2, v2, s49, 2
	v_cmp_ne_u32_e64 s[28:29], 0, v18
	v_cndmask_b32_e64 v18, 0, 1, s[0:1]
	s_and_b64 s[0:1], s[14:15], s[16:17]
	v_cmp_eq_u32_e64 s[34:35], 0, v2
	v_cmp_eq_u32_e64 s[38:39], 1, v2
	;; [unrolled: 1-line block ×4, first 2 shown]
	v_cndmask_b32_e64 v2, 0, 1, s[0:1]
	s_and_b64 s[0:1], s[14:15], s[18:19]
	v_cmp_eq_u32_e64 s[24:25], s80, v3
	v_cndmask_b32_e64 v3, 0, 1, s[0:1]
	s_and_b64 s[0:1], s[14:15], s[20:21]
	s_bcnt1_i32_b64 s54, s[36:37]
	v_cmp_ne_u32_e64 s[36:37], 0, v4
	v_cndmask_b32_e64 v4, 0, 1, s[0:1]
	s_and_b64 s[0:1], s[14:15], s[22:23]
	v_cmp_ne_u32_e64 s[16:17], 0, v5
	v_cndmask_b32_e64 v5, 0, 1, s[0:1]
	s_and_b64 s[0:1], s[24:25], s[34:35]
	;; [unrolled: 3-line block ×3, first 2 shown]
	v_cmp_ne_u32_e64 s[30:31], 0, v33
	s_bcnt1_i32_b64 s26, s[26:27]
	s_bcnt1_i32_b64 s27, s[28:29]
	v_cmp_ne_u32_e64 s[18:19], 0, v8
	s_bcnt1_i32_b64 s29, s[16:17]
	v_cmp_ne_u32_e64 s[16:17], 0, v3
	v_cndmask_b32_e64 v3, 0, 1, s[0:1]
	s_and_b64 s[0:1], s[24:25], s[40:41]
	s_bcnt1_i32_b64 s28, s[30:31]
	v_cmp_ne_u32_e64 s[20:21], 0, v18
	s_bcnt1_i32_b64 s30, s[18:19]
	v_cmp_ne_u32_e64 s[18:19], 0, v4
	v_cndmask_b32_e64 v4, 0, 1, s[0:1]
	s_and_b64 s[0:1], s[24:25], s[42:43]
	s_bcnt1_i32_b64 s22, s[36:37]
	s_add_i32 s23, s53, s54
	s_add_i32 s26, s52, s26
	;; [unrolled: 1-line block ×3, first 2 shown]
	s_bcnt1_i32_b64 s31, s[20:21]
	v_cmp_ne_u32_e64 s[20:21], 0, v5
	v_cndmask_b32_e64 v5, 0, 1, s[0:1]
	s_add_i32 s0, s50, s28
	s_bcnt1_i32_b64 s1, s[14:15]
	v_cmp_ne_u32_e64 s[14:15], 0, v2
	s_add_i32 s22, s23, s22
	s_bcnt1_i32_b64 s23, s[16:17]
	v_cmp_ne_u32_e64 s[16:17], 0, v3
	;; [unrolled: 3-line block ×4, first 2 shown]
	s_add_i32 s0, s0, s31
	s_bcnt1_i32_b64 s14, s[14:15]
	s_add_i32 s1, s22, s1
	s_bcnt1_i32_b64 s15, s[16:17]
	;; [unrolled: 2-line block ×4, first 2 shown]
	s_add_i32 s0, s0, s27
	s_add_i32 s53, s1, s14
	;; [unrolled: 1-line block ×5, first 2 shown]
	s_or_b64 s[46:47], vcc, s[46:47]
	v_mov_b32_e32 v2, s53
	v_mov_b32_e32 v3, s52
	;; [unrolled: 1-line block ×4, first 2 shown]
	s_andn2_b64 exec, exec, s[46:47]
	s_cbranch_execnz .LBB90_51
; %bb.52:                               ;   in Loop: Header=BB90_12 Depth=1
	s_or_b64 exec, exec, s[46:47]
	s_or_b64 exec, exec, s[44:45]
	v_mov_b32_e32 v18, 0
	s_and_saveexec_b64 s[14:15], s[10:11]
	s_cbranch_execz .LBB90_48
.LBB90_53:                              ;   in Loop: Header=BB90_12 Depth=1
	global_load_dword v18, v[14:15], off
	s_or_b64 exec, exec, s[14:15]
	s_and_saveexec_b64 s[16:17], s[10:11]
	s_cbranch_execz .LBB90_59
.LBB90_54:                              ;   in Loop: Header=BB90_12 Depth=1
	s_and_b32 s0, s33, 0xfe
	s_mov_b64 s[18:19], 0
	v_mov_b32_e32 v8, v29
	v_mov_b32_e32 v17, v24
	s_branch .LBB90_56
.LBB90_55:                              ;   in Loop: Header=BB90_56 Depth=2
	s_or_b64 exec, exec, s[20:21]
	s_waitcnt vmcnt(0)
	v_xor_b32_e32 v18, 0x80000000, v18
	s_and_b64 s[14:15], exec, vcc
	v_and_b32_e32 v34, s13, v18
	v_bfe_u32 v18, v18, s0, 2
	s_or_b64 s[18:19], s[14:15], s[18:19]
	v_cmp_eq_u32_e32 vcc, s80, v34
	v_cmp_eq_u32_e64 s[14:15], 0, v18
	s_and_b64 s[14:15], vcc, s[14:15]
	v_cndmask_b32_e64 v34, 0, 1, s[14:15]
	v_cmp_ne_u32_e64 s[14:15], 0, v34
	s_bcnt1_i32_b64 s1, s[14:15]
	v_cmp_eq_u32_e64 s[14:15], 1, v18
	s_and_b64 s[14:15], vcc, s[14:15]
	v_cndmask_b32_e64 v34, 0, 1, s[14:15]
	v_cmp_ne_u32_e64 s[14:15], 0, v34
	v_add_u32_e32 v2, s1, v2
	s_bcnt1_i32_b64 s1, s[14:15]
	v_cmp_eq_u32_e64 s[14:15], 2, v18
	s_and_b64 s[14:15], vcc, s[14:15]
	v_cndmask_b32_e64 v34, 0, 1, s[14:15]
	v_cmp_ne_u32_e64 s[14:15], 0, v34
	v_add_u32_e32 v3, s1, v3
	s_bcnt1_i32_b64 s1, s[14:15]
	v_cmp_eq_u32_e64 s[14:15], 3, v18
	s_and_b64 s[14:15], vcc, s[14:15]
	v_cndmask_b32_e64 v18, 0, 1, s[14:15]
	v_cmp_ne_u32_e32 vcc, 0, v18
	v_add_u32_e32 v4, s1, v4
	s_bcnt1_i32_b64 s1, vcc
	v_add_u32_e32 v5, s1, v5
	v_add_u32_e32 v8, s89, v8
	v_mov_b32_e32 v18, v33
	s_andn2_b64 exec, exec, s[18:19]
	s_cbranch_execz .LBB90_58
.LBB90_56:                              ;   Parent Loop BB90_12 Depth=1
                                        ; =>  This Inner Loop Header: Depth=2
	v_add_u32_e32 v17, s57, v17
	v_cmp_gt_u32_e64 s[14:15], s56, v17
	v_cmp_le_u32_e32 vcc, s56, v17
	v_mov_b32_e32 v33, 0
	s_and_saveexec_b64 s[20:21], s[14:15]
	s_cbranch_execz .LBB90_55
; %bb.57:                               ;   in Loop: Header=BB90_56 Depth=2
	v_lshlrev_b64 v[34:35], 2, v[8:9]
	v_mov_b32_e32 v33, s88
	v_add_co_u32_e64 v34, s[14:15], s59, v34
	v_addc_co_u32_e64 v35, s[14:15], v33, v35, s[14:15]
	global_load_dword v33, v[34:35], off
	s_branch .LBB90_55
.LBB90_58:                              ;   in Loop: Header=BB90_12 Depth=1
	s_or_b64 exec, exec, s[18:19]
.LBB90_59:                              ;   in Loop: Header=BB90_12 Depth=1
	s_or_b64 exec, exec, s[16:17]
	s_branch .LBB90_69
.LBB90_60:                              ;   in Loop: Header=BB90_12 Depth=1
	s_mul_hi_u32 s0, s77, s93
	s_mul_i32 s0, s0, s90
	s_sub_i32 s0, s77, s0
	s_sub_i32 s1, s0, s90
	s_cmp_ge_u32 s0, s90
	s_cselect_b32 s0, s1, s0
	s_sub_i32 s1, s0, s90
	s_cmp_ge_u32 s0, s90
	s_cselect_b32 s0, s1, s0
	s_sub_i32 s0, s77, s0
	v_cmp_gt_u32_e32 vcc, s0, v20
	s_mov_b32 s92, 0
	s_waitcnt vmcnt(0)
	v_mov_b32_e32 v2, 0
	v_mov_b32_e32 v3, 0
	;; [unrolled: 1-line block ×4, first 2 shown]
	s_and_saveexec_b64 s[68:69], vcc
	s_cbranch_execz .LBB90_64
; %bb.61:                               ;   in Loop: Header=BB90_12 Depth=1
	s_mov_b64 s[2:3], s[82:83]
	s_mov_b64 s[8:9], s[70:71]
	s_and_b32 s1, s33, 0xfe
	s_mov_b64 s[70:71], 0
	v_mov_b32_e32 v8, v30
	s_mov_b32 s85, 0
	s_mov_b32 s82, 0
	;; [unrolled: 1-line block ×3, first 2 shown]
	v_mov_b32_e32 v17, v20
.LBB90_62:                              ;   Parent Loop BB90_12 Depth=1
                                        ; =>  This Inner Loop Header: Depth=2
	ds_read_b128 v[2:5], v8
	v_add_u32_e32 v17, s90, v17
	v_cmp_le_u32_e32 vcc, s0, v17
	v_add_u32_e32 v8, s87, v8
	s_waitcnt lgkmcnt(0)
	v_xor_b32_e32 v2, 0x80000000, v2
	v_xor_b32_e32 v3, 0x80000000, v3
	v_and_b32_e32 v18, s13, v2
	v_bfe_u32 v2, v2, s1, 2
	v_xor_b32_e32 v4, 0x80000000, v4
	v_and_b32_e32 v33, s13, v3
	v_bfe_u32 v3, v3, s1, 2
	v_cmp_eq_u32_e64 s[14:15], s80, v18
	v_cmp_eq_u32_e64 s[22:23], 0, v2
	v_xor_b32_e32 v5, 0x80000000, v5
	v_and_b32_e32 v34, s13, v4
	v_bfe_u32 v4, v4, s1, 2
	v_cmp_eq_u32_e64 s[16:17], s80, v33
	v_cmp_eq_u32_e64 s[24:25], 0, v3
	s_and_b64 s[22:23], s[14:15], s[22:23]
	v_and_b32_e32 v35, s13, v5
	v_bfe_u32 v5, v5, s1, 2
	v_cmp_eq_u32_e64 s[18:19], s80, v34
	v_cmp_eq_u32_e64 s[26:27], 0, v4
	;; [unrolled: 1-line block ×5, first 2 shown]
	v_cndmask_b32_e64 v2, 0, 1, s[22:23]
	s_and_b64 s[22:23], s[16:17], s[24:25]
	v_cmp_eq_u32_e64 s[20:21], s80, v35
	v_cmp_eq_u32_e64 s[28:29], 0, v5
	;; [unrolled: 1-line block ×5, first 2 shown]
	v_cndmask_b32_e64 v3, 0, 1, s[22:23]
	s_and_b64 s[22:23], s[18:19], s[26:27]
	v_cmp_eq_u32_e64 s[36:37], 1, v4
	v_cmp_eq_u32_e64 s[44:45], 2, v4
	;; [unrolled: 1-line block ×3, first 2 shown]
	v_cndmask_b32_e64 v4, 0, 1, s[22:23]
	s_and_b64 s[22:23], s[20:21], s[28:29]
	v_cmp_eq_u32_e64 s[38:39], 1, v5
	v_cmp_eq_u32_e64 s[46:47], 2, v5
	;; [unrolled: 1-line block ×3, first 2 shown]
	v_cndmask_b32_e64 v5, 0, 1, s[22:23]
	s_and_b64 s[22:23], s[14:15], s[30:31]
	v_cndmask_b32_e64 v18, 0, 1, s[22:23]
	s_and_b64 s[22:23], s[16:17], s[34:35]
	;; [unrolled: 2-line block ×5, first 2 shown]
	s_and_b64 s[14:15], s[14:15], s[48:49]
	v_cndmask_b32_e64 v36, 0, 1, s[22:23]
	s_and_b64 s[22:23], s[16:17], s[42:43]
	v_cndmask_b32_e64 v40, 0, 1, s[14:15]
	;; [unrolled: 2-line block ×7, first 2 shown]
	v_cndmask_b32_e64 v43, 0, 1, s[14:15]
	v_cmp_ne_u32_e64 s[14:15], 0, v2
	v_cmp_ne_u32_e64 s[16:17], 0, v3
	;; [unrolled: 1-line block ×11, first 2 shown]
	s_bcnt1_i32_b64 s14, s[14:15]
	s_bcnt1_i32_b64 s15, s[16:17]
	s_bcnt1_i32_b64 s16, s[18:19]
	s_bcnt1_i32_b64 s17, s[20:21]
	s_bcnt1_i32_b64 s18, s[22:23]
	s_bcnt1_i32_b64 s20, s[26:27]
	s_bcnt1_i32_b64 s22, s[30:31]
	s_bcnt1_i32_b64 s26, s[40:41]
	v_cmp_ne_u32_e64 s[28:29], 0, v35
	v_cmp_ne_u32_e64 s[36:37], 0, v38
	;; [unrolled: 1-line block ×3, first 2 shown]
	s_bcnt1_i32_b64 s19, s[24:25]
	s_bcnt1_i32_b64 s23, s[34:35]
	;; [unrolled: 1-line block ×3, first 2 shown]
	s_add_i32 s14, s83, s14
	s_add_i32 s18, s82, s18
	;; [unrolled: 1-line block ×4, first 2 shown]
	v_cmp_ne_u32_e64 s[38:39], 0, v39
	v_cmp_ne_u32_e64 s[46:47], 0, v43
	s_bcnt1_i32_b64 s21, s[28:29]
	s_bcnt1_i32_b64 s24, s[36:37]
	;; [unrolled: 1-line block ×3, first 2 shown]
	s_add_i32 s14, s14, s15
	s_add_i32 s15, s18, s19
	;; [unrolled: 1-line block ×4, first 2 shown]
	s_bcnt1_i32_b64 s25, s[38:39]
	s_bcnt1_i32_b64 s29, s[46:47]
	s_add_i32 s14, s14, s16
	s_add_i32 s15, s15, s20
	;; [unrolled: 1-line block ×8, first 2 shown]
	s_or_b64 s[70:71], vcc, s[70:71]
	v_mov_b32_e32 v2, s83
	v_mov_b32_e32 v3, s82
	;; [unrolled: 1-line block ×4, first 2 shown]
	s_andn2_b64 exec, exec, s[70:71]
	s_cbranch_execnz .LBB90_62
; %bb.63:                               ;   in Loop: Header=BB90_12 Depth=1
	s_or_b64 exec, exec, s[70:71]
	s_mov_b64 s[70:71], s[8:9]
	s_mov_b64 s[82:83], s[2:3]
.LBB90_64:                              ;   in Loop: Header=BB90_12 Depth=1
	s_or_b64 exec, exec, s[68:69]
	v_add_u32_e32 v8, s0, v0
	v_cmp_gt_u32_e32 vcc, s77, v8
	s_and_saveexec_b64 s[24:25], vcc
	s_cbranch_execz .LBB90_68
; %bb.65:                               ;   in Loop: Header=BB90_12 Depth=1
	s_and_b32 s0, s33, 0xfe
	v_lshlrev_b32_e32 v17, 2, v8
	s_mov_b64 s[26:27], 0
.LBB90_66:                              ;   Parent Loop BB90_12 Depth=1
                                        ; =>  This Inner Loop Header: Depth=2
	ds_read_b32 v18, v17
	v_add_u32_e32 v8, s57, v8
	v_cmp_le_u32_e32 vcc, s77, v8
	v_add_u32_e32 v17, s90, v17
	s_waitcnt lgkmcnt(0)
	v_xor_b32_e32 v18, 0x80000000, v18
	v_and_b32_e32 v33, s13, v18
	v_bfe_u32 v18, v18, s0, 2
	v_cmp_eq_u32_e64 s[14:15], s80, v33
	v_cmp_eq_u32_e64 s[16:17], 0, v18
	;; [unrolled: 1-line block ×3, first 2 shown]
	s_and_b64 s[16:17], s[14:15], s[16:17]
	v_cmp_eq_u32_e64 s[20:21], 2, v18
	v_cmp_eq_u32_e64 s[22:23], 3, v18
	v_cndmask_b32_e64 v18, 0, 1, s[16:17]
	s_and_b64 s[16:17], s[14:15], s[18:19]
	v_cndmask_b32_e64 v33, 0, 1, s[16:17]
	s_and_b64 s[16:17], s[14:15], s[20:21]
	s_and_b64 s[14:15], s[14:15], s[22:23]
	v_cndmask_b32_e64 v34, 0, 1, s[16:17]
	v_cndmask_b32_e64 v35, 0, 1, s[14:15]
	v_cmp_ne_u32_e64 s[14:15], 0, v18
	v_cmp_ne_u32_e64 s[16:17], 0, v33
	;; [unrolled: 1-line block ×4, first 2 shown]
	s_bcnt1_i32_b64 s1, s[14:15]
	s_bcnt1_i32_b64 s14, s[16:17]
	;; [unrolled: 1-line block ×4, first 2 shown]
	v_add_u32_e32 v2, s1, v2
	v_add_u32_e32 v3, s14, v3
	;; [unrolled: 1-line block ×3, first 2 shown]
	s_or_b64 s[26:27], vcc, s[26:27]
	v_add_u32_e32 v5, s16, v5
	s_andn2_b64 exec, exec, s[26:27]
	s_cbranch_execnz .LBB90_66
; %bb.67:                               ;   in Loop: Header=BB90_12 Depth=1
	s_or_b64 exec, exec, s[26:27]
.LBB90_68:                              ;   in Loop: Header=BB90_12 Depth=1
	s_or_b64 exec, exec, s[24:25]
.LBB90_69:                              ;   in Loop: Header=BB90_12 Depth=1
	s_lshl_b32 s0, s12, 6
	s_and_saveexec_b64 s[14:15], s[4:5]
	s_cbranch_execz .LBB90_71
; %bb.70:                               ;   in Loop: Header=BB90_12 Depth=1
	v_or_b32_e32 v8, s0, v22
	v_lshlrev_b32_e32 v8, 2, v8
	s_waitcnt vmcnt(0)
	ds_write_b128 v8, v[2:5] offset:3072
.LBB90_71:                              ;   in Loop: Header=BB90_12 Depth=1
	s_or_b64 exec, exec, s[14:15]
	s_waitcnt lgkmcnt(0)
	s_barrier
	s_and_saveexec_b64 s[14:15], s[78:79]
	s_cbranch_execz .LBB90_85
; %bb.72:                               ;   in Loop: Header=BB90_12 Depth=1
	v_add_u32_e32 v4, s0, v13
	s_andn2_b64 vcc, exec, s[70:71]
	s_waitcnt vmcnt(0)
	v_mov_b32_e32 v2, 0
	s_cbranch_vccnz .LBB90_84
; %bb.73:                               ;   in Loop: Header=BB90_12 Depth=1
	v_readlane_b32 s8, v50, 30
	v_readlane_b32 s9, v50, 31
	s_mov_b32 s1, 0
	s_and_b64 vcc, exec, s[8:9]
	v_mov_b32_e32 v2, 0
	s_cbranch_vccz .LBB90_77
; %bb.74:                               ;   in Loop: Header=BB90_12 Depth=1
	v_readlane_b32 s8, v50, 32
	v_readlane_b32 s9, v50, 33
	v_lshl_add_u32 v5, v4, 2, v32
	s_andn2_b64 vcc, exec, s[8:9]
	s_cbranch_vccnz .LBB90_78
; %bb.75:                               ;   in Loop: Header=BB90_12 Depth=1
	s_mov_b32 s17, 1
	s_mov_b32 s16, 0
	v_mov_b32_e32 v2, 0
	v_readlane_b32 s1, v50, 34
	v_mov_b32_e32 v3, 0
.LBB90_76:                              ;   Parent Loop BB90_12 Depth=1
                                        ; =>  This Inner Loop Header: Depth=2
	v_lshl_add_u32 v8, s16, 4, v5
	v_lshl_add_u32 v17, s17, 4, v5
	ds_read2_b32 v[34:35], v8 offset1:8
	ds_read2_b32 v[36:37], v17 offset1:8
	ds_read2_b32 v[38:39], v8 offset0:16 offset1:24
	ds_read2_b32 v[40:41], v17 offset0:16 offset1:24
	;; [unrolled: 1-line block ×6, first 2 shown]
	s_waitcnt lgkmcnt(7)
	v_add3_u32 v2, v34, v2, v35
	s_waitcnt lgkmcnt(6)
	v_add3_u32 v3, v36, v3, v37
	;; [unrolled: 2-line block ×3, first 2 shown]
	v_add3_u32 v2, v38, v2, v39
	s_add_i32 s17, s17, 16
	s_add_i32 s16, s16, 16
	s_add_i32 s1, s1, -8
	s_waitcnt lgkmcnt(3)
	v_add3_u32 v2, v42, v2, v43
	s_waitcnt lgkmcnt(2)
	v_add3_u32 v3, v44, v3, v45
	s_cmp_lg_u32 s1, 0
	s_waitcnt lgkmcnt(0)
	v_add3_u32 v3, v48, v3, v49
	v_add3_u32 v2, v46, v2, v47
	s_cbranch_scc1 .LBB90_76
	s_branch .LBB90_79
.LBB90_77:                              ;   in Loop: Header=BB90_12 Depth=1
	s_cbranch_execnz .LBB90_82
	s_branch .LBB90_84
.LBB90_78:                              ;   in Loop: Header=BB90_12 Depth=1
	s_mov_b32 s77, s76
	v_pk_mov_b32 v[2:3], s[76:77], s[76:77] op_sel:[0,1]
	s_mov_b32 s77, 1
	s_mov_b64 s[16:17], s[76:77]
.LBB90_79:                              ;   in Loop: Header=BB90_12 Depth=1
	v_readlane_b32 s8, v50, 36
	v_readlane_b32 s9, v50, 37
	s_andn2_b64 vcc, exec, s[8:9]
	v_readlane_b32 s1, v50, 35
	s_cbranch_vccnz .LBB90_81
.LBB90_80:                              ;   Parent Loop BB90_12 Depth=1
                                        ; =>  This Inner Loop Header: Depth=2
	v_lshl_add_u32 v8, s16, 4, v5
	v_lshl_add_u32 v17, s17, 4, v5
	ds_read_b32 v17, v17
	ds_read_b32 v8, v8
	s_add_i32 s17, s17, 2
	s_add_i32 s16, s16, 2
	s_add_i32 s1, s1, -1
	s_cmp_lg_u32 s1, 0
	s_waitcnt lgkmcnt(1)
	v_add_u32_e32 v3, v17, v3
	s_waitcnt lgkmcnt(0)
	v_add_u32_e32 v2, v8, v2
	s_cbranch_scc1 .LBB90_80
.LBB90_81:                              ;   in Loop: Header=BB90_12 Depth=1
	v_readlane_b32 s16, v50, 40
	v_add_u32_e32 v2, v2, v3
	v_readlane_b32 s1, v50, 39
	v_readlane_b32 s17, v50, 41
	s_and_b64 vcc, exec, s[16:17]
	s_cbranch_vccz .LBB90_84
.LBB90_82:                              ;   in Loop: Header=BB90_12 Depth=1
	s_lshl_b32 s16, s12, 8
	s_lshl_b32 s17, s1, 4
	s_add_i32 s16, s16, s17
	v_add_u32_e32 v3, s16, v31
	v_readlane_b32 s16, v50, 38
	s_sub_i32 s1, s16, s1
.LBB90_83:                              ;   Parent Loop BB90_12 Depth=1
                                        ; =>  This Inner Loop Header: Depth=2
	ds_read_b32 v5, v3
	s_add_i32 s1, s1, -1
	v_add_u32_e32 v3, 16, v3
	s_cmp_eq_u32 s1, 0
	s_waitcnt lgkmcnt(0)
	v_add_u32_e32 v2, v5, v2
	s_cbranch_scc0 .LBB90_83
.LBB90_84:                              ;   in Loop: Header=BB90_12 Depth=1
	v_lshlrev_b32_e32 v3, 2, v4
	ds_write_b32 v3, v2 offset:3072
.LBB90_85:                              ;   in Loop: Header=BB90_12 Depth=1
	s_or_b64 exec, exec, s[14:15]
	s_lshl_b32 s0, s0, 2
	s_waitcnt vmcnt(0)
	v_mov_b32_e32 v2, s0
	s_waitcnt lgkmcnt(0)
	s_barrier
	ds_read_b128 v[2:5], v2 offset:3072
	s_and_b32 s43, s33, 0xfe
	s_lshl_b32 s51, 3, s43
	s_not_b32 s44, s51
	s_mov_b64 s[18:19], -1
	s_waitcnt lgkmcnt(0)
	v_readfirstlane_b32 s28, v2
	s_cmp_eq_u32 s28, 1
	s_cselect_b64 s[0:1], -1, 0
	s_cmp_eq_u32 s81, 1
	s_cselect_b64 s[14:15], -1, 0
	s_and_b64 s[20:21], s[0:1], s[14:15]
	v_readfirstlane_b32 s34, v3
	v_readfirstlane_b32 s42, v4
	;; [unrolled: 1-line block ×3, first 2 shown]
	s_and_b64 vcc, exec, s[20:21]
	s_cbranch_vccz .LBB90_97
; %bb.86:                               ;   in Loop: Header=BB90_12 Depth=1
	ds_read_b32 v2, v9 offset:4104
	s_waitcnt lgkmcnt(0)
	s_barrier
	v_readfirstlane_b32 s0, v2
	s_and_saveexec_b64 s[14:15], s[6:7]
	s_cbranch_execz .LBB90_88
; %bb.87:                               ;   in Loop: Header=BB90_12 Depth=1
	ds_write_b32 v21, v9
.LBB90_88:                              ;   in Loop: Header=BB90_12 Depth=1
	s_or_b64 exec, exec, s[14:15]
	s_and_b32 s80, s80, s44
	s_or_b32 s13, s13, s51
	s_cmp_eq_u32 s0, 0
	s_waitcnt lgkmcnt(0)
	s_barrier
	s_cbranch_scc1 .LBB90_98
; %bb.89:                               ;   in Loop: Header=BB90_12 Depth=1
	v_readlane_b32 s1, v50, 25
	s_add_i32 s1, s0, s1
	v_readlane_b32 s2, v50, 42
	s_mul_hi_u32 s14, s1, s2
	s_mul_i32 s14, s14, s57
	s_sub_i32 s14, s1, s14
	s_sub_i32 s15, s14, s57
	s_cmp_ge_u32 s14, s57
	s_cselect_b32 s14, s15, s14
	s_sub_i32 s15, s14, s57
	s_cmp_ge_u32 s14, s57
	s_cselect_b32 s14, s15, s14
	s_sub_i32 s1, s1, s14
	v_cmp_gt_u32_e32 vcc, s1, v0
	s_mov_b64 s[14:15], 0
                                        ; implicit-def: $vgpr19
	s_and_saveexec_b64 s[16:17], vcc
	s_cbranch_execz .LBB90_100
; %bb.90:                               ;   in Loop: Header=BB90_12 Depth=1
	v_mov_b32_e32 v2, v20
	v_mov_b32_e32 v3, v0
                                        ; implicit-def: $sgpr22_sgpr23
	s_branch .LBB90_92
.LBB90_91:                              ;   in Loop: Header=BB90_92 Depth=2
	s_or_b64 exec, exec, s[24:25]
	s_waitcnt lgkmcnt(0)
	s_barrier
	ds_read_b64 v[18:19], v9 offset:3072
	v_add_u32_e32 v3, s57, v3
	v_cmp_le_u32_e32 vcc, s1, v3
	v_add_u32_e32 v2, s90, v2
	s_waitcnt lgkmcnt(0)
	v_readfirstlane_b32 s24, v18
	s_cmp_lg_u32 s24, 0
	s_cselect_b64 s[24:25], -1, 0
	s_or_b64 s[26:27], vcc, s[24:25]
	s_and_b64 s[26:27], exec, s[26:27]
	s_or_b64 s[14:15], s[26:27], s[14:15]
	s_andn2_b64 s[22:23], s[22:23], exec
	s_and_b64 s[24:25], s[24:25], exec
	s_or_b64 s[22:23], s[22:23], s[24:25]
	s_barrier
	s_andn2_b64 exec, exec, s[14:15]
	s_cbranch_execz .LBB90_99
.LBB90_92:                              ;   Parent Loop BB90_12 Depth=1
                                        ; =>  This Inner Loop Header: Depth=2
	v_cmp_gt_u32_e32 vcc, s0, v3
	v_mov_b32_e32 v17, 0
	s_and_saveexec_b64 s[24:25], vcc
	s_cbranch_execz .LBB90_94
; %bb.93:                               ;   in Loop: Header=BB90_92 Depth=2
	ds_read_b32 v17, v2
.LBB90_94:                              ;   in Loop: Header=BB90_92 Depth=2
	s_or_b64 exec, exec, s[24:25]
	s_and_saveexec_b64 s[24:25], vcc
	s_cbranch_execz .LBB90_91
; %bb.95:                               ;   in Loop: Header=BB90_92 Depth=2
	s_waitcnt lgkmcnt(0)
	v_xor_b32_e32 v4, 0x80000000, v17
	v_and_b32_e32 v4, s13, v4
	v_cmp_eq_u32_e32 vcc, s80, v4
	s_and_b64 exec, exec, vcc
	s_cbranch_execz .LBB90_91
; %bb.96:                               ;   in Loop: Header=BB90_92 Depth=2
	ds_write_b64 v9, v[16:17] offset:3072
	s_branch .LBB90_91
.LBB90_97:                              ;   in Loop: Header=BB90_12 Depth=1
	s_mov_b64 s[14:15], -1
                                        ; implicit-def: $sgpr16_sgpr17
                                        ; implicit-def: $sgpr24_sgpr25
                                        ; implicit-def: $sgpr22_sgpr23
	s_branch .LBB90_111
.LBB90_98:                              ;   in Loop: Header=BB90_12 Depth=1
	s_mov_b64 s[16:17], -1
	s_mov_b64 s[14:15], 0
                                        ; implicit-def: $sgpr22_sgpr23
                                        ; implicit-def: $vgpr19
	s_mov_b64 s[24:25], s[16:17]
	s_cbranch_execnz .LBB90_101
	s_branch .LBB90_111
.LBB90_99:                              ;   in Loop: Header=BB90_12 Depth=1
	s_or_b64 exec, exec, s[14:15]
	s_and_b64 s[14:15], s[22:23], exec
.LBB90_100:                             ;   in Loop: Header=BB90_12 Depth=1
	s_or_b64 exec, exec, s[16:17]
	s_mov_b64 s[22:23], -1
	s_mov_b64 s[16:17], 0
	s_mov_b64 s[24:25], s[16:17]
	s_branch .LBB90_111
.LBB90_101:                             ;   in Loop: Header=BB90_12 Depth=1
	s_mov_b64 s[14:15], 0
                                        ; implicit-def: $vgpr19
	s_mov_b64 s[16:17], exec
	v_readlane_b32 s0, v50, 43
	v_readlane_b32 s1, v50, 44
	s_and_b64 s[0:1], s[16:17], s[0:1]
	s_mov_b64 exec, s[0:1]
	s_cbranch_execz .LBB90_110
; %bb.102:                              ;   in Loop: Header=BB90_12 Depth=1
	s_mov_b64 s[22:23], 0
	v_mov_b32_e32 v8, v6
	v_mov_b32_e32 v2, v0
                                        ; implicit-def: $sgpr24_sgpr25
	s_branch .LBB90_104
.LBB90_103:                             ;   in Loop: Header=BB90_104 Depth=2
	s_or_b64 exec, exec, s[14:15]
	s_waitcnt lgkmcnt(0)
	s_barrier
	ds_read_b64 v[18:19], v9 offset:3072
	v_add_u32_e32 v2, s57, v2
	v_cmp_le_u32_e32 vcc, s91, v2
	v_add_u32_e32 v8, s89, v8
	s_waitcnt lgkmcnt(0)
	v_readfirstlane_b32 s0, v18
	s_cmp_lg_u32 s0, 0
	s_cselect_b64 s[0:1], -1, 0
	s_or_b64 s[14:15], vcc, s[0:1]
	s_and_b64 s[14:15], exec, s[14:15]
	s_or_b64 s[22:23], s[14:15], s[22:23]
	s_andn2_b64 s[14:15], s[24:25], exec
	s_and_b64 s[0:1], s[0:1], exec
	s_or_b64 s[24:25], s[14:15], s[0:1]
	s_barrier
	s_andn2_b64 exec, exec, s[22:23]
	s_cbranch_execz .LBB90_109
.LBB90_104:                             ;   Parent Loop BB90_12 Depth=1
                                        ; =>  This Inner Loop Header: Depth=2
	v_cmp_gt_u32_e32 vcc, s56, v2
	s_waitcnt vmcnt(0)
	v_mov_b32_e32 v17, 0
	s_and_saveexec_b64 s[26:27], vcc
	s_cbranch_execz .LBB90_106
; %bb.105:                              ;   in Loop: Header=BB90_104 Depth=2
	v_lshlrev_b64 v[4:5], 2, v[8:9]
	v_mov_b32_e32 v3, s88
	v_add_co_u32_e64 v4, s[14:15], s59, v4
	v_addc_co_u32_e64 v5, s[14:15], v3, v5, s[14:15]
	global_load_dword v17, v[4:5], off
.LBB90_106:                             ;   in Loop: Header=BB90_104 Depth=2
	s_or_b64 exec, exec, s[26:27]
	s_and_saveexec_b64 s[14:15], vcc
	s_cbranch_execz .LBB90_103
; %bb.107:                              ;   in Loop: Header=BB90_104 Depth=2
	s_waitcnt vmcnt(0)
	v_xor_b32_e32 v3, 0x80000000, v17
	v_and_b32_e32 v3, s13, v3
	v_cmp_eq_u32_e32 vcc, s80, v3
	s_and_b64 exec, exec, vcc
	s_cbranch_execz .LBB90_103
; %bb.108:                              ;   in Loop: Header=BB90_104 Depth=2
	ds_write_b64 v9, v[16:17] offset:3072
	s_branch .LBB90_103
.LBB90_109:                             ;   in Loop: Header=BB90_12 Depth=1
	s_or_b64 exec, exec, s[22:23]
	s_and_b64 s[14:15], s[24:25], exec
.LBB90_110:                             ;   in Loop: Header=BB90_12 Depth=1
	s_or_b64 exec, exec, s[16:17]
	s_mov_b64 s[24:25], -1
	s_mov_b64 s[16:17], 0
	s_mov_b64 s[22:23], 0
.LBB90_111:                             ;   in Loop: Header=BB90_12 Depth=1
	s_andn2_b64 s[0:1], s[66:67], exec
	s_and_b64 s[16:17], s[16:17], exec
	s_or_b64 s[66:67], s[0:1], s[16:17]
	s_andn2_b64 s[0:1], s[64:65], exec
	s_and_b64 s[16:17], s[24:25], exec
	s_or_b64 s[64:65], s[0:1], s[16:17]
	;; [unrolled: 3-line block ×3, first 2 shown]
	s_and_saveexec_b64 s[16:17], s[14:15]
	s_cbranch_execz .LBB90_11
; %bb.112:                              ;   in Loop: Header=BB90_12 Depth=1
	s_xor_b64 s[0:1], s[20:21], -1
	s_mov_b64 s[14:15], 0
	s_andn2_b64 vcc, exec, s[0:1]
	s_mov_b32 s35, 1
	s_cbranch_vccnz .LBB90_123
; %bb.113:                              ;   in Loop: Header=BB90_12 Depth=1
	s_cmp_gt_u32 s81, s28
	s_mov_b64 s[14:15], -1
                                        ; implicit-def: $sgpr53
                                        ; implicit-def: $sgpr0
                                        ; implicit-def: $sgpr1
	s_cbranch_scc1 .LBB90_119
; %bb.114:                              ;   in Loop: Header=BB90_12 Depth=1
	ds_read_b32 v2, v9 offset:4104
	s_waitcnt lgkmcnt(0)
	v_cmp_ne_u32_e32 vcc, 0, v2
	s_cbranch_vccnz .LBB90_118
; %bb.115:                              ;   in Loop: Header=BB90_12 Depth=1
	s_mov_b64 s[14:15], exec
	v_readlane_b32 s0, v50, 6
	v_readlane_b32 s1, v50, 7
	s_and_b64 s[0:1], s[14:15], s[0:1]
	s_mov_b64 exec, s[0:1]
	s_cbranch_execz .LBB90_117
; %bb.116:                              ;   in Loop: Header=BB90_12 Depth=1
	v_mov_b32_e32 v2, s28
	ds_write_b32 v9, v2 offset:4108
.LBB90_117:                             ;   in Loop: Header=BB90_12 Depth=1
	s_or_b64 exec, exec, s[14:15]
	s_waitcnt lgkmcnt(0)
	s_barrier
.LBB90_118:                             ;   in Loop: Header=BB90_12 Depth=1
	s_and_b32 s0, s80, s44
	s_or_b32 s1, s13, s51
	s_mov_b64 s[14:15], 0
	s_mov_b32 s53, 8
.LBB90_119:                             ;   in Loop: Header=BB90_12 Depth=1
	s_andn2_b64 vcc, exec, s[14:15]
	s_cbranch_vccnz .LBB90_121
; %bb.120:                              ;   in Loop: Header=BB90_12 Depth=1
	s_sub_i32 s81, s81, s28
	s_mov_b64 s[14:15], -1
	s_mov_b32 s53, 0
	s_mov_b32 s0, s80
	;; [unrolled: 1-line block ×3, first 2 shown]
.LBB90_121:                             ;   in Loop: Header=BB90_12 Depth=1
	s_mov_b32 s13, s1
	s_mov_b32 s80, s0
	;; [unrolled: 1-line block ×3, first 2 shown]
	s_mov_b64 s[18:19], -1
	s_and_b64 vcc, exec, s[14:15]
	s_cbranch_vccnz .LBB90_124
.LBB90_122:                             ;   in Loop: Header=BB90_12 Depth=1
	s_mov_b64 s[30:31], -1
                                        ; implicit-def: $sgpr20_sgpr21
                                        ; implicit-def: $sgpr24_sgpr25
                                        ; implicit-def: $sgpr22_sgpr23
                                        ; implicit-def: $sgpr81
	s_and_saveexec_b64 s[0:1], s[30:31]
	s_xor_b64 s[14:15], exec, s[0:1]
	s_cbranch_execz .LBB90_10
	s_branch .LBB90_247
.LBB90_123:                             ;   in Loop: Header=BB90_12 Depth=1
	s_mov_b32 s53, 1
	s_mov_b64 s[18:19], -1
	s_and_b64 vcc, exec, s[14:15]
	s_cbranch_vccz .LBB90_122
.LBB90_124:                             ;   in Loop: Header=BB90_12 Depth=1
	s_cmp_eq_u32 s34, 1
	s_cselect_b64 s[0:1], -1, 0
	s_cmp_eq_u32 s35, 1
	s_cselect_b64 s[14:15], -1, 0
	s_and_b64 s[28:29], s[0:1], s[14:15]
	s_mov_b64 s[14:15], -1
	s_and_b64 vcc, exec, s[28:29]
	s_cbranch_vccz .LBB90_136
; %bb.125:                              ;   in Loop: Header=BB90_12 Depth=1
	ds_read_b32 v2, v9 offset:4104
	s_waitcnt lgkmcnt(0)
	s_barrier
	v_readfirstlane_b32 s0, v2
	s_and_saveexec_b64 s[14:15], s[6:7]
	s_cbranch_execz .LBB90_127
; %bb.126:                              ;   in Loop: Header=BB90_12 Depth=1
	ds_write_b32 v21, v9
.LBB90_127:                             ;   in Loop: Header=BB90_12 Depth=1
	s_or_b64 exec, exec, s[14:15]
	s_lshl_b32 s1, 1, s43
	s_and_b32 s14, s80, s44
	s_or_b32 s80, s14, s1
	s_or_b32 s13, s13, s51
	s_cmp_eq_u32 s0, 0
	s_waitcnt lgkmcnt(0)
	s_barrier
	s_cbranch_scc1 .LBB90_137
; %bb.128:                              ;   in Loop: Header=BB90_12 Depth=1
	v_readlane_b32 s1, v50, 25
	s_add_i32 s1, s0, s1
	v_readlane_b32 s2, v50, 42
	s_mul_hi_u32 s14, s1, s2
	s_mul_i32 s14, s14, s57
	s_sub_i32 s14, s1, s14
	s_sub_i32 s15, s14, s57
	s_cmp_ge_u32 s14, s57
	s_cselect_b32 s14, s15, s14
	s_sub_i32 s15, s14, s57
	s_cmp_ge_u32 s14, s57
	s_cselect_b32 s14, s15, s14
	s_sub_i32 s1, s1, s14
	v_cmp_gt_u32_e32 vcc, s1, v0
	s_mov_b64 s[14:15], 0
                                        ; implicit-def: $vgpr19
	s_and_saveexec_b64 s[20:21], vcc
	s_cbranch_execz .LBB90_139
; %bb.129:                              ;   in Loop: Header=BB90_12 Depth=1
	v_mov_b32_e32 v2, v20
	v_mov_b32_e32 v3, v0
                                        ; implicit-def: $sgpr22_sgpr23
	s_branch .LBB90_131
.LBB90_130:                             ;   in Loop: Header=BB90_131 Depth=2
	s_or_b64 exec, exec, s[24:25]
	s_waitcnt lgkmcnt(0)
	s_barrier
	ds_read_b64 v[18:19], v9 offset:3072
	v_add_u32_e32 v3, s57, v3
	v_cmp_le_u32_e32 vcc, s1, v3
	v_add_u32_e32 v2, s90, v2
	s_waitcnt lgkmcnt(0)
	v_readfirstlane_b32 s24, v18
	s_cmp_lg_u32 s24, 0
	s_cselect_b64 s[24:25], -1, 0
	s_or_b64 s[26:27], vcc, s[24:25]
	s_and_b64 s[26:27], exec, s[26:27]
	s_or_b64 s[14:15], s[26:27], s[14:15]
	s_andn2_b64 s[22:23], s[22:23], exec
	s_and_b64 s[24:25], s[24:25], exec
	s_or_b64 s[22:23], s[22:23], s[24:25]
	s_barrier
	s_andn2_b64 exec, exec, s[14:15]
	s_cbranch_execz .LBB90_138
.LBB90_131:                             ;   Parent Loop BB90_12 Depth=1
                                        ; =>  This Inner Loop Header: Depth=2
	v_cmp_gt_u32_e32 vcc, s0, v3
	s_waitcnt vmcnt(0)
	v_mov_b32_e32 v17, 0
	s_and_saveexec_b64 s[24:25], vcc
	s_cbranch_execz .LBB90_133
; %bb.132:                              ;   in Loop: Header=BB90_131 Depth=2
	ds_read_b32 v17, v2
.LBB90_133:                             ;   in Loop: Header=BB90_131 Depth=2
	s_or_b64 exec, exec, s[24:25]
	s_and_saveexec_b64 s[24:25], vcc
	s_cbranch_execz .LBB90_130
; %bb.134:                              ;   in Loop: Header=BB90_131 Depth=2
	s_waitcnt lgkmcnt(0)
	v_xor_b32_e32 v4, 0x80000000, v17
	v_and_b32_e32 v4, s13, v4
	v_cmp_eq_u32_e32 vcc, s80, v4
	s_and_b64 exec, exec, vcc
	s_cbranch_execz .LBB90_130
; %bb.135:                              ;   in Loop: Header=BB90_131 Depth=2
	ds_write_b64 v9, v[16:17] offset:3072
	s_branch .LBB90_130
.LBB90_136:                             ;   in Loop: Header=BB90_12 Depth=1
                                        ; implicit-def: $sgpr22_sgpr23
                                        ; implicit-def: $sgpr24_sgpr25
                                        ; implicit-def: $sgpr20_sgpr21
	s_branch .LBB90_150
.LBB90_137:                             ;   in Loop: Header=BB90_12 Depth=1
	s_mov_b64 s[22:23], -1
	s_mov_b64 s[14:15], 0
                                        ; implicit-def: $sgpr20_sgpr21
                                        ; implicit-def: $vgpr19
	s_mov_b64 s[24:25], s[22:23]
	s_cbranch_execnz .LBB90_140
	s_branch .LBB90_150
.LBB90_138:                             ;   in Loop: Header=BB90_12 Depth=1
	s_or_b64 exec, exec, s[14:15]
	s_and_b64 s[14:15], s[22:23], exec
.LBB90_139:                             ;   in Loop: Header=BB90_12 Depth=1
	s_or_b64 exec, exec, s[20:21]
	s_mov_b64 s[20:21], -1
	s_mov_b64 s[22:23], 0
	s_mov_b64 s[24:25], s[22:23]
	s_branch .LBB90_150
.LBB90_140:                             ;   in Loop: Header=BB90_12 Depth=1
	s_mov_b64 s[14:15], 0
                                        ; implicit-def: $vgpr19
	s_mov_b64 s[20:21], exec
	v_readlane_b32 s0, v50, 43
	v_readlane_b32 s1, v50, 44
	s_and_b64 s[0:1], s[20:21], s[0:1]
	s_mov_b64 exec, s[0:1]
	s_cbranch_execz .LBB90_149
; %bb.141:                              ;   in Loop: Header=BB90_12 Depth=1
	s_mov_b64 s[22:23], 0
	v_mov_b32_e32 v8, v6
	v_mov_b32_e32 v2, v0
                                        ; implicit-def: $sgpr24_sgpr25
	s_branch .LBB90_143
.LBB90_142:                             ;   in Loop: Header=BB90_143 Depth=2
	s_or_b64 exec, exec, s[14:15]
	s_waitcnt lgkmcnt(0)
	s_barrier
	ds_read_b64 v[18:19], v9 offset:3072
	v_add_u32_e32 v2, s57, v2
	v_cmp_le_u32_e32 vcc, s91, v2
	v_add_u32_e32 v8, s89, v8
	s_waitcnt lgkmcnt(0)
	v_readfirstlane_b32 s0, v18
	s_cmp_lg_u32 s0, 0
	s_cselect_b64 s[0:1], -1, 0
	s_or_b64 s[14:15], vcc, s[0:1]
	s_and_b64 s[14:15], exec, s[14:15]
	s_or_b64 s[22:23], s[14:15], s[22:23]
	s_andn2_b64 s[14:15], s[24:25], exec
	s_and_b64 s[0:1], s[0:1], exec
	s_or_b64 s[24:25], s[14:15], s[0:1]
	s_barrier
	s_andn2_b64 exec, exec, s[22:23]
	s_cbranch_execz .LBB90_148
.LBB90_143:                             ;   Parent Loop BB90_12 Depth=1
                                        ; =>  This Inner Loop Header: Depth=2
	v_cmp_gt_u32_e32 vcc, s56, v2
	s_waitcnt vmcnt(0)
	v_mov_b32_e32 v17, 0
	s_and_saveexec_b64 s[26:27], vcc
	s_cbranch_execz .LBB90_145
; %bb.144:                              ;   in Loop: Header=BB90_143 Depth=2
	v_lshlrev_b64 v[4:5], 2, v[8:9]
	v_mov_b32_e32 v3, s88
	v_add_co_u32_e64 v4, s[14:15], s59, v4
	v_addc_co_u32_e64 v5, s[14:15], v3, v5, s[14:15]
	global_load_dword v17, v[4:5], off
.LBB90_145:                             ;   in Loop: Header=BB90_143 Depth=2
	s_or_b64 exec, exec, s[26:27]
	s_and_saveexec_b64 s[14:15], vcc
	s_cbranch_execz .LBB90_142
; %bb.146:                              ;   in Loop: Header=BB90_143 Depth=2
	s_waitcnt vmcnt(0)
	v_xor_b32_e32 v3, 0x80000000, v17
	v_and_b32_e32 v3, s13, v3
	v_cmp_eq_u32_e32 vcc, s80, v3
	s_and_b64 exec, exec, vcc
	s_cbranch_execz .LBB90_142
; %bb.147:                              ;   in Loop: Header=BB90_143 Depth=2
	ds_write_b64 v9, v[16:17] offset:3072
	s_branch .LBB90_142
.LBB90_148:                             ;   in Loop: Header=BB90_12 Depth=1
	s_or_b64 exec, exec, s[22:23]
	s_and_b64 s[14:15], s[24:25], exec
.LBB90_149:                             ;   in Loop: Header=BB90_12 Depth=1
	s_or_b64 exec, exec, s[20:21]
	s_mov_b64 s[24:25], -1
	s_mov_b64 s[22:23], 0
	s_mov_b64 s[20:21], 0
.LBB90_150:                             ;   in Loop: Header=BB90_12 Depth=1
	s_mov_b64 s[30:31], 0
                                        ; implicit-def: $sgpr53
	s_and_saveexec_b64 s[26:27], s[14:15]
	s_cbranch_execz .LBB90_246
; %bb.151:                              ;   in Loop: Header=BB90_12 Depth=1
	s_xor_b64 s[0:1], s[28:29], -1
	s_mov_b64 s[14:15], 0
	s_andn2_b64 vcc, exec, s[0:1]
	s_mov_b32 s45, 1
	s_cbranch_vccnz .LBB90_162
; %bb.152:                              ;   in Loop: Header=BB90_12 Depth=1
	s_cmp_gt_u32 s35, s34
	s_mov_b64 s[14:15], -1
                                        ; implicit-def: $sgpr53
                                        ; implicit-def: $sgpr0
                                        ; implicit-def: $sgpr1
	s_cbranch_scc1 .LBB90_158
; %bb.153:                              ;   in Loop: Header=BB90_12 Depth=1
	ds_read_b32 v2, v9 offset:4104
	s_waitcnt lgkmcnt(0)
	v_cmp_ne_u32_e32 vcc, 0, v2
	s_cbranch_vccnz .LBB90_157
; %bb.154:                              ;   in Loop: Header=BB90_12 Depth=1
	s_mov_b64 s[14:15], exec
	v_readlane_b32 s0, v50, 6
	v_readlane_b32 s1, v50, 7
	s_and_b64 s[0:1], s[14:15], s[0:1]
	s_mov_b64 exec, s[0:1]
	s_cbranch_execz .LBB90_156
; %bb.155:                              ;   in Loop: Header=BB90_12 Depth=1
	v_mov_b32_e32 v2, s34
	ds_write_b32 v9, v2 offset:4108
.LBB90_156:                             ;   in Loop: Header=BB90_12 Depth=1
	s_or_b64 exec, exec, s[14:15]
	s_waitcnt lgkmcnt(0)
	s_barrier
.LBB90_157:                             ;   in Loop: Header=BB90_12 Depth=1
	s_lshl_b32 s0, 1, s43
	s_and_b32 s1, s80, s44
	s_or_b32 s0, s1, s0
	s_or_b32 s1, s13, s51
	s_mov_b64 s[14:15], 0
	s_mov_b32 s53, 8
.LBB90_158:                             ;   in Loop: Header=BB90_12 Depth=1
	s_andn2_b64 vcc, exec, s[14:15]
	s_cbranch_vccnz .LBB90_160
; %bb.159:                              ;   in Loop: Header=BB90_12 Depth=1
	s_sub_i32 s35, s35, s34
	s_mov_b64 s[14:15], -1
	s_mov_b32 s53, 0
	s_mov_b32 s0, s80
	;; [unrolled: 1-line block ×3, first 2 shown]
.LBB90_160:                             ;   in Loop: Header=BB90_12 Depth=1
	s_mov_b32 s13, s1
	s_mov_b32 s80, s0
	;; [unrolled: 1-line block ×3, first 2 shown]
	s_andn2_b64 vcc, exec, s[14:15]
	s_mov_b64 s[40:41], -1
	s_cbranch_vccz .LBB90_163
.LBB90_161:                             ;   in Loop: Header=BB90_12 Depth=1
                                        ; implicit-def: $sgpr30_sgpr31
                                        ; implicit-def: $sgpr34_sgpr35
                                        ; implicit-def: $sgpr28_sgpr29
	s_branch .LBB90_245
.LBB90_162:                             ;   in Loop: Header=BB90_12 Depth=1
	s_mov_b32 s53, 1
	s_andn2_b64 vcc, exec, s[14:15]
	s_mov_b64 s[40:41], -1
	s_cbranch_vccnz .LBB90_161
.LBB90_163:                             ;   in Loop: Header=BB90_12 Depth=1
	s_cmp_eq_u32 s42, 1
	s_cselect_b64 s[0:1], -1, 0
	s_cmp_eq_u32 s45, 1
	s_cselect_b64 s[14:15], -1, 0
	s_and_b64 s[38:39], s[0:1], s[14:15]
	s_mov_b64 s[14:15], -1
	s_and_b64 vcc, exec, s[38:39]
	s_cbranch_vccz .LBB90_175
; %bb.164:                              ;   in Loop: Header=BB90_12 Depth=1
	ds_read_b32 v2, v9 offset:4104
	s_waitcnt lgkmcnt(0)
	s_barrier
	v_readfirstlane_b32 s0, v2
	s_and_saveexec_b64 s[14:15], s[6:7]
	s_cbranch_execz .LBB90_166
; %bb.165:                              ;   in Loop: Header=BB90_12 Depth=1
	ds_write_b32 v21, v9
.LBB90_166:                             ;   in Loop: Header=BB90_12 Depth=1
	s_or_b64 exec, exec, s[14:15]
	s_lshl_b32 s1, 2, s43
	s_and_b32 s14, s80, s44
	s_or_b32 s80, s14, s1
	s_or_b32 s13, s13, s51
	s_cmp_eq_u32 s0, 0
	s_waitcnt lgkmcnt(0)
	s_barrier
	s_cbranch_scc1 .LBB90_176
; %bb.167:                              ;   in Loop: Header=BB90_12 Depth=1
	v_readlane_b32 s1, v50, 25
	s_add_i32 s1, s0, s1
	v_readlane_b32 s2, v50, 42
	s_mul_hi_u32 s14, s1, s2
	s_mul_i32 s14, s14, s57
	s_sub_i32 s14, s1, s14
	s_sub_i32 s15, s14, s57
	s_cmp_ge_u32 s14, s57
	s_cselect_b32 s14, s15, s14
	s_sub_i32 s15, s14, s57
	s_cmp_ge_u32 s14, s57
	s_cselect_b32 s14, s15, s14
	s_sub_i32 s1, s1, s14
	v_cmp_gt_u32_e32 vcc, s1, v0
	s_mov_b64 s[14:15], 0
                                        ; implicit-def: $vgpr19
	s_and_saveexec_b64 s[28:29], vcc
	s_cbranch_execz .LBB90_178
; %bb.168:                              ;   in Loop: Header=BB90_12 Depth=1
	v_mov_b32_e32 v2, v20
	v_mov_b32_e32 v3, v0
                                        ; implicit-def: $sgpr30_sgpr31
	s_branch .LBB90_170
.LBB90_169:                             ;   in Loop: Header=BB90_170 Depth=2
	s_or_b64 exec, exec, s[34:35]
	s_waitcnt lgkmcnt(0)
	s_barrier
	ds_read_b64 v[18:19], v9 offset:3072
	v_add_u32_e32 v3, s57, v3
	v_cmp_le_u32_e32 vcc, s1, v3
	v_add_u32_e32 v2, s90, v2
	s_waitcnt lgkmcnt(0)
	v_readfirstlane_b32 s34, v18
	s_cmp_lg_u32 s34, 0
	s_cselect_b64 s[34:35], -1, 0
	s_or_b64 s[36:37], vcc, s[34:35]
	s_and_b64 s[36:37], exec, s[36:37]
	s_or_b64 s[14:15], s[36:37], s[14:15]
	s_andn2_b64 s[30:31], s[30:31], exec
	s_and_b64 s[34:35], s[34:35], exec
	s_or_b64 s[30:31], s[30:31], s[34:35]
	s_barrier
	s_andn2_b64 exec, exec, s[14:15]
	s_cbranch_execz .LBB90_177
.LBB90_170:                             ;   Parent Loop BB90_12 Depth=1
                                        ; =>  This Inner Loop Header: Depth=2
	v_cmp_gt_u32_e32 vcc, s0, v3
	s_waitcnt vmcnt(0)
	v_mov_b32_e32 v17, 0
	s_and_saveexec_b64 s[34:35], vcc
	s_cbranch_execz .LBB90_172
; %bb.171:                              ;   in Loop: Header=BB90_170 Depth=2
	ds_read_b32 v17, v2
.LBB90_172:                             ;   in Loop: Header=BB90_170 Depth=2
	s_or_b64 exec, exec, s[34:35]
	s_and_saveexec_b64 s[34:35], vcc
	s_cbranch_execz .LBB90_169
; %bb.173:                              ;   in Loop: Header=BB90_170 Depth=2
	s_waitcnt lgkmcnt(0)
	v_xor_b32_e32 v4, 0x80000000, v17
	v_and_b32_e32 v4, s13, v4
	v_cmp_eq_u32_e32 vcc, s80, v4
	s_and_b64 exec, exec, vcc
	s_cbranch_execz .LBB90_169
; %bb.174:                              ;   in Loop: Header=BB90_170 Depth=2
	ds_write_b64 v9, v[16:17] offset:3072
	s_branch .LBB90_169
.LBB90_175:                             ;   in Loop: Header=BB90_12 Depth=1
                                        ; implicit-def: $sgpr28_sgpr29
                                        ; implicit-def: $sgpr34_sgpr35
                                        ; implicit-def: $sgpr30_sgpr31
	s_branch .LBB90_189
.LBB90_176:                             ;   in Loop: Header=BB90_12 Depth=1
	s_mov_b64 s[28:29], -1
	s_mov_b64 s[14:15], 0
                                        ; implicit-def: $sgpr30_sgpr31
                                        ; implicit-def: $vgpr19
	s_mov_b64 s[34:35], s[28:29]
	s_cbranch_execnz .LBB90_179
	s_branch .LBB90_189
.LBB90_177:                             ;   in Loop: Header=BB90_12 Depth=1
	s_or_b64 exec, exec, s[14:15]
	s_and_b64 s[14:15], s[30:31], exec
.LBB90_178:                             ;   in Loop: Header=BB90_12 Depth=1
	s_or_b64 exec, exec, s[28:29]
	s_mov_b64 s[30:31], -1
	s_mov_b64 s[28:29], 0
	s_mov_b64 s[34:35], s[28:29]
	s_branch .LBB90_189
.LBB90_179:                             ;   in Loop: Header=BB90_12 Depth=1
	s_mov_b64 s[14:15], 0
                                        ; implicit-def: $vgpr19
	s_mov_b64 s[28:29], exec
	v_readlane_b32 s0, v50, 43
	v_readlane_b32 s1, v50, 44
	s_and_b64 s[0:1], s[28:29], s[0:1]
	s_mov_b64 exec, s[0:1]
	s_cbranch_execz .LBB90_188
; %bb.180:                              ;   in Loop: Header=BB90_12 Depth=1
	s_mov_b64 s[30:31], 0
	v_mov_b32_e32 v8, v6
	v_mov_b32_e32 v2, v0
                                        ; implicit-def: $sgpr34_sgpr35
	s_branch .LBB90_182
.LBB90_181:                             ;   in Loop: Header=BB90_182 Depth=2
	s_or_b64 exec, exec, s[14:15]
	s_waitcnt lgkmcnt(0)
	s_barrier
	ds_read_b64 v[18:19], v9 offset:3072
	v_add_u32_e32 v2, s57, v2
	v_cmp_le_u32_e32 vcc, s91, v2
	v_add_u32_e32 v8, s89, v8
	s_waitcnt lgkmcnt(0)
	v_readfirstlane_b32 s0, v18
	s_cmp_lg_u32 s0, 0
	s_cselect_b64 s[0:1], -1, 0
	s_or_b64 s[14:15], vcc, s[0:1]
	s_and_b64 s[14:15], exec, s[14:15]
	s_or_b64 s[30:31], s[14:15], s[30:31]
	s_andn2_b64 s[14:15], s[34:35], exec
	s_and_b64 s[0:1], s[0:1], exec
	s_or_b64 s[34:35], s[14:15], s[0:1]
	s_barrier
	s_andn2_b64 exec, exec, s[30:31]
	s_cbranch_execz .LBB90_187
.LBB90_182:                             ;   Parent Loop BB90_12 Depth=1
                                        ; =>  This Inner Loop Header: Depth=2
	v_cmp_gt_u32_e32 vcc, s56, v2
	s_waitcnt vmcnt(0)
	v_mov_b32_e32 v17, 0
	s_and_saveexec_b64 s[36:37], vcc
	s_cbranch_execz .LBB90_184
; %bb.183:                              ;   in Loop: Header=BB90_182 Depth=2
	v_lshlrev_b64 v[4:5], 2, v[8:9]
	v_mov_b32_e32 v3, s88
	v_add_co_u32_e64 v4, s[14:15], s59, v4
	v_addc_co_u32_e64 v5, s[14:15], v3, v5, s[14:15]
	global_load_dword v17, v[4:5], off
.LBB90_184:                             ;   in Loop: Header=BB90_182 Depth=2
	s_or_b64 exec, exec, s[36:37]
	s_and_saveexec_b64 s[14:15], vcc
	s_cbranch_execz .LBB90_181
; %bb.185:                              ;   in Loop: Header=BB90_182 Depth=2
	s_waitcnt vmcnt(0)
	v_xor_b32_e32 v3, 0x80000000, v17
	v_and_b32_e32 v3, s13, v3
	v_cmp_eq_u32_e32 vcc, s80, v3
	s_and_b64 exec, exec, vcc
	s_cbranch_execz .LBB90_181
; %bb.186:                              ;   in Loop: Header=BB90_182 Depth=2
	ds_write_b64 v9, v[16:17] offset:3072
	s_branch .LBB90_181
.LBB90_187:                             ;   in Loop: Header=BB90_12 Depth=1
	s_or_b64 exec, exec, s[30:31]
	s_and_b64 s[14:15], s[34:35], exec
.LBB90_188:                             ;   in Loop: Header=BB90_12 Depth=1
	s_or_b64 exec, exec, s[28:29]
	s_mov_b64 s[34:35], -1
	s_mov_b64 s[28:29], 0
	s_mov_b64 s[30:31], 0
.LBB90_189:                             ;   in Loop: Header=BB90_12 Depth=1
	s_mov_b64 s[40:41], 0
                                        ; implicit-def: $sgpr53
	s_and_saveexec_b64 s[36:37], s[14:15]
	s_cbranch_execz .LBB90_244
; %bb.190:                              ;   in Loop: Header=BB90_12 Depth=1
	s_xor_b64 s[0:1], s[38:39], -1
	s_mov_b64 s[14:15], 0
	s_andn2_b64 vcc, exec, s[0:1]
	s_mov_b32 s52, 1
	s_cbranch_vccnz .LBB90_201
; %bb.191:                              ;   in Loop: Header=BB90_12 Depth=1
	s_cmp_gt_u32 s45, s42
	s_mov_b64 s[14:15], -1
                                        ; implicit-def: $sgpr53
                                        ; implicit-def: $sgpr0
                                        ; implicit-def: $sgpr1
	s_cbranch_scc1 .LBB90_197
; %bb.192:                              ;   in Loop: Header=BB90_12 Depth=1
	ds_read_b32 v2, v9 offset:4104
	s_waitcnt lgkmcnt(0)
	v_cmp_ne_u32_e32 vcc, 0, v2
	s_cbranch_vccnz .LBB90_196
; %bb.193:                              ;   in Loop: Header=BB90_12 Depth=1
	s_mov_b64 s[14:15], exec
	v_readlane_b32 s0, v50, 6
	v_readlane_b32 s1, v50, 7
	s_and_b64 s[0:1], s[14:15], s[0:1]
	s_mov_b64 exec, s[0:1]
	s_cbranch_execz .LBB90_195
; %bb.194:                              ;   in Loop: Header=BB90_12 Depth=1
	v_mov_b32_e32 v2, s42
	ds_write_b32 v9, v2 offset:4108
.LBB90_195:                             ;   in Loop: Header=BB90_12 Depth=1
	s_or_b64 exec, exec, s[14:15]
	s_waitcnt lgkmcnt(0)
	s_barrier
.LBB90_196:                             ;   in Loop: Header=BB90_12 Depth=1
	s_lshl_b32 s0, 2, s43
	s_and_b32 s1, s80, s44
	s_or_b32 s0, s1, s0
	s_or_b32 s1, s13, s51
	s_mov_b64 s[14:15], 0
	s_mov_b32 s53, 8
.LBB90_197:                             ;   in Loop: Header=BB90_12 Depth=1
	s_andn2_b64 vcc, exec, s[14:15]
	s_cbranch_vccnz .LBB90_199
; %bb.198:                              ;   in Loop: Header=BB90_12 Depth=1
	s_sub_i32 s45, s45, s42
	s_mov_b64 s[14:15], -1
	s_mov_b32 s53, 0
	s_mov_b32 s0, s80
	;; [unrolled: 1-line block ×3, first 2 shown]
.LBB90_199:                             ;   in Loop: Header=BB90_12 Depth=1
	s_mov_b32 s13, s1
	s_mov_b32 s80, s0
	;; [unrolled: 1-line block ×3, first 2 shown]
	s_andn2_b64 vcc, exec, s[14:15]
	s_mov_b64 s[48:49], -1
	s_cbranch_vccz .LBB90_202
.LBB90_200:                             ;   in Loop: Header=BB90_12 Depth=1
                                        ; implicit-def: $sgpr14_sgpr15
                                        ; implicit-def: $sgpr42_sgpr43
                                        ; implicit-def: $sgpr40_sgpr41
	s_branch .LBB90_243
.LBB90_201:                             ;   in Loop: Header=BB90_12 Depth=1
	s_mov_b32 s53, 1
	s_andn2_b64 vcc, exec, s[14:15]
	s_mov_b64 s[48:49], -1
	s_cbranch_vccnz .LBB90_200
.LBB90_202:                             ;   in Loop: Header=BB90_12 Depth=1
	s_cmp_eq_u32 s50, 1
	s_cselect_b64 s[0:1], -1, 0
	s_cmp_eq_u32 s52, 1
	s_cselect_b64 s[14:15], -1, 0
	s_and_b64 s[38:39], s[0:1], s[14:15]
	s_mov_b64 s[44:45], -1
	s_and_b64 vcc, exec, s[38:39]
	s_cbranch_vccz .LBB90_214
; %bb.203:                              ;   in Loop: Header=BB90_12 Depth=1
	ds_read_b32 v2, v9 offset:4104
	s_waitcnt lgkmcnt(0)
	s_barrier
	v_readfirstlane_b32 s0, v2
	s_and_saveexec_b64 s[14:15], s[6:7]
	s_cbranch_execz .LBB90_205
; %bb.204:                              ;   in Loop: Header=BB90_12 Depth=1
	ds_write_b32 v21, v9
.LBB90_205:                             ;   in Loop: Header=BB90_12 Depth=1
	s_or_b64 exec, exec, s[14:15]
	s_or_b32 s80, s80, s51
	s_or_b32 s13, s13, s51
	s_cmp_eq_u32 s0, 0
	s_waitcnt lgkmcnt(0)
	s_barrier
	s_cbranch_scc1 .LBB90_215
; %bb.206:                              ;   in Loop: Header=BB90_12 Depth=1
	v_readlane_b32 s1, v50, 25
	s_add_i32 s1, s0, s1
	v_readlane_b32 s2, v50, 42
	s_mul_hi_u32 s14, s1, s2
	s_mul_i32 s14, s14, s57
	s_sub_i32 s14, s1, s14
	s_sub_i32 s15, s14, s57
	s_cmp_ge_u32 s14, s57
	s_cselect_b32 s14, s15, s14
	s_sub_i32 s15, s14, s57
	s_cmp_ge_u32 s14, s57
	s_cselect_b32 s14, s15, s14
	s_sub_i32 s1, s1, s14
	v_cmp_gt_u32_e32 vcc, s1, v0
	s_mov_b64 s[44:45], 0
                                        ; implicit-def: $vgpr19
	s_and_saveexec_b64 s[14:15], vcc
	s_cbranch_execz .LBB90_217
; %bb.207:                              ;   in Loop: Header=BB90_12 Depth=1
	v_mov_b32_e32 v2, v20
	v_mov_b32_e32 v3, v0
                                        ; implicit-def: $sgpr42_sgpr43
	s_branch .LBB90_209
.LBB90_208:                             ;   in Loop: Header=BB90_209 Depth=2
	s_or_b64 exec, exec, s[44:45]
	s_waitcnt lgkmcnt(0)
	s_barrier
	ds_read_b64 v[18:19], v9 offset:3072
	v_add_u32_e32 v3, s57, v3
	v_cmp_le_u32_e32 vcc, s1, v3
	v_add_u32_e32 v2, s90, v2
	s_waitcnt lgkmcnt(0)
	v_readfirstlane_b32 s44, v18
	s_cmp_lg_u32 s44, 0
	s_cselect_b64 s[44:45], -1, 0
	s_or_b64 s[46:47], vcc, s[44:45]
	s_and_b64 s[46:47], exec, s[46:47]
	s_or_b64 s[40:41], s[46:47], s[40:41]
	s_andn2_b64 s[42:43], s[42:43], exec
	s_and_b64 s[44:45], s[44:45], exec
	s_or_b64 s[42:43], s[42:43], s[44:45]
	s_barrier
	s_andn2_b64 exec, exec, s[40:41]
	s_cbranch_execz .LBB90_216
.LBB90_209:                             ;   Parent Loop BB90_12 Depth=1
                                        ; =>  This Inner Loop Header: Depth=2
	v_cmp_gt_u32_e32 vcc, s0, v3
	s_waitcnt vmcnt(0)
	v_mov_b32_e32 v17, 0
	s_and_saveexec_b64 s[44:45], vcc
	s_cbranch_execz .LBB90_211
; %bb.210:                              ;   in Loop: Header=BB90_209 Depth=2
	ds_read_b32 v17, v2
.LBB90_211:                             ;   in Loop: Header=BB90_209 Depth=2
	s_or_b64 exec, exec, s[44:45]
	s_and_saveexec_b64 s[44:45], vcc
	s_cbranch_execz .LBB90_208
; %bb.212:                              ;   in Loop: Header=BB90_209 Depth=2
	s_waitcnt lgkmcnt(0)
	v_xor_b32_e32 v4, 0x80000000, v17
	v_and_b32_e32 v4, s13, v4
	v_cmp_eq_u32_e32 vcc, s80, v4
	s_and_b64 exec, exec, vcc
	s_cbranch_execz .LBB90_208
; %bb.213:                              ;   in Loop: Header=BB90_209 Depth=2
	ds_write_b64 v9, v[16:17] offset:3072
	s_branch .LBB90_208
.LBB90_214:                             ;   in Loop: Header=BB90_12 Depth=1
                                        ; implicit-def: $sgpr14_sgpr15
                                        ; implicit-def: $sgpr42_sgpr43
                                        ; implicit-def: $sgpr40_sgpr41
	s_branch .LBB90_228
.LBB90_215:                             ;   in Loop: Header=BB90_12 Depth=1
	s_mov_b64 s[14:15], -1
	s_mov_b64 s[44:45], 0
                                        ; implicit-def: $sgpr40_sgpr41
                                        ; implicit-def: $vgpr19
	s_mov_b64 s[42:43], s[14:15]
	s_cbranch_execnz .LBB90_218
	s_branch .LBB90_228
.LBB90_216:                             ;   in Loop: Header=BB90_12 Depth=1
	s_or_b64 exec, exec, s[40:41]
	s_and_b64 s[44:45], s[42:43], exec
.LBB90_217:                             ;   in Loop: Header=BB90_12 Depth=1
	s_or_b64 exec, exec, s[14:15]
	s_mov_b64 s[40:41], -1
	s_mov_b64 s[14:15], 0
	s_mov_b64 s[42:43], s[14:15]
	s_branch .LBB90_228
.LBB90_218:                             ;   in Loop: Header=BB90_12 Depth=1
	s_mov_b64 s[44:45], 0
                                        ; implicit-def: $vgpr19
	s_mov_b64 s[40:41], exec
	v_readlane_b32 s0, v50, 43
	v_readlane_b32 s1, v50, 44
	s_and_b64 s[0:1], s[40:41], s[0:1]
	s_mov_b64 exec, s[0:1]
	s_cbranch_execz .LBB90_227
; %bb.219:                              ;   in Loop: Header=BB90_12 Depth=1
	s_mov_b64 s[42:43], 0
	v_mov_b32_e32 v8, v6
	v_mov_b32_e32 v2, v0
                                        ; implicit-def: $sgpr44_sgpr45
	s_branch .LBB90_221
.LBB90_220:                             ;   in Loop: Header=BB90_221 Depth=2
	s_or_b64 exec, exec, s[14:15]
	s_waitcnt lgkmcnt(0)
	s_barrier
	ds_read_b64 v[18:19], v9 offset:3072
	v_add_u32_e32 v2, s57, v2
	v_cmp_le_u32_e32 vcc, s91, v2
	v_add_u32_e32 v8, s89, v8
	s_waitcnt lgkmcnt(0)
	v_readfirstlane_b32 s0, v18
	s_cmp_lg_u32 s0, 0
	s_cselect_b64 s[0:1], -1, 0
	s_or_b64 s[14:15], vcc, s[0:1]
	s_and_b64 s[14:15], exec, s[14:15]
	s_or_b64 s[42:43], s[14:15], s[42:43]
	s_andn2_b64 s[14:15], s[44:45], exec
	s_and_b64 s[0:1], s[0:1], exec
	s_or_b64 s[44:45], s[14:15], s[0:1]
	s_barrier
	s_andn2_b64 exec, exec, s[42:43]
	s_cbranch_execz .LBB90_226
.LBB90_221:                             ;   Parent Loop BB90_12 Depth=1
                                        ; =>  This Inner Loop Header: Depth=2
	v_cmp_gt_u32_e32 vcc, s56, v2
	s_waitcnt vmcnt(0)
	v_mov_b32_e32 v17, 0
	s_and_saveexec_b64 s[46:47], vcc
	s_cbranch_execz .LBB90_223
; %bb.222:                              ;   in Loop: Header=BB90_221 Depth=2
	v_lshlrev_b64 v[4:5], 2, v[8:9]
	v_mov_b32_e32 v3, s88
	v_add_co_u32_e64 v4, s[14:15], s59, v4
	v_addc_co_u32_e64 v5, s[14:15], v3, v5, s[14:15]
	global_load_dword v17, v[4:5], off
.LBB90_223:                             ;   in Loop: Header=BB90_221 Depth=2
	s_or_b64 exec, exec, s[46:47]
	s_and_saveexec_b64 s[14:15], vcc
	s_cbranch_execz .LBB90_220
; %bb.224:                              ;   in Loop: Header=BB90_221 Depth=2
	s_waitcnt vmcnt(0)
	v_xor_b32_e32 v3, 0x80000000, v17
	v_and_b32_e32 v3, s13, v3
	v_cmp_eq_u32_e32 vcc, s80, v3
	s_and_b64 exec, exec, vcc
	s_cbranch_execz .LBB90_220
; %bb.225:                              ;   in Loop: Header=BB90_221 Depth=2
	ds_write_b64 v9, v[16:17] offset:3072
	s_branch .LBB90_220
.LBB90_226:                             ;   in Loop: Header=BB90_12 Depth=1
	s_or_b64 exec, exec, s[42:43]
	s_and_b64 s[44:45], s[44:45], exec
.LBB90_227:                             ;   in Loop: Header=BB90_12 Depth=1
	s_or_b64 exec, exec, s[40:41]
	s_mov_b64 s[42:43], -1
	s_mov_b64 s[14:15], 0
	s_mov_b64 s[40:41], 0
.LBB90_228:                             ;   in Loop: Header=BB90_12 Depth=1
	s_mov_b64 s[48:49], 0
                                        ; implicit-def: $sgpr53
	s_and_saveexec_b64 s[46:47], s[44:45]
	s_cbranch_execz .LBB90_242
; %bb.229:                              ;   in Loop: Header=BB90_12 Depth=1
	s_xor_b64 s[0:1], s[38:39], -1
	s_andn2_b64 vcc, exec, s[0:1]
	s_mov_b32 s53, 1
	s_cbranch_vccnz .LBB90_236
; %bb.230:                              ;   in Loop: Header=BB90_12 Depth=1
	s_cmp_gt_u32 s52, s50
	s_cbranch_scc1 .LBB90_237
; %bb.231:                              ;   in Loop: Header=BB90_12 Depth=1
	ds_read_b32 v2, v9 offset:4104
	s_waitcnt lgkmcnt(0)
	v_cmp_ne_u32_e32 vcc, 0, v2
	s_cbranch_vccnz .LBB90_235
; %bb.232:                              ;   in Loop: Header=BB90_12 Depth=1
	s_mov_b64 s[38:39], exec
	v_readlane_b32 s0, v50, 6
	v_readlane_b32 s1, v50, 7
	s_and_b64 s[0:1], s[38:39], s[0:1]
	s_mov_b64 exec, s[0:1]
	s_cbranch_execz .LBB90_234
; %bb.233:                              ;   in Loop: Header=BB90_12 Depth=1
	v_mov_b32_e32 v2, s50
	ds_write_b32 v9, v2 offset:4108
.LBB90_234:                             ;   in Loop: Header=BB90_12 Depth=1
	s_or_b64 exec, exec, s[38:39]
	s_waitcnt lgkmcnt(0)
	s_barrier
.LBB90_235:                             ;   in Loop: Header=BB90_12 Depth=1
	s_or_b32 s0, s80, s51
	s_or_b32 s1, s13, s51
	s_mov_b64 s[38:39], 0
	s_mov_b32 s53, 8
	s_branch .LBB90_238
.LBB90_236:                             ;   in Loop: Header=BB90_12 Depth=1
	s_mov_b32 s52, 1
	s_branch .LBB90_241
.LBB90_237:                             ;   in Loop: Header=BB90_12 Depth=1
	s_mov_b64 s[38:39], -1
                                        ; implicit-def: $sgpr53
                                        ; implicit-def: $sgpr0
                                        ; implicit-def: $sgpr1
.LBB90_238:                             ;   in Loop: Header=BB90_12 Depth=1
	s_andn2_b64 vcc, exec, s[38:39]
	s_cbranch_vccnz .LBB90_240
; %bb.239:                              ;   in Loop: Header=BB90_12 Depth=1
	s_sub_i32 s52, s52, s50
	s_mov_b32 s53, 8
	s_mov_b32 s0, s80
	;; [unrolled: 1-line block ×3, first 2 shown]
.LBB90_240:                             ;   in Loop: Header=BB90_12 Depth=1
	s_mov_b32 s80, s0
	s_mov_b32 s13, s1
.LBB90_241:                             ;   in Loop: Header=BB90_12 Depth=1
	s_mov_b64 s[48:49], exec
.LBB90_242:                             ;   in Loop: Header=BB90_12 Depth=1
	s_or_b64 exec, exec, s[46:47]
.LBB90_243:                             ;   in Loop: Header=BB90_12 Depth=1
	s_andn2_b64 s[0:1], s[28:29], exec
	s_and_b64 s[14:15], s[14:15], exec
	s_or_b64 s[28:29], s[0:1], s[14:15]
	s_andn2_b64 s[0:1], s[34:35], exec
	s_and_b64 s[14:15], s[42:43], exec
	s_or_b64 s[34:35], s[0:1], s[14:15]
	;; [unrolled: 3-line block ×3, first 2 shown]
	s_and_b64 s[40:41], s[48:49], exec
	s_mov_b32 s45, s52
.LBB90_244:                             ;   in Loop: Header=BB90_12 Depth=1
	s_or_b64 exec, exec, s[36:37]
.LBB90_245:                             ;   in Loop: Header=BB90_12 Depth=1
	s_andn2_b64 s[0:1], s[22:23], exec
	s_and_b64 s[14:15], s[28:29], exec
	s_or_b64 s[22:23], s[0:1], s[14:15]
	s_andn2_b64 s[0:1], s[24:25], exec
	s_and_b64 s[14:15], s[34:35], exec
	s_or_b64 s[24:25], s[0:1], s[14:15]
	;; [unrolled: 3-line block ×3, first 2 shown]
	s_and_b64 s[30:31], s[40:41], exec
	s_mov_b32 s35, s45
.LBB90_246:                             ;   in Loop: Header=BB90_12 Depth=1
	s_or_b64 exec, exec, s[26:27]
                                        ; implicit-def: $sgpr81
	s_and_saveexec_b64 s[0:1], s[30:31]
	s_xor_b64 s[14:15], exec, s[0:1]
	s_cbranch_execz .LBB90_10
.LBB90_247:                             ;   in Loop: Header=BB90_12 Depth=1
	s_and_b32 s0, s53, -9
	s_cmp_eq_u32 s0, 0
	s_cbranch_scc1 .LBB90_8
; %bb.248:                              ;   in Loop: Header=BB90_12 Depth=1
	s_mov_b64 s[18:19], -1
                                        ; implicit-def: $sgpr13
                                        ; implicit-def: $sgpr35
                                        ; implicit-def: $sgpr33
                                        ; implicit-def: $sgpr12
	s_mov_b64 s[26:27], -1
	s_branch .LBB90_9
.LBB90_249:
	s_or_b64 exec, exec, s[94:95]
	s_xor_b64 s[8:9], s[62:63], -1
	s_xor_b64 s[0:1], s[72:73], -1
	;; [unrolled: 1-line block ×3, first 2 shown]
	s_mov_b64 s[4:5], 0
	s_and_saveexec_b64 s[10:11], s[0:1]
	s_xor_b64 s[0:1], exec, s[10:11]
	s_cbranch_execnz .LBB90_254
; %bb.250:
	s_andn2_saveexec_b64 s[0:1], s[0:1]
	s_cbranch_execnz .LBB90_267
.LBB90_251:
	s_or_b64 exec, exec, s[0:1]
	s_and_saveexec_b64 s[0:1], s[4:5]
.LBB90_252:
	; divergent unreachable
.LBB90_253:
	s_endpgm
.LBB90_254:
	s_and_saveexec_b64 s[4:5], s[8:9]
	s_xor_b64 s[4:5], exec, s[4:5]
	s_cbranch_execz .LBB90_265
; %bb.255:
	s_and_saveexec_b64 s[8:9], s[6:7]
	s_xor_b64 s[6:7], exec, s[8:9]
; %bb.256:
	v_xor_b32_e32 v19, 0x80000000, v2
; %bb.257:
	s_or_b64 exec, exec, s[6:7]
	v_readlane_b32 s10, v50, 1
	v_readlane_b32 s11, v50, 2
	;; [unrolled: 1-line block ×3, first 2 shown]
	s_mul_i32 s6, s12, s11
	v_readlane_b32 s11, v50, 20
	s_mul_i32 s7, s11, s10
	v_readlane_b32 s18, v50, 22
	s_sub_i32 s7, s12, s7
	s_sub_i32 s6, s18, s6
	s_add_i32 s8, s11, 1
	s_sub_i32 s9, s7, s10
	s_cmp_ge_u32 s7, s10
	s_cselect_b32 s8, s8, s11
	s_cselect_b32 s7, s9, s7
	s_add_i32 s9, s8, 1
	s_cmp_ge_u32 s7, s10
	s_cselect_b32 s7, s9, s8
	v_readlane_b32 s20, v50, 12
	s_mul_i32 s8, s7, s10
	v_readlane_b32 s21, v50, 13
	v_readlane_b32 s22, v50, 14
	s_sub_i32 s8, s12, s8
	s_mul_i32 s6, s6, s22
	s_mul_i32 s8, s8, s21
	s_add_i32 s6, s8, s6
	s_mul_i32 s7, s7, s20
	s_add_i32 s6, s6, s7
	s_mov_b32 s7, 0
	s_lshl_b64 s[6:7], s[6:7], 2
	v_readlane_b32 s8, v50, 18
	v_readlane_b32 s9, v50, 19
	s_add_u32 s6, s8, s6
	s_addc_u32 s7, s9, s7
	v_mov_b32_e32 v7, 0
	v_readlane_b32 s23, v50, 15
	global_store_dword v7, v19, s[6:7]
	s_mov_b64 s[6:7], exec
	v_readlane_b32 s2, v50, 23
	v_readlane_b32 s3, v50, 24
	s_and_b64 s[2:3], s[6:7], s[2:3]
	s_mov_b64 exec, s[2:3]
	s_cbranch_execz .LBB90_264
; %bb.258:
	s_mov_b64 s[2:3], 0
	v_mov_b32_e32 v1, s88
                                        ; implicit-def: $sgpr8_sgpr9
                                        ; implicit-def: $sgpr12_sgpr13
                                        ; implicit-def: $sgpr10_sgpr11
	s_branch .LBB90_260
.LBB90_259:                             ;   in Loop: Header=BB90_260 Depth=1
	s_or_b64 exec, exec, s[14:15]
	s_and_b64 s[14:15], exec, s[12:13]
	s_or_b64 s[2:3], s[14:15], s[2:3]
	s_andn2_b64 s[8:9], s[8:9], exec
	s_and_b64 s[14:15], s[10:11], exec
	s_or_b64 s[8:9], s[8:9], s[14:15]
	s_andn2_b64 exec, exec, s[2:3]
	s_cbranch_execz .LBB90_262
.LBB90_260:                             ; =>This Inner Loop Header: Depth=1
	v_lshlrev_b64 v[2:3], 2, v[6:7]
	v_add_co_u32_e32 v2, vcc, s59, v2
	v_addc_co_u32_e32 v3, vcc, v1, v3, vcc
	global_load_dword v3, v[2:3], off
	v_mov_b32_e32 v2, v0
	s_or_b64 s[10:11], s[10:11], exec
	s_or_b64 s[12:13], s[12:13], exec
                                        ; implicit-def: $vgpr0
	s_waitcnt vmcnt(0)
	v_cmp_ne_u32_e32 vcc, v3, v19
	s_and_saveexec_b64 s[14:15], vcc
	s_cbranch_execz .LBB90_259
; %bb.261:                              ;   in Loop: Header=BB90_260 Depth=1
	v_add_u32_e32 v0, s57, v2
	v_cmp_le_u32_e32 vcc, s56, v0
	s_andn2_b64 s[12:13], s[12:13], exec
	s_and_b64 s[16:17], vcc, exec
	v_add_u32_e32 v6, s89, v6
	s_andn2_b64 s[10:11], s[10:11], exec
	s_or_b64 s[12:13], s[12:13], s[16:17]
	s_branch .LBB90_259
.LBB90_262:
	s_or_b64 exec, exec, s[2:3]
	s_and_saveexec_b64 s[2:3], s[8:9]
	s_xor_b64 s[2:3], exec, s[2:3]
	s_cbranch_execz .LBB90_264
; %bb.263:
	v_readlane_b32 s10, v50, 4
	v_readlane_b32 s11, v50, 5
	v_readlane_b32 s12, v50, 3
	s_mul_i32 s2, s12, s11
	v_readlane_b32 s11, v50, 21
	s_mul_i32 s3, s11, s10
	s_sub_i32 s3, s12, s3
	s_sub_i32 s2, s18, s2
	s_add_i32 s8, s11, 1
	s_sub_i32 s9, s3, s10
	s_cmp_ge_u32 s3, s10
	s_cselect_b32 s8, s8, s11
	s_cselect_b32 s3, s9, s3
	s_add_i32 s9, s8, 1
	s_cmp_ge_u32 s3, s10
	s_cselect_b32 s3, s9, s8
	v_readlane_b32 s16, v50, 8
	s_mul_i32 s8, s3, s10
	v_readlane_b32 s17, v50, 9
	v_readlane_b32 s18, v50, 10
	s_sub_i32 s8, s12, s8
	s_mul_i32 s2, s2, s18
	s_mul_i32 s8, s8, s17
	s_add_i32 s2, s8, s2
	s_mul_i32 s3, s3, s16
	s_add_i32 s2, s2, s3
	s_mov_b32 s3, 0
	s_lshl_b64 s[2:3], s[2:3], 3
	v_readlane_b32 s8, v50, 16
	v_readlane_b32 s9, v50, 17
	s_add_u32 s2, s8, s2
	s_addc_u32 s3, s9, s3
	v_mov_b32_e32 v3, 0
	v_readlane_b32 s19, v50, 11
	global_store_dwordx2 v3, v[2:3], s[2:3]
.LBB90_264:
	s_or_b64 exec, exec, s[6:7]
.LBB90_265:
	s_or_saveexec_b64 s[2:3], s[4:5]
	s_mov_b64 s[4:5], 0
	s_xor_b64 exec, exec, s[2:3]
	s_cbranch_execnz .LBB90_268
.LBB90_266:
	s_or_b64 exec, exec, s[2:3]
	s_and_b64 s[4:5], s[4:5], exec
	s_andn2_saveexec_b64 s[0:1], s[0:1]
	s_cbranch_execz .LBB90_251
.LBB90_267:
	s_or_b64 s[4:5], s[4:5], exec
	s_trap 2
	s_or_b64 exec, exec, s[0:1]
	s_and_saveexec_b64 s[0:1], s[4:5]
	s_cbranch_execnz .LBB90_252
	s_branch .LBB90_253
.LBB90_268:
	s_mov_b64 s[4:5], exec
	s_trap 2
	s_branch .LBB90_266
	.section	.rodata,"a",@progbits
	.p2align	6, 0x0
	.amdhsa_kernel _ZN2at6native12_GLOBAL__N_112gatherMedianIijLi3EEEvNS_4cuda6detail10TensorInfoIT_T0_EENS5_IlS7_EENS5_IKS6_S7_EES7_S7_S7_b
		.amdhsa_group_segment_fixed_size 4120
		.amdhsa_private_segment_fixed_size 0
		.amdhsa_kernarg_size 920
		.amdhsa_user_sgpr_count 6
		.amdhsa_user_sgpr_private_segment_buffer 1
		.amdhsa_user_sgpr_dispatch_ptr 0
		.amdhsa_user_sgpr_queue_ptr 0
		.amdhsa_user_sgpr_kernarg_segment_ptr 1
		.amdhsa_user_sgpr_dispatch_id 0
		.amdhsa_user_sgpr_flat_scratch_init 0
		.amdhsa_user_sgpr_kernarg_preload_length 0
		.amdhsa_user_sgpr_kernarg_preload_offset 0
		.amdhsa_user_sgpr_private_segment_size 0
		.amdhsa_uses_dynamic_stack 0
		.amdhsa_system_sgpr_private_segment_wavefront_offset 0
		.amdhsa_system_sgpr_workgroup_id_x 1
		.amdhsa_system_sgpr_workgroup_id_y 1
		.amdhsa_system_sgpr_workgroup_id_z 1
		.amdhsa_system_sgpr_workgroup_info 0
		.amdhsa_system_vgpr_workitem_id 0
		.amdhsa_next_free_vgpr 51
		.amdhsa_next_free_sgpr 96
		.amdhsa_accum_offset 52
		.amdhsa_reserve_vcc 1
		.amdhsa_reserve_flat_scratch 0
		.amdhsa_float_round_mode_32 0
		.amdhsa_float_round_mode_16_64 0
		.amdhsa_float_denorm_mode_32 3
		.amdhsa_float_denorm_mode_16_64 3
		.amdhsa_dx10_clamp 1
		.amdhsa_ieee_mode 1
		.amdhsa_fp16_overflow 0
		.amdhsa_tg_split 0
		.amdhsa_exception_fp_ieee_invalid_op 0
		.amdhsa_exception_fp_denorm_src 0
		.amdhsa_exception_fp_ieee_div_zero 0
		.amdhsa_exception_fp_ieee_overflow 0
		.amdhsa_exception_fp_ieee_underflow 0
		.amdhsa_exception_fp_ieee_inexact 0
		.amdhsa_exception_int_div_zero 0
	.end_amdhsa_kernel
	.section	.text._ZN2at6native12_GLOBAL__N_112gatherMedianIijLi3EEEvNS_4cuda6detail10TensorInfoIT_T0_EENS5_IlS7_EENS5_IKS6_S7_EES7_S7_S7_b,"axG",@progbits,_ZN2at6native12_GLOBAL__N_112gatherMedianIijLi3EEEvNS_4cuda6detail10TensorInfoIT_T0_EENS5_IlS7_EENS5_IKS6_S7_EES7_S7_S7_b,comdat
.Lfunc_end90:
	.size	_ZN2at6native12_GLOBAL__N_112gatherMedianIijLi3EEEvNS_4cuda6detail10TensorInfoIT_T0_EENS5_IlS7_EENS5_IKS6_S7_EES7_S7_S7_b, .Lfunc_end90-_ZN2at6native12_GLOBAL__N_112gatherMedianIijLi3EEEvNS_4cuda6detail10TensorInfoIT_T0_EENS5_IlS7_EENS5_IKS6_S7_EES7_S7_S7_b
                                        ; -- End function
	.section	.AMDGPU.csdata,"",@progbits
; Kernel info:
; codeLenInByte = 10508
; NumSgprs: 100
; NumVgprs: 51
; NumAgprs: 0
; TotalNumVgprs: 51
; ScratchSize: 0
; MemoryBound: 0
; FloatMode: 240
; IeeeMode: 1
; LDSByteSize: 4120 bytes/workgroup (compile time only)
; SGPRBlocks: 12
; VGPRBlocks: 6
; NumSGPRsForWavesPerEU: 100
; NumVGPRsForWavesPerEU: 51
; AccumOffset: 52
; Occupancy: 8
; WaveLimiterHint : 1
; COMPUTE_PGM_RSRC2:SCRATCH_EN: 0
; COMPUTE_PGM_RSRC2:USER_SGPR: 6
; COMPUTE_PGM_RSRC2:TRAP_HANDLER: 0
; COMPUTE_PGM_RSRC2:TGID_X_EN: 1
; COMPUTE_PGM_RSRC2:TGID_Y_EN: 1
; COMPUTE_PGM_RSRC2:TGID_Z_EN: 1
; COMPUTE_PGM_RSRC2:TIDIG_COMP_CNT: 0
; COMPUTE_PGM_RSRC3_GFX90A:ACCUM_OFFSET: 12
; COMPUTE_PGM_RSRC3_GFX90A:TG_SPLIT: 0
	.section	.text._ZN2at6native12_GLOBAL__N_112gatherMedianIijLin1EEEvNS_4cuda6detail10TensorInfoIT_T0_EENS5_IlS7_EENS5_IKS6_S7_EES7_S7_S7_b,"axG",@progbits,_ZN2at6native12_GLOBAL__N_112gatherMedianIijLin1EEEvNS_4cuda6detail10TensorInfoIT_T0_EENS5_IlS7_EENS5_IKS6_S7_EES7_S7_S7_b,comdat
	.globl	_ZN2at6native12_GLOBAL__N_112gatherMedianIijLin1EEEvNS_4cuda6detail10TensorInfoIT_T0_EENS5_IlS7_EENS5_IKS6_S7_EES7_S7_S7_b ; -- Begin function _ZN2at6native12_GLOBAL__N_112gatherMedianIijLin1EEEvNS_4cuda6detail10TensorInfoIT_T0_EENS5_IlS7_EENS5_IKS6_S7_EES7_S7_S7_b
	.p2align	8
	.type	_ZN2at6native12_GLOBAL__N_112gatherMedianIijLin1EEEvNS_4cuda6detail10TensorInfoIT_T0_EENS5_IlS7_EENS5_IKS6_S7_EES7_S7_S7_b,@function
_ZN2at6native12_GLOBAL__N_112gatherMedianIijLin1EEEvNS_4cuda6detail10TensorInfoIT_T0_EENS5_IlS7_EENS5_IKS6_S7_EES7_S7_S7_b: ; @_ZN2at6native12_GLOBAL__N_112gatherMedianIijLin1EEEvNS_4cuda6detail10TensorInfoIT_T0_EENS5_IlS7_EENS5_IKS6_S7_EES7_S7_S7_b
; %bb.0:
	s_load_dwordx2 s[12:13], s[4:5], 0x298
	s_load_dwordx4 s[56:59], s[4:5], 0x288
	s_add_u32 s10, s4, 0x298
	s_addc_u32 s11, s5, 0
	s_waitcnt lgkmcnt(0)
	s_mul_i32 s0, s13, s8
	s_add_i32 s0, s0, s7
	s_mul_i32 s0, s0, s12
	s_add_i32 s7, s0, s6
	s_cmp_ge_u32 s7, s57
	s_cbranch_scc1 .LBB91_262
; %bb.1:
	s_load_dword s0, s[4:5], 0xd0
	s_mov_b32 s61, 0
	s_mov_b32 s33, s7
	s_waitcnt lgkmcnt(0)
	s_cmp_lt_i32 s0, 2
	s_cbranch_scc1 .LBB91_4
; %bb.2:
	s_add_i32 s60, s0, -1
	s_add_i32 s2, s0, 1
	s_lshl_b64 s[0:1], s[60:61], 2
	s_add_u32 s0, s0, s4
	s_addc_u32 s1, s1, s5
	s_add_u32 s0, s0, 8
	s_addc_u32 s1, s1, 0
	s_mov_b32 s33, s7
.LBB91_3:                               ; =>This Inner Loop Header: Depth=1
	s_load_dword s3, s[0:1], 0x0
	s_load_dword s9, s[0:1], 0x64
	s_mov_b32 s8, s33
	s_waitcnt lgkmcnt(0)
	v_cvt_f32_u32_e32 v1, s3
	s_sub_i32 s13, 0, s3
	v_rcp_iflag_f32_e32 v1, v1
	v_mul_f32_e32 v1, 0x4f7ffffe, v1
	v_cvt_u32_f32_e32 v1, v1
	v_readfirstlane_b32 s14, v1
	s_mul_i32 s13, s13, s14
	s_mul_hi_u32 s13, s14, s13
	s_add_i32 s14, s14, s13
	s_mul_hi_u32 s13, s33, s14
	s_mul_i32 s14, s13, s3
	s_sub_i32 s14, s33, s14
	s_add_i32 s15, s13, 1
	s_sub_i32 s16, s14, s3
	s_cmp_ge_u32 s14, s3
	s_cselect_b32 s13, s15, s13
	s_cselect_b32 s14, s16, s14
	s_add_i32 s15, s13, 1
	s_cmp_ge_u32 s14, s3
	s_cselect_b32 s33, s15, s13
	s_mul_i32 s3, s33, s3
	s_sub_i32 s3, s8, s3
	s_mul_i32 s3, s9, s3
	s_add_i32 s2, s2, -1
	s_add_i32 s61, s3, s61
	s_add_u32 s0, s0, -4
	s_addc_u32 s1, s1, -1
	s_cmp_gt_u32 s2, 2
	s_cbranch_scc1 .LBB91_3
.LBB91_4:
	s_load_dword s2, s[4:5], 0x1a8
	s_add_u32 s0, s4, 0xd8
	s_addc_u32 s1, s5, 0
	s_mov_b32 s63, 0
	s_mov_b32 s57, s7
	s_waitcnt lgkmcnt(0)
	s_cmp_lt_i32 s2, 2
	s_cbranch_scc1 .LBB91_7
; %bb.5:
	s_add_i32 s62, s2, -1
	s_add_i32 s8, s2, 1
	s_lshl_b64 s[2:3], s[62:63], 2
	s_add_u32 s2, s2, s0
	s_addc_u32 s3, s3, s1
	s_add_u32 s2, s2, 8
	s_addc_u32 s3, s3, 0
	s_mov_b32 s57, s7
.LBB91_6:                               ; =>This Inner Loop Header: Depth=1
	s_load_dword s9, s[2:3], 0x0
	s_load_dword s14, s[2:3], 0x64
	s_mov_b32 s13, s57
	s_waitcnt lgkmcnt(0)
	v_cvt_f32_u32_e32 v1, s9
	s_sub_i32 s15, 0, s9
	v_rcp_iflag_f32_e32 v1, v1
	v_mul_f32_e32 v1, 0x4f7ffffe, v1
	v_cvt_u32_f32_e32 v1, v1
	v_readfirstlane_b32 s16, v1
	s_mul_i32 s15, s15, s16
	s_mul_hi_u32 s15, s16, s15
	s_add_i32 s16, s16, s15
	s_mul_hi_u32 s15, s57, s16
	s_mul_i32 s16, s15, s9
	s_sub_i32 s16, s57, s16
	s_add_i32 s17, s15, 1
	s_sub_i32 s18, s16, s9
	s_cmp_ge_u32 s16, s9
	s_cselect_b32 s15, s17, s15
	s_cselect_b32 s16, s18, s16
	s_add_i32 s17, s15, 1
	s_cmp_ge_u32 s16, s9
	s_cselect_b32 s57, s17, s15
	s_mul_i32 s9, s57, s9
	s_sub_i32 s9, s13, s9
	s_mul_i32 s9, s14, s9
	s_add_i32 s8, s8, -1
	s_add_i32 s63, s9, s63
	s_add_u32 s2, s2, -4
	s_addc_u32 s3, s3, -1
	s_cmp_gt_u32 s8, 2
	s_cbranch_scc1 .LBB91_6
.LBB91_7:
	s_load_dword s2, s[4:5], 0x6c
                                        ; implicit-def: $vgpr50 : SGPR spill to VGPR lane
	s_add_u32 s8, s4, 0x1b0
	s_addc_u32 s9, s5, 0
	s_mov_b32 s3, 0
	s_waitcnt lgkmcnt(0)
	v_writelane_b32 v50, s2, 0
	s_load_dword s2, s[4:5], 0x280
	s_waitcnt lgkmcnt(0)
	s_cmp_lt_i32 s2, 2
	s_cbranch_scc1 .LBB91_10
; %bb.8:
	s_add_i32 s13, s2, 1
	s_add_i32 s2, s2, -1
	s_lshl_b64 s[14:15], s[2:3], 2
	s_add_u32 s2, s14, s8
	s_addc_u32 s9, s15, s9
	s_add_u32 s8, s2, 8
	s_addc_u32 s9, s9, 0
.LBB91_9:                               ; =>This Inner Loop Header: Depth=1
	s_load_dword s2, s[8:9], 0x0
	s_load_dword s15, s[8:9], 0x64
	s_mov_b32 s14, s7
	s_waitcnt lgkmcnt(0)
	v_cvt_f32_u32_e32 v1, s2
	s_sub_i32 s7, 0, s2
	v_rcp_iflag_f32_e32 v1, v1
	v_mul_f32_e32 v1, 0x4f7ffffe, v1
	v_cvt_u32_f32_e32 v1, v1
	v_readfirstlane_b32 s16, v1
	s_mul_i32 s7, s7, s16
	s_mul_hi_u32 s7, s16, s7
	s_add_i32 s16, s16, s7
	s_mul_hi_u32 s7, s14, s16
	s_mul_i32 s16, s7, s2
	s_sub_i32 s16, s14, s16
	s_add_i32 s17, s7, 1
	s_sub_i32 s18, s16, s2
	s_cmp_ge_u32 s16, s2
	s_cselect_b32 s7, s17, s7
	s_cselect_b32 s16, s18, s16
	s_add_i32 s17, s7, 1
	s_cmp_ge_u32 s16, s2
	s_cselect_b32 s7, s17, s7
	s_mul_i32 s2, s7, s2
	s_sub_i32 s2, s14, s2
	s_mul_i32 s2, s15, s2
	s_add_i32 s13, s13, -1
	s_add_i32 s3, s2, s3
	s_add_u32 s8, s8, -4
	s_addc_u32 s9, s9, -1
	s_cmp_gt_u32 s13, 2
	s_cbranch_scc1 .LBB91_9
.LBB91_10:
	s_load_dword s0, s[0:1], 0x6c
	s_waitcnt lgkmcnt(0)
	v_writelane_b32 v50, s0, 1
	v_cmp_eq_u32_e64 s[0:1], 0, v0
	s_mov_b64 s[8:9], exec
	v_writelane_b32 v50, s0, 2
	v_writelane_b32 v50, s1, 3
	s_and_b64 s[0:1], s[8:9], s[0:1]
	s_mov_b64 exec, s[0:1]
	s_cbranch_execz .LBB91_12
; %bb.11:
	v_mov_b32_e32 v2, 0
	v_mov_b32_e32 v3, v2
	ds_write_b64 v2, v[2:3] offset:4096
.LBB91_12:
	s_or_b64 exec, exec, s[8:9]
	v_mov_b32_e32 v1, 0
	s_waitcnt lgkmcnt(0)
	s_barrier
	s_barrier
	ds_read_b64 v[2:3], v1 offset:4096
	s_load_dwordx2 s[8:9], s[4:5], 0x1b0
	s_bitcmp1_b32 s59, 0
	s_cselect_b64 s[0:1], -1, 0
	s_mov_b32 s79, s56
	s_waitcnt lgkmcnt(0)
	v_cmp_gt_i64_e32 vcc, 1, v[2:3]
	s_or_b64 s[0:1], s[0:1], vcc
	s_andn2_b64 vcc, exec, s[0:1]
	s_cbranch_vccnz .LBB91_14
; %bb.13:
	v_not_b32_e32 v1, v2
	v_not_b32_e32 v2, v3
	v_add_co_u32_e32 v1, vcc, s56, v1
	v_addc_co_u32_e32 v2, vcc, 0, v2, vcc
	v_lshrrev_b32_e32 v3, 31, v2
	v_add_co_u32_e32 v1, vcc, v1, v3
	v_addc_co_u32_e32 v2, vcc, 0, v2, vcc
	v_alignbit_b32 v1, v2, v1, 1
	v_readfirstlane_b32 s0, v1
	s_add_i32 s79, s0, 1
.LBB91_14:
	s_load_dwordx2 s[0:1], s[4:5], 0x0
                                        ; kill: killed $sgpr4 killed $sgpr5
	s_waitcnt lgkmcnt(0)
	v_writelane_b32 v50, s0, 4
	v_writelane_b32 v50, s1, 5
	s_load_dwordx2 s[0:1], s[4:5], 0xd8
	s_waitcnt lgkmcnt(0)
	v_writelane_b32 v50, s0, 6
	v_writelane_b32 v50, s1, 7
	s_load_dword s0, s[4:5], 0x21c
	s_mov_b64 s[4:5], exec
	v_readlane_b32 s14, v50, 2
	v_readlane_b32 s15, v50, 3
	s_and_b64 s[14:15], s[4:5], s[14:15]
	s_mov_b64 exec, s[14:15]
	s_cbranch_execz .LBB91_16
; %bb.15:
	v_mov_b32_e32 v2, 0
	v_mov_b32_e32 v3, s56
	ds_write_b32 v2, v2 offset:4112
	ds_write_b64 v2, v[2:3] offset:4104
.LBB91_16:
	s_or_b64 exec, exec, s[4:5]
	s_waitcnt lgkmcnt(0)
	s_mul_i32 s0, s0, s7
	s_mov_b32 s36, 0
	s_barrier
	s_load_dword s2, s[10:11], 0xc
	s_add_i32 s0, s0, s3
	s_mov_b32 s1, s36
	v_mbcnt_lo_u32_b32 v1, -1, 0
	s_lshl_b64 s[0:1], s[0:1], 2
	v_mbcnt_hi_u32_b32 v13, -1, v1
	s_add_u32 s59, s8, s0
	v_cmp_gt_u32_e32 vcc, 64, v0
	v_cmp_gt_i32_e64 s[4:5], 4, v13
	s_addc_u32 s60, s9, s1
	s_and_b64 s[0:1], vcc, s[4:5]
	s_waitcnt lgkmcnt(0)
	s_and_b32 s62, s2, 0xffff
	v_writelane_b32 v50, s0, 8
	v_writelane_b32 v50, s1, 9
	s_add_i32 s0, s62, -1
	s_lshl_b32 s84, s62, 2
	s_bfe_u32 s3, s2, 0xa0006
	v_writelane_b32 v50, s0, 10
	s_add_i32 s0, s0, s56
	s_cmpk_gt_u32 s56, 0x300
	s_cselect_b64 s[4:5], -1, 0
	v_writelane_b32 v50, s4, 11
	s_cmp_gt_u32 s62, 63
	v_writelane_b32 v50, s5, 12
	s_cselect_b64 s[4:5], -1, 0
	s_cmp_lt_u32 s6, s12
	v_writelane_b32 v50, s4, 13
	s_cselect_b32 s1, 12, 18
	v_writelane_b32 v50, s5, 14
	s_add_u32 s4, s10, s1
	s_addc_u32 s5, s11, 0
	s_add_i32 s1, s3, -2
	s_lshr_b32 s2, s1, 1
	v_mov_b32_e32 v9, 0
	s_add_i32 s2, s2, 1
	v_writelane_b32 v50, s4, 15
	s_cmpk_gt_u32 s62, 0x7f
	v_mul_lo_u32 v6, v0, s58
	v_mov_b32_e32 v7, v9
	v_writelane_b32 v50, s5, 16
	s_cselect_b64 s[4:5], -1, 0
	v_lshlrev_b64 v[2:3], 2, v[6:7]
	v_writelane_b32 v50, s4, 17
	v_mov_b32_e32 v7, s60
	v_add_co_u32_e32 v10, vcc, s59, v2
	v_writelane_b32 v50, s5, 18
	v_cmp_gt_u32_e64 s[6:7], 2, v0
	v_addc_co_u32_e32 v11, vcc, v7, v3, vcc
	v_lshlrev_b64 v[2:3], v13, -1
	v_writelane_b32 v50, s6, 19
	v_not_b32_e32 v12, v2
	v_cvt_f32_u32_e32 v2, s84
	v_writelane_b32 v50, s7, 20
	s_and_b32 s6, s3, 0x3fe
	s_and_b32 s7, s2, 7
	s_cmp_gt_u32 s1, 13
	s_cselect_b64 s[8:9], -1, 0
	v_writelane_b32 v50, s8, 21
	v_rcp_iflag_f32_e32 v2, v2
	v_writelane_b32 v50, s9, 22
	s_and_b32 s1, s2, -8
	v_writelane_b32 v50, s1, 23
	s_cmp_lg_u32 s7, 0
	v_writelane_b32 v50, s7, 24
	s_cselect_b64 s[8:9], -1, 0
	v_writelane_b32 v50, s8, 25
	v_mul_f32_e32 v2, 0x4f7ffffe, v2
	v_writelane_b32 v50, s9, 26
	v_cvt_u32_f32_e32 v2, v2
	v_writelane_b32 v50, s3, 27
	s_cmp_lg_u32 s6, s3
	v_writelane_b32 v50, s6, 28
	s_cselect_b64 s[2:3], -1, 0
	v_writelane_b32 v50, s2, 29
	v_writelane_b32 v50, s3, 30
	s_sub_i32 s1, 0, s84
	v_readfirstlane_b32 s2, v2
	s_mul_i32 s1, s1, s2
	s_mul_hi_u32 s1, s2, s1
	s_add_i32 s75, s2, s1
	v_cvt_f32_u32_e32 v2, s62
	s_mul_hi_u32 s1, s56, s75
	s_mul_i32 s1, s1, s84
	s_sub_i32 s1, s56, s1
	s_sub_i32 s2, s1, s84
	v_rcp_iflag_f32_e32 v5, v2
	s_cmp_ge_u32 s1, s84
	s_cselect_b32 s1, s2, s1
	s_sub_i32 s2, s1, s84
	s_cmp_ge_u32 s1, s84
	v_mul_f32_e32 v5, 0x4f7ffffe, v5
	s_cselect_b32 s1, s2, s1
	v_cvt_u32_f32_e32 v5, v5
	v_lshlrev_b32_e32 v20, 2, v0
	s_sub_i32 s78, s56, s1
	v_cmp_gt_u32_e64 s[2:3], s78, v20
	v_writelane_b32 v50, s2, 31
	v_writelane_b32 v50, s3, 32
	s_sub_i32 s2, 0, s62
	v_readfirstlane_b32 s3, v5
	s_mul_i32 s2, s2, s3
	s_mul_hi_u32 s2, s3, s2
	s_add_i32 s71, s3, s2
	s_mul_hi_u32 s2, s0, s71
	s_mul_i32 s2, s2, s62
	s_sub_i32 s2, s0, s2
	s_sub_i32 s3, s2, s62
	v_add_u32_e32 v24, s78, v0
	s_cmp_ge_u32 s2, s62
	v_lshrrev_b32_e32 v1, 4, v0
	v_mul_lo_u32 v8, v24, s58
	s_cselect_b32 s2, s3, s2
	v_and_b32_e32 v22, 60, v1
	v_not_b32_e32 v1, v3
	v_lshlrev_b64 v[2:3], 2, v[8:9]
	s_sub_i32 s3, s2, s62
	v_add_co_u32_e32 v14, vcc, s59, v2
	s_cmp_ge_u32 s2, s62
	v_mul_lo_u32 v2, s58, v20
	s_cselect_b32 s2, s3, s2
	v_add_u32_e32 v25, s58, v2
	v_or_b32_e32 v2, 2, v20
	s_sub_i32 s12, s0, s2
	v_mul_lo_u32 v26, s58, v2
	v_or_b32_e32 v2, 3, v20
	s_add_i32 s0, s62, s56
	v_mul_lo_u32 v27, s58, v2
	v_add_u32_e32 v2, s0, v0
	v_lshlrev_b32_e32 v4, 2, v13
	v_mov_b32_e32 v8, s60
	v_cmp_gt_u32_e64 s[2:3], s12, v0
	s_mul_i32 s76, s58, s62
	v_subrev_u32_e32 v2, s1, v2
	v_cmp_gt_u32_e64 s[54:55], s56, v0
	v_cmp_eq_u32_e64 s[4:5], 0, v13
	v_add_u32_e32 v21, 0xc00, v20
	v_and_b32_e32 v23, 0x100, v4
	v_cmp_gt_u32_e64 s[10:11], s56, v24
	v_addc_co_u32_e32 v15, vcc, v8, v3, vcc
	v_writelane_b32 v50, s2, 33
	s_lshl_b32 s13, s76, 2
	v_lshlrev_b32_e32 v28, 2, v6
	v_mul_lo_u32 v29, s58, v2
	v_lshlrev_b32_e32 v30, 4, v0
	s_lshl_b32 s72, s62, 4
	v_or_b32_e32 v31, 0xc00, v4
	s_mov_b32 s73, 30
	s_mov_b64 s[86:87], 0
	v_mov_b32_e32 v16, 1
	v_mov_b32_e32 v32, 0xc00
	;; [unrolled: 1-line block ×3, first 2 shown]
	s_mov_b32 s0, 0
	s_mov_b32 s77, 0
	;; [unrolled: 1-line block ×3, first 2 shown]
	v_writelane_b32 v50, s3, 34
                                        ; implicit-def: $sgpr88_sgpr89
                                        ; implicit-def: $sgpr92_sgpr93
                                        ; implicit-def: $sgpr90_sgpr91
                                        ; implicit-def: $sgpr94_sgpr95
                                        ; implicit-def: $sgpr64_sgpr65
                                        ; implicit-def: $sgpr66_sgpr67
	s_branch .LBB91_21
.LBB91_17:                              ;   in Loop: Header=BB91_21 Depth=1
	s_xor_b32 s0, s0, 1
	s_add_i32 s2, s73, -2
	s_cmp_eq_u32 s73, 0
	s_mov_b64 s[18:19], 0
	s_cselect_b64 s[26:27], -1, 0
	s_mov_b32 s73, s2
.LBB91_18:                              ;   in Loop: Header=BB91_21 Depth=1
	s_andn2_b64 s[2:3], s[22:23], exec
	s_and_b64 s[8:9], s[18:19], exec
	s_or_b64 s[22:23], s[2:3], s[8:9]
	s_andn2_b64 s[24:25], s[24:25], exec
	s_andn2_b64 s[20:21], s[20:21], exec
	s_orn2_b64 s[18:19], s[26:27], exec
	s_mov_b32 s79, s35
.LBB91_19:                              ;   in Loop: Header=BB91_21 Depth=1
	s_or_b64 exec, exec, s[14:15]
	s_andn2_b64 s[2:3], s[66:67], exec
	s_and_b64 s[8:9], s[22:23], exec
	s_or_b64 s[66:67], s[2:3], s[8:9]
	s_andn2_b64 s[2:3], s[64:65], exec
	s_and_b64 s[8:9], s[24:25], exec
	s_or_b64 s[64:65], s[2:3], s[8:9]
	;; [unrolled: 3-line block ×3, first 2 shown]
	s_orn2_b64 s[18:19], s[18:19], exec
.LBB91_20:                              ;   in Loop: Header=BB91_21 Depth=1
	s_or_b64 exec, exec, s[16:17]
	s_and_b64 s[2:3], exec, s[18:19]
	s_or_b64 s[86:87], s[2:3], s[86:87]
	s_andn2_b64 s[2:3], s[90:91], exec
	s_and_b64 s[8:9], s[66:67], exec
	s_or_b64 s[90:91], s[2:3], s[8:9]
	s_andn2_b64 s[2:3], s[92:93], exec
	s_and_b64 s[8:9], s[64:65], exec
	;; [unrolled: 3-line block ×3, first 2 shown]
	v_mov_b32_e32 v2, s77
	s_or_b64 s[88:89], s[2:3], s[8:9]
	s_andn2_b64 exec, exec, s[86:87]
	s_cbranch_execz .LBB91_258
.LBB91_21:                              ; =>This Loop Header: Depth=1
                                        ;     Child Loop BB91_29 Depth 2
                                        ;     Child Loop BB91_47 Depth 2
	;; [unrolled: 1-line block ×17, first 2 shown]
	ds_read_b64 v[2:3], v9 offset:4104
	s_waitcnt lgkmcnt(0)
	v_readfirstlane_b32 s69, v2
	s_cmp_lg_u32 s69, 0
	s_cbranch_scc1 .LBB91_54
; %bb.22:                               ;   in Loop: Header=BB91_21 Depth=1
	v_readlane_b32 s2, v50, 11
	v_readlane_b32 s3, v50, 12
	s_and_b64 vcc, exec, s[2:3]
	s_cbranch_vccz .LBB91_37
; %bb.23:                               ;   in Loop: Header=BB91_21 Depth=1
	s_movk_i32 s2, 0x301
	v_cmp_gt_u32_e32 vcc, s2, v3
	s_mov_b64 s[18:19], 0
	s_mov_b64 s[14:15], 0
	s_cbranch_vccz .LBB91_38
; %bb.24:                               ;   in Loop: Header=BB91_21 Depth=1
	v_mov_b32_e32 v2, 0
	s_and_saveexec_b64 s[14:15], s[54:55]
	s_cbranch_execz .LBB91_26
; %bb.25:                               ;   in Loop: Header=BB91_21 Depth=1
	global_load_dword v2, v[10:11], off
.LBB91_26:                              ;   in Loop: Header=BB91_21 Depth=1
	s_or_b64 exec, exec, s[14:15]
	s_and_saveexec_b64 s[20:21], s[54:55]
	s_cbranch_execz .LBB91_39
; %bb.27:                               ;   in Loop: Header=BB91_21 Depth=1
	v_readlane_b32 s2, v50, 15
	v_readlane_b32 s3, v50, 16
	s_mov_b64 s[22:23], 0
	s_nop 3
	global_load_ushort v3, v9, s[2:3]
	s_waitcnt vmcnt(0)
	v_add_u32_e32 v5, v0, v3
	v_mul_lo_u32 v4, s58, v3
	v_mul_lo_u32 v8, s58, v5
	v_mov_b32_e32 v5, v0
	s_branch .LBB91_29
.LBB91_28:                              ;   in Loop: Header=BB91_29 Depth=2
	s_or_b64 exec, exec, s[16:17]
	v_add_u32_e32 v8, v8, v4
	s_waitcnt vmcnt(0)
	v_mov_b32_e32 v2, v17
	s_andn2_b64 exec, exec, s[22:23]
	s_cbranch_execz .LBB91_39
.LBB91_29:                              ;   Parent Loop BB91_21 Depth=1
                                        ; =>  This Inner Loop Header: Depth=2
	v_add_u32_e32 v5, v5, v3
	v_cmp_gt_u32_e64 s[14:15], s56, v5
	v_cmp_le_u32_e32 vcc, s56, v5
	s_waitcnt lgkmcnt(0)
	v_mov_b32_e32 v18, 0
	v_mov_b32_e32 v17, 0
	s_and_saveexec_b64 s[16:17], s[14:15]
	s_cbranch_execz .LBB91_31
; %bb.30:                               ;   in Loop: Header=BB91_29 Depth=2
	v_lshlrev_b64 v[34:35], 2, v[8:9]
	v_add_co_u32_e64 v34, s[14:15], s59, v34
	v_addc_co_u32_e64 v35, s[14:15], v7, v35, s[14:15]
	global_load_dword v17, v[34:35], off
.LBB91_31:                              ;   in Loop: Header=BB91_29 Depth=2
	s_or_b64 exec, exec, s[16:17]
	v_xor_b32_e32 v33, 0x80000000, v2
	v_and_b32_e32 v33, s1, v33
	v_cmp_eq_u32_e64 s[14:15], s77, v33
	s_cmp_lg_u64 s[14:15], 0
	s_cselect_b64 s[2:3], -1, 0
	s_and_b64 s[2:3], s[4:5], s[2:3]
	s_and_saveexec_b64 s[24:25], s[2:3]
	s_cbranch_execz .LBB91_35
; %bb.32:                               ;   in Loop: Header=BB91_29 Depth=2
	s_mov_b64 s[28:29], exec
	v_mbcnt_lo_u32_b32 v18, s28, 0
	v_mbcnt_hi_u32_b32 v18, s29, v18
	s_bcnt1_i32_b64 s2, s[14:15]
	v_cmp_eq_u32_e64 s[16:17], 0, v18
                                        ; implicit-def: $vgpr33
	s_and_saveexec_b64 s[26:27], s[16:17]
	s_cbranch_execz .LBB91_34
; %bb.33:                               ;   in Loop: Header=BB91_29 Depth=2
	s_bcnt1_i32_b64 s3, s[28:29]
	s_mul_i32 s3, s2, s3
	v_mov_b32_e32 v33, s3
	ds_add_rtn_u32 v33, v9, v33 offset:4112
.LBB91_34:                              ;   in Loop: Header=BB91_29 Depth=2
	s_or_b64 exec, exec, s[26:27]
	s_waitcnt lgkmcnt(0)
	v_readfirstlane_b32 s3, v33
	v_mov_b32_e32 v33, s3
	v_mad_u32_u24 v18, s2, v18, v33
.LBB91_35:                              ;   in Loop: Header=BB91_29 Depth=2
	s_or_b64 exec, exec, s[24:25]
	ds_bpermute_b32 v18, v23, v18
	s_and_b64 s[2:3], exec, vcc
	s_or_b64 s[22:23], s[2:3], s[22:23]
	s_and_saveexec_b64 s[16:17], s[14:15]
	s_cbranch_execz .LBB91_28
; %bb.36:                               ;   in Loop: Header=BB91_29 Depth=2
	v_and_b32_e32 v34, s14, v12
	v_and_b32_e32 v33, s15, v1
	v_bcnt_u32_b32 v34, v34, 0
	v_bcnt_u32_b32 v33, v33, v34
	v_lshlrev_b32_e32 v33, 2, v33
	s_waitcnt lgkmcnt(0)
	v_lshl_add_u32 v18, v18, 2, v33
	ds_write_b32 v18, v2
	s_branch .LBB91_28
.LBB91_37:                              ;   in Loop: Header=BB91_21 Depth=1
	s_mov_b64 s[14:15], 0
                                        ; implicit-def: $sgpr69
	s_cbranch_execnz .LBB91_42
	s_branch .LBB91_52
.LBB91_38:                              ;   in Loop: Header=BB91_21 Depth=1
	s_mov_b32 s69, 0
	s_and_b64 vcc, exec, s[18:19]
	s_cbranch_vccnz .LBB91_42
	s_branch .LBB91_52
.LBB91_39:                              ;   in Loop: Header=BB91_21 Depth=1
	s_or_b64 exec, exec, s[20:21]
	s_waitcnt lgkmcnt(0)
	s_barrier
	s_mov_b64 s[14:15], exec
	v_readlane_b32 s2, v50, 2
	v_readlane_b32 s3, v50, 3
	s_and_b64 s[2:3], s[14:15], s[2:3]
	s_mov_b64 exec, s[2:3]
	s_cbranch_execz .LBB91_41
; %bb.40:                               ;   in Loop: Header=BB91_21 Depth=1
	s_waitcnt vmcnt(0)
	ds_read_b32 v2, v9 offset:4112
	s_waitcnt lgkmcnt(0)
	ds_write_b32 v9, v2 offset:4104
.LBB91_41:                              ;   in Loop: Header=BB91_21 Depth=1
	s_or_b64 exec, exec, s[14:15]
	s_waitcnt lgkmcnt(0)
	s_barrier
	s_mov_b64 s[14:15], -1
	s_mov_b32 s69, 0
	s_and_b64 vcc, exec, s[18:19]
	s_cbranch_vccz .LBB91_52
.LBB91_42:                              ;   in Loop: Header=BB91_21 Depth=1
	s_waitcnt vmcnt(0)
	v_mov_b32_e32 v2, 0
	s_and_saveexec_b64 s[14:15], s[54:55]
	s_cbranch_execz .LBB91_44
; %bb.43:                               ;   in Loop: Header=BB91_21 Depth=1
	global_load_dword v2, v[10:11], off
.LBB91_44:                              ;   in Loop: Header=BB91_21 Depth=1
	s_or_b64 exec, exec, s[14:15]
	s_and_saveexec_b64 s[16:17], s[54:55]
	s_cbranch_execz .LBB91_49
; %bb.45:                               ;   in Loop: Header=BB91_21 Depth=1
	v_readlane_b32 s2, v50, 15
	v_readlane_b32 s3, v50, 16
	s_mov_b64 s[18:19], 0
	v_mov_b32_e32 v4, v20
	v_mov_b32_e32 v18, v0
	s_nop 1
	global_load_ushort v3, v9, s[2:3]
	s_waitcnt vmcnt(0)
	v_add_u32_e32 v8, v0, v3
	v_lshlrev_b32_e32 v5, 2, v3
	v_mul_lo_u32 v17, s58, v3
	v_mul_lo_u32 v8, s58, v8
	s_branch .LBB91_47
.LBB91_46:                              ;   in Loop: Header=BB91_47 Depth=2
	s_or_b64 exec, exec, s[20:21]
	s_and_b64 s[2:3], exec, vcc
	s_or_b64 s[18:19], s[2:3], s[18:19]
	ds_write_b32 v4, v2
	v_add_u32_e32 v4, v4, v5
	v_add_u32_e32 v8, v8, v17
	s_waitcnt vmcnt(0)
	v_mov_b32_e32 v2, v33
	s_andn2_b64 exec, exec, s[18:19]
	s_cbranch_execz .LBB91_49
.LBB91_47:                              ;   Parent Loop BB91_21 Depth=1
                                        ; =>  This Inner Loop Header: Depth=2
	v_add_u32_e32 v18, v18, v3
	v_cmp_gt_u32_e64 s[14:15], s56, v18
	v_cmp_le_u32_e32 vcc, s56, v18
	v_mov_b32_e32 v33, 0
	s_and_saveexec_b64 s[20:21], s[14:15]
	s_cbranch_execz .LBB91_46
; %bb.48:                               ;   in Loop: Header=BB91_47 Depth=2
	v_lshlrev_b64 v[34:35], 2, v[8:9]
	v_mov_b32_e32 v33, s60
	v_add_co_u32_e64 v34, s[14:15], s59, v34
	v_addc_co_u32_e64 v35, s[14:15], v33, v35, s[14:15]
	global_load_dword v33, v[34:35], off
	s_branch .LBB91_46
.LBB91_49:                              ;   in Loop: Header=BB91_21 Depth=1
	s_or_b64 exec, exec, s[16:17]
	s_waitcnt lgkmcnt(0)
	s_barrier
	s_mov_b64 s[14:15], exec
	v_readlane_b32 s2, v50, 2
	v_readlane_b32 s3, v50, 3
	s_and_b64 s[2:3], s[14:15], s[2:3]
	s_mov_b64 exec, s[2:3]
	s_cbranch_execz .LBB91_51
; %bb.50:                               ;   in Loop: Header=BB91_21 Depth=1
	s_waitcnt vmcnt(0)
	v_mov_b32_e32 v2, s56
	ds_write_b32 v9, v2 offset:4104
.LBB91_51:                              ;   in Loop: Header=BB91_21 Depth=1
	s_or_b64 exec, exec, s[14:15]
	s_mov_b64 s[14:15], -1
	s_waitcnt lgkmcnt(0)
	s_barrier
                                        ; implicit-def: $sgpr69
.LBB91_52:                              ;   in Loop: Header=BB91_21 Depth=1
	s_and_b64 vcc, exec, s[14:15]
	s_cbranch_vccz .LBB91_54
; %bb.53:                               ;   in Loop: Header=BB91_21 Depth=1
	s_waitcnt vmcnt(0)
	ds_read_b32 v2, v9 offset:4104
	s_waitcnt lgkmcnt(0)
	v_readfirstlane_b32 s69, v2
.LBB91_54:                              ;   in Loop: Header=BB91_21 Depth=1
	s_cmp_lt_i32 s69, 1
	s_cbranch_scc0 .LBB91_58
; %bb.55:                               ;   in Loop: Header=BB91_21 Depth=1
	s_waitcnt vmcnt(0)
	v_mov_b32_e32 v2, 0
	s_mov_b32 s48, 0
	v_mov_b32_e32 v3, 0
	v_mov_b32_e32 v4, v2
	v_mov_b32_e32 v5, 0
	s_mov_b64 s[44:45], exec
	v_readlane_b32 s2, v50, 31
	v_readlane_b32 s3, v50, 32
	s_and_b64 s[2:3], s[44:45], s[2:3]
	s_mov_b64 exec, s[2:3]
	s_cbranch_execnz .LBB91_59
; %bb.56:                               ;   in Loop: Header=BB91_21 Depth=1
	s_or_b64 exec, exec, s[44:45]
	v_mov_b32_e32 v18, 0
	s_and_saveexec_b64 s[14:15], s[10:11]
	s_cbranch_execnz .LBB91_62
.LBB91_57:                              ;   in Loop: Header=BB91_21 Depth=1
	s_or_b64 exec, exec, s[14:15]
	s_and_saveexec_b64 s[16:17], s[10:11]
	s_cbranch_execnz .LBB91_63
	s_branch .LBB91_68
.LBB91_58:                              ;   in Loop: Header=BB91_21 Depth=1
                                        ; implicit-def: $vgpr5
	s_cbranch_execnz .LBB91_69
	s_branch .LBB91_78
.LBB91_59:                              ;   in Loop: Header=BB91_21 Depth=1
	s_mov_b32 s6, s36
	s_and_b32 s49, s73, 0xfe
	s_mov_b64 s[46:47], 0
	s_mov_b32 s50, 0
	s_mov_b32 s51, 0
	;; [unrolled: 1-line block ×4, first 2 shown]
	v_mov_b32_e32 v17, v20
.LBB91_60:                              ;   Parent Loop BB91_21 Depth=1
                                        ; =>  This Inner Loop Header: Depth=2
	v_add_u32_e32 v8, s48, v28
	v_lshlrev_b64 v[2:3], 2, v[8:9]
	v_mov_b32_e32 v18, s60
	v_add_u32_e32 v8, s48, v25
	v_add_co_u32_e64 v2, s[14:15], s59, v2
	v_lshlrev_b64 v[4:5], 2, v[8:9]
	v_addc_co_u32_e64 v3, s[14:15], v18, v3, s[14:15]
	v_add_u32_e32 v8, s48, v26
	v_add_co_u32_e64 v4, s[14:15], s59, v4
	v_lshlrev_b64 v[34:35], 2, v[8:9]
	v_add_u32_e32 v8, s48, v27
	v_addc_co_u32_e64 v5, s[14:15], v18, v5, s[14:15]
	global_load_dword v33, v[2:3], off
	v_lshlrev_b64 v[2:3], 2, v[8:9]
	global_load_dword v8, v[4:5], off
	v_add_co_u32_e64 v4, s[14:15], s59, v34
	v_addc_co_u32_e64 v5, s[14:15], v18, v35, s[14:15]
	global_load_dword v4, v[4:5], off
	v_add_co_u32_e64 v2, s[14:15], s59, v2
	v_addc_co_u32_e64 v3, s[14:15], v18, v3, s[14:15]
	global_load_dword v2, v[2:3], off
	v_add_u32_e32 v17, s84, v17
	v_cmp_le_u32_e32 vcc, s78, v17
	s_add_i32 s48, s48, s13
	s_waitcnt vmcnt(3)
	v_xor_b32_e32 v3, 0x80000000, v33
	s_waitcnt vmcnt(2)
	v_xor_b32_e32 v5, 0x80000000, v8
	v_and_b32_e32 v8, s1, v3
	v_bfe_u32 v3, v3, s49, 2
	v_cmp_eq_u32_e64 s[14:15], s77, v8
	v_cmp_eq_u32_e64 s[16:17], 0, v3
	v_and_b32_e32 v8, s1, v5
	v_bfe_u32 v5, v5, s49, 2
	v_cmp_eq_u32_e64 s[18:19], 1, v3
	s_and_b64 s[2:3], s[14:15], s[16:17]
	v_cmp_eq_u32_e64 s[20:21], 2, v3
	v_cmp_eq_u32_e64 s[26:27], 0, v5
	;; [unrolled: 1-line block ×5, first 2 shown]
	v_cndmask_b32_e64 v5, 0, 1, s[2:3]
	s_and_b64 s[2:3], s[14:15], s[18:19]
	v_cmp_eq_u32_e64 s[22:23], 3, v3
	v_cmp_eq_u32_e64 s[24:25], s77, v8
	v_cndmask_b32_e64 v8, 0, 1, s[2:3]
	s_and_b64 s[2:3], s[14:15], s[20:21]
	s_waitcnt vmcnt(1)
	v_xor_b32_e32 v4, 0x80000000, v4
	v_cndmask_b32_e64 v18, 0, 1, s[2:3]
	s_and_b64 s[2:3], s[14:15], s[22:23]
	v_and_b32_e32 v3, s1, v4
	v_bfe_u32 v4, v4, s49, 2
	v_cndmask_b32_e64 v33, 0, 1, s[2:3]
	s_and_b64 s[2:3], s[24:25], s[26:27]
	v_cmp_eq_u32_e64 s[16:17], 0, v4
	v_cmp_eq_u32_e64 s[18:19], 1, v4
	;; [unrolled: 1-line block ×4, first 2 shown]
	v_cndmask_b32_e64 v4, 0, 1, s[2:3]
	s_and_b64 s[2:3], s[24:25], s[28:29]
	v_cmp_ne_u32_e64 s[36:37], 0, v5
	v_cndmask_b32_e64 v5, 0, 1, s[2:3]
	s_and_b64 s[2:3], s[24:25], s[30:31]
	s_waitcnt vmcnt(0)
	v_xor_b32_e32 v2, 0x80000000, v2
	v_cmp_eq_u32_e64 s[14:15], s77, v3
	v_cmp_ne_u32_e64 s[26:27], 0, v8
	v_cndmask_b32_e64 v8, 0, 1, s[2:3]
	s_and_b64 s[2:3], s[24:25], s[34:35]
	v_and_b32_e32 v3, s1, v2
	v_bfe_u32 v2, v2, s49, 2
	v_cmp_ne_u32_e64 s[28:29], 0, v18
	v_cndmask_b32_e64 v18, 0, 1, s[2:3]
	s_and_b64 s[2:3], s[14:15], s[16:17]
	v_cmp_eq_u32_e64 s[34:35], 0, v2
	v_cmp_eq_u32_e64 s[38:39], 1, v2
	;; [unrolled: 1-line block ×4, first 2 shown]
	v_cndmask_b32_e64 v2, 0, 1, s[2:3]
	s_and_b64 s[2:3], s[14:15], s[18:19]
	v_cmp_eq_u32_e64 s[24:25], s77, v3
	v_cndmask_b32_e64 v3, 0, 1, s[2:3]
	s_and_b64 s[2:3], s[14:15], s[20:21]
	s_bcnt1_i32_b64 s8, s[36:37]
	v_cmp_ne_u32_e64 s[36:37], 0, v4
	v_cndmask_b32_e64 v4, 0, 1, s[2:3]
	s_and_b64 s[2:3], s[14:15], s[22:23]
	v_cmp_ne_u32_e64 s[16:17], 0, v5
	v_cndmask_b32_e64 v5, 0, 1, s[2:3]
	s_and_b64 s[2:3], s[24:25], s[34:35]
	;; [unrolled: 3-line block ×3, first 2 shown]
	v_cmp_ne_u32_e64 s[30:31], 0, v33
	v_cmp_ne_u32_e64 s[18:19], 0, v8
	s_bcnt1_i32_b64 s23, s[16:17]
	v_cmp_ne_u32_e64 s[16:17], 0, v3
	v_cndmask_b32_e64 v3, 0, 1, s[2:3]
	s_and_b64 s[2:3], s[24:25], s[40:41]
	s_bcnt1_i32_b64 s9, s[26:27]
	s_bcnt1_i32_b64 s26, s[28:29]
	;; [unrolled: 1-line block ×3, first 2 shown]
	v_cmp_ne_u32_e64 s[20:21], 0, v18
	s_bcnt1_i32_b64 s28, s[18:19]
	v_cmp_ne_u32_e64 s[18:19], 0, v4
	v_cndmask_b32_e64 v4, 0, 1, s[2:3]
	s_and_b64 s[2:3], s[24:25], s[42:43]
	s_bcnt1_i32_b64 s22, s[36:37]
	s_add_i32 s8, s53, s8
	s_add_i32 s9, s52, s9
	;; [unrolled: 1-line block ×3, first 2 shown]
	s_bcnt1_i32_b64 s29, s[20:21]
	v_cmp_ne_u32_e64 s[20:21], 0, v5
	v_cndmask_b32_e64 v5, 0, 1, s[2:3]
	s_add_i32 s2, s50, s27
	s_bcnt1_i32_b64 s3, s[14:15]
	v_cmp_ne_u32_e64 s[14:15], 0, v2
	s_add_i32 s8, s8, s22
	s_bcnt1_i32_b64 s22, s[16:17]
	v_cmp_ne_u32_e64 s[16:17], 0, v3
	;; [unrolled: 3-line block ×4, first 2 shown]
	s_add_i32 s2, s2, s29
	s_bcnt1_i32_b64 s14, s[14:15]
	s_add_i32 s3, s8, s3
	s_bcnt1_i32_b64 s8, s[16:17]
	;; [unrolled: 2-line block ×4, first 2 shown]
	s_add_i32 s2, s2, s25
	s_add_i32 s53, s3, s14
	;; [unrolled: 1-line block ×5, first 2 shown]
	s_or_b64 s[46:47], vcc, s[46:47]
	v_mov_b32_e32 v2, s53
	v_mov_b32_e32 v3, s52
	;; [unrolled: 1-line block ×4, first 2 shown]
	s_andn2_b64 exec, exec, s[46:47]
	s_cbranch_execnz .LBB91_60
; %bb.61:                               ;   in Loop: Header=BB91_21 Depth=1
	s_or_b64 exec, exec, s[46:47]
	s_mov_b32 s36, s6
	s_or_b64 exec, exec, s[44:45]
	v_mov_b32_e32 v18, 0
	s_and_saveexec_b64 s[14:15], s[10:11]
	s_cbranch_execz .LBB91_57
.LBB91_62:                              ;   in Loop: Header=BB91_21 Depth=1
	global_load_dword v18, v[14:15], off
	s_or_b64 exec, exec, s[14:15]
	s_and_saveexec_b64 s[16:17], s[10:11]
	s_cbranch_execz .LBB91_68
.LBB91_63:                              ;   in Loop: Header=BB91_21 Depth=1
	s_and_b32 s2, s73, 0xfe
	s_mov_b64 s[18:19], 0
	v_mov_b32_e32 v8, v29
	v_mov_b32_e32 v17, v24
	s_branch .LBB91_65
.LBB91_64:                              ;   in Loop: Header=BB91_65 Depth=2
	s_or_b64 exec, exec, s[20:21]
	s_waitcnt vmcnt(0)
	v_xor_b32_e32 v18, 0x80000000, v18
	s_and_b64 s[8:9], exec, vcc
	v_and_b32_e32 v34, s1, v18
	v_bfe_u32 v18, v18, s2, 2
	s_or_b64 s[18:19], s[8:9], s[18:19]
	v_cmp_eq_u32_e32 vcc, s77, v34
	v_cmp_eq_u32_e64 s[14:15], 0, v18
	s_and_b64 s[8:9], vcc, s[14:15]
	v_cndmask_b32_e64 v34, 0, 1, s[8:9]
	v_cmp_ne_u32_e64 s[14:15], 0, v34
	s_bcnt1_i32_b64 s3, s[14:15]
	v_cmp_eq_u32_e64 s[14:15], 1, v18
	s_and_b64 s[8:9], vcc, s[14:15]
	v_cndmask_b32_e64 v34, 0, 1, s[8:9]
	v_cmp_ne_u32_e64 s[14:15], 0, v34
	v_add_u32_e32 v2, s3, v2
	s_bcnt1_i32_b64 s3, s[14:15]
	v_cmp_eq_u32_e64 s[14:15], 2, v18
	s_and_b64 s[8:9], vcc, s[14:15]
	v_cndmask_b32_e64 v34, 0, 1, s[8:9]
	v_cmp_ne_u32_e64 s[14:15], 0, v34
	v_add_u32_e32 v3, s3, v3
	s_bcnt1_i32_b64 s3, s[14:15]
	v_cmp_eq_u32_e64 s[14:15], 3, v18
	s_and_b64 s[8:9], vcc, s[14:15]
	v_cndmask_b32_e64 v18, 0, 1, s[8:9]
	v_cmp_ne_u32_e32 vcc, 0, v18
	v_add_u32_e32 v4, s3, v4
	s_bcnt1_i32_b64 s3, vcc
	v_add_u32_e32 v5, s3, v5
	v_add_u32_e32 v8, s76, v8
	v_mov_b32_e32 v18, v33
	s_andn2_b64 exec, exec, s[18:19]
	s_cbranch_execz .LBB91_67
.LBB91_65:                              ;   Parent Loop BB91_21 Depth=1
                                        ; =>  This Inner Loop Header: Depth=2
	v_add_u32_e32 v17, s62, v17
	v_cmp_gt_u32_e64 s[14:15], s56, v17
	v_cmp_le_u32_e32 vcc, s56, v17
	v_mov_b32_e32 v33, 0
	s_and_saveexec_b64 s[20:21], s[14:15]
	s_cbranch_execz .LBB91_64
; %bb.66:                               ;   in Loop: Header=BB91_65 Depth=2
	v_lshlrev_b64 v[34:35], 2, v[8:9]
	v_mov_b32_e32 v33, s60
	v_add_co_u32_e64 v34, s[14:15], s59, v34
	v_addc_co_u32_e64 v35, s[14:15], v33, v35, s[14:15]
	global_load_dword v33, v[34:35], off
	s_branch .LBB91_64
.LBB91_67:                              ;   in Loop: Header=BB91_21 Depth=1
	s_or_b64 exec, exec, s[18:19]
.LBB91_68:                              ;   in Loop: Header=BB91_21 Depth=1
	s_or_b64 exec, exec, s[16:17]
	s_branch .LBB91_78
.LBB91_69:                              ;   in Loop: Header=BB91_21 Depth=1
	s_mul_hi_u32 s2, s69, s75
	s_mul_i32 s2, s2, s84
	s_sub_i32 s2, s69, s2
	s_sub_i32 s3, s2, s84
	s_cmp_ge_u32 s2, s84
	s_cselect_b32 s2, s3, s2
	s_sub_i32 s3, s2, s84
	s_cmp_ge_u32 s2, s84
	s_cselect_b32 s2, s3, s2
	s_sub_i32 s74, s69, s2
	v_cmp_gt_u32_e32 vcc, s74, v20
	s_mov_b32 s8, 0
	s_waitcnt vmcnt(0)
	v_mov_b32_e32 v2, 0
	v_mov_b32_e32 v3, 0
	;; [unrolled: 1-line block ×4, first 2 shown]
	s_and_saveexec_b64 s[80:81], vcc
	s_cbranch_execz .LBB91_73
; %bb.70:                               ;   in Loop: Header=BB91_21 Depth=1
	s_mov_b32 s70, s36
	s_mov_b32 s68, s75
	s_mov_b64 s[6:7], s[54:55]
	s_and_b32 s75, s73, 0xfe
	s_mov_b64 s[82:83], 0
	v_mov_b32_e32 v8, v30
	s_mov_b32 s9, 0
	s_mov_b32 s85, 0
	;; [unrolled: 1-line block ×3, first 2 shown]
	v_mov_b32_e32 v17, v20
.LBB91_71:                              ;   Parent Loop BB91_21 Depth=1
                                        ; =>  This Inner Loop Header: Depth=2
	ds_read_b128 v[2:5], v8
	v_add_u32_e32 v17, s84, v17
	v_cmp_le_u32_e32 vcc, s74, v17
	v_add_u32_e32 v8, s72, v8
	s_waitcnt lgkmcnt(0)
	v_xor_b32_e32 v2, 0x80000000, v2
	v_xor_b32_e32 v3, 0x80000000, v3
	v_and_b32_e32 v18, s1, v2
	v_bfe_u32 v2, v2, s75, 2
	v_xor_b32_e32 v4, 0x80000000, v4
	v_and_b32_e32 v33, s1, v3
	v_bfe_u32 v3, v3, s75, 2
	v_cmp_eq_u32_e64 s[14:15], s77, v18
	v_cmp_eq_u32_e64 s[22:23], 0, v2
	v_xor_b32_e32 v5, 0x80000000, v5
	v_and_b32_e32 v34, s1, v4
	v_bfe_u32 v4, v4, s75, 2
	v_cmp_eq_u32_e64 s[16:17], s77, v33
	v_cmp_eq_u32_e64 s[24:25], 0, v3
	s_and_b64 s[22:23], s[14:15], s[22:23]
	v_and_b32_e32 v35, s1, v5
	v_bfe_u32 v5, v5, s75, 2
	v_cmp_eq_u32_e64 s[18:19], s77, v34
	v_cmp_eq_u32_e64 s[26:27], 0, v4
	;; [unrolled: 1-line block ×5, first 2 shown]
	v_cndmask_b32_e64 v2, 0, 1, s[22:23]
	s_and_b64 s[22:23], s[16:17], s[24:25]
	v_cmp_eq_u32_e64 s[20:21], s77, v35
	v_cmp_eq_u32_e64 s[28:29], 0, v5
	;; [unrolled: 1-line block ×5, first 2 shown]
	v_cndmask_b32_e64 v3, 0, 1, s[22:23]
	s_and_b64 s[22:23], s[18:19], s[26:27]
	v_cmp_eq_u32_e64 s[36:37], 1, v4
	v_cmp_eq_u32_e64 s[44:45], 2, v4
	;; [unrolled: 1-line block ×3, first 2 shown]
	v_cndmask_b32_e64 v4, 0, 1, s[22:23]
	s_and_b64 s[22:23], s[20:21], s[28:29]
	v_cmp_eq_u32_e64 s[38:39], 1, v5
	v_cmp_eq_u32_e64 s[46:47], 2, v5
	;; [unrolled: 1-line block ×3, first 2 shown]
	v_cndmask_b32_e64 v5, 0, 1, s[22:23]
	s_and_b64 s[22:23], s[14:15], s[30:31]
	v_cndmask_b32_e64 v18, 0, 1, s[22:23]
	s_and_b64 s[22:23], s[16:17], s[34:35]
	;; [unrolled: 2-line block ×5, first 2 shown]
	s_and_b64 s[14:15], s[14:15], s[48:49]
	v_cndmask_b32_e64 v36, 0, 1, s[22:23]
	s_and_b64 s[22:23], s[16:17], s[42:43]
	v_cndmask_b32_e64 v40, 0, 1, s[14:15]
	s_and_b64 s[14:15], s[16:17], s[50:51]
	v_cndmask_b32_e64 v37, 0, 1, s[22:23]
	s_and_b64 s[22:23], s[18:19], s[44:45]
	v_cndmask_b32_e64 v41, 0, 1, s[14:15]
	s_and_b64 s[14:15], s[18:19], s[52:53]
	v_cndmask_b32_e64 v38, 0, 1, s[22:23]
	s_and_b64 s[22:23], s[20:21], s[46:47]
	v_cndmask_b32_e64 v42, 0, 1, s[14:15]
	s_and_b64 s[14:15], s[20:21], s[54:55]
	v_cndmask_b32_e64 v39, 0, 1, s[22:23]
	v_cndmask_b32_e64 v43, 0, 1, s[14:15]
	v_cmp_ne_u32_e64 s[14:15], 0, v2
	v_cmp_ne_u32_e64 s[16:17], 0, v3
	;; [unrolled: 1-line block ×11, first 2 shown]
	s_bcnt1_i32_b64 s3, s[14:15]
	s_bcnt1_i32_b64 s14, s[16:17]
	;; [unrolled: 1-line block ×8, first 2 shown]
	v_cmp_ne_u32_e64 s[36:37], 0, v38
	v_cmp_ne_u32_e64 s[44:45], 0, v42
	s_bcnt1_i32_b64 s19, s[26:27]
	s_bcnt1_i32_b64 s22, s[34:35]
	;; [unrolled: 1-line block ×3, first 2 shown]
	s_add_i32 s2, s2, s3
	s_add_i32 s3, s85, s17
	;; [unrolled: 1-line block ×4, first 2 shown]
	v_cmp_ne_u32_e64 s[28:29], 0, v35
	v_cmp_ne_u32_e64 s[38:39], 0, v39
	;; [unrolled: 1-line block ×3, first 2 shown]
	s_bcnt1_i32_b64 s23, s[36:37]
	s_bcnt1_i32_b64 s27, s[44:45]
	s_add_i32 s2, s2, s14
	s_add_i32 s3, s3, s18
	;; [unrolled: 1-line block ×4, first 2 shown]
	s_bcnt1_i32_b64 s20, s[28:29]
	s_bcnt1_i32_b64 s24, s[38:39]
	;; [unrolled: 1-line block ×3, first 2 shown]
	s_add_i32 s2, s2, s15
	s_add_i32 s3, s3, s19
	;; [unrolled: 1-line block ×8, first 2 shown]
	s_or_b64 s[82:83], vcc, s[82:83]
	v_mov_b32_e32 v2, s2
	v_mov_b32_e32 v3, s85
	;; [unrolled: 1-line block ×4, first 2 shown]
	s_andn2_b64 exec, exec, s[82:83]
	s_cbranch_execnz .LBB91_71
; %bb.72:                               ;   in Loop: Header=BB91_21 Depth=1
	s_or_b64 exec, exec, s[82:83]
	s_mov_b64 s[54:55], s[6:7]
	s_mov_b32 s75, s68
	s_mov_b32 s36, s70
.LBB91_73:                              ;   in Loop: Header=BB91_21 Depth=1
	s_or_b64 exec, exec, s[80:81]
	v_add_u32_e32 v8, s74, v0
	v_cmp_gt_u32_e32 vcc, s69, v8
	s_and_saveexec_b64 s[24:25], vcc
	s_cbranch_execz .LBB91_77
; %bb.74:                               ;   in Loop: Header=BB91_21 Depth=1
	s_and_b32 s2, s73, 0xfe
	v_lshlrev_b32_e32 v17, 2, v8
	s_mov_b64 s[26:27], 0
.LBB91_75:                              ;   Parent Loop BB91_21 Depth=1
                                        ; =>  This Inner Loop Header: Depth=2
	ds_read_b32 v18, v17
	v_add_u32_e32 v8, s62, v8
	v_cmp_le_u32_e32 vcc, s69, v8
	v_add_u32_e32 v17, s84, v17
	s_waitcnt lgkmcnt(0)
	v_xor_b32_e32 v18, 0x80000000, v18
	v_and_b32_e32 v33, s1, v18
	v_bfe_u32 v18, v18, s2, 2
	v_cmp_eq_u32_e64 s[14:15], s77, v33
	v_cmp_eq_u32_e64 s[16:17], 0, v18
	v_cmp_eq_u32_e64 s[18:19], 1, v18
	s_and_b64 s[8:9], s[14:15], s[16:17]
	v_cmp_eq_u32_e64 s[20:21], 2, v18
	v_cmp_eq_u32_e64 s[22:23], 3, v18
	v_cndmask_b32_e64 v18, 0, 1, s[8:9]
	s_and_b64 s[8:9], s[14:15], s[18:19]
	v_cndmask_b32_e64 v33, 0, 1, s[8:9]
	s_and_b64 s[8:9], s[14:15], s[20:21]
	v_cndmask_b32_e64 v34, 0, 1, s[8:9]
	s_and_b64 s[8:9], s[14:15], s[22:23]
	v_cndmask_b32_e64 v35, 0, 1, s[8:9]
	v_cmp_ne_u32_e64 s[14:15], 0, v18
	v_cmp_ne_u32_e64 s[16:17], 0, v33
	;; [unrolled: 1-line block ×4, first 2 shown]
	s_bcnt1_i32_b64 s3, s[14:15]
	s_bcnt1_i32_b64 s8, s[16:17]
	;; [unrolled: 1-line block ×4, first 2 shown]
	v_add_u32_e32 v2, s3, v2
	v_add_u32_e32 v3, s8, v3
	;; [unrolled: 1-line block ×3, first 2 shown]
	s_or_b64 s[26:27], vcc, s[26:27]
	v_add_u32_e32 v5, s14, v5
	s_andn2_b64 exec, exec, s[26:27]
	s_cbranch_execnz .LBB91_75
; %bb.76:                               ;   in Loop: Header=BB91_21 Depth=1
	s_or_b64 exec, exec, s[26:27]
.LBB91_77:                              ;   in Loop: Header=BB91_21 Depth=1
	s_or_b64 exec, exec, s[24:25]
.LBB91_78:                              ;   in Loop: Header=BB91_21 Depth=1
	s_lshl_b32 s2, s0, 6
	s_and_saveexec_b64 s[14:15], s[4:5]
	s_cbranch_execz .LBB91_80
; %bb.79:                               ;   in Loop: Header=BB91_21 Depth=1
	v_or_b32_e32 v8, s2, v22
	v_lshlrev_b32_e32 v8, 2, v8
	s_waitcnt vmcnt(0)
	ds_write_b128 v8, v[2:5] offset:3072
.LBB91_80:                              ;   in Loop: Header=BB91_21 Depth=1
	s_or_b64 exec, exec, s[14:15]
	v_readlane_b32 s6, v50, 8
	v_readlane_b32 s7, v50, 9
	s_waitcnt lgkmcnt(0)
	s_barrier
	s_and_saveexec_b64 s[14:15], s[6:7]
	s_cbranch_execz .LBB91_94
; %bb.81:                               ;   in Loop: Header=BB91_21 Depth=1
	v_readlane_b32 s6, v50, 13
	v_readlane_b32 s7, v50, 14
	v_add_u32_e32 v4, s2, v13
	s_andn2_b64 vcc, exec, s[6:7]
	s_waitcnt vmcnt(0)
	v_mov_b32_e32 v2, 0
	s_cbranch_vccnz .LBB91_93
; %bb.82:                               ;   in Loop: Header=BB91_21 Depth=1
	v_readlane_b32 s6, v50, 17
	v_readlane_b32 s7, v50, 18
	s_mov_b32 s3, 0
	s_and_b64 vcc, exec, s[6:7]
	v_mov_b32_e32 v2, 0
	s_cbranch_vccz .LBB91_86
; %bb.83:                               ;   in Loop: Header=BB91_21 Depth=1
	v_readlane_b32 s6, v50, 21
	v_readlane_b32 s7, v50, 22
	v_lshl_add_u32 v5, v4, 2, v32
	s_andn2_b64 vcc, exec, s[6:7]
	s_cbranch_vccnz .LBB91_87
; %bb.84:                               ;   in Loop: Header=BB91_21 Depth=1
	s_mov_b32 s17, 1
	s_mov_b32 s16, 0
	v_mov_b32_e32 v2, 0
	v_readlane_b32 s3, v50, 23
	v_mov_b32_e32 v3, 0
.LBB91_85:                              ;   Parent Loop BB91_21 Depth=1
                                        ; =>  This Inner Loop Header: Depth=2
	v_lshl_add_u32 v8, s16, 4, v5
	v_lshl_add_u32 v17, s17, 4, v5
	ds_read2_b32 v[34:35], v8 offset1:8
	ds_read2_b32 v[36:37], v17 offset1:8
	ds_read2_b32 v[38:39], v8 offset0:16 offset1:24
	ds_read2_b32 v[40:41], v17 offset0:16 offset1:24
	;; [unrolled: 1-line block ×6, first 2 shown]
	s_waitcnt lgkmcnt(7)
	v_add3_u32 v2, v34, v2, v35
	s_waitcnt lgkmcnt(6)
	v_add3_u32 v3, v36, v3, v37
	;; [unrolled: 2-line block ×3, first 2 shown]
	v_add3_u32 v2, v38, v2, v39
	s_add_i32 s17, s17, 16
	s_add_i32 s16, s16, 16
	s_add_i32 s3, s3, -8
	s_waitcnt lgkmcnt(3)
	v_add3_u32 v2, v42, v2, v43
	s_waitcnt lgkmcnt(2)
	v_add3_u32 v3, v44, v3, v45
	s_cmp_lg_u32 s3, 0
	s_waitcnt lgkmcnt(0)
	v_add3_u32 v3, v48, v3, v49
	v_add3_u32 v2, v46, v2, v47
	s_cbranch_scc1 .LBB91_85
	s_branch .LBB91_88
.LBB91_86:                              ;   in Loop: Header=BB91_21 Depth=1
	s_cbranch_execnz .LBB91_91
	s_branch .LBB91_93
.LBB91_87:                              ;   in Loop: Header=BB91_21 Depth=1
	s_mov_b32 s37, s36
	v_pk_mov_b32 v[2:3], s[36:37], s[36:37] op_sel:[0,1]
	s_mov_b32 s37, 1
	s_mov_b64 s[16:17], s[36:37]
.LBB91_88:                              ;   in Loop: Header=BB91_21 Depth=1
	v_readlane_b32 s6, v50, 25
	v_readlane_b32 s7, v50, 26
	s_andn2_b64 vcc, exec, s[6:7]
	v_readlane_b32 s3, v50, 24
	s_cbranch_vccnz .LBB91_90
.LBB91_89:                              ;   Parent Loop BB91_21 Depth=1
                                        ; =>  This Inner Loop Header: Depth=2
	v_lshl_add_u32 v8, s16, 4, v5
	v_lshl_add_u32 v17, s17, 4, v5
	ds_read_b32 v17, v17
	ds_read_b32 v8, v8
	s_add_i32 s17, s17, 2
	s_add_i32 s16, s16, 2
	s_add_i32 s3, s3, -1
	s_cmp_lg_u32 s3, 0
	s_waitcnt lgkmcnt(1)
	v_add_u32_e32 v3, v17, v3
	s_waitcnt lgkmcnt(0)
	v_add_u32_e32 v2, v8, v2
	s_cbranch_scc1 .LBB91_89
.LBB91_90:                              ;   in Loop: Header=BB91_21 Depth=1
	v_readlane_b32 s16, v50, 29
	v_add_u32_e32 v2, v2, v3
	v_readlane_b32 s3, v50, 28
	v_readlane_b32 s17, v50, 30
	s_and_b64 vcc, exec, s[16:17]
	s_cbranch_vccz .LBB91_93
.LBB91_91:                              ;   in Loop: Header=BB91_21 Depth=1
	s_lshl_b32 s8, s0, 8
	s_lshl_b32 s9, s3, 4
	s_add_i32 s8, s8, s9
	v_readlane_b32 s6, v50, 27
	v_add_u32_e32 v3, s8, v31
	s_sub_i32 s3, s6, s3
.LBB91_92:                              ;   Parent Loop BB91_21 Depth=1
                                        ; =>  This Inner Loop Header: Depth=2
	ds_read_b32 v5, v3
	s_add_i32 s3, s3, -1
	v_add_u32_e32 v3, 16, v3
	s_cmp_eq_u32 s3, 0
	s_waitcnt lgkmcnt(0)
	v_add_u32_e32 v2, v5, v2
	s_cbranch_scc0 .LBB91_92
.LBB91_93:                              ;   in Loop: Header=BB91_21 Depth=1
	v_lshlrev_b32_e32 v3, 2, v4
	ds_write_b32 v3, v2 offset:3072
.LBB91_94:                              ;   in Loop: Header=BB91_21 Depth=1
	s_or_b64 exec, exec, s[14:15]
	s_lshl_b32 s2, s2, 2
	s_waitcnt vmcnt(0)
	v_mov_b32_e32 v2, s2
	s_waitcnt lgkmcnt(0)
	s_barrier
	ds_read_b128 v[2:5], v2 offset:3072
	s_and_b32 s43, s73, 0xfe
	s_lshl_b32 s51, 3, s43
	s_not_b32 s44, s51
	s_mov_b64 s[18:19], -1
	s_waitcnt lgkmcnt(0)
	v_readfirstlane_b32 s28, v2
	s_cmp_eq_u32 s28, 1
	s_cselect_b64 s[2:3], -1, 0
	s_cmp_eq_u32 s79, 1
	s_cselect_b64 s[8:9], -1, 0
	s_and_b64 s[20:21], s[2:3], s[8:9]
	v_readfirstlane_b32 s34, v3
	v_readfirstlane_b32 s42, v4
	;; [unrolled: 1-line block ×3, first 2 shown]
	s_and_b64 vcc, exec, s[20:21]
	s_cbranch_vccz .LBB91_106
; %bb.95:                               ;   in Loop: Header=BB91_21 Depth=1
	ds_read_b32 v2, v9 offset:4104
	v_readlane_b32 s6, v50, 19
	v_readlane_b32 s7, v50, 20
	s_waitcnt lgkmcnt(0)
	s_barrier
	v_readfirstlane_b32 s2, v2
	s_and_saveexec_b64 s[14:15], s[6:7]
	s_cbranch_execz .LBB91_97
; %bb.96:                               ;   in Loop: Header=BB91_21 Depth=1
	ds_write_b32 v21, v9
.LBB91_97:                              ;   in Loop: Header=BB91_21 Depth=1
	s_or_b64 exec, exec, s[14:15]
	s_and_b32 s77, s77, s44
	s_or_b32 s1, s1, s51
	s_cmp_eq_u32 s2, 0
	s_waitcnt lgkmcnt(0)
	s_barrier
	s_cbranch_scc1 .LBB91_107
; %bb.98:                               ;   in Loop: Header=BB91_21 Depth=1
	v_readlane_b32 s3, v50, 10
	s_add_i32 s3, s2, s3
	s_mul_hi_u32 s8, s3, s71
	s_mul_i32 s8, s8, s62
	s_sub_i32 s8, s3, s8
	s_sub_i32 s9, s8, s62
	s_cmp_ge_u32 s8, s62
	s_cselect_b32 s8, s9, s8
	s_sub_i32 s9, s8, s62
	s_cmp_ge_u32 s8, s62
	s_cselect_b32 s8, s9, s8
	s_sub_i32 s3, s3, s8
	v_cmp_gt_u32_e32 vcc, s3, v0
	s_mov_b64 s[14:15], 0
                                        ; implicit-def: $vgpr19
	s_and_saveexec_b64 s[16:17], vcc
	s_cbranch_execz .LBB91_109
; %bb.99:                               ;   in Loop: Header=BB91_21 Depth=1
	v_mov_b32_e32 v2, v20
	v_mov_b32_e32 v3, v0
                                        ; implicit-def: $sgpr22_sgpr23
	s_branch .LBB91_101
.LBB91_100:                             ;   in Loop: Header=BB91_101 Depth=2
	s_or_b64 exec, exec, s[24:25]
	s_waitcnt lgkmcnt(0)
	s_barrier
	ds_read_b64 v[18:19], v9 offset:3072
	v_add_u32_e32 v3, s62, v3
	v_cmp_le_u32_e32 vcc, s3, v3
	v_add_u32_e32 v2, s84, v2
	s_waitcnt lgkmcnt(0)
	v_readfirstlane_b32 s8, v18
	s_cmp_lg_u32 s8, 0
	s_cselect_b64 s[8:9], -1, 0
	s_or_b64 s[24:25], vcc, s[8:9]
	s_and_b64 s[24:25], exec, s[24:25]
	s_or_b64 s[14:15], s[24:25], s[14:15]
	s_andn2_b64 s[22:23], s[22:23], exec
	s_and_b64 s[8:9], s[8:9], exec
	s_or_b64 s[22:23], s[22:23], s[8:9]
	s_barrier
	s_andn2_b64 exec, exec, s[14:15]
	s_cbranch_execz .LBB91_108
.LBB91_101:                             ;   Parent Loop BB91_21 Depth=1
                                        ; =>  This Inner Loop Header: Depth=2
	v_cmp_gt_u32_e32 vcc, s2, v3
	v_mov_b32_e32 v17, 0
	s_and_saveexec_b64 s[24:25], vcc
	s_cbranch_execz .LBB91_103
; %bb.102:                              ;   in Loop: Header=BB91_101 Depth=2
	ds_read_b32 v17, v2
.LBB91_103:                             ;   in Loop: Header=BB91_101 Depth=2
	s_or_b64 exec, exec, s[24:25]
	s_and_saveexec_b64 s[24:25], vcc
	s_cbranch_execz .LBB91_100
; %bb.104:                              ;   in Loop: Header=BB91_101 Depth=2
	s_waitcnt lgkmcnt(0)
	v_xor_b32_e32 v4, 0x80000000, v17
	v_and_b32_e32 v4, s1, v4
	v_cmp_eq_u32_e32 vcc, s77, v4
	s_and_b64 exec, exec, vcc
	s_cbranch_execz .LBB91_100
; %bb.105:                              ;   in Loop: Header=BB91_101 Depth=2
	ds_write_b64 v9, v[16:17] offset:3072
	s_branch .LBB91_100
.LBB91_106:                             ;   in Loop: Header=BB91_21 Depth=1
	s_mov_b64 s[14:15], -1
                                        ; implicit-def: $sgpr16_sgpr17
                                        ; implicit-def: $sgpr24_sgpr25
                                        ; implicit-def: $sgpr22_sgpr23
	s_branch .LBB91_120
.LBB91_107:                             ;   in Loop: Header=BB91_21 Depth=1
	s_mov_b64 s[16:17], -1
	s_mov_b64 s[14:15], 0
                                        ; implicit-def: $sgpr22_sgpr23
                                        ; implicit-def: $vgpr19
	s_mov_b64 s[24:25], s[16:17]
	s_cbranch_execnz .LBB91_110
	s_branch .LBB91_120
.LBB91_108:                             ;   in Loop: Header=BB91_21 Depth=1
	s_or_b64 exec, exec, s[14:15]
	s_and_b64 s[14:15], s[22:23], exec
.LBB91_109:                             ;   in Loop: Header=BB91_21 Depth=1
	s_or_b64 exec, exec, s[16:17]
	s_mov_b64 s[22:23], -1
	s_mov_b64 s[16:17], 0
	s_mov_b64 s[24:25], s[16:17]
	s_branch .LBB91_120
.LBB91_110:                             ;   in Loop: Header=BB91_21 Depth=1
	s_mov_b64 s[14:15], 0
                                        ; implicit-def: $vgpr19
	s_mov_b64 s[16:17], exec
	v_readlane_b32 s2, v50, 33
	v_readlane_b32 s3, v50, 34
	s_and_b64 s[2:3], s[16:17], s[2:3]
	s_mov_b64 exec, s[2:3]
	s_cbranch_execz .LBB91_119
; %bb.111:                              ;   in Loop: Header=BB91_21 Depth=1
	s_mov_b64 s[22:23], 0
	v_mov_b32_e32 v8, v6
	v_mov_b32_e32 v2, v0
                                        ; implicit-def: $sgpr24_sgpr25
	s_branch .LBB91_113
.LBB91_112:                             ;   in Loop: Header=BB91_113 Depth=2
	s_or_b64 exec, exec, s[14:15]
	s_waitcnt lgkmcnt(0)
	s_barrier
	ds_read_b64 v[18:19], v9 offset:3072
	v_add_u32_e32 v2, s62, v2
	v_cmp_le_u32_e32 vcc, s12, v2
	v_add_u32_e32 v8, s76, v8
	s_waitcnt lgkmcnt(0)
	v_readfirstlane_b32 s2, v18
	s_cmp_lg_u32 s2, 0
	s_cselect_b64 s[2:3], -1, 0
	s_or_b64 s[8:9], vcc, s[2:3]
	s_and_b64 s[8:9], exec, s[8:9]
	s_or_b64 s[22:23], s[8:9], s[22:23]
	s_andn2_b64 s[8:9], s[24:25], exec
	s_and_b64 s[2:3], s[2:3], exec
	s_or_b64 s[24:25], s[8:9], s[2:3]
	s_barrier
	s_andn2_b64 exec, exec, s[22:23]
	s_cbranch_execz .LBB91_118
.LBB91_113:                             ;   Parent Loop BB91_21 Depth=1
                                        ; =>  This Inner Loop Header: Depth=2
	v_cmp_gt_u32_e32 vcc, s56, v2
	s_waitcnt vmcnt(0)
	v_mov_b32_e32 v17, 0
	s_and_saveexec_b64 s[26:27], vcc
	s_cbranch_execz .LBB91_115
; %bb.114:                              ;   in Loop: Header=BB91_113 Depth=2
	v_lshlrev_b64 v[4:5], 2, v[8:9]
	v_mov_b32_e32 v3, s60
	v_add_co_u32_e64 v4, s[14:15], s59, v4
	v_addc_co_u32_e64 v5, s[14:15], v3, v5, s[14:15]
	global_load_dword v17, v[4:5], off
.LBB91_115:                             ;   in Loop: Header=BB91_113 Depth=2
	s_or_b64 exec, exec, s[26:27]
	s_and_saveexec_b64 s[14:15], vcc
	s_cbranch_execz .LBB91_112
; %bb.116:                              ;   in Loop: Header=BB91_113 Depth=2
	s_waitcnt vmcnt(0)
	v_xor_b32_e32 v3, 0x80000000, v17
	v_and_b32_e32 v3, s1, v3
	v_cmp_eq_u32_e32 vcc, s77, v3
	s_and_b64 exec, exec, vcc
	s_cbranch_execz .LBB91_112
; %bb.117:                              ;   in Loop: Header=BB91_113 Depth=2
	ds_write_b64 v9, v[16:17] offset:3072
	s_branch .LBB91_112
.LBB91_118:                             ;   in Loop: Header=BB91_21 Depth=1
	s_or_b64 exec, exec, s[22:23]
	s_and_b64 s[14:15], s[24:25], exec
.LBB91_119:                             ;   in Loop: Header=BB91_21 Depth=1
	s_or_b64 exec, exec, s[16:17]
	s_mov_b64 s[24:25], -1
	s_mov_b64 s[16:17], 0
	s_mov_b64 s[22:23], 0
.LBB91_120:                             ;   in Loop: Header=BB91_21 Depth=1
	s_andn2_b64 s[2:3], s[66:67], exec
	s_and_b64 s[8:9], s[16:17], exec
	s_or_b64 s[66:67], s[2:3], s[8:9]
	s_andn2_b64 s[2:3], s[64:65], exec
	s_and_b64 s[8:9], s[24:25], exec
	s_or_b64 s[64:65], s[2:3], s[8:9]
	;; [unrolled: 3-line block ×3, first 2 shown]
	s_and_saveexec_b64 s[16:17], s[14:15]
	s_cbranch_execz .LBB91_20
; %bb.121:                              ;   in Loop: Header=BB91_21 Depth=1
	s_xor_b64 s[2:3], s[20:21], -1
	s_mov_b64 s[14:15], 0
	s_andn2_b64 vcc, exec, s[2:3]
	s_mov_b32 s35, 1
	s_cbranch_vccnz .LBB91_132
; %bb.122:                              ;   in Loop: Header=BB91_21 Depth=1
	s_cmp_gt_u32 s79, s28
	s_mov_b64 s[14:15], -1
                                        ; implicit-def: $sgpr53
                                        ; implicit-def: $sgpr2
                                        ; implicit-def: $sgpr3
	s_cbranch_scc1 .LBB91_128
; %bb.123:                              ;   in Loop: Header=BB91_21 Depth=1
	ds_read_b32 v2, v9 offset:4104
	s_waitcnt lgkmcnt(0)
	v_cmp_ne_u32_e32 vcc, 0, v2
	s_cbranch_vccnz .LBB91_127
; %bb.124:                              ;   in Loop: Header=BB91_21 Depth=1
	s_mov_b64 s[14:15], exec
	v_readlane_b32 s2, v50, 2
	v_readlane_b32 s3, v50, 3
	s_and_b64 s[2:3], s[14:15], s[2:3]
	s_mov_b64 exec, s[2:3]
	s_cbranch_execz .LBB91_126
; %bb.125:                              ;   in Loop: Header=BB91_21 Depth=1
	v_mov_b32_e32 v2, s28
	ds_write_b32 v9, v2 offset:4108
.LBB91_126:                             ;   in Loop: Header=BB91_21 Depth=1
	s_or_b64 exec, exec, s[14:15]
	s_waitcnt lgkmcnt(0)
	s_barrier
.LBB91_127:                             ;   in Loop: Header=BB91_21 Depth=1
	s_and_b32 s2, s77, s44
	s_or_b32 s3, s1, s51
	s_mov_b64 s[14:15], 0
	s_mov_b32 s53, 8
.LBB91_128:                             ;   in Loop: Header=BB91_21 Depth=1
	s_andn2_b64 vcc, exec, s[14:15]
	s_cbranch_vccnz .LBB91_130
; %bb.129:                              ;   in Loop: Header=BB91_21 Depth=1
	s_sub_i32 s79, s79, s28
	s_mov_b64 s[14:15], -1
	s_mov_b32 s53, 0
	s_mov_b32 s2, s77
	;; [unrolled: 1-line block ×3, first 2 shown]
.LBB91_130:                             ;   in Loop: Header=BB91_21 Depth=1
	s_mov_b32 s1, s3
	s_mov_b32 s77, s2
	s_mov_b32 s35, s79
	s_mov_b64 s[18:19], -1
	s_and_b64 vcc, exec, s[14:15]
	s_cbranch_vccnz .LBB91_133
.LBB91_131:                             ;   in Loop: Header=BB91_21 Depth=1
	s_mov_b64 s[30:31], -1
                                        ; implicit-def: $sgpr20_sgpr21
                                        ; implicit-def: $sgpr24_sgpr25
                                        ; implicit-def: $sgpr22_sgpr23
                                        ; implicit-def: $sgpr79
	s_and_saveexec_b64 s[2:3], s[30:31]
	s_xor_b64 s[14:15], exec, s[2:3]
	s_cbranch_execz .LBB91_19
	s_branch .LBB91_256
.LBB91_132:                             ;   in Loop: Header=BB91_21 Depth=1
	s_mov_b32 s53, 1
	s_mov_b64 s[18:19], -1
	s_and_b64 vcc, exec, s[14:15]
	s_cbranch_vccz .LBB91_131
.LBB91_133:                             ;   in Loop: Header=BB91_21 Depth=1
	s_cmp_eq_u32 s34, 1
	s_cselect_b64 s[2:3], -1, 0
	s_cmp_eq_u32 s35, 1
	s_cselect_b64 s[8:9], -1, 0
	s_and_b64 s[28:29], s[2:3], s[8:9]
	s_mov_b64 s[14:15], -1
	s_and_b64 vcc, exec, s[28:29]
	s_cbranch_vccz .LBB91_145
; %bb.134:                              ;   in Loop: Header=BB91_21 Depth=1
	ds_read_b32 v2, v9 offset:4104
	v_readlane_b32 s6, v50, 19
	v_readlane_b32 s7, v50, 20
	s_waitcnt lgkmcnt(0)
	s_barrier
	v_readfirstlane_b32 s2, v2
	s_and_saveexec_b64 s[14:15], s[6:7]
	s_cbranch_execz .LBB91_136
; %bb.135:                              ;   in Loop: Header=BB91_21 Depth=1
	ds_write_b32 v21, v9
.LBB91_136:                             ;   in Loop: Header=BB91_21 Depth=1
	s_or_b64 exec, exec, s[14:15]
	s_lshl_b32 s3, 1, s43
	s_and_b32 s8, s77, s44
	s_or_b32 s77, s8, s3
	s_or_b32 s1, s1, s51
	s_cmp_eq_u32 s2, 0
	s_waitcnt lgkmcnt(0)
	s_barrier
	s_cbranch_scc1 .LBB91_146
; %bb.137:                              ;   in Loop: Header=BB91_21 Depth=1
	v_readlane_b32 s3, v50, 10
	s_add_i32 s3, s2, s3
	s_mul_hi_u32 s8, s3, s71
	s_mul_i32 s8, s8, s62
	s_sub_i32 s8, s3, s8
	s_sub_i32 s9, s8, s62
	s_cmp_ge_u32 s8, s62
	s_cselect_b32 s8, s9, s8
	s_sub_i32 s9, s8, s62
	s_cmp_ge_u32 s8, s62
	s_cselect_b32 s8, s9, s8
	s_sub_i32 s3, s3, s8
	v_cmp_gt_u32_e32 vcc, s3, v0
	s_mov_b64 s[14:15], 0
                                        ; implicit-def: $vgpr19
	s_and_saveexec_b64 s[20:21], vcc
	s_cbranch_execz .LBB91_148
; %bb.138:                              ;   in Loop: Header=BB91_21 Depth=1
	v_mov_b32_e32 v2, v20
	v_mov_b32_e32 v3, v0
                                        ; implicit-def: $sgpr22_sgpr23
	s_branch .LBB91_140
.LBB91_139:                             ;   in Loop: Header=BB91_140 Depth=2
	s_or_b64 exec, exec, s[24:25]
	s_waitcnt lgkmcnt(0)
	s_barrier
	ds_read_b64 v[18:19], v9 offset:3072
	v_add_u32_e32 v3, s62, v3
	v_cmp_le_u32_e32 vcc, s3, v3
	v_add_u32_e32 v2, s84, v2
	s_waitcnt lgkmcnt(0)
	v_readfirstlane_b32 s8, v18
	s_cmp_lg_u32 s8, 0
	s_cselect_b64 s[8:9], -1, 0
	s_or_b64 s[24:25], vcc, s[8:9]
	s_and_b64 s[24:25], exec, s[24:25]
	s_or_b64 s[14:15], s[24:25], s[14:15]
	s_andn2_b64 s[22:23], s[22:23], exec
	s_and_b64 s[8:9], s[8:9], exec
	s_or_b64 s[22:23], s[22:23], s[8:9]
	s_barrier
	s_andn2_b64 exec, exec, s[14:15]
	s_cbranch_execz .LBB91_147
.LBB91_140:                             ;   Parent Loop BB91_21 Depth=1
                                        ; =>  This Inner Loop Header: Depth=2
	v_cmp_gt_u32_e32 vcc, s2, v3
	s_waitcnt vmcnt(0)
	v_mov_b32_e32 v17, 0
	s_and_saveexec_b64 s[24:25], vcc
	s_cbranch_execz .LBB91_142
; %bb.141:                              ;   in Loop: Header=BB91_140 Depth=2
	ds_read_b32 v17, v2
.LBB91_142:                             ;   in Loop: Header=BB91_140 Depth=2
	s_or_b64 exec, exec, s[24:25]
	s_and_saveexec_b64 s[24:25], vcc
	s_cbranch_execz .LBB91_139
; %bb.143:                              ;   in Loop: Header=BB91_140 Depth=2
	s_waitcnt lgkmcnt(0)
	v_xor_b32_e32 v4, 0x80000000, v17
	v_and_b32_e32 v4, s1, v4
	v_cmp_eq_u32_e32 vcc, s77, v4
	s_and_b64 exec, exec, vcc
	s_cbranch_execz .LBB91_139
; %bb.144:                              ;   in Loop: Header=BB91_140 Depth=2
	ds_write_b64 v9, v[16:17] offset:3072
	s_branch .LBB91_139
.LBB91_145:                             ;   in Loop: Header=BB91_21 Depth=1
                                        ; implicit-def: $sgpr22_sgpr23
                                        ; implicit-def: $sgpr24_sgpr25
                                        ; implicit-def: $sgpr20_sgpr21
	s_branch .LBB91_159
.LBB91_146:                             ;   in Loop: Header=BB91_21 Depth=1
	s_mov_b64 s[22:23], -1
	s_mov_b64 s[14:15], 0
                                        ; implicit-def: $sgpr20_sgpr21
                                        ; implicit-def: $vgpr19
	s_mov_b64 s[24:25], s[22:23]
	s_cbranch_execnz .LBB91_149
	s_branch .LBB91_159
.LBB91_147:                             ;   in Loop: Header=BB91_21 Depth=1
	s_or_b64 exec, exec, s[14:15]
	s_and_b64 s[14:15], s[22:23], exec
.LBB91_148:                             ;   in Loop: Header=BB91_21 Depth=1
	s_or_b64 exec, exec, s[20:21]
	s_mov_b64 s[20:21], -1
	s_mov_b64 s[22:23], 0
	s_mov_b64 s[24:25], s[22:23]
	s_branch .LBB91_159
.LBB91_149:                             ;   in Loop: Header=BB91_21 Depth=1
	s_mov_b64 s[14:15], 0
                                        ; implicit-def: $vgpr19
	s_mov_b64 s[20:21], exec
	v_readlane_b32 s2, v50, 33
	v_readlane_b32 s3, v50, 34
	s_and_b64 s[2:3], s[20:21], s[2:3]
	s_mov_b64 exec, s[2:3]
	s_cbranch_execz .LBB91_158
; %bb.150:                              ;   in Loop: Header=BB91_21 Depth=1
	s_mov_b64 s[22:23], 0
	v_mov_b32_e32 v8, v6
	v_mov_b32_e32 v2, v0
                                        ; implicit-def: $sgpr24_sgpr25
	s_branch .LBB91_152
.LBB91_151:                             ;   in Loop: Header=BB91_152 Depth=2
	s_or_b64 exec, exec, s[14:15]
	s_waitcnt lgkmcnt(0)
	s_barrier
	ds_read_b64 v[18:19], v9 offset:3072
	v_add_u32_e32 v2, s62, v2
	v_cmp_le_u32_e32 vcc, s12, v2
	v_add_u32_e32 v8, s76, v8
	s_waitcnt lgkmcnt(0)
	v_readfirstlane_b32 s2, v18
	s_cmp_lg_u32 s2, 0
	s_cselect_b64 s[2:3], -1, 0
	s_or_b64 s[8:9], vcc, s[2:3]
	s_and_b64 s[8:9], exec, s[8:9]
	s_or_b64 s[22:23], s[8:9], s[22:23]
	s_andn2_b64 s[8:9], s[24:25], exec
	s_and_b64 s[2:3], s[2:3], exec
	s_or_b64 s[24:25], s[8:9], s[2:3]
	s_barrier
	s_andn2_b64 exec, exec, s[22:23]
	s_cbranch_execz .LBB91_157
.LBB91_152:                             ;   Parent Loop BB91_21 Depth=1
                                        ; =>  This Inner Loop Header: Depth=2
	v_cmp_gt_u32_e32 vcc, s56, v2
	s_waitcnt vmcnt(0)
	v_mov_b32_e32 v17, 0
	s_and_saveexec_b64 s[26:27], vcc
	s_cbranch_execz .LBB91_154
; %bb.153:                              ;   in Loop: Header=BB91_152 Depth=2
	v_lshlrev_b64 v[4:5], 2, v[8:9]
	v_mov_b32_e32 v3, s60
	v_add_co_u32_e64 v4, s[14:15], s59, v4
	v_addc_co_u32_e64 v5, s[14:15], v3, v5, s[14:15]
	global_load_dword v17, v[4:5], off
.LBB91_154:                             ;   in Loop: Header=BB91_152 Depth=2
	s_or_b64 exec, exec, s[26:27]
	s_and_saveexec_b64 s[14:15], vcc
	s_cbranch_execz .LBB91_151
; %bb.155:                              ;   in Loop: Header=BB91_152 Depth=2
	s_waitcnt vmcnt(0)
	v_xor_b32_e32 v3, 0x80000000, v17
	v_and_b32_e32 v3, s1, v3
	v_cmp_eq_u32_e32 vcc, s77, v3
	s_and_b64 exec, exec, vcc
	s_cbranch_execz .LBB91_151
; %bb.156:                              ;   in Loop: Header=BB91_152 Depth=2
	ds_write_b64 v9, v[16:17] offset:3072
	s_branch .LBB91_151
.LBB91_157:                             ;   in Loop: Header=BB91_21 Depth=1
	s_or_b64 exec, exec, s[22:23]
	s_and_b64 s[14:15], s[24:25], exec
.LBB91_158:                             ;   in Loop: Header=BB91_21 Depth=1
	s_or_b64 exec, exec, s[20:21]
	s_mov_b64 s[24:25], -1
	s_mov_b64 s[22:23], 0
	s_mov_b64 s[20:21], 0
.LBB91_159:                             ;   in Loop: Header=BB91_21 Depth=1
	s_mov_b64 s[30:31], 0
                                        ; implicit-def: $sgpr53
	s_and_saveexec_b64 s[26:27], s[14:15]
	s_cbranch_execz .LBB91_255
; %bb.160:                              ;   in Loop: Header=BB91_21 Depth=1
	s_xor_b64 s[2:3], s[28:29], -1
	s_mov_b64 s[14:15], 0
	s_andn2_b64 vcc, exec, s[2:3]
	s_mov_b32 s45, 1
	s_cbranch_vccnz .LBB91_171
; %bb.161:                              ;   in Loop: Header=BB91_21 Depth=1
	s_cmp_gt_u32 s35, s34
	s_mov_b64 s[14:15], -1
                                        ; implicit-def: $sgpr53
                                        ; implicit-def: $sgpr2
                                        ; implicit-def: $sgpr3
	s_cbranch_scc1 .LBB91_167
; %bb.162:                              ;   in Loop: Header=BB91_21 Depth=1
	ds_read_b32 v2, v9 offset:4104
	s_waitcnt lgkmcnt(0)
	v_cmp_ne_u32_e32 vcc, 0, v2
	s_cbranch_vccnz .LBB91_166
; %bb.163:                              ;   in Loop: Header=BB91_21 Depth=1
	s_mov_b64 s[14:15], exec
	v_readlane_b32 s2, v50, 2
	v_readlane_b32 s3, v50, 3
	s_and_b64 s[2:3], s[14:15], s[2:3]
	s_mov_b64 exec, s[2:3]
	s_cbranch_execz .LBB91_165
; %bb.164:                              ;   in Loop: Header=BB91_21 Depth=1
	v_mov_b32_e32 v2, s34
	ds_write_b32 v9, v2 offset:4108
.LBB91_165:                             ;   in Loop: Header=BB91_21 Depth=1
	s_or_b64 exec, exec, s[14:15]
	s_waitcnt lgkmcnt(0)
	s_barrier
.LBB91_166:                             ;   in Loop: Header=BB91_21 Depth=1
	s_lshl_b32 s2, 1, s43
	s_and_b32 s3, s77, s44
	s_or_b32 s2, s3, s2
	s_or_b32 s3, s1, s51
	s_mov_b64 s[14:15], 0
	s_mov_b32 s53, 8
.LBB91_167:                             ;   in Loop: Header=BB91_21 Depth=1
	s_andn2_b64 vcc, exec, s[14:15]
	s_cbranch_vccnz .LBB91_169
; %bb.168:                              ;   in Loop: Header=BB91_21 Depth=1
	s_sub_i32 s35, s35, s34
	s_mov_b64 s[14:15], -1
	s_mov_b32 s53, 0
	s_mov_b32 s2, s77
	;; [unrolled: 1-line block ×3, first 2 shown]
.LBB91_169:                             ;   in Loop: Header=BB91_21 Depth=1
	s_mov_b32 s1, s3
	s_mov_b32 s77, s2
	;; [unrolled: 1-line block ×3, first 2 shown]
	s_andn2_b64 vcc, exec, s[14:15]
	s_mov_b64 s[40:41], -1
	s_cbranch_vccz .LBB91_172
.LBB91_170:                             ;   in Loop: Header=BB91_21 Depth=1
                                        ; implicit-def: $sgpr30_sgpr31
                                        ; implicit-def: $sgpr34_sgpr35
                                        ; implicit-def: $sgpr28_sgpr29
	s_branch .LBB91_254
.LBB91_171:                             ;   in Loop: Header=BB91_21 Depth=1
	s_mov_b32 s53, 1
	s_andn2_b64 vcc, exec, s[14:15]
	s_mov_b64 s[40:41], -1
	s_cbranch_vccnz .LBB91_170
.LBB91_172:                             ;   in Loop: Header=BB91_21 Depth=1
	s_cmp_eq_u32 s42, 1
	s_cselect_b64 s[2:3], -1, 0
	s_cmp_eq_u32 s45, 1
	s_cselect_b64 s[8:9], -1, 0
	s_and_b64 s[38:39], s[2:3], s[8:9]
	s_mov_b32 s68, s36
	s_mov_b64 s[14:15], -1
	s_and_b64 vcc, exec, s[38:39]
	s_cbranch_vccz .LBB91_184
; %bb.173:                              ;   in Loop: Header=BB91_21 Depth=1
	ds_read_b32 v2, v9 offset:4104
	v_readlane_b32 s6, v50, 19
	v_readlane_b32 s7, v50, 20
	s_waitcnt lgkmcnt(0)
	s_barrier
	v_readfirstlane_b32 s2, v2
	s_and_saveexec_b64 s[14:15], s[6:7]
	s_cbranch_execz .LBB91_175
; %bb.174:                              ;   in Loop: Header=BB91_21 Depth=1
	ds_write_b32 v21, v9
.LBB91_175:                             ;   in Loop: Header=BB91_21 Depth=1
	s_or_b64 exec, exec, s[14:15]
	s_lshl_b32 s3, 2, s43
	s_and_b32 s8, s77, s44
	s_or_b32 s77, s8, s3
	s_or_b32 s1, s1, s51
	s_cmp_eq_u32 s2, 0
	s_waitcnt lgkmcnt(0)
	s_barrier
	s_cbranch_scc1 .LBB91_185
; %bb.176:                              ;   in Loop: Header=BB91_21 Depth=1
	v_readlane_b32 s3, v50, 10
	s_add_i32 s3, s2, s3
	s_mul_hi_u32 s8, s3, s71
	s_mul_i32 s8, s8, s62
	s_sub_i32 s8, s3, s8
	s_sub_i32 s9, s8, s62
	s_cmp_ge_u32 s8, s62
	s_cselect_b32 s8, s9, s8
	s_sub_i32 s9, s8, s62
	s_cmp_ge_u32 s8, s62
	s_cselect_b32 s8, s9, s8
	s_sub_i32 s3, s3, s8
	v_cmp_gt_u32_e32 vcc, s3, v0
	s_mov_b64 s[14:15], 0
                                        ; implicit-def: $vgpr19
	s_and_saveexec_b64 s[28:29], vcc
	s_cbranch_execz .LBB91_187
; %bb.177:                              ;   in Loop: Header=BB91_21 Depth=1
	v_mov_b32_e32 v2, v20
	v_mov_b32_e32 v3, v0
                                        ; implicit-def: $sgpr30_sgpr31
	s_branch .LBB91_179
.LBB91_178:                             ;   in Loop: Header=BB91_179 Depth=2
	s_or_b64 exec, exec, s[34:35]
	s_waitcnt lgkmcnt(0)
	s_barrier
	ds_read_b64 v[18:19], v9 offset:3072
	v_add_u32_e32 v3, s62, v3
	v_cmp_le_u32_e32 vcc, s3, v3
	v_add_u32_e32 v2, s84, v2
	s_waitcnt lgkmcnt(0)
	v_readfirstlane_b32 s8, v18
	s_cmp_lg_u32 s8, 0
	s_cselect_b64 s[8:9], -1, 0
	s_or_b64 s[34:35], vcc, s[8:9]
	s_and_b64 s[34:35], exec, s[34:35]
	s_or_b64 s[14:15], s[34:35], s[14:15]
	s_andn2_b64 s[30:31], s[30:31], exec
	s_and_b64 s[8:9], s[8:9], exec
	s_or_b64 s[30:31], s[30:31], s[8:9]
	s_barrier
	s_andn2_b64 exec, exec, s[14:15]
	s_cbranch_execz .LBB91_186
.LBB91_179:                             ;   Parent Loop BB91_21 Depth=1
                                        ; =>  This Inner Loop Header: Depth=2
	v_cmp_gt_u32_e32 vcc, s2, v3
	s_waitcnt vmcnt(0)
	v_mov_b32_e32 v17, 0
	s_and_saveexec_b64 s[34:35], vcc
	s_cbranch_execz .LBB91_181
; %bb.180:                              ;   in Loop: Header=BB91_179 Depth=2
	ds_read_b32 v17, v2
.LBB91_181:                             ;   in Loop: Header=BB91_179 Depth=2
	s_or_b64 exec, exec, s[34:35]
	s_and_saveexec_b64 s[34:35], vcc
	s_cbranch_execz .LBB91_178
; %bb.182:                              ;   in Loop: Header=BB91_179 Depth=2
	s_waitcnt lgkmcnt(0)
	v_xor_b32_e32 v4, 0x80000000, v17
	v_and_b32_e32 v4, s1, v4
	v_cmp_eq_u32_e32 vcc, s77, v4
	s_and_b64 exec, exec, vcc
	s_cbranch_execz .LBB91_178
; %bb.183:                              ;   in Loop: Header=BB91_179 Depth=2
	ds_write_b64 v9, v[16:17] offset:3072
	s_branch .LBB91_178
.LBB91_184:                             ;   in Loop: Header=BB91_21 Depth=1
                                        ; implicit-def: $sgpr28_sgpr29
                                        ; implicit-def: $sgpr34_sgpr35
                                        ; implicit-def: $sgpr30_sgpr31
	s_branch .LBB91_198
.LBB91_185:                             ;   in Loop: Header=BB91_21 Depth=1
	s_mov_b64 s[28:29], -1
	s_mov_b64 s[14:15], 0
                                        ; implicit-def: $sgpr30_sgpr31
                                        ; implicit-def: $vgpr19
	s_mov_b64 s[34:35], s[28:29]
	s_cbranch_execnz .LBB91_188
	s_branch .LBB91_198
.LBB91_186:                             ;   in Loop: Header=BB91_21 Depth=1
	s_or_b64 exec, exec, s[14:15]
	s_and_b64 s[14:15], s[30:31], exec
.LBB91_187:                             ;   in Loop: Header=BB91_21 Depth=1
	s_or_b64 exec, exec, s[28:29]
	s_mov_b64 s[30:31], -1
	s_mov_b64 s[28:29], 0
	s_mov_b64 s[34:35], s[28:29]
	s_branch .LBB91_198
.LBB91_188:                             ;   in Loop: Header=BB91_21 Depth=1
	s_mov_b64 s[14:15], 0
                                        ; implicit-def: $vgpr19
	s_mov_b64 s[28:29], exec
	v_readlane_b32 s2, v50, 33
	v_readlane_b32 s3, v50, 34
	s_and_b64 s[2:3], s[28:29], s[2:3]
	s_mov_b64 exec, s[2:3]
	s_cbranch_execz .LBB91_197
; %bb.189:                              ;   in Loop: Header=BB91_21 Depth=1
	s_mov_b64 s[30:31], 0
	v_mov_b32_e32 v8, v6
	v_mov_b32_e32 v2, v0
                                        ; implicit-def: $sgpr34_sgpr35
	s_branch .LBB91_191
.LBB91_190:                             ;   in Loop: Header=BB91_191 Depth=2
	s_or_b64 exec, exec, s[14:15]
	s_waitcnt lgkmcnt(0)
	s_barrier
	ds_read_b64 v[18:19], v9 offset:3072
	v_add_u32_e32 v2, s62, v2
	v_cmp_le_u32_e32 vcc, s12, v2
	v_add_u32_e32 v8, s76, v8
	s_waitcnt lgkmcnt(0)
	v_readfirstlane_b32 s2, v18
	s_cmp_lg_u32 s2, 0
	s_cselect_b64 s[2:3], -1, 0
	s_or_b64 s[8:9], vcc, s[2:3]
	s_and_b64 s[8:9], exec, s[8:9]
	s_or_b64 s[30:31], s[8:9], s[30:31]
	s_andn2_b64 s[8:9], s[34:35], exec
	s_and_b64 s[2:3], s[2:3], exec
	s_or_b64 s[34:35], s[8:9], s[2:3]
	s_barrier
	s_andn2_b64 exec, exec, s[30:31]
	s_cbranch_execz .LBB91_196
.LBB91_191:                             ;   Parent Loop BB91_21 Depth=1
                                        ; =>  This Inner Loop Header: Depth=2
	v_cmp_gt_u32_e32 vcc, s56, v2
	s_waitcnt vmcnt(0)
	v_mov_b32_e32 v17, 0
	s_and_saveexec_b64 s[36:37], vcc
	s_cbranch_execz .LBB91_193
; %bb.192:                              ;   in Loop: Header=BB91_191 Depth=2
	v_lshlrev_b64 v[4:5], 2, v[8:9]
	v_mov_b32_e32 v3, s60
	v_add_co_u32_e64 v4, s[14:15], s59, v4
	v_addc_co_u32_e64 v5, s[14:15], v3, v5, s[14:15]
	global_load_dword v17, v[4:5], off
.LBB91_193:                             ;   in Loop: Header=BB91_191 Depth=2
	s_or_b64 exec, exec, s[36:37]
	s_and_saveexec_b64 s[14:15], vcc
	s_cbranch_execz .LBB91_190
; %bb.194:                              ;   in Loop: Header=BB91_191 Depth=2
	s_waitcnt vmcnt(0)
	v_xor_b32_e32 v3, 0x80000000, v17
	v_and_b32_e32 v3, s1, v3
	v_cmp_eq_u32_e32 vcc, s77, v3
	s_and_b64 exec, exec, vcc
	s_cbranch_execz .LBB91_190
; %bb.195:                              ;   in Loop: Header=BB91_191 Depth=2
	ds_write_b64 v9, v[16:17] offset:3072
	s_branch .LBB91_190
.LBB91_196:                             ;   in Loop: Header=BB91_21 Depth=1
	s_or_b64 exec, exec, s[30:31]
	s_and_b64 s[14:15], s[34:35], exec
.LBB91_197:                             ;   in Loop: Header=BB91_21 Depth=1
	s_or_b64 exec, exec, s[28:29]
	s_mov_b64 s[34:35], -1
	s_mov_b64 s[28:29], 0
	s_mov_b64 s[30:31], 0
.LBB91_198:                             ;   in Loop: Header=BB91_21 Depth=1
	s_mov_b64 s[40:41], 0
                                        ; implicit-def: $sgpr53
	s_and_saveexec_b64 s[36:37], s[14:15]
	s_cbranch_execz .LBB91_253
; %bb.199:                              ;   in Loop: Header=BB91_21 Depth=1
	s_xor_b64 s[2:3], s[38:39], -1
	s_mov_b64 s[14:15], 0
	s_andn2_b64 vcc, exec, s[2:3]
	s_mov_b32 s52, 1
	s_cbranch_vccnz .LBB91_210
; %bb.200:                              ;   in Loop: Header=BB91_21 Depth=1
	s_cmp_gt_u32 s45, s42
	s_mov_b64 s[14:15], -1
                                        ; implicit-def: $sgpr53
                                        ; implicit-def: $sgpr2
                                        ; implicit-def: $sgpr3
	s_cbranch_scc1 .LBB91_206
; %bb.201:                              ;   in Loop: Header=BB91_21 Depth=1
	ds_read_b32 v2, v9 offset:4104
	s_waitcnt lgkmcnt(0)
	v_cmp_ne_u32_e32 vcc, 0, v2
	s_cbranch_vccnz .LBB91_205
; %bb.202:                              ;   in Loop: Header=BB91_21 Depth=1
	s_mov_b64 s[14:15], exec
	v_readlane_b32 s2, v50, 2
	v_readlane_b32 s3, v50, 3
	s_and_b64 s[2:3], s[14:15], s[2:3]
	s_mov_b64 exec, s[2:3]
	s_cbranch_execz .LBB91_204
; %bb.203:                              ;   in Loop: Header=BB91_21 Depth=1
	v_mov_b32_e32 v2, s42
	ds_write_b32 v9, v2 offset:4108
.LBB91_204:                             ;   in Loop: Header=BB91_21 Depth=1
	s_or_b64 exec, exec, s[14:15]
	s_waitcnt lgkmcnt(0)
	s_barrier
.LBB91_205:                             ;   in Loop: Header=BB91_21 Depth=1
	s_lshl_b32 s2, 2, s43
	s_and_b32 s3, s77, s44
	s_or_b32 s2, s3, s2
	s_or_b32 s3, s1, s51
	s_mov_b64 s[14:15], 0
	s_mov_b32 s53, 8
.LBB91_206:                             ;   in Loop: Header=BB91_21 Depth=1
	s_andn2_b64 vcc, exec, s[14:15]
	s_cbranch_vccnz .LBB91_208
; %bb.207:                              ;   in Loop: Header=BB91_21 Depth=1
	s_sub_i32 s45, s45, s42
	s_mov_b64 s[14:15], -1
	s_mov_b32 s53, 0
	s_mov_b32 s2, s77
	;; [unrolled: 1-line block ×3, first 2 shown]
.LBB91_208:                             ;   in Loop: Header=BB91_21 Depth=1
	s_mov_b32 s1, s3
	s_mov_b32 s77, s2
	;; [unrolled: 1-line block ×3, first 2 shown]
	s_andn2_b64 vcc, exec, s[14:15]
	s_mov_b64 s[48:49], -1
	s_cbranch_vccz .LBB91_211
.LBB91_209:                             ;   in Loop: Header=BB91_21 Depth=1
                                        ; implicit-def: $sgpr14_sgpr15
                                        ; implicit-def: $sgpr42_sgpr43
                                        ; implicit-def: $sgpr40_sgpr41
	s_branch .LBB91_252
.LBB91_210:                             ;   in Loop: Header=BB91_21 Depth=1
	s_mov_b32 s53, 1
	s_andn2_b64 vcc, exec, s[14:15]
	s_mov_b64 s[48:49], -1
	s_cbranch_vccnz .LBB91_209
.LBB91_211:                             ;   in Loop: Header=BB91_21 Depth=1
	s_cmp_eq_u32 s50, 1
	s_cselect_b64 s[2:3], -1, 0
	s_cmp_eq_u32 s52, 1
	s_cselect_b64 s[8:9], -1, 0
	s_and_b64 s[38:39], s[2:3], s[8:9]
	s_mov_b64 s[44:45], -1
	s_and_b64 vcc, exec, s[38:39]
	s_cbranch_vccz .LBB91_223
; %bb.212:                              ;   in Loop: Header=BB91_21 Depth=1
	ds_read_b32 v2, v9 offset:4104
	v_readlane_b32 s6, v50, 19
	v_readlane_b32 s7, v50, 20
	s_waitcnt lgkmcnt(0)
	s_barrier
	v_readfirstlane_b32 s2, v2
	s_and_saveexec_b64 s[14:15], s[6:7]
	s_cbranch_execz .LBB91_214
; %bb.213:                              ;   in Loop: Header=BB91_21 Depth=1
	ds_write_b32 v21, v9
.LBB91_214:                             ;   in Loop: Header=BB91_21 Depth=1
	s_or_b64 exec, exec, s[14:15]
	s_or_b32 s77, s77, s51
	s_or_b32 s1, s1, s51
	s_cmp_eq_u32 s2, 0
	s_waitcnt lgkmcnt(0)
	s_barrier
	s_cbranch_scc1 .LBB91_224
; %bb.215:                              ;   in Loop: Header=BB91_21 Depth=1
	v_readlane_b32 s3, v50, 10
	s_add_i32 s3, s2, s3
	s_mul_hi_u32 s8, s3, s71
	s_mul_i32 s8, s8, s62
	s_sub_i32 s8, s3, s8
	s_sub_i32 s9, s8, s62
	s_cmp_ge_u32 s8, s62
	s_cselect_b32 s8, s9, s8
	s_sub_i32 s9, s8, s62
	s_cmp_ge_u32 s8, s62
	s_cselect_b32 s8, s9, s8
	s_sub_i32 s3, s3, s8
	v_cmp_gt_u32_e32 vcc, s3, v0
	s_mov_b64 s[44:45], 0
                                        ; implicit-def: $vgpr19
	s_and_saveexec_b64 s[14:15], vcc
	s_cbranch_execz .LBB91_226
; %bb.216:                              ;   in Loop: Header=BB91_21 Depth=1
	v_mov_b32_e32 v2, v20
	v_mov_b32_e32 v3, v0
                                        ; implicit-def: $sgpr42_sgpr43
	s_branch .LBB91_218
.LBB91_217:                             ;   in Loop: Header=BB91_218 Depth=2
	s_or_b64 exec, exec, s[44:45]
	s_waitcnt lgkmcnt(0)
	s_barrier
	ds_read_b64 v[18:19], v9 offset:3072
	v_add_u32_e32 v3, s62, v3
	v_cmp_le_u32_e32 vcc, s3, v3
	v_add_u32_e32 v2, s84, v2
	s_waitcnt lgkmcnt(0)
	v_readfirstlane_b32 s8, v18
	s_cmp_lg_u32 s8, 0
	s_cselect_b64 s[8:9], -1, 0
	s_or_b64 s[44:45], vcc, s[8:9]
	s_and_b64 s[44:45], exec, s[44:45]
	s_or_b64 s[40:41], s[44:45], s[40:41]
	s_andn2_b64 s[42:43], s[42:43], exec
	s_and_b64 s[8:9], s[8:9], exec
	s_or_b64 s[42:43], s[42:43], s[8:9]
	s_barrier
	s_andn2_b64 exec, exec, s[40:41]
	s_cbranch_execz .LBB91_225
.LBB91_218:                             ;   Parent Loop BB91_21 Depth=1
                                        ; =>  This Inner Loop Header: Depth=2
	v_cmp_gt_u32_e32 vcc, s2, v3
	s_waitcnt vmcnt(0)
	v_mov_b32_e32 v17, 0
	s_and_saveexec_b64 s[44:45], vcc
	s_cbranch_execz .LBB91_220
; %bb.219:                              ;   in Loop: Header=BB91_218 Depth=2
	ds_read_b32 v17, v2
.LBB91_220:                             ;   in Loop: Header=BB91_218 Depth=2
	s_or_b64 exec, exec, s[44:45]
	s_and_saveexec_b64 s[44:45], vcc
	s_cbranch_execz .LBB91_217
; %bb.221:                              ;   in Loop: Header=BB91_218 Depth=2
	s_waitcnt lgkmcnt(0)
	v_xor_b32_e32 v4, 0x80000000, v17
	v_and_b32_e32 v4, s1, v4
	v_cmp_eq_u32_e32 vcc, s77, v4
	s_and_b64 exec, exec, vcc
	s_cbranch_execz .LBB91_217
; %bb.222:                              ;   in Loop: Header=BB91_218 Depth=2
	ds_write_b64 v9, v[16:17] offset:3072
	s_branch .LBB91_217
.LBB91_223:                             ;   in Loop: Header=BB91_21 Depth=1
                                        ; implicit-def: $sgpr14_sgpr15
                                        ; implicit-def: $sgpr42_sgpr43
                                        ; implicit-def: $sgpr40_sgpr41
	s_branch .LBB91_237
.LBB91_224:                             ;   in Loop: Header=BB91_21 Depth=1
	s_mov_b64 s[14:15], -1
	s_mov_b64 s[44:45], 0
                                        ; implicit-def: $sgpr40_sgpr41
                                        ; implicit-def: $vgpr19
	s_mov_b64 s[42:43], s[14:15]
	s_cbranch_execnz .LBB91_227
	s_branch .LBB91_237
.LBB91_225:                             ;   in Loop: Header=BB91_21 Depth=1
	s_or_b64 exec, exec, s[40:41]
	s_and_b64 s[44:45], s[42:43], exec
.LBB91_226:                             ;   in Loop: Header=BB91_21 Depth=1
	s_or_b64 exec, exec, s[14:15]
	s_mov_b64 s[40:41], -1
	s_mov_b64 s[14:15], 0
	s_mov_b64 s[42:43], s[14:15]
	s_branch .LBB91_237
.LBB91_227:                             ;   in Loop: Header=BB91_21 Depth=1
	s_mov_b64 s[44:45], 0
                                        ; implicit-def: $vgpr19
	s_mov_b64 s[40:41], exec
	v_readlane_b32 s2, v50, 33
	v_readlane_b32 s3, v50, 34
	s_and_b64 s[2:3], s[40:41], s[2:3]
	s_mov_b64 exec, s[2:3]
	s_cbranch_execz .LBB91_236
; %bb.228:                              ;   in Loop: Header=BB91_21 Depth=1
	s_mov_b64 s[42:43], 0
	v_mov_b32_e32 v8, v6
	v_mov_b32_e32 v2, v0
                                        ; implicit-def: $sgpr44_sgpr45
	s_branch .LBB91_230
.LBB91_229:                             ;   in Loop: Header=BB91_230 Depth=2
	s_or_b64 exec, exec, s[14:15]
	s_waitcnt lgkmcnt(0)
	s_barrier
	ds_read_b64 v[18:19], v9 offset:3072
	v_add_u32_e32 v2, s62, v2
	v_cmp_le_u32_e32 vcc, s12, v2
	v_add_u32_e32 v8, s76, v8
	s_waitcnt lgkmcnt(0)
	v_readfirstlane_b32 s2, v18
	s_cmp_lg_u32 s2, 0
	s_cselect_b64 s[2:3], -1, 0
	s_or_b64 s[8:9], vcc, s[2:3]
	s_and_b64 s[8:9], exec, s[8:9]
	s_or_b64 s[42:43], s[8:9], s[42:43]
	s_andn2_b64 s[8:9], s[44:45], exec
	s_and_b64 s[2:3], s[2:3], exec
	s_or_b64 s[44:45], s[8:9], s[2:3]
	s_barrier
	s_andn2_b64 exec, exec, s[42:43]
	s_cbranch_execz .LBB91_235
.LBB91_230:                             ;   Parent Loop BB91_21 Depth=1
                                        ; =>  This Inner Loop Header: Depth=2
	v_cmp_gt_u32_e32 vcc, s56, v2
	s_waitcnt vmcnt(0)
	v_mov_b32_e32 v17, 0
	s_and_saveexec_b64 s[46:47], vcc
	s_cbranch_execz .LBB91_232
; %bb.231:                              ;   in Loop: Header=BB91_230 Depth=2
	v_lshlrev_b64 v[4:5], 2, v[8:9]
	v_mov_b32_e32 v3, s60
	v_add_co_u32_e64 v4, s[14:15], s59, v4
	v_addc_co_u32_e64 v5, s[14:15], v3, v5, s[14:15]
	global_load_dword v17, v[4:5], off
.LBB91_232:                             ;   in Loop: Header=BB91_230 Depth=2
	s_or_b64 exec, exec, s[46:47]
	s_and_saveexec_b64 s[14:15], vcc
	s_cbranch_execz .LBB91_229
; %bb.233:                              ;   in Loop: Header=BB91_230 Depth=2
	s_waitcnt vmcnt(0)
	v_xor_b32_e32 v3, 0x80000000, v17
	v_and_b32_e32 v3, s1, v3
	v_cmp_eq_u32_e32 vcc, s77, v3
	s_and_b64 exec, exec, vcc
	s_cbranch_execz .LBB91_229
; %bb.234:                              ;   in Loop: Header=BB91_230 Depth=2
	ds_write_b64 v9, v[16:17] offset:3072
	s_branch .LBB91_229
.LBB91_235:                             ;   in Loop: Header=BB91_21 Depth=1
	s_or_b64 exec, exec, s[42:43]
	s_and_b64 s[44:45], s[44:45], exec
.LBB91_236:                             ;   in Loop: Header=BB91_21 Depth=1
	s_or_b64 exec, exec, s[40:41]
	s_mov_b64 s[42:43], -1
	s_mov_b64 s[14:15], 0
	s_mov_b64 s[40:41], 0
.LBB91_237:                             ;   in Loop: Header=BB91_21 Depth=1
	s_mov_b64 s[48:49], 0
                                        ; implicit-def: $sgpr53
	s_and_saveexec_b64 s[46:47], s[44:45]
	s_cbranch_execz .LBB91_251
; %bb.238:                              ;   in Loop: Header=BB91_21 Depth=1
	s_xor_b64 s[2:3], s[38:39], -1
	s_andn2_b64 vcc, exec, s[2:3]
	s_mov_b32 s53, 1
	s_cbranch_vccnz .LBB91_245
; %bb.239:                              ;   in Loop: Header=BB91_21 Depth=1
	s_cmp_gt_u32 s52, s50
	s_cbranch_scc1 .LBB91_246
; %bb.240:                              ;   in Loop: Header=BB91_21 Depth=1
	ds_read_b32 v2, v9 offset:4104
	s_waitcnt lgkmcnt(0)
	v_cmp_ne_u32_e32 vcc, 0, v2
	s_cbranch_vccnz .LBB91_244
; %bb.241:                              ;   in Loop: Header=BB91_21 Depth=1
	s_mov_b64 s[38:39], exec
	v_readlane_b32 s2, v50, 2
	v_readlane_b32 s3, v50, 3
	s_and_b64 s[2:3], s[38:39], s[2:3]
	s_mov_b64 exec, s[2:3]
	s_cbranch_execz .LBB91_243
; %bb.242:                              ;   in Loop: Header=BB91_21 Depth=1
	v_mov_b32_e32 v2, s50
	ds_write_b32 v9, v2 offset:4108
.LBB91_243:                             ;   in Loop: Header=BB91_21 Depth=1
	s_or_b64 exec, exec, s[38:39]
	s_waitcnt lgkmcnt(0)
	s_barrier
.LBB91_244:                             ;   in Loop: Header=BB91_21 Depth=1
	s_or_b32 s2, s77, s51
	s_or_b32 s3, s1, s51
	s_mov_b64 s[38:39], 0
	s_mov_b32 s53, 8
	s_branch .LBB91_247
.LBB91_245:                             ;   in Loop: Header=BB91_21 Depth=1
	s_mov_b32 s52, 1
	s_branch .LBB91_250
.LBB91_246:                             ;   in Loop: Header=BB91_21 Depth=1
	s_mov_b64 s[38:39], -1
                                        ; implicit-def: $sgpr53
                                        ; implicit-def: $sgpr2
                                        ; implicit-def: $sgpr3
.LBB91_247:                             ;   in Loop: Header=BB91_21 Depth=1
	s_andn2_b64 vcc, exec, s[38:39]
	s_cbranch_vccnz .LBB91_249
; %bb.248:                              ;   in Loop: Header=BB91_21 Depth=1
	s_sub_i32 s52, s52, s50
	s_mov_b32 s53, 8
	s_mov_b32 s2, s77
	;; [unrolled: 1-line block ×3, first 2 shown]
.LBB91_249:                             ;   in Loop: Header=BB91_21 Depth=1
	s_mov_b32 s77, s2
	s_mov_b32 s1, s3
.LBB91_250:                             ;   in Loop: Header=BB91_21 Depth=1
	s_mov_b64 s[48:49], exec
.LBB91_251:                             ;   in Loop: Header=BB91_21 Depth=1
	s_or_b64 exec, exec, s[46:47]
.LBB91_252:                             ;   in Loop: Header=BB91_21 Depth=1
	s_andn2_b64 s[2:3], s[28:29], exec
	s_and_b64 s[8:9], s[14:15], exec
	s_or_b64 s[28:29], s[2:3], s[8:9]
	s_andn2_b64 s[2:3], s[34:35], exec
	s_and_b64 s[8:9], s[42:43], exec
	s_or_b64 s[34:35], s[2:3], s[8:9]
	;; [unrolled: 3-line block ×3, first 2 shown]
	s_and_b64 s[40:41], s[48:49], exec
	s_mov_b32 s45, s52
.LBB91_253:                             ;   in Loop: Header=BB91_21 Depth=1
	s_or_b64 exec, exec, s[36:37]
	s_mov_b32 s36, s68
.LBB91_254:                             ;   in Loop: Header=BB91_21 Depth=1
	s_andn2_b64 s[2:3], s[22:23], exec
	s_and_b64 s[8:9], s[28:29], exec
	s_or_b64 s[22:23], s[2:3], s[8:9]
	s_andn2_b64 s[2:3], s[24:25], exec
	s_and_b64 s[8:9], s[34:35], exec
	s_or_b64 s[24:25], s[2:3], s[8:9]
	;; [unrolled: 3-line block ×3, first 2 shown]
	s_and_b64 s[30:31], s[40:41], exec
	s_mov_b32 s35, s45
.LBB91_255:                             ;   in Loop: Header=BB91_21 Depth=1
	s_or_b64 exec, exec, s[26:27]
                                        ; implicit-def: $sgpr79
	s_and_saveexec_b64 s[2:3], s[30:31]
	s_xor_b64 s[14:15], exec, s[2:3]
	s_cbranch_execz .LBB91_19
.LBB91_256:                             ;   in Loop: Header=BB91_21 Depth=1
	s_and_b32 s2, s53, -9
	s_cmp_eq_u32 s2, 0
	s_cbranch_scc1 .LBB91_17
; %bb.257:                              ;   in Loop: Header=BB91_21 Depth=1
	s_mov_b64 s[18:19], -1
                                        ; implicit-def: $sgpr1
                                        ; implicit-def: $sgpr35
                                        ; implicit-def: $sgpr73
                                        ; implicit-def: $sgpr0
	s_mov_b64 s[26:27], -1
	s_branch .LBB91_18
.LBB91_258:
	s_or_b64 exec, exec, s[86:87]
	s_xor_b64 s[8:9], s[92:93], -1
	s_xor_b64 s[0:1], s[88:89], -1
	;; [unrolled: 1-line block ×3, first 2 shown]
	s_mov_b64 s[4:5], 0
	s_and_saveexec_b64 s[2:3], s[0:1]
	s_xor_b64 s[0:1], exec, s[2:3]
	s_cbranch_execnz .LBB91_263
; %bb.259:
	s_andn2_saveexec_b64 s[0:1], s[0:1]
	s_cbranch_execnz .LBB91_276
.LBB91_260:
	s_or_b64 exec, exec, s[0:1]
	s_and_saveexec_b64 s[0:1], s[4:5]
.LBB91_261:
	; divergent unreachable
.LBB91_262:
	s_endpgm
.LBB91_263:
	s_and_saveexec_b64 s[2:3], s[8:9]
	s_xor_b64 s[4:5], exec, s[2:3]
	s_cbranch_execz .LBB91_274
; %bb.264:
	s_and_saveexec_b64 s[2:3], s[6:7]
	s_xor_b64 s[6:7], exec, s[2:3]
; %bb.265:
	v_xor_b32_e32 v19, 0x80000000, v2
; %bb.266:
	s_or_b64 exec, exec, s[6:7]
	v_readlane_b32 s2, v50, 0
	s_mul_i32 s2, s2, s33
	s_add_i32 s2, s2, s61
	s_mov_b32 s3, 0
	s_lshl_b64 s[2:3], s[2:3], 2
	v_readlane_b32 s6, v50, 4
	v_readlane_b32 s7, v50, 5
	s_add_u32 s2, s6, s2
	s_addc_u32 s3, s7, s3
	v_mov_b32_e32 v7, 0
	global_store_dword v7, v19, s[2:3]
	s_and_saveexec_b64 s[6:7], s[54:55]
	s_cbranch_execz .LBB91_273
; %bb.267:
	s_mov_b64 s[2:3], 0
	v_mov_b32_e32 v1, s60
                                        ; implicit-def: $sgpr8_sgpr9
                                        ; implicit-def: $sgpr12_sgpr13
                                        ; implicit-def: $sgpr10_sgpr11
	s_branch .LBB91_269
.LBB91_268:                             ;   in Loop: Header=BB91_269 Depth=1
	s_or_b64 exec, exec, s[14:15]
	s_and_b64 s[14:15], exec, s[12:13]
	s_or_b64 s[2:3], s[14:15], s[2:3]
	s_andn2_b64 s[8:9], s[8:9], exec
	s_and_b64 s[14:15], s[10:11], exec
	s_or_b64 s[8:9], s[8:9], s[14:15]
	s_andn2_b64 exec, exec, s[2:3]
	s_cbranch_execz .LBB91_271
.LBB91_269:                             ; =>This Inner Loop Header: Depth=1
	v_lshlrev_b64 v[2:3], 2, v[6:7]
	v_add_co_u32_e32 v2, vcc, s59, v2
	v_addc_co_u32_e32 v3, vcc, v1, v3, vcc
	global_load_dword v3, v[2:3], off
	v_mov_b32_e32 v2, v0
	s_or_b64 s[10:11], s[10:11], exec
	s_or_b64 s[12:13], s[12:13], exec
                                        ; implicit-def: $vgpr0
	s_waitcnt vmcnt(0)
	v_cmp_ne_u32_e32 vcc, v3, v19
	s_and_saveexec_b64 s[14:15], vcc
	s_cbranch_execz .LBB91_268
; %bb.270:                              ;   in Loop: Header=BB91_269 Depth=1
	v_add_u32_e32 v0, s62, v2
	v_cmp_le_u32_e32 vcc, s56, v0
	s_andn2_b64 s[12:13], s[12:13], exec
	s_and_b64 s[16:17], vcc, exec
	v_add_u32_e32 v6, s76, v6
	s_andn2_b64 s[10:11], s[10:11], exec
	s_or_b64 s[12:13], s[12:13], s[16:17]
	s_branch .LBB91_268
.LBB91_271:
	s_or_b64 exec, exec, s[2:3]
	s_and_saveexec_b64 s[2:3], s[8:9]
	s_xor_b64 s[2:3], exec, s[2:3]
	s_cbranch_execz .LBB91_273
; %bb.272:
	v_readlane_b32 s2, v50, 1
	s_mul_i32 s2, s2, s57
	s_add_i32 s2, s2, s63
	s_mov_b32 s3, 0
	s_lshl_b64 s[2:3], s[2:3], 3
	v_readlane_b32 s8, v50, 6
	v_readlane_b32 s9, v50, 7
	s_add_u32 s2, s8, s2
	s_addc_u32 s3, s9, s3
	v_mov_b32_e32 v3, 0
	global_store_dwordx2 v3, v[2:3], s[2:3]
.LBB91_273:
	s_or_b64 exec, exec, s[6:7]
.LBB91_274:
	s_or_saveexec_b64 s[2:3], s[4:5]
	s_mov_b64 s[4:5], 0
	s_xor_b64 exec, exec, s[2:3]
	s_cbranch_execnz .LBB91_277
.LBB91_275:
	s_or_b64 exec, exec, s[2:3]
	s_and_b64 s[4:5], s[4:5], exec
	s_andn2_saveexec_b64 s[0:1], s[0:1]
	s_cbranch_execz .LBB91_260
.LBB91_276:
	s_or_b64 s[4:5], s[4:5], exec
	s_trap 2
	s_or_b64 exec, exec, s[0:1]
	s_and_saveexec_b64 s[0:1], s[4:5]
	s_cbranch_execnz .LBB91_261
	s_branch .LBB91_262
.LBB91_277:
	s_mov_b64 s[4:5], exec
	s_trap 2
	s_branch .LBB91_275
	.section	.rodata,"a",@progbits
	.p2align	6, 0x0
	.amdhsa_kernel _ZN2at6native12_GLOBAL__N_112gatherMedianIijLin1EEEvNS_4cuda6detail10TensorInfoIT_T0_EENS5_IlS7_EENS5_IKS6_S7_EES7_S7_S7_b
		.amdhsa_group_segment_fixed_size 4120
		.amdhsa_private_segment_fixed_size 0
		.amdhsa_kernarg_size 920
		.amdhsa_user_sgpr_count 6
		.amdhsa_user_sgpr_private_segment_buffer 1
		.amdhsa_user_sgpr_dispatch_ptr 0
		.amdhsa_user_sgpr_queue_ptr 0
		.amdhsa_user_sgpr_kernarg_segment_ptr 1
		.amdhsa_user_sgpr_dispatch_id 0
		.amdhsa_user_sgpr_flat_scratch_init 0
		.amdhsa_user_sgpr_kernarg_preload_length 0
		.amdhsa_user_sgpr_kernarg_preload_offset 0
		.amdhsa_user_sgpr_private_segment_size 0
		.amdhsa_uses_dynamic_stack 0
		.amdhsa_system_sgpr_private_segment_wavefront_offset 0
		.amdhsa_system_sgpr_workgroup_id_x 1
		.amdhsa_system_sgpr_workgroup_id_y 1
		.amdhsa_system_sgpr_workgroup_id_z 1
		.amdhsa_system_sgpr_workgroup_info 0
		.amdhsa_system_vgpr_workitem_id 0
		.amdhsa_next_free_vgpr 51
		.amdhsa_next_free_sgpr 96
		.amdhsa_accum_offset 52
		.amdhsa_reserve_vcc 1
		.amdhsa_reserve_flat_scratch 0
		.amdhsa_float_round_mode_32 0
		.amdhsa_float_round_mode_16_64 0
		.amdhsa_float_denorm_mode_32 3
		.amdhsa_float_denorm_mode_16_64 3
		.amdhsa_dx10_clamp 1
		.amdhsa_ieee_mode 1
		.amdhsa_fp16_overflow 0
		.amdhsa_tg_split 0
		.amdhsa_exception_fp_ieee_invalid_op 0
		.amdhsa_exception_fp_denorm_src 0
		.amdhsa_exception_fp_ieee_div_zero 0
		.amdhsa_exception_fp_ieee_overflow 0
		.amdhsa_exception_fp_ieee_underflow 0
		.amdhsa_exception_fp_ieee_inexact 0
		.amdhsa_exception_int_div_zero 0
	.end_amdhsa_kernel
	.section	.text._ZN2at6native12_GLOBAL__N_112gatherMedianIijLin1EEEvNS_4cuda6detail10TensorInfoIT_T0_EENS5_IlS7_EENS5_IKS6_S7_EES7_S7_S7_b,"axG",@progbits,_ZN2at6native12_GLOBAL__N_112gatherMedianIijLin1EEEvNS_4cuda6detail10TensorInfoIT_T0_EENS5_IlS7_EENS5_IKS6_S7_EES7_S7_S7_b,comdat
.Lfunc_end91:
	.size	_ZN2at6native12_GLOBAL__N_112gatherMedianIijLin1EEEvNS_4cuda6detail10TensorInfoIT_T0_EENS5_IlS7_EENS5_IKS6_S7_EES7_S7_S7_b, .Lfunc_end91-_ZN2at6native12_GLOBAL__N_112gatherMedianIijLin1EEEvNS_4cuda6detail10TensorInfoIT_T0_EENS5_IlS7_EENS5_IKS6_S7_EES7_S7_S7_b
                                        ; -- End function
	.section	.AMDGPU.csdata,"",@progbits
; Kernel info:
; codeLenInByte = 10300
; NumSgprs: 100
; NumVgprs: 51
; NumAgprs: 0
; TotalNumVgprs: 51
; ScratchSize: 0
; MemoryBound: 0
; FloatMode: 240
; IeeeMode: 1
; LDSByteSize: 4120 bytes/workgroup (compile time only)
; SGPRBlocks: 12
; VGPRBlocks: 6
; NumSGPRsForWavesPerEU: 100
; NumVGPRsForWavesPerEU: 51
; AccumOffset: 52
; Occupancy: 8
; WaveLimiterHint : 1
; COMPUTE_PGM_RSRC2:SCRATCH_EN: 0
; COMPUTE_PGM_RSRC2:USER_SGPR: 6
; COMPUTE_PGM_RSRC2:TRAP_HANDLER: 0
; COMPUTE_PGM_RSRC2:TGID_X_EN: 1
; COMPUTE_PGM_RSRC2:TGID_Y_EN: 1
; COMPUTE_PGM_RSRC2:TGID_Z_EN: 1
; COMPUTE_PGM_RSRC2:TIDIG_COMP_CNT: 0
; COMPUTE_PGM_RSRC3_GFX90A:ACCUM_OFFSET: 12
; COMPUTE_PGM_RSRC3_GFX90A:TG_SPLIT: 0
	.section	.text._ZN2at6native12_GLOBAL__N_112gatherMedianIimLi1EEEvNS_4cuda6detail10TensorInfoIT_T0_EENS5_IlS7_EENS5_IKS6_S7_EES7_S7_S7_b,"axG",@progbits,_ZN2at6native12_GLOBAL__N_112gatherMedianIimLi1EEEvNS_4cuda6detail10TensorInfoIT_T0_EENS5_IlS7_EENS5_IKS6_S7_EES7_S7_S7_b,comdat
	.globl	_ZN2at6native12_GLOBAL__N_112gatherMedianIimLi1EEEvNS_4cuda6detail10TensorInfoIT_T0_EENS5_IlS7_EENS5_IKS6_S7_EES7_S7_S7_b ; -- Begin function _ZN2at6native12_GLOBAL__N_112gatherMedianIimLi1EEEvNS_4cuda6detail10TensorInfoIT_T0_EENS5_IlS7_EENS5_IKS6_S7_EES7_S7_S7_b
	.p2align	8
	.type	_ZN2at6native12_GLOBAL__N_112gatherMedianIimLi1EEEvNS_4cuda6detail10TensorInfoIT_T0_EENS5_IlS7_EENS5_IKS6_S7_EES7_S7_S7_b,@function
_ZN2at6native12_GLOBAL__N_112gatherMedianIimLi1EEEvNS_4cuda6detail10TensorInfoIT_T0_EENS5_IlS7_EENS5_IKS6_S7_EES7_S7_S7_b: ; @_ZN2at6native12_GLOBAL__N_112gatherMedianIimLi1EEEvNS_4cuda6detail10TensorInfoIT_T0_EENS5_IlS7_EENS5_IKS6_S7_EES7_S7_S7_b
; %bb.0:
	s_load_dwordx4 s[52:55], s[4:5], 0x4e0
	s_load_dwordx2 s[2:3], s[4:5], 0x500
	s_add_u32 s10, s4, 0x500
	s_addc_u32 s11, s5, 0
	s_mov_b32 s19, 0
	s_waitcnt lgkmcnt(0)
	v_mov_b32_e32 v2, s54
	s_mul_i32 s0, s3, s8
	s_add_i32 s0, s0, s7
	s_mul_i32 s0, s0, s2
	v_mov_b32_e32 v3, s55
	s_add_i32 s18, s0, s6
	v_cmp_ge_u64_e32 vcc, s[18:19], v[2:3]
	s_cbranch_vccnz .LBB92_283
; %bb.1:
	s_load_dwordx2 s[36:37], s[4:5], 0x4f0
	s_load_dwordx2 s[8:9], s[4:5], 0x410
	;; [unrolled: 1-line block ×3, first 2 shown]
	v_cmp_eq_u32_e64 s[14:15], 0, v0
	s_mov_b64 s[12:13], exec
                                        ; implicit-def: $vgpr50 : SGPR spill to VGPR lane
	v_writelane_b32 v50, s14, 0
	v_writelane_b32 v50, s15, 1
	s_and_b64 s[14:15], s[12:13], s[14:15]
	s_mov_b64 exec, s[14:15]
	s_cbranch_execz .LBB92_3
; %bb.2:
	v_mov_b32_e32 v2, 0
	v_mov_b32_e32 v3, v2
	ds_write_b64 v2, v[2:3] offset:5136
.LBB92_3:
	s_or_b64 exec, exec, s[12:13]
	s_load_dwordx2 s[12:13], s[4:5], 0x270
	v_mov_b32_e32 v3, 0
	s_waitcnt lgkmcnt(0)
	s_barrier
	v_writelane_b32 v50, s12, 2
	v_writelane_b32 v50, s13, 3
	s_load_dwordx2 s[12:13], s[4:5], 0x1a0
	s_waitcnt lgkmcnt(0)
	s_barrier
	ds_read_b64 v[4:5], v3 offset:5136
	v_writelane_b32 v50, s12, 4
	v_writelane_b32 v50, s13, 5
	s_load_dwordx2 s[12:13], s[4:5], 0xd0
	s_waitcnt lgkmcnt(0)
	v_writelane_b32 v50, s12, 6
	v_writelane_b32 v50, s13, 7
	s_load_dwordx2 s[12:13], s[4:5], 0x0
	s_waitcnt lgkmcnt(0)
	v_writelane_b32 v50, s12, 8
	v_writelane_b32 v50, s13, 9
	v_readfirstlane_b32 s12, v4
	v_readfirstlane_b32 s13, v5
	s_mov_b64 s[14:15], exec
	v_readlane_b32 s16, v50, 0
	v_readlane_b32 s17, v50, 1
	s_and_b64 s[16:17], s[14:15], s[16:17]
	s_mov_b64 exec, s[16:17]
	s_cbranch_execz .LBB92_5
; %bb.4:
	v_mov_b32_e32 v4, s52
	v_mov_b32_e32 v5, s53
	;; [unrolled: 1-line block ×3, first 2 shown]
	ds_write_b32 v3, v3 offset:5144
	ds_write_b128 v3, v[2:5] offset:5120
.LBB92_5:
	s_or_b64 exec, exec, s[14:15]
	s_load_dword s3, s[4:5], 0x4f8
	v_cmp_lt_i64_e64 s[4:5], s[12:13], 1
	s_mul_i32 s7, s9, s18
	v_mov_b32_e32 v1, v3
	v_mbcnt_lo_u32_b32 v2, -1, 0
	s_waitcnt lgkmcnt(0)
	s_bitcmp1_b32 s3, 0
	s_cselect_b64 s[14:15], -1, 0
	s_not_b64 s[12:13], s[12:13]
	s_or_b64 s[4:5], s[14:15], s[4:5]
	s_add_u32 s12, s12, s52
	s_addc_u32 s13, s13, s53
	s_lshr_b64 s[12:13], s[12:13], 1
	s_add_u32 s3, s12, 1
	s_addc_u32 s9, s13, 0
	s_and_b64 s[4:5], s[4:5], exec
	s_cselect_b32 s72, s3, s52
	s_mul_hi_u32 s3, s8, s18
	s_cselect_b32 s73, s9, s53
	s_add_i32 s5, s3, s7
	s_mov_b32 s4, s18
	v_writelane_b32 v50, s4, 10
	v_writelane_b32 v50, s5, 11
	s_mul_i32 s4, s8, s18
	s_lshl_b64 s[4:5], s[4:5], 2
	s_add_u32 s0, s0, s4
	s_addc_u32 s1, s1, s5
	v_cmp_gt_u64_e64 s[4:5], s[52:53], v[0:1]
	v_mbcnt_hi_u32_b32 v34, -1, v2
	v_writelane_b32 v50, s4, 12
	v_cmp_gt_u32_e32 vcc, 64, v0
	v_cmp_gt_i32_e64 s[8:9], 4, v34
	v_writelane_b32 v50, s5, 13
	s_and_b64 s[46:47], vcc, s[8:9]
	v_cmp_gt_u32_e64 s[8:9], 2, v0
	v_mov_b32_e32 v4, 0x300
	v_writelane_b32 v50, s8, 14
	v_mov_b32_e32 v5, 0
	s_barrier
	v_writelane_b32 v50, s9, 15
	v_cmp_gt_u64_e64 s[8:9], s[52:53], v[4:5]
	s_load_dword s3, s[10:11], 0xc
	v_writelane_b32 v50, s8, 16
	v_writelane_b32 v50, s9, 17
	v_mad_u64_u32 v[4:5], s[8:9], v0, s36, 0
	v_mov_b32_e32 v2, v5
	v_mad_u64_u32 v[6:7], s[8:9], v0, s37, v[2:3]
	s_waitcnt lgkmcnt(0)
	s_and_b32 s33, s3, 0xffff
	s_bfe_u32 s7, s3, 0xa0006
	v_cmp_gt_u16_e64 s[8:9], s3, 63
	v_writelane_b32 v50, s8, 18
	s_add_u32 s3, s33, -1
	v_writelane_b32 v50, s9, 19
	s_addc_u32 s8, 0, -1
	s_add_u32 s87, s3, s52
	s_addc_u32 s69, s8, s53
	s_cmp_lt_u32 s6, s2
	s_cselect_b32 s2, 12, 18
	s_add_u32 s48, s10, s2
	v_writelane_b32 v50, s3, 20
	s_addc_u32 s49, s11, 0
	s_add_i32 s2, s7, -1
	s_bfe_u32 s3, s33, 0x30006
	s_cmp_gt_u32 s2, 6
	v_writelane_b32 v50, s8, 21
	s_cselect_b64 s[8:9], -1, 0
	v_writelane_b32 v50, s8, 22
	s_and_b32 s88, s7, 0x3f8
	v_mov_b32_e32 v5, v6
	v_writelane_b32 v50, s9, 23
	s_cmp_lg_u32 s3, 0
	v_lshlrev_b64 v[6:7], 2, v[4:5]
	v_writelane_b32 v50, s3, 24
	s_cselect_b64 s[2:3], -1, 0
	v_mov_b32_e32 v2, s1
	v_add_co_u32_e32 v12, vcc, s0, v6
	v_writelane_b32 v50, s2, 25
	v_addc_co_u32_e32 v13, vcc, v2, v7, vcc
	v_lshlrev_b64 v[6:7], v34, -1
	v_writelane_b32 v50, s3, 26
	s_lshl_b64 s[2:3], s[36:37], 2
	v_lshlrev_b32_e32 v38, 4, v0
	v_lshrrev_b32_e32 v2, 4, v0
	v_not_b32_e32 v16, v6
	v_writelane_b32 v50, s2, 27
	v_or_b32_e32 v6, 12, v38
	v_and_b32_e32 v36, 60, v2
	v_lshlrev_b32_e32 v2, 2, v34
	v_writelane_b32 v50, s3, 28
	v_mad_u64_u32 v[18:19], s[2:3], s36, v6, 0
	v_and_b32_e32 v37, 0x100, v2
	v_mov_b32_e32 v2, v19
	v_not_b32_e32 v17, v7
	v_mad_u64_u32 v[6:7], s[2:3], s37, v6, v[2:3]
	s_lshl_b64 s[2:3], s[36:37], 4
	v_mov_b32_e32 v19, v6
	v_writelane_b32 v50, s2, 29
	v_or_b32_e32 v6, 8, v38
	v_writelane_b32 v50, s3, 30
	v_mad_u64_u32 v[20:21], s[2:3], s36, v6, 0
	v_mov_b32_e32 v2, v21
	v_mad_u64_u32 v[6:7], s[2:3], s37, v6, v[2:3]
	v_mov_b32_e32 v21, v6
	v_or_b32_e32 v6, 4, v38
	v_writelane_b32 v50, s46, 31
	v_mad_u64_u32 v[22:23], s[2:3], s36, v6, 0
	v_writelane_b32 v50, s47, 32
	v_mov_b32_e32 v2, v23
	v_writelane_b32 v50, s48, 33
	v_cmp_eq_u32_e64 s[4:5], 0, v34
	v_mad_u64_u32 v[6:7], s[2:3], s37, v6, v[2:3]
	v_writelane_b32 v50, s49, 34
	s_mul_i32 s2, s37, s33
	s_mul_hi_u32 s3, s36, s33
	v_writelane_b32 v50, s4, 35
	s_mov_b32 s71, 0
	v_lshlrev_b32_e32 v14, 2, v0
	v_mov_b32_e32 v2, 0xc00
	s_add_i32 s3, s3, s2
	s_mul_i32 s2, s36, s33
	v_writelane_b32 v50, s5, 36
	v_add_u32_e32 v35, 0xc00, v14
	v_mov_b32_e32 v15, v3
	s_mov_b32 s86, s71
	v_mov_b32_e32 v23, v6
	v_lshlrev_b64 v[24:25], 4, v[4:5]
	v_lshl_or_b32 v39, v34, 3, v2
	s_lshl_b32 s89, s33, 2
	s_lshl_b64 s[66:67], s[2:3], 2
	s_mov_b32 s50, 30
	s_mov_b64 s[90:91], 0
	v_mov_b32_e32 v26, 1
	v_mov_b32_e32 v40, 0x4f800000
	;; [unrolled: 1-line block ×3, first 2 shown]
	s_mov_b32 s51, 0
	s_mov_b32 s81, 0
	;; [unrolled: 1-line block ×3, first 2 shown]
	v_writelane_b32 v50, s36, 37
                                        ; implicit-def: $sgpr76_sgpr77
                                        ; implicit-def: $sgpr64_sgpr65
                                        ; implicit-def: $sgpr58_sgpr59
                                        ; implicit-def: $sgpr60_sgpr61
                                        ; implicit-def: $sgpr62_sgpr63
                                        ; implicit-def: $sgpr94_sgpr95
	v_writelane_b32 v50, s37, 38
	s_branch .LBB92_10
.LBB92_6:                               ;   in Loop: Header=BB92_10 Depth=1
	s_xor_b32 s51, s51, 1
	s_add_i32 s12, s50, -2
	s_cmp_eq_u32 s50, 0
	s_mov_b64 s[6:7], 0
	s_cselect_b64 s[8:9], -1, 0
	s_mov_b32 s50, s12
.LBB92_7:                               ;   in Loop: Header=BB92_10 Depth=1
	s_andn2_b64 s[12:13], s[18:19], exec
	s_and_b64 s[6:7], s[6:7], exec
	s_or_b64 s[18:19], s[12:13], s[6:7]
	s_andn2_b64 s[20:21], s[20:21], exec
	s_andn2_b64 s[16:17], s[16:17], exec
	s_orn2_b64 s[12:13], s[8:9], exec
.LBB92_8:                               ;   in Loop: Header=BB92_10 Depth=1
	s_or_b64 exec, exec, s[2:3]
	s_andn2_b64 s[2:3], s[94:95], exec
	s_and_b64 s[6:7], s[18:19], exec
	s_or_b64 s[94:95], s[2:3], s[6:7]
	s_andn2_b64 s[2:3], s[62:63], exec
	s_and_b64 s[6:7], s[20:21], exec
	s_or_b64 s[62:63], s[2:3], s[6:7]
	;; [unrolled: 3-line block ×3, first 2 shown]
	s_orn2_b64 s[16:17], s[12:13], exec
.LBB92_9:                               ;   in Loop: Header=BB92_10 Depth=1
	s_or_b64 exec, exec, s[10:11]
	s_and_b64 s[2:3], exec, s[16:17]
	s_or_b64 s[90:91], s[2:3], s[90:91]
	s_andn2_b64 s[2:3], s[58:59], exec
	s_and_b64 s[6:7], s[94:95], exec
	s_or_b64 s[58:59], s[2:3], s[6:7]
	s_andn2_b64 s[2:3], s[64:65], exec
	s_and_b64 s[6:7], s[62:63], exec
	;; [unrolled: 3-line block ×3, first 2 shown]
	v_mov_b32_e32 v2, s81
	s_or_b64 s[76:77], s[2:3], s[6:7]
	s_andn2_b64 exec, exec, s[90:91]
	s_cbranch_execz .LBB92_279
.LBB92_10:                              ; =>This Loop Header: Depth=1
                                        ;     Child Loop BB92_18 Depth 2
                                        ;     Child Loop BB92_33 Depth 2
	;; [unrolled: 1-line block ×16, first 2 shown]
	ds_read_b128 v[4:7], v3 offset:5120
	s_waitcnt lgkmcnt(0)
	v_readfirstlane_b32 s83, v5
	v_readfirstlane_b32 s82, v4
	s_cmp_lg_u64 s[82:83], 0
	s_cbranch_scc1 .LBB92_40
; %bb.11:                               ;   in Loop: Header=BB92_10 Depth=1
	v_readlane_b32 s2, v50, 16
	v_readlane_b32 s3, v50, 17
	s_and_b64 vcc, exec, s[2:3]
	s_cbranch_vccz .LBB92_26
; %bb.12:                               ;   in Loop: Header=BB92_10 Depth=1
	s_mov_b64 s[2:3], 0x301
	v_cmp_gt_u64_e32 vcc, s[2:3], v[6:7]
	s_mov_b64 s[82:83], 0
	s_mov_b64 s[2:3], 0
	s_cbranch_vccz .LBB92_27
; %bb.13:                               ;   in Loop: Header=BB92_10 Depth=1
	v_mov_b32_e32 v2, 0
	s_mov_b64 s[2:3], exec
	v_readlane_b32 s6, v50, 12
	v_readlane_b32 s7, v50, 13
	s_and_b64 s[6:7], s[2:3], s[6:7]
	s_mov_b64 exec, s[6:7]
	s_cbranch_execz .LBB92_15
; %bb.14:                               ;   in Loop: Header=BB92_10 Depth=1
	global_load_dword v2, v[12:13], off
.LBB92_15:                              ;   in Loop: Header=BB92_10 Depth=1
	s_or_b64 exec, exec, s[2:3]
	s_mov_b64 s[2:3], exec
	v_readlane_b32 s6, v50, 12
	v_readlane_b32 s7, v50, 13
	s_and_b64 s[6:7], s[2:3], s[6:7]
	s_mov_b64 exec, s[6:7]
	s_cbranch_execz .LBB92_143
; %bb.16:                               ;   in Loop: Header=BB92_10 Depth=1
	global_load_ushort v8, v3, s[48:49]
	v_readlane_b32 s12, v50, 27
	v_pk_mov_b32 v[4:5], s[0:1], s[0:1] op_sel:[0,1]
	v_readlane_b32 s13, v50, 28
	s_mov_b64 s[8:9], 0
	s_waitcnt vmcnt(0)
	v_readfirstlane_b32 s6, v8
	s_and_b32 s6, 0xffff, s6
	v_add_u32_e32 v7, s6, v0
	s_mul_i32 s10, s13, s6
	s_mul_hi_u32 s11, s12, s6
	s_mul_i32 s18, s12, s6
	v_mad_u64_u32 v[4:5], s[6:7], s12, v7, v[4:5]
	v_mov_b32_e32 v6, v5
	v_mad_u64_u32 v[6:7], s[6:7], s13, v7, v[6:7]
	s_add_i32 s19, s11, s10
	v_mov_b32_e32 v5, v6
	v_pk_mov_b32 v[6:7], v[0:1], v[0:1] op_sel:[0,1]
	s_branch .LBB92_18
.LBB92_17:                              ;   in Loop: Header=BB92_18 Depth=2
	s_or_b64 exec, exec, s[6:7]
	v_mov_b32_e32 v2, s19
	v_add_co_u32_e32 v4, vcc, s18, v4
	v_addc_co_u32_e32 v5, vcc, v5, v2, vcc
	s_waitcnt vmcnt(0)
	v_mov_b32_e32 v2, v9
	s_andn2_b64 exec, exec, s[8:9]
	s_cbranch_execz .LBB92_143
.LBB92_18:                              ;   Parent Loop BB92_10 Depth=1
                                        ; =>  This Inner Loop Header: Depth=2
	v_add_co_u32_sdwa v6, vcc, v6, v8 dst_sel:DWORD dst_unused:UNUSED_PAD src0_sel:DWORD src1_sel:WORD_0
	v_addc_co_u32_e32 v7, vcc, 0, v7, vcc
	v_cmp_gt_u64_e64 s[6:7], s[52:53], v[6:7]
	v_cmp_le_u64_e32 vcc, s[52:53], v[6:7]
	s_waitcnt lgkmcnt(0)
	v_mov_b32_e32 v10, 0
	v_mov_b32_e32 v9, 0
	s_and_saveexec_b64 s[10:11], s[6:7]
	s_cbranch_execz .LBB92_20
; %bb.19:                               ;   in Loop: Header=BB92_18 Depth=2
	global_load_dword v9, v[4:5], off
.LBB92_20:                              ;   in Loop: Header=BB92_18 Depth=2
	s_or_b64 exec, exec, s[10:11]
	v_xor_b32_e32 v11, 0x80000000, v2
	v_and_b32_e32 v11, s80, v11
	v_cmp_eq_u32_e64 s[10:11], s81, v11
	s_cmp_lg_u64 s[10:11], 0
	s_cselect_b64 s[6:7], -1, 0
	s_and_b64 s[6:7], s[4:5], s[6:7]
	s_and_saveexec_b64 s[12:13], s[6:7]
	s_cbranch_execz .LBB92_24
; %bb.21:                               ;   in Loop: Header=BB92_18 Depth=2
	s_mov_b64 s[16:17], exec
	v_mbcnt_lo_u32_b32 v10, s16, 0
	v_mbcnt_hi_u32_b32 v10, s17, v10
	s_bcnt1_i32_b64 s20, s[10:11]
	v_cmp_eq_u32_e64 s[6:7], 0, v10
                                        ; implicit-def: $vgpr11
	s_and_saveexec_b64 s[14:15], s[6:7]
	s_cbranch_execz .LBB92_23
; %bb.22:                               ;   in Loop: Header=BB92_18 Depth=2
	s_bcnt1_i32_b64 s6, s[16:17]
	s_mul_i32 s6, s20, s6
	v_mov_b32_e32 v11, s6
	ds_add_rtn_u32 v11, v3, v11 offset:5144
.LBB92_23:                              ;   in Loop: Header=BB92_18 Depth=2
	s_or_b64 exec, exec, s[14:15]
	s_waitcnt lgkmcnt(0)
	v_readfirstlane_b32 s6, v11
	v_mov_b32_e32 v11, s6
	v_mad_u32_u24 v10, s20, v10, v11
.LBB92_24:                              ;   in Loop: Header=BB92_18 Depth=2
	s_or_b64 exec, exec, s[12:13]
	ds_bpermute_b32 v10, v37, v10
	s_and_b64 s[6:7], exec, vcc
	s_or_b64 s[8:9], s[6:7], s[8:9]
	s_and_saveexec_b64 s[6:7], s[10:11]
	s_cbranch_execz .LBB92_17
; %bb.25:                               ;   in Loop: Header=BB92_18 Depth=2
	v_and_b32_e32 v27, s10, v16
	v_and_b32_e32 v11, s11, v17
	v_bcnt_u32_b32 v27, v27, 0
	v_bcnt_u32_b32 v11, v11, v27
	v_lshlrev_b32_e32 v11, 2, v11
	s_waitcnt lgkmcnt(0)
	v_lshl_add_u32 v10, v10, 2, v11
	ds_write_b32 v10, v2
	s_branch .LBB92_17
.LBB92_26:                              ;   in Loop: Header=BB92_10 Depth=1
	s_mov_b64 s[82:83], -1
	s_mov_b64 s[2:3], 0
.LBB92_27:                              ;   in Loop: Header=BB92_10 Depth=1
	s_and_b64 vcc, exec, s[82:83]
	s_cbranch_vccz .LBB92_38
.LBB92_28:                              ;   in Loop: Header=BB92_10 Depth=1
	s_waitcnt vmcnt(0)
	v_mov_b32_e32 v2, 0
	s_mov_b64 s[2:3], exec
	v_readlane_b32 s6, v50, 12
	v_readlane_b32 s7, v50, 13
	s_and_b64 s[6:7], s[2:3], s[6:7]
	s_mov_b64 exec, s[6:7]
	s_cbranch_execz .LBB92_30
; %bb.29:                               ;   in Loop: Header=BB92_10 Depth=1
	global_load_dword v2, v[12:13], off
.LBB92_30:                              ;   in Loop: Header=BB92_10 Depth=1
	s_or_b64 exec, exec, s[2:3]
	s_mov_b64 s[2:3], exec
	v_readlane_b32 s6, v50, 12
	v_readlane_b32 s7, v50, 13
	s_and_b64 s[6:7], s[2:3], s[6:7]
	s_mov_b64 exec, s[6:7]
	s_cbranch_execz .LBB92_35
; %bb.31:                               ;   in Loop: Header=BB92_10 Depth=1
	global_load_ushort v8, v3, s[48:49]
	v_readlane_b32 s14, v50, 27
	v_pk_mov_b32 v[4:5], s[0:1], s[0:1] op_sel:[0,1]
	v_readlane_b32 s15, v50, 28
	s_mov_b64 s[8:9], 0
	v_mov_b32_e32 v9, v14
	s_waitcnt vmcnt(0)
	v_readfirstlane_b32 s6, v8
	s_and_b32 s6, 0xffff, s6
	v_add_u32_e32 v7, s6, v0
	s_lshl_b32 s12, s6, 2
	s_mul_i32 s10, s15, s6
	s_mul_hi_u32 s11, s14, s6
	s_mul_i32 s13, s14, s6
	v_mad_u64_u32 v[4:5], s[6:7], s14, v7, v[4:5]
	v_mov_b32_e32 v6, v5
	v_mad_u64_u32 v[6:7], s[6:7], s15, v7, v[6:7]
	s_add_i32 s14, s11, s10
	v_mov_b32_e32 v5, v6
	v_pk_mov_b32 v[6:7], v[0:1], v[0:1] op_sel:[0,1]
	s_branch .LBB92_33
.LBB92_32:                              ;   in Loop: Header=BB92_33 Depth=2
	s_or_b64 exec, exec, s[10:11]
	s_and_b64 s[6:7], exec, vcc
	ds_write_b32 v9, v2
	v_mov_b32_e32 v2, s14
	v_add_co_u32_e32 v4, vcc, s13, v4
	s_or_b64 s[8:9], s[6:7], s[8:9]
	v_add_u32_e32 v9, s12, v9
	v_addc_co_u32_e32 v5, vcc, v5, v2, vcc
	s_waitcnt vmcnt(0)
	v_mov_b32_e32 v2, v10
	s_andn2_b64 exec, exec, s[8:9]
	s_cbranch_execz .LBB92_35
.LBB92_33:                              ;   Parent Loop BB92_10 Depth=1
                                        ; =>  This Inner Loop Header: Depth=2
	v_add_co_u32_sdwa v6, vcc, v6, v8 dst_sel:DWORD dst_unused:UNUSED_PAD src0_sel:DWORD src1_sel:WORD_0
	v_addc_co_u32_e32 v7, vcc, 0, v7, vcc
	v_cmp_gt_u64_e64 s[6:7], s[52:53], v[6:7]
	v_cmp_le_u64_e32 vcc, s[52:53], v[6:7]
	v_mov_b32_e32 v10, 0
	s_and_saveexec_b64 s[10:11], s[6:7]
	s_cbranch_execz .LBB92_32
; %bb.34:                               ;   in Loop: Header=BB92_33 Depth=2
	global_load_dword v10, v[4:5], off
	s_branch .LBB92_32
.LBB92_35:                              ;   in Loop: Header=BB92_10 Depth=1
	s_or_b64 exec, exec, s[2:3]
	s_waitcnt lgkmcnt(0)
	s_barrier
	s_mov_b64 s[2:3], exec
	v_readlane_b32 s6, v50, 0
	v_readlane_b32 s7, v50, 1
	s_and_b64 s[6:7], s[2:3], s[6:7]
	s_mov_b64 exec, s[6:7]
	s_cbranch_execz .LBB92_37
; %bb.36:                               ;   in Loop: Header=BB92_10 Depth=1
	v_pk_mov_b32 v[4:5], s[52:53], s[52:53] op_sel:[0,1]
	ds_write_b64 v3, v[4:5] offset:5120
.LBB92_37:                              ;   in Loop: Header=BB92_10 Depth=1
	s_or_b64 exec, exec, s[2:3]
	s_mov_b64 s[2:3], -1
	s_waitcnt lgkmcnt(0)
	s_barrier
                                        ; implicit-def: $sgpr82_sgpr83
.LBB92_38:                              ;   in Loop: Header=BB92_10 Depth=1
	s_and_b64 vcc, exec, s[2:3]
	s_cbranch_vccz .LBB92_40
; %bb.39:                               ;   in Loop: Header=BB92_10 Depth=1
	ds_read_b64 v[4:5], v3 offset:5120
	s_waitcnt lgkmcnt(0)
	v_readfirstlane_b32 s82, v4
.LBB92_40:                              ;   in Loop: Header=BB92_10 Depth=1
	s_cmp_lt_i32 s82, 1
	s_cbranch_scc0 .LBB92_55
; %bb.41:                               ;   in Loop: Header=BB92_10 Depth=1
	global_load_ushort v2, v3, s[48:49]
	s_mov_b32 s2, s71
	s_waitcnt vmcnt(0)
	v_readfirstlane_b32 s3, v2
	s_and_b32 s70, s3, 0xffff
	s_lshl_b32 s78, s70, 2
	s_mov_b32 s3, s53
	s_cmp_lg_u64 s[2:3], 0
	s_cbranch_scc0 .LBB92_75
; %bb.42:                               ;   in Loop: Header=BB92_10 Depth=1
	v_cvt_f32_u32_e32 v2, s78
	s_sub_u32 s2, 0, s78
	s_subb_u32 s3, 0, 0
	v_mac_f32_e32 v2, 0, v40
	v_rcp_f32_e32 v2, v2
	v_mul_f32_e32 v2, 0x5f7ffffc, v2
	v_mul_f32_e32 v4, 0x2f800000, v2
	v_trunc_f32_e32 v4, v4
	v_mac_f32_e32 v2, 0xcf800000, v4
	v_cvt_u32_f32_e32 v4, v4
	v_cvt_u32_f32_e32 v2, v2
	v_readfirstlane_b32 s6, v4
	v_readfirstlane_b32 s7, v2
	s_mul_i32 s8, s2, s6
	s_mul_hi_u32 s10, s2, s7
	s_mul_i32 s9, s3, s7
	s_add_i32 s8, s10, s8
	s_mul_i32 s11, s2, s7
	s_add_i32 s8, s8, s9
	s_mul_hi_u32 s10, s7, s11
	s_mul_hi_u32 s9, s7, s8
	s_mul_i32 s7, s7, s8
	s_add_u32 s7, s10, s7
	s_addc_u32 s9, 0, s9
	s_mul_hi_u32 s12, s6, s11
	s_mul_i32 s11, s6, s11
	s_add_u32 s7, s7, s11
	s_mul_hi_u32 s10, s6, s8
	s_addc_u32 s7, s9, s12
	s_addc_u32 s9, s10, 0
	s_mul_i32 s8, s6, s8
	s_add_u32 s7, s7, s8
	s_addc_u32 s8, 0, s9
	v_add_co_u32_e32 v2, vcc, s7, v2
	s_cmp_lg_u64 vcc, 0
	s_addc_u32 s6, s6, s8
	v_readfirstlane_b32 s8, v2
	s_mul_i32 s7, s2, s6
	s_mul_hi_u32 s9, s2, s8
	s_add_i32 s7, s9, s7
	s_mul_i32 s3, s3, s8
	s_add_i32 s7, s7, s3
	s_mul_i32 s2, s2, s8
	s_mul_hi_u32 s9, s6, s2
	s_mul_i32 s10, s6, s2
	s_mul_i32 s12, s8, s7
	s_mul_hi_u32 s2, s8, s2
	s_mul_hi_u32 s11, s8, s7
	s_add_u32 s2, s2, s12
	s_addc_u32 s8, 0, s11
	s_add_u32 s2, s2, s10
	s_mul_hi_u32 s3, s6, s7
	s_addc_u32 s2, s8, s9
	s_addc_u32 s3, s3, 0
	s_mul_i32 s7, s6, s7
	s_add_u32 s2, s2, s7
	s_addc_u32 s3, 0, s3
	v_add_co_u32_e32 v2, vcc, s2, v2
	s_cmp_lg_u64 vcc, 0
	s_addc_u32 s2, s6, s3
	v_readfirstlane_b32 s7, v2
	s_mul_i32 s6, s52, s2
	s_mul_hi_u32 s8, s52, s7
	s_mul_hi_u32 s3, s52, s2
	s_add_u32 s6, s8, s6
	s_addc_u32 s3, 0, s3
	s_mul_hi_u32 s9, s53, s7
	s_mul_i32 s7, s53, s7
	s_add_u32 s6, s6, s7
	s_mul_hi_u32 s8, s53, s2
	s_addc_u32 s3, s3, s9
	s_addc_u32 s6, s8, 0
	s_mul_i32 s2, s53, s2
	s_add_u32 s2, s3, s2
	s_addc_u32 s3, 0, s6
	s_mul_hi_u32 s6, s78, s2
	s_mul_i32 s2, s78, s2
	s_mul_i32 s3, s78, s3
	v_mov_b32_e32 v2, s2
	s_add_i32 s6, s6, s3
	v_sub_co_u32_e32 v2, vcc, s52, v2
	s_cmp_lg_u64 vcc, 0
	s_subb_u32 s2, s53, s6
	v_subrev_co_u32_e32 v4, vcc, s78, v2
	s_cmp_lg_u64 vcc, 0
	s_subb_u32 s3, s2, 0
	v_subrev_co_u32_e32 v5, vcc, s78, v4
	s_cmp_lg_u64 vcc, 0
	s_subb_u32 s6, s3, 0
	v_cmp_le_u32_e32 vcc, s78, v4
	s_cmp_eq_u32 s3, 0
	v_cndmask_b32_e64 v6, 0, -1, vcc
	s_cselect_b64 vcc, -1, 0
	v_cndmask_b32_e32 v6, -1, v6, vcc
	v_mov_b32_e32 v7, s3
	v_mov_b32_e32 v8, s6
	v_cmp_ne_u32_e32 vcc, 0, v6
	v_cndmask_b32_e32 v6, v7, v8, vcc
	v_cndmask_b32_e32 v4, v4, v5, vcc
	v_cmp_le_u32_e32 vcc, s78, v2
	s_cmp_eq_u32 s2, 0
	v_cndmask_b32_e64 v5, 0, -1, vcc
	s_cselect_b64 vcc, -1, 0
	v_cndmask_b32_e32 v5, -1, v5, vcc
	v_mov_b32_e32 v7, s2
	v_cmp_ne_u32_e32 vcc, 0, v5
	v_cndmask_b32_e32 v5, v7, v6, vcc
	v_cndmask_b32_e32 v4, v2, v4, vcc
	s_cbranch_execnz .LBB92_44
.LBB92_43:                              ;   in Loop: Header=BB92_10 Depth=1
	v_cvt_f32_u32_e32 v2, s78
	s_sub_i32 s2, 0, s78
	v_rcp_iflag_f32_e32 v2, v2
	v_mul_f32_e32 v2, 0x4f7ffffe, v2
	v_cvt_u32_f32_e32 v2, v2
	v_mul_lo_u32 v4, s2, v2
	v_mul_hi_u32 v4, v2, v4
	v_add_u32_e32 v2, v2, v4
	v_mul_hi_u32 v2, s52, v2
	v_mul_lo_u32 v2, v2, s78
	v_sub_u32_e32 v2, s52, v2
	v_subrev_u32_e32 v4, s78, v2
	v_cmp_le_u32_e32 vcc, s78, v2
	v_cndmask_b32_e32 v2, v2, v4, vcc
	v_subrev_u32_e32 v4, s78, v2
	v_cmp_le_u32_e32 vcc, s78, v2
	v_cndmask_b32_e32 v2, v2, v4, vcc
	v_pk_mov_b32 v[4:5], v[2:3], v[2:3] op_sel:[0,1]
.LBB92_44:                              ;   in Loop: Header=BB92_10 Depth=1
	v_mov_b32_e32 v2, s53
	v_sub_co_u32_e32 v30, vcc, s52, v4
	v_subb_co_u32_e32 v31, vcc, v2, v5, vcc
	v_pk_mov_b32 v[4:5], 0, 0
	v_cmp_gt_u64_e32 vcc, v[30:31], v[14:15]
	s_mov_b64 s[54:55], 0
	v_pk_mov_b32 v[6:7], v[4:5], v[4:5] op_sel:[0,1]
	v_pk_mov_b32 v[8:9], v[4:5], v[4:5] op_sel:[0,1]
	;; [unrolled: 1-line block ×3, first 2 shown]
	s_and_saveexec_b64 s[84:85], vcc
	s_cbranch_execz .LBB92_48
; %bb.45:                               ;   in Loop: Header=BB92_10 Depth=1
	v_readlane_b32 s6, v50, 29
	v_readlane_b32 s7, v50, 30
	s_mul_i32 s2, s7, s70
	s_mul_hi_u32 s3, s6, s70
	s_mov_b64 s[56:57], s[76:77]
	s_mov_b64 s[92:93], s[62:63]
	;; [unrolled: 1-line block ×4, first 2 shown]
	s_mov_b32 s74, s51
	s_mov_b32 s5, s69
	;; [unrolled: 1-line block ×4, first 2 shown]
	s_and_b32 s83, s50, 0xfe
	s_add_i32 s73, s3, s2
	s_mul_i32 s87, s6, s70
	s_mov_b64 s[68:69], s[0:1]
	s_mov_b64 s[8:9], 0
	;; [unrolled: 1-line block ×5, first 2 shown]
	v_pk_mov_b32 v[32:33], v[14:15], v[14:15] op_sel:[0,1]
.LBB92_46:                              ;   Parent Loop BB92_10 Depth=1
                                        ; =>  This Inner Loop Header: Depth=2
	v_add_co_u32_e64 v32, s[6:7], s78, v32
	v_addc_co_u32_e64 v33, s[6:7], 0, v33, s[6:7]
	v_mov_b32_e32 v2, s69
	v_add_co_u32_e32 v4, vcc, s68, v22
	v_add_co_u32_e64 v10, s[6:7], s68, v24
	v_add_co_u32_e64 v6, s[10:11], s68, v20
	;; [unrolled: 1-line block ×3, first 2 shown]
	v_addc_co_u32_e64 v11, s[6:7], v2, v25, s[6:7]
	v_addc_co_u32_e32 v5, vcc, v2, v23, vcc
	v_addc_co_u32_e64 v7, vcc, v2, v21, s[10:11]
	v_addc_co_u32_e64 v9, vcc, v2, v19, s[12:13]
	global_load_dword v2, v[10:11], off
	s_nop 0
	global_load_dword v4, v[4:5], off
	s_nop 0
	;; [unrolled: 2-line block ×3, first 2 shown]
	global_load_dword v6, v[8:9], off
	v_cmp_ge_u64_e32 vcc, v[32:33], v[30:31]
	s_waitcnt vmcnt(3)
	v_xor_b32_e32 v2, 0x80000000, v2
	s_waitcnt vmcnt(2)
	v_xor_b32_e32 v4, 0x80000000, v4
	v_and_b32_e32 v7, s80, v2
	v_bfe_u32 v2, v2, s83, 2
	s_waitcnt vmcnt(1)
	v_xor_b32_e32 v5, 0x80000000, v5
	v_and_b32_e32 v8, s80, v4
	v_bfe_u32 v4, v4, s83, 2
	v_cmp_eq_u32_e64 s[16:17], s81, v7
	v_cmp_eq_u32_e64 s[6:7], 0, v2
	s_waitcnt vmcnt(0)
	v_xor_b32_e32 v6, 0x80000000, v6
	v_and_b32_e32 v9, s80, v5
	v_bfe_u32 v5, v5, s83, 2
	v_cmp_eq_u32_e64 s[14:15], s81, v8
	v_cmp_eq_u32_e64 s[28:29], 0, v4
	s_and_b64 s[6:7], s[16:17], s[6:7]
	v_and_b32_e32 v10, s80, v6
	v_bfe_u32 v6, v6, s83, 2
	v_cmp_eq_u32_e64 s[12:13], s81, v9
	v_cmp_eq_u32_e64 s[30:31], 0, v5
	;; [unrolled: 1-line block ×5, first 2 shown]
	v_cndmask_b32_e64 v2, 0, 1, s[6:7]
	s_and_b64 s[6:7], s[14:15], s[28:29]
	v_cmp_eq_u32_e64 s[10:11], s81, v10
	v_cmp_eq_u32_e64 s[34:35], 0, v6
	v_cmp_eq_u32_e64 s[38:39], 1, v4
	v_cmp_eq_u32_e64 s[46:47], 2, v4
	v_cmp_eq_u32_e64 s[22:23], 3, v4
	v_cndmask_b32_e64 v4, 0, 1, s[6:7]
	s_and_b64 s[6:7], s[12:13], s[30:31]
	v_cmp_eq_u32_e64 s[40:41], 1, v5
	v_cmp_eq_u32_e64 s[48:49], 2, v5
	;; [unrolled: 1-line block ×3, first 2 shown]
	v_cndmask_b32_e64 v5, 0, 1, s[6:7]
	s_and_b64 s[6:7], s[10:11], s[34:35]
	v_cmp_eq_u32_e64 s[42:43], 1, v6
	v_cmp_eq_u32_e64 s[50:51], 2, v6
	;; [unrolled: 1-line block ×3, first 2 shown]
	v_cndmask_b32_e64 v6, 0, 1, s[6:7]
	v_cmp_ne_u32_e64 s[6:7], 0, v2
	v_cmp_ne_u32_e64 s[28:29], 0, v4
	v_cmp_ne_u32_e64 s[30:31], 0, v5
	v_cmp_ne_u32_e64 s[34:35], 0, v6
	s_bcnt1_i32_b64 s6, s[6:7]
	s_bcnt1_i32_b64 s7, s[28:29]
	s_bcnt1_i32_b64 s28, s[30:31]
	s_bcnt1_i32_b64 s29, s[34:35]
	s_add_u32 s6, s6, s26
	s_addc_u32 s26, 0, s27
	s_add_u32 s6, s6, s7
	s_addc_u32 s7, s26, 0
	s_add_u32 s6, s6, s28
	s_addc_u32 s7, s7, 0
	s_add_u32 s26, s6, s29
	s_addc_u32 s27, s7, 0
	s_and_b64 s[6:7], s[16:17], s[36:37]
	v_cndmask_b32_e64 v2, 0, 1, s[6:7]
	s_and_b64 s[6:7], s[14:15], s[38:39]
	v_cndmask_b32_e64 v6, 0, 1, s[6:7]
	s_and_b64 s[6:7], s[12:13], s[40:41]
	v_cndmask_b32_e64 v7, 0, 1, s[6:7]
	s_and_b64 s[6:7], s[10:11], s[42:43]
	v_cndmask_b32_e64 v8, 0, 1, s[6:7]
	v_cmp_ne_u32_e64 s[6:7], 0, v2
	v_cmp_ne_u32_e64 s[28:29], 0, v6
	v_cmp_ne_u32_e64 s[30:31], 0, v7
	v_cmp_ne_u32_e64 s[34:35], 0, v8
	s_bcnt1_i32_b64 s6, s[6:7]
	s_bcnt1_i32_b64 s7, s[28:29]
	s_bcnt1_i32_b64 s28, s[30:31]
	s_bcnt1_i32_b64 s29, s[34:35]
	s_add_u32 s2, s6, s2
	s_addc_u32 s3, 0, s3
	s_add_u32 s2, s2, s7
	s_addc_u32 s3, s3, 0
	s_add_u32 s2, s2, s28
	s_addc_u32 s3, s3, 0
	s_add_u32 s2, s2, s29
	s_addc_u32 s3, s3, 0
	s_and_b64 s[6:7], s[16:17], s[44:45]
	v_cndmask_b32_e64 v2, 0, 1, s[6:7]
	s_and_b64 s[6:7], s[14:15], s[46:47]
	v_cndmask_b32_e64 v8, 0, 1, s[6:7]
	s_and_b64 s[6:7], s[12:13], s[48:49]
	v_cndmask_b32_e64 v9, 0, 1, s[6:7]
	s_and_b64 s[6:7], s[10:11], s[50:51]
	;; [unrolled: 24-line block ×3, first 2 shown]
	v_cndmask_b32_e64 v27, 0, 1, s[6:7]
	v_cmp_ne_u32_e64 s[6:7], 0, v2
	v_cmp_ne_u32_e64 s[10:11], 0, v10
	;; [unrolled: 1-line block ×4, first 2 shown]
	s_bcnt1_i32_b64 s6, s[6:7]
	s_bcnt1_i32_b64 s7, s[10:11]
	;; [unrolled: 1-line block ×4, first 2 shown]
	s_add_u32 s6, s6, s8
	s_addc_u32 s8, 0, s9
	s_add_u32 s6, s6, s7
	s_addc_u32 s7, s8, 0
	;; [unrolled: 2-line block ×5, first 2 shown]
	v_pk_mov_b32 v[4:5], s[26:27], s[26:27] op_sel:[0,1]
	v_pk_mov_b32 v[6:7], s[2:3], s[2:3] op_sel:[0,1]
	;; [unrolled: 1-line block ×3, first 2 shown]
	s_or_b64 s[54:55], vcc, s[54:55]
	v_pk_mov_b32 v[10:11], s[8:9], s[8:9] op_sel:[0,1]
	s_andn2_b64 exec, exec, s[54:55]
	s_cbranch_execnz .LBB92_46
; %bb.47:                               ;   in Loop: Header=BB92_10 Depth=1
	s_or_b64 exec, exec, s[54:55]
	v_readlane_b32 s46, v50, 31
	v_readlane_b32 s48, v50, 33
	s_mov_b32 s69, s5
	v_readlane_b32 s4, v50, 35
	v_readlane_b32 s36, v50, 37
	;; [unrolled: 1-line block ×3, first 2 shown]
	s_mov_b32 s87, s72
	v_readlane_b32 s49, v50, 34
	s_mov_b32 s50, s79
	v_readlane_b32 s5, v50, 36
	s_mov_b32 s51, s74
	s_mov_b64 s[72:73], s[60:61]
	s_mov_b64 s[60:61], s[62:63]
	;; [unrolled: 1-line block ×4, first 2 shown]
	v_readlane_b32 s37, v50, 38
.LBB92_48:                              ;   in Loop: Header=BB92_10 Depth=1
	s_or_b64 exec, exec, s[84:85]
	v_add_co_u32_e32 v30, vcc, v30, v0
	v_addc_co_u32_e32 v31, vcc, 0, v31, vcc
	v_cmp_gt_u64_e32 vcc, s[52:53], v[30:31]
	v_mov_b32_e32 v2, 0
	s_and_saveexec_b64 s[2:3], vcc
	s_cbranch_execz .LBB92_50
; %bb.49:                               ;   in Loop: Header=BB92_10 Depth=1
	v_mul_lo_u32 v2, v31, s36
	v_mul_lo_u32 v27, v30, s37
	v_mad_u64_u32 v[32:33], s[6:7], v30, s36, 0
	v_add3_u32 v33, v33, v27, v2
	v_lshlrev_b64 v[32:33], 2, v[32:33]
	v_mov_b32_e32 v2, s1
	v_add_co_u32_e64 v32, s[6:7], s0, v32
	v_addc_co_u32_e64 v33, s[6:7], v2, v33, s[6:7]
	global_load_dword v2, v[32:33], off
.LBB92_50:                              ;   in Loop: Header=BB92_10 Depth=1
	s_or_b64 exec, exec, s[2:3]
	s_and_saveexec_b64 s[2:3], vcc
	s_cbranch_execz .LBB92_57
; %bb.51:                               ;   in Loop: Header=BB92_10 Depth=1
	s_and_b32 s12, s50, 0xfe
	s_mov_b64 s[8:9], 0
	s_branch .LBB92_53
.LBB92_52:                              ;   in Loop: Header=BB92_53 Depth=2
	s_or_b64 exec, exec, s[10:11]
	s_waitcnt vmcnt(0)
	v_xor_b32_e32 v2, 0x80000000, v2
	s_and_b64 s[6:7], exec, vcc
	v_and_b32_e32 v28, s80, v2
	v_bfe_u32 v2, v2, s12, 2
	s_or_b64 s[8:9], s[6:7], s[8:9]
	v_cmp_eq_u32_e32 vcc, s81, v28
	v_cmp_eq_u32_e64 s[6:7], 0, v2
	s_and_b64 s[6:7], vcc, s[6:7]
	v_cndmask_b32_e64 v28, 0, 1, s[6:7]
	v_cmp_ne_u32_e64 s[6:7], 0, v28
	s_bcnt1_i32_b64 s6, s[6:7]
	v_add_co_u32_e64 v4, s[6:7], s6, v4
	v_addc_co_u32_e64 v5, s[6:7], 0, v5, s[6:7]
	v_cmp_eq_u32_e64 s[6:7], 1, v2
	s_and_b64 s[6:7], vcc, s[6:7]
	v_cndmask_b32_e64 v28, 0, 1, s[6:7]
	v_cmp_ne_u32_e64 s[6:7], 0, v28
	s_bcnt1_i32_b64 s6, s[6:7]
	v_add_co_u32_e64 v6, s[6:7], s6, v6
	v_addc_co_u32_e64 v7, s[6:7], 0, v7, s[6:7]
	;; [unrolled: 7-line block ×3, first 2 shown]
	v_cmp_eq_u32_e64 s[6:7], 3, v2
	s_and_b64 s[6:7], vcc, s[6:7]
	v_cndmask_b32_e64 v2, 0, 1, s[6:7]
	v_cmp_ne_u32_e32 vcc, 0, v2
	s_bcnt1_i32_b64 s6, vcc
	v_add_co_u32_e32 v10, vcc, s6, v10
	v_addc_co_u32_e32 v11, vcc, 0, v11, vcc
	v_mov_b32_e32 v2, v27
	s_andn2_b64 exec, exec, s[8:9]
	s_cbranch_execz .LBB92_56
.LBB92_53:                              ;   Parent Loop BB92_10 Depth=1
                                        ; =>  This Inner Loop Header: Depth=2
	v_mov_b32_e32 v27, s71
	v_add_co_u32_e32 v30, vcc, s70, v30
	v_addc_co_u32_e32 v31, vcc, v31, v27, vcc
	v_cmp_gt_u64_e64 s[6:7], s[52:53], v[30:31]
	v_cmp_le_u64_e32 vcc, s[52:53], v[30:31]
	v_mov_b32_e32 v27, 0
	s_and_saveexec_b64 s[10:11], s[6:7]
	s_cbranch_execz .LBB92_52
; %bb.54:                               ;   in Loop: Header=BB92_53 Depth=2
	v_mul_lo_u32 v27, v31, s36
	v_mul_lo_u32 v28, v30, s37
	v_mad_u64_u32 v[32:33], s[6:7], v30, s36, 0
	v_add3_u32 v33, v33, v28, v27
	v_lshlrev_b64 v[32:33], 2, v[32:33]
	v_mov_b32_e32 v27, s1
	v_add_co_u32_e64 v32, s[6:7], s0, v32
	v_addc_co_u32_e64 v33, s[6:7], v27, v33, s[6:7]
	global_load_dword v27, v[32:33], off
	s_branch .LBB92_52
.LBB92_55:                              ;   in Loop: Header=BB92_10 Depth=1
                                        ; implicit-def: $vgpr10_vgpr11
                                        ; implicit-def: $vgpr6_vgpr7
	s_cbranch_execnz .LBB92_58
	s_branch .LBB92_67
.LBB92_56:                              ;   in Loop: Header=BB92_10 Depth=1
	s_or_b64 exec, exec, s[8:9]
.LBB92_57:                              ;   in Loop: Header=BB92_10 Depth=1
	s_or_b64 exec, exec, s[2:3]
	s_branch .LBB92_67
.LBB92_58:                              ;   in Loop: Header=BB92_10 Depth=1
	global_load_ushort v2, v3, s[48:49]
	s_mov_b64 s[54:55], 0
	s_waitcnt vmcnt(0)
	v_readfirstlane_b32 s2, v2
	s_and_b32 s2, 0xffff, s2
	s_lshl_b32 s78, s2, 2
	v_cvt_f32_u32_e32 v4, s78
	s_sub_i32 s2, 0, s78
	v_and_b32_e32 v27, 0xffff, v2
	v_rcp_iflag_f32_e32 v8, v4
	v_pk_mov_b32 v[4:5], 0, 0
	v_pk_mov_b32 v[6:7], v[4:5], v[4:5] op_sel:[0,1]
	v_mul_f32_e32 v8, 0x4f7ffffe, v8
	v_cvt_u32_f32_e32 v10, v8
	v_pk_mov_b32 v[8:9], v[4:5], v[4:5] op_sel:[0,1]
	v_readfirstlane_b32 s3, v10
	s_mul_i32 s2, s2, s3
	s_mul_hi_u32 s2, s3, s2
	s_add_i32 s3, s3, s2
	s_mul_hi_u32 s2, s82, s3
	s_mul_i32 s2, s2, s78
	s_sub_i32 s2, s82, s2
	s_sub_i32 s3, s2, s78
	s_cmp_ge_u32 s2, s78
	s_cselect_b32 s2, s3, s2
	s_sub_i32 s3, s2, s78
	s_cmp_ge_u32 s2, s78
	s_cselect_b32 s2, s3, s2
	s_sub_i32 s70, s82, s2
	v_cmp_gt_u32_e32 vcc, s70, v14
	v_pk_mov_b32 v[10:11], v[4:5], v[4:5] op_sel:[0,1]
	s_and_saveexec_b64 s[2:3], vcc
	s_cbranch_execz .LBB92_62
; %bb.59:                               ;   in Loop: Header=BB92_10 Depth=1
	s_mov_b64 s[56:57], s[76:77]
	s_mov_b64 s[84:85], s[62:63]
	;; [unrolled: 1-line block ×4, first 2 shown]
	s_mov_b32 s74, s51
	s_mov_b32 s5, s69
	;; [unrolled: 1-line block ×3, first 2 shown]
	s_and_b32 s73, s50, 0xfe
	v_lshlrev_b32_e32 v2, 4, v27
	v_mov_b32_e32 v28, v38
	s_mov_b64 s[8:9], 0
	s_mov_b64 s[26:27], 0
	;; [unrolled: 1-line block ×4, first 2 shown]
	v_pk_mov_b32 v[30:31], v[14:15], v[14:15] op_sel:[0,1]
.LBB92_60:                              ;   Parent Loop BB92_10 Depth=1
                                        ; =>  This Inner Loop Header: Depth=2
	ds_read_b128 v[4:7], v28
	v_add_co_u32_e32 v30, vcc, s78, v30
	v_addc_co_u32_e32 v31, vcc, 0, v31, vcc
	s_waitcnt lgkmcnt(0)
	v_xor_b32_e32 v4, 0x80000000, v4
	v_xor_b32_e32 v5, 0x80000000, v5
	v_and_b32_e32 v8, s80, v4
	v_bfe_u32 v4, v4, s73, 2
	v_xor_b32_e32 v6, 0x80000000, v6
	v_and_b32_e32 v9, s80, v5
	v_bfe_u32 v5, v5, s73, 2
	v_cmp_eq_u32_e64 s[16:17], s81, v8
	v_cmp_eq_u32_e64 s[6:7], 0, v4
	v_xor_b32_e32 v7, 0x80000000, v7
	v_and_b32_e32 v10, s80, v6
	v_bfe_u32 v6, v6, s73, 2
	v_cmp_eq_u32_e64 s[14:15], s81, v9
	v_cmp_eq_u32_e64 s[28:29], 0, v5
	s_and_b64 s[6:7], s[16:17], s[6:7]
	v_and_b32_e32 v11, s80, v7
	v_bfe_u32 v7, v7, s73, 2
	v_cmp_eq_u32_e64 s[12:13], s81, v10
	v_cmp_eq_u32_e64 s[30:31], 0, v6
	;; [unrolled: 1-line block ×5, first 2 shown]
	v_cndmask_b32_e64 v4, 0, 1, s[6:7]
	s_and_b64 s[6:7], s[14:15], s[28:29]
	v_cmp_eq_u32_e64 s[10:11], s81, v11
	v_cmp_eq_u32_e64 s[34:35], 0, v7
	;; [unrolled: 1-line block ×5, first 2 shown]
	v_cndmask_b32_e64 v5, 0, 1, s[6:7]
	s_and_b64 s[6:7], s[12:13], s[30:31]
	v_cmp_eq_u32_e64 s[40:41], 1, v6
	v_cmp_eq_u32_e64 s[48:49], 2, v6
	;; [unrolled: 1-line block ×3, first 2 shown]
	v_cndmask_b32_e64 v6, 0, 1, s[6:7]
	s_and_b64 s[6:7], s[10:11], s[34:35]
	v_cmp_eq_u32_e64 s[42:43], 1, v7
	v_cmp_eq_u32_e64 s[50:51], 2, v7
	;; [unrolled: 1-line block ×3, first 2 shown]
	v_cndmask_b32_e64 v7, 0, 1, s[6:7]
	v_cmp_ne_u32_e64 s[6:7], 0, v4
	v_cmp_ne_u32_e64 s[28:29], 0, v5
	v_cmp_ne_u32_e64 s[30:31], 0, v6
	v_cmp_ne_u32_e64 s[34:35], 0, v7
	s_bcnt1_i32_b64 s6, s[6:7]
	s_bcnt1_i32_b64 s7, s[28:29]
	s_bcnt1_i32_b64 s28, s[30:31]
	s_bcnt1_i32_b64 s29, s[34:35]
	s_add_u32 s6, s6, s76
	s_addc_u32 s30, 0, s77
	s_add_u32 s6, s6, s7
	s_addc_u32 s7, s30, 0
	s_add_u32 s6, s6, s28
	s_addc_u32 s7, s7, 0
	s_add_u32 s76, s6, s29
	s_addc_u32 s77, s7, 0
	s_and_b64 s[6:7], s[16:17], s[36:37]
	v_cndmask_b32_e64 v6, 0, 1, s[6:7]
	s_and_b64 s[6:7], s[14:15], s[38:39]
	v_cndmask_b32_e64 v7, 0, 1, s[6:7]
	s_and_b64 s[6:7], s[12:13], s[40:41]
	v_cndmask_b32_e64 v8, 0, 1, s[6:7]
	s_and_b64 s[6:7], s[10:11], s[42:43]
	v_cndmask_b32_e64 v9, 0, 1, s[6:7]
	v_cmp_ne_u32_e64 s[6:7], 0, v6
	v_cmp_ne_u32_e64 s[28:29], 0, v7
	v_cmp_ne_u32_e64 s[30:31], 0, v8
	v_cmp_ne_u32_e64 s[34:35], 0, v9
	s_bcnt1_i32_b64 s6, s[6:7]
	s_bcnt1_i32_b64 s7, s[28:29]
	s_bcnt1_i32_b64 s28, s[30:31]
	s_bcnt1_i32_b64 s29, s[34:35]
	s_add_u32 s6, s6, s68
	s_addc_u32 s30, 0, s69
	s_add_u32 s6, s6, s7
	s_addc_u32 s7, s30, 0
	s_add_u32 s6, s6, s28
	s_addc_u32 s7, s7, 0
	s_add_u32 s68, s6, s29
	s_addc_u32 s69, s7, 0
	s_and_b64 s[6:7], s[16:17], s[44:45]
	v_cndmask_b32_e64 v8, 0, 1, s[6:7]
	s_and_b64 s[6:7], s[14:15], s[46:47]
	v_cndmask_b32_e64 v9, 0, 1, s[6:7]
	s_and_b64 s[6:7], s[12:13], s[48:49]
	v_cndmask_b32_e64 v10, 0, 1, s[6:7]
	s_and_b64 s[6:7], s[10:11], s[50:51]
	;; [unrolled: 24-line block ×3, first 2 shown]
	v_cndmask_b32_e64 v33, 0, 1, s[6:7]
	v_cmp_ne_u32_e64 s[6:7], 0, v10
	v_cmp_ne_u32_e64 s[10:11], 0, v11
	v_cmp_ne_u32_e64 s[12:13], 0, v32
	v_cmp_ne_u32_e64 s[14:15], 0, v33
	s_bcnt1_i32_b64 s6, s[6:7]
	s_bcnt1_i32_b64 s7, s[10:11]
	;; [unrolled: 1-line block ×4, first 2 shown]
	s_add_u32 s6, s6, s8
	s_addc_u32 s8, 0, s9
	s_add_u32 s6, s6, s7
	s_addc_u32 s7, s8, 0
	;; [unrolled: 2-line block ×3, first 2 shown]
	s_add_u32 s8, s6, s11
	v_cmp_le_u64_e32 vcc, s[70:71], v[30:31]
	s_addc_u32 s9, s7, 0
	v_add_u32_e32 v28, v28, v2
	v_pk_mov_b32 v[4:5], s[76:77], s[76:77] op_sel:[0,1]
	v_pk_mov_b32 v[6:7], s[68:69], s[68:69] op_sel:[0,1]
	;; [unrolled: 1-line block ×3, first 2 shown]
	s_or_b64 s[54:55], vcc, s[54:55]
	v_pk_mov_b32 v[10:11], s[8:9], s[8:9] op_sel:[0,1]
	s_andn2_b64 exec, exec, s[54:55]
	s_cbranch_execnz .LBB92_60
; %bb.61:                               ;   in Loop: Header=BB92_10 Depth=1
	s_or_b64 exec, exec, s[54:55]
	v_readlane_b32 s46, v50, 31
	v_readlane_b32 s48, v50, 33
	s_mov_b32 s69, s5
	v_readlane_b32 s4, v50, 35
	v_readlane_b32 s36, v50, 37
	;; [unrolled: 1-line block ×4, first 2 shown]
	s_mov_b32 s50, s72
	v_readlane_b32 s5, v50, 36
	s_mov_b32 s51, s74
	s_mov_b64 s[72:73], s[60:61]
	s_mov_b64 s[60:61], s[62:63]
	;; [unrolled: 1-line block ×4, first 2 shown]
	v_readlane_b32 s37, v50, 38
.LBB92_62:                              ;   in Loop: Header=BB92_10 Depth=1
	s_or_b64 exec, exec, s[2:3]
	v_add_u32_e32 v2, s70, v0
	v_cmp_gt_u32_e32 vcc, s82, v2
	s_and_saveexec_b64 s[2:3], vcc
	s_cbranch_execz .LBB92_66
; %bb.63:                               ;   in Loop: Header=BB92_10 Depth=1
	s_and_b32 s70, s82, 0x7fffffff
	s_and_b32 s18, s50, 0xfe
	v_lshlrev_b32_e32 v28, 2, v2
	s_mov_b64 s[8:9], 0
	v_pk_mov_b32 v[30:31], v[2:3], v[2:3] op_sel:[0,1]
.LBB92_64:                              ;   Parent Loop BB92_10 Depth=1
                                        ; =>  This Inner Loop Header: Depth=2
	ds_read_b32 v2, v28
	v_add_co_u32_e32 v30, vcc, v30, v27
	v_addc_co_u32_e32 v31, vcc, 0, v31, vcc
	s_waitcnt lgkmcnt(0)
	v_xor_b32_e32 v2, 0x80000000, v2
	v_and_b32_e32 v32, s80, v2
	v_bfe_u32 v2, v2, s18, 2
	v_cmp_eq_u32_e64 s[6:7], s81, v32
	v_cmp_eq_u32_e64 s[10:11], 0, v2
	;; [unrolled: 1-line block ×3, first 2 shown]
	s_and_b64 s[10:11], s[6:7], s[10:11]
	v_cmp_eq_u32_e64 s[14:15], 2, v2
	v_cmp_eq_u32_e64 s[16:17], 3, v2
	v_cndmask_b32_e64 v2, 0, 1, s[10:11]
	s_and_b64 s[10:11], s[6:7], s[12:13]
	v_cndmask_b32_e64 v32, 0, 1, s[10:11]
	s_and_b64 s[10:11], s[6:7], s[14:15]
	s_and_b64 s[6:7], s[6:7], s[16:17]
	v_cndmask_b32_e64 v41, 0, 1, s[6:7]
	v_cmp_ne_u32_e64 s[6:7], 0, v2
	s_bcnt1_i32_b64 s6, s[6:7]
	v_cndmask_b32_e64 v33, 0, 1, s[10:11]
	v_cmp_ne_u32_e64 s[10:11], 0, v32
	v_add_co_u32_e64 v4, s[6:7], s6, v4
	s_bcnt1_i32_b64 s10, s[10:11]
	v_addc_co_u32_e64 v5, s[6:7], 0, v5, s[6:7]
	v_cmp_ne_u32_e64 s[12:13], 0, v33
	v_cmp_ne_u32_e64 s[14:15], 0, v41
	v_add_co_u32_e64 v6, s[6:7], s10, v6
	v_cmp_le_u64_e32 vcc, s[70:71], v[30:31]
	s_bcnt1_i32_b64 s11, s[12:13]
	s_bcnt1_i32_b64 s12, s[14:15]
	v_addc_co_u32_e64 v7, s[6:7], 0, v7, s[6:7]
	v_add_co_u32_e64 v8, s[6:7], s11, v8
	s_or_b64 s[8:9], vcc, s[8:9]
	v_add_co_u32_e32 v10, vcc, s12, v10
	v_add_u32_e32 v28, s78, v28
	v_addc_co_u32_e64 v9, s[6:7], 0, v9, s[6:7]
	v_addc_co_u32_e32 v11, vcc, 0, v11, vcc
	s_andn2_b64 exec, exec, s[8:9]
	s_cbranch_execnz .LBB92_64
; %bb.65:                               ;   in Loop: Header=BB92_10 Depth=1
	s_or_b64 exec, exec, s[8:9]
.LBB92_66:                              ;   in Loop: Header=BB92_10 Depth=1
	s_or_b64 exec, exec, s[2:3]
.LBB92_67:                              ;   in Loop: Header=BB92_10 Depth=1
	s_lshl_b32 s6, s51, 6
	s_and_saveexec_b64 s[2:3], s[4:5]
	s_cbranch_execz .LBB92_69
; %bb.68:                               ;   in Loop: Header=BB92_10 Depth=1
	s_waitcnt vmcnt(0)
	v_or_b32_e32 v2, s6, v36
	v_lshlrev_b32_e32 v2, 3, v2
	ds_write_b128 v2, v[4:7] offset:3072
	ds_write_b128 v2, v[8:11] offset:3088
.LBB92_69:                              ;   in Loop: Header=BB92_10 Depth=1
	s_or_b64 exec, exec, s[2:3]
	s_waitcnt lgkmcnt(0)
	s_barrier
	s_and_saveexec_b64 s[2:3], s[46:47]
	s_cbranch_execz .LBB92_81
; %bb.70:                               ;   in Loop: Header=BB92_10 Depth=1
	v_readlane_b32 s8, v50, 18
	v_readlane_b32 s9, v50, 19
	s_andn2_b64 vcc, exec, s[8:9]
	v_pk_mov_b32 v[4:5], 0, 0
	s_cbranch_vccnz .LBB92_80
; %bb.71:                               ;   in Loop: Header=BB92_10 Depth=1
	v_readlane_b32 s8, v50, 22
	v_readlane_b32 s9, v50, 23
	s_andn2_b64 vcc, exec, s[8:9]
	s_cbranch_vccnz .LBB92_76
; %bb.72:                               ;   in Loop: Header=BB92_10 Depth=1
	s_waitcnt vmcnt(0)
	v_lshl_add_u32 v2, s51, 9, v39
	s_mov_b32 s7, 0
	v_pk_mov_b32 v[4:5], 0, 0
.LBB92_73:                              ;   Parent Loop BB92_10 Depth=1
                                        ; =>  This Inner Loop Header: Depth=2
	ds_read2_b64 v[6:9], v2 offset1:4
	ds_read2_b64 v[30:33], v2 offset0:8 offset1:12
	ds_read2_b64 v[42:45], v2 offset0:16 offset1:20
	;; [unrolled: 1-line block ×3, first 2 shown]
	s_add_i32 s7, s7, 8
	s_waitcnt lgkmcnt(3)
	v_add_co_u32_e32 v4, vcc, v6, v4
	v_addc_co_u32_e32 v5, vcc, v7, v5, vcc
	v_add_co_u32_e32 v4, vcc, v8, v4
	v_addc_co_u32_e32 v5, vcc, v9, v5, vcc
	s_waitcnt lgkmcnt(2)
	v_add_co_u32_e32 v4, vcc, v30, v4
	v_addc_co_u32_e32 v5, vcc, v31, v5, vcc
	v_add_co_u32_e32 v4, vcc, v32, v4
	v_addc_co_u32_e32 v5, vcc, v33, v5, vcc
	;; [unrolled: 5-line block ×3, first 2 shown]
	s_waitcnt lgkmcnt(0)
	v_add_co_u32_e32 v4, vcc, v46, v4
	v_addc_co_u32_e32 v5, vcc, v47, v5, vcc
	v_add_co_u32_e32 v4, vcc, v48, v4
	v_add_u32_e32 v2, 0x100, v2
	s_cmp_eq_u32 s88, s7
	v_addc_co_u32_e32 v5, vcc, v49, v5, vcc
	s_cbranch_scc0 .LBB92_73
; %bb.74:                               ;   in Loop: Header=BB92_10 Depth=1
	s_mov_b32 s7, s88
	s_branch .LBB92_77
.LBB92_75:                              ;   in Loop: Header=BB92_10 Depth=1
                                        ; implicit-def: $vgpr4_vgpr5
	s_branch .LBB92_43
.LBB92_76:                              ;   in Loop: Header=BB92_10 Depth=1
	s_mov_b32 s7, 0
	v_pk_mov_b32 v[4:5], 0, 0
.LBB92_77:                              ;   in Loop: Header=BB92_10 Depth=1
	v_readlane_b32 s8, v50, 25
	v_readlane_b32 s9, v50, 26
	s_andn2_b64 vcc, exec, s[8:9]
	s_cbranch_vccnz .LBB92_80
; %bb.78:                               ;   in Loop: Header=BB92_10 Depth=1
	s_lshl_b32 s8, s51, 9
	s_lshl_b32 s7, s7, 5
	s_add_i32 s8, s8, s7
	s_waitcnt vmcnt(0)
	v_add_u32_e32 v2, s8, v39
	v_readlane_b32 s7, v50, 24
.LBB92_79:                              ;   Parent Loop BB92_10 Depth=1
                                        ; =>  This Inner Loop Header: Depth=2
	ds_read_b64 v[6:7], v2
	s_add_i32 s7, s7, -1
	v_add_u32_e32 v2, 32, v2
	s_cmp_lg_u32 s7, 0
	s_waitcnt lgkmcnt(0)
	v_add_co_u32_e32 v4, vcc, v6, v4
	v_addc_co_u32_e32 v5, vcc, v7, v5, vcc
	s_cbranch_scc1 .LBB92_79
.LBB92_80:                              ;   in Loop: Header=BB92_10 Depth=1
	s_waitcnt vmcnt(0)
	v_add_lshl_u32 v2, s6, v34, 3
	ds_write_b64 v2, v[4:5] offset:3072
.LBB92_81:                              ;   in Loop: Header=BB92_10 Depth=1
	s_or_b64 exec, exec, s[2:3]
	s_lshl_b32 s2, s6, 3
	s_waitcnt vmcnt(0)
	v_mov_b32_e32 v2, s2
	s_waitcnt lgkmcnt(0)
	s_barrier
	ds_read_b128 v[4:7], v2 offset:3072
	ds_read_b128 v[8:11], v2 offset:3088
	s_and_b32 s38, s50, 0xfe
	s_lshl_b32 s44, 3, s38
	s_not_b32 s39, s44
	s_waitcnt lgkmcnt(1)
	v_readfirstlane_b32 s13, v5
	v_readfirstlane_b32 s12, v4
	s_cmp_eq_u64 s[12:13], 1
	s_cselect_b64 s[2:3], -1, 0
	s_cmp_eq_u64 s[72:73], 1
	s_cselect_b64 s[8:9], -1, 0
	s_and_b64 s[18:19], s[2:3], s[8:9]
	v_readfirstlane_b32 s24, v6
	v_readfirstlane_b32 s25, v7
	s_waitcnt lgkmcnt(0)
	v_readfirstlane_b32 s14, v8
	v_readfirstlane_b32 s15, v9
	;; [unrolled: 1-line block ×4, first 2 shown]
	s_mov_b64 s[16:17], -1
	s_and_b64 vcc, exec, s[18:19]
	s_cbranch_vccz .LBB92_96
; %bb.82:                               ;   in Loop: Header=BB92_10 Depth=1
	ds_read_b64 v[4:5], v3 offset:5120
	s_waitcnt lgkmcnt(0)
	s_barrier
	v_readfirstlane_b32 s2, v4
	v_readfirstlane_b32 s3, v5
	s_mov_b64 s[8:9], exec
	v_readlane_b32 s10, v50, 14
	v_readlane_b32 s11, v50, 15
	s_and_b64 s[10:11], s[8:9], s[10:11]
	s_mov_b64 exec, s[10:11]
	s_cbranch_execz .LBB92_84
; %bb.83:                               ;   in Loop: Header=BB92_10 Depth=1
	ds_write_b32 v35, v3
.LBB92_84:                              ;   in Loop: Header=BB92_10 Depth=1
	s_or_b64 exec, exec, s[8:9]
	s_and_b32 s81, s81, s39
	s_or_b32 s80, s80, s44
	s_cmp_eq_u64 s[2:3], 0
	s_waitcnt lgkmcnt(0)
	s_barrier
	s_cbranch_scc1 .LBB92_97
; %bb.85:                               ;   in Loop: Header=BB92_10 Depth=1
	v_readlane_b32 s8, v50, 20
	s_add_u32 s20, s8, s2
	v_readlane_b32 s8, v50, 21
	s_addc_u32 s9, s8, s3
	s_mov_b32 s8, s71
	s_cmp_lg_u64 s[8:9], 0
	s_cbranch_scc0 .LBB92_142
; %bb.86:                               ;   in Loop: Header=BB92_10 Depth=1
	v_cvt_f32_u32_e32 v2, s33
	s_sub_u32 s8, 0, s33
	s_subb_u32 s10, 0, 0
	v_mac_f32_e32 v2, 0, v40
	v_rcp_f32_e32 v2, v2
	v_mul_f32_e32 v2, 0x5f7ffffc, v2
	v_mul_f32_e32 v4, 0x2f800000, v2
	v_trunc_f32_e32 v4, v4
	v_mac_f32_e32 v2, 0xcf800000, v4
	v_cvt_u32_f32_e32 v4, v4
	v_cvt_u32_f32_e32 v2, v2
	v_readfirstlane_b32 s11, v4
	v_readfirstlane_b32 s21, v2
	s_mul_i32 s22, s8, s11
	s_mul_hi_u32 s26, s8, s21
	s_mul_i32 s23, s10, s21
	s_add_i32 s22, s26, s22
	s_mul_i32 s27, s8, s21
	s_add_i32 s22, s22, s23
	s_mul_hi_u32 s26, s21, s27
	s_mul_hi_u32 s23, s21, s22
	s_mul_i32 s21, s21, s22
	s_add_u32 s21, s26, s21
	s_addc_u32 s23, 0, s23
	s_mul_hi_u32 s28, s11, s27
	s_mul_i32 s27, s11, s27
	s_add_u32 s21, s21, s27
	s_mul_hi_u32 s26, s11, s22
	s_addc_u32 s21, s23, s28
	s_addc_u32 s23, s26, 0
	s_mul_i32 s22, s11, s22
	s_add_u32 s21, s21, s22
	s_addc_u32 s22, 0, s23
	v_add_co_u32_e32 v2, vcc, s21, v2
	s_cmp_lg_u64 vcc, 0
	s_addc_u32 s11, s11, s22
	v_readfirstlane_b32 s22, v2
	s_mul_i32 s21, s8, s11
	s_mul_hi_u32 s23, s8, s22
	s_add_i32 s21, s23, s21
	s_mul_i32 s10, s10, s22
	s_add_i32 s21, s21, s10
	s_mul_i32 s8, s8, s22
	s_mul_hi_u32 s23, s11, s8
	s_mul_i32 s26, s11, s8
	s_mul_i32 s28, s22, s21
	s_mul_hi_u32 s8, s22, s8
	s_mul_hi_u32 s27, s22, s21
	s_add_u32 s8, s8, s28
	s_addc_u32 s22, 0, s27
	s_add_u32 s8, s8, s26
	s_mul_hi_u32 s10, s11, s21
	s_addc_u32 s8, s22, s23
	s_addc_u32 s10, s10, 0
	s_mul_i32 s21, s11, s21
	s_add_u32 s8, s8, s21
	s_addc_u32 s10, 0, s10
	v_add_co_u32_e32 v2, vcc, s8, v2
	s_cmp_lg_u64 vcc, 0
	s_addc_u32 s8, s11, s10
	v_readfirstlane_b32 s21, v2
	s_mul_i32 s11, s20, s8
	s_mul_hi_u32 s22, s20, s21
	s_mul_hi_u32 s10, s20, s8
	s_add_u32 s11, s22, s11
	s_addc_u32 s10, 0, s10
	s_mul_hi_u32 s23, s9, s21
	s_mul_i32 s21, s9, s21
	s_add_u32 s11, s11, s21
	s_mul_hi_u32 s22, s9, s8
	s_addc_u32 s10, s10, s23
	s_addc_u32 s11, s22, 0
	s_mul_i32 s8, s9, s8
	s_add_u32 s8, s10, s8
	s_addc_u32 s10, 0, s11
	s_mul_hi_u32 s11, s33, s8
	s_mul_i32 s8, s33, s8
	s_mul_i32 s10, s33, s10
	v_mov_b32_e32 v2, s8
	s_add_i32 s11, s11, s10
	v_sub_co_u32_e32 v2, vcc, s20, v2
	s_cmp_lg_u64 vcc, 0
	s_subb_u32 s8, s9, s11
	v_subrev_co_u32_e32 v4, vcc, s33, v2
	s_cmp_lg_u64 vcc, 0
	s_subb_u32 s10, s8, 0
	v_subrev_co_u32_e32 v5, vcc, s33, v4
	s_cmp_lg_u64 vcc, 0
	s_subb_u32 s11, s10, 0
	v_cmp_le_u32_e32 vcc, s33, v4
	s_cmp_eq_u32 s10, 0
	v_cndmask_b32_e64 v6, 0, -1, vcc
	s_cselect_b64 vcc, -1, 0
	v_cndmask_b32_e32 v6, -1, v6, vcc
	v_mov_b32_e32 v7, s10
	v_mov_b32_e32 v8, s11
	v_cmp_ne_u32_e32 vcc, 0, v6
	v_cndmask_b32_e32 v6, v7, v8, vcc
	v_cndmask_b32_e32 v4, v4, v5, vcc
	v_cmp_le_u32_e32 vcc, s33, v2
	s_cmp_eq_u32 s8, 0
	v_cndmask_b32_e64 v5, 0, -1, vcc
	s_cselect_b64 vcc, -1, 0
	v_cndmask_b32_e32 v5, -1, v5, vcc
	v_mov_b32_e32 v7, s8
	v_cmp_ne_u32_e32 vcc, 0, v5
	v_cndmask_b32_e32 v5, v7, v6, vcc
	v_cndmask_b32_e32 v4, v2, v4, vcc
	s_cbranch_execnz .LBB92_88
.LBB92_87:                              ;   in Loop: Header=BB92_10 Depth=1
	v_cvt_f32_u32_e32 v2, s33
	s_sub_i32 s8, 0, s33
	v_rcp_iflag_f32_e32 v2, v2
	v_mul_f32_e32 v2, 0x4f7ffffe, v2
	v_cvt_u32_f32_e32 v2, v2
	v_mul_lo_u32 v4, s8, v2
	v_mul_hi_u32 v4, v2, v4
	v_add_u32_e32 v2, v2, v4
	v_mul_hi_u32 v2, s20, v2
	v_mul_lo_u32 v2, v2, s33
	v_sub_u32_e32 v2, s20, v2
	v_subrev_u32_e32 v4, s33, v2
	v_cmp_le_u32_e32 vcc, s33, v2
	v_cndmask_b32_e32 v2, v2, v4, vcc
	v_subrev_u32_e32 v4, s33, v2
	v_cmp_le_u32_e32 vcc, s33, v2
	v_cndmask_b32_e32 v2, v2, v4, vcc
	v_pk_mov_b32 v[4:5], v[2:3], v[2:3] op_sel:[0,1]
.LBB92_88:                              ;   in Loop: Header=BB92_10 Depth=1
	v_mov_b32_e32 v2, s9
	v_sub_co_u32_e32 v4, vcc, s20, v4
	v_subb_co_u32_e32 v5, vcc, v2, v5, vcc
	v_cmp_gt_u64_e32 vcc, v[4:5], v[0:1]
	s_mov_b64 s[8:9], 0
                                        ; implicit-def: $vgpr29
	s_and_saveexec_b64 s[10:11], vcc
	s_cbranch_execz .LBB92_99
; %bb.89:                               ;   in Loop: Header=BB92_10 Depth=1
	v_mov_b32_e32 v2, v14
	v_pk_mov_b32 v[6:7], v[0:1], v[0:1] op_sel:[0,1]
                                        ; implicit-def: $sgpr20_sgpr21
	s_branch .LBB92_91
.LBB92_90:                              ;   in Loop: Header=BB92_91 Depth=2
	s_or_b64 exec, exec, s[22:23]
	s_waitcnt lgkmcnt(0)
	s_barrier
	ds_read_b64 v[28:29], v3 offset:3072
	v_mov_b32_e32 v8, s86
	v_add_co_u32_e32 v6, vcc, s33, v6
	v_addc_co_u32_e32 v7, vcc, v7, v8, vcc
	s_waitcnt lgkmcnt(0)
	v_readfirstlane_b32 s22, v28
	s_cmp_lg_u32 s22, 0
	s_cselect_b64 s[22:23], -1, 0
	v_cmp_ge_u64_e32 vcc, v[6:7], v[4:5]
	s_or_b64 s[26:27], vcc, s[22:23]
	s_and_b64 s[26:27], exec, s[26:27]
	s_or_b64 s[8:9], s[26:27], s[8:9]
	s_andn2_b64 s[20:21], s[20:21], exec
	s_and_b64 s[22:23], s[22:23], exec
	v_add_u32_e32 v2, s89, v2
	s_or_b64 s[20:21], s[20:21], s[22:23]
	s_barrier
	s_andn2_b64 exec, exec, s[8:9]
	s_cbranch_execz .LBB92_98
.LBB92_91:                              ;   Parent Loop BB92_10 Depth=1
                                        ; =>  This Inner Loop Header: Depth=2
	v_cmp_gt_u64_e32 vcc, s[2:3], v[6:7]
	v_mov_b32_e32 v27, 0
	s_and_saveexec_b64 s[22:23], vcc
	s_cbranch_execz .LBB92_93
; %bb.92:                               ;   in Loop: Header=BB92_91 Depth=2
	ds_read_b32 v27, v2
.LBB92_93:                              ;   in Loop: Header=BB92_91 Depth=2
	s_or_b64 exec, exec, s[22:23]
	s_and_saveexec_b64 s[22:23], vcc
	s_cbranch_execz .LBB92_90
; %bb.94:                               ;   in Loop: Header=BB92_91 Depth=2
	s_waitcnt lgkmcnt(0)
	v_xor_b32_e32 v8, 0x80000000, v27
	v_and_b32_e32 v8, s80, v8
	v_cmp_eq_u32_e32 vcc, s81, v8
	s_and_b64 exec, exec, vcc
	s_cbranch_execz .LBB92_90
; %bb.95:                               ;   in Loop: Header=BB92_91 Depth=2
	ds_write_b64 v3, v[26:27] offset:3072
	s_branch .LBB92_90
.LBB92_96:                              ;   in Loop: Header=BB92_10 Depth=1
	s_mov_b64 s[8:9], -1
                                        ; implicit-def: $sgpr2_sgpr3
                                        ; implicit-def: $sgpr20_sgpr21
                                        ; implicit-def: $sgpr10_sgpr11
	s_branch .LBB92_113
.LBB92_97:                              ;   in Loop: Header=BB92_10 Depth=1
	s_mov_b64 s[2:3], -1
	s_mov_b64 s[8:9], 0
                                        ; implicit-def: $sgpr10_sgpr11
                                        ; implicit-def: $vgpr29
	s_mov_b64 s[20:21], s[2:3]
	s_cbranch_execnz .LBB92_100
	s_branch .LBB92_113
.LBB92_98:                              ;   in Loop: Header=BB92_10 Depth=1
	s_or_b64 exec, exec, s[8:9]
	s_and_b64 s[8:9], s[20:21], exec
.LBB92_99:                              ;   in Loop: Header=BB92_10 Depth=1
	s_or_b64 exec, exec, s[10:11]
	s_mov_b64 s[10:11], -1
	s_mov_b64 s[2:3], 0
	s_mov_b64 s[20:21], s[2:3]
	s_branch .LBB92_113
.LBB92_100:                             ;   in Loop: Header=BB92_10 Depth=1
	s_mov_b32 s68, s71
	s_cmp_lg_u64 s[68:69], 0
	s_cbranch_scc0 .LBB92_146
; %bb.101:                              ;   in Loop: Header=BB92_10 Depth=1
	v_cvt_f32_u32_e32 v2, s33
	s_sub_u32 s2, 0, s33
	s_subb_u32 s3, 0, 0
	v_mac_f32_e32 v2, 0, v40
	v_rcp_f32_e32 v2, v2
	v_mul_f32_e32 v2, 0x5f7ffffc, v2
	v_mul_f32_e32 v4, 0x2f800000, v2
	v_trunc_f32_e32 v4, v4
	v_mac_f32_e32 v2, 0xcf800000, v4
	v_cvt_u32_f32_e32 v4, v4
	v_cvt_u32_f32_e32 v2, v2
	v_readfirstlane_b32 s8, v4
	v_readfirstlane_b32 s9, v2
	s_mul_i32 s10, s2, s8
	s_mul_hi_u32 s20, s2, s9
	s_mul_i32 s11, s3, s9
	s_add_i32 s10, s20, s10
	s_mul_i32 s21, s2, s9
	s_add_i32 s10, s10, s11
	s_mul_hi_u32 s20, s9, s21
	s_mul_hi_u32 s11, s9, s10
	s_mul_i32 s9, s9, s10
	s_add_u32 s9, s20, s9
	s_addc_u32 s11, 0, s11
	s_mul_hi_u32 s22, s8, s21
	s_mul_i32 s21, s8, s21
	s_add_u32 s9, s9, s21
	s_mul_hi_u32 s20, s8, s10
	s_addc_u32 s9, s11, s22
	s_addc_u32 s11, s20, 0
	s_mul_i32 s10, s8, s10
	s_add_u32 s9, s9, s10
	s_addc_u32 s10, 0, s11
	v_add_co_u32_e32 v2, vcc, s9, v2
	s_cmp_lg_u64 vcc, 0
	s_addc_u32 s8, s8, s10
	v_readfirstlane_b32 s10, v2
	s_mul_i32 s9, s2, s8
	s_mul_hi_u32 s11, s2, s10
	s_add_i32 s9, s11, s9
	s_mul_i32 s3, s3, s10
	s_add_i32 s9, s9, s3
	s_mul_i32 s2, s2, s10
	s_mul_hi_u32 s11, s8, s2
	s_mul_i32 s20, s8, s2
	s_mul_i32 s22, s10, s9
	s_mul_hi_u32 s2, s10, s2
	s_mul_hi_u32 s21, s10, s9
	s_add_u32 s2, s2, s22
	s_addc_u32 s10, 0, s21
	s_add_u32 s2, s2, s20
	s_mul_hi_u32 s3, s8, s9
	s_addc_u32 s2, s10, s11
	s_addc_u32 s3, s3, 0
	s_mul_i32 s9, s8, s9
	s_add_u32 s2, s2, s9
	s_addc_u32 s3, 0, s3
	v_add_co_u32_e32 v2, vcc, s2, v2
	s_cmp_lg_u64 vcc, 0
	s_addc_u32 s2, s8, s3
	v_readfirstlane_b32 s9, v2
	s_mul_i32 s8, s87, s2
	s_mul_hi_u32 s10, s87, s9
	s_mul_hi_u32 s3, s87, s2
	s_add_u32 s8, s10, s8
	s_addc_u32 s3, 0, s3
	s_mul_hi_u32 s11, s69, s9
	s_mul_i32 s9, s69, s9
	s_add_u32 s8, s8, s9
	s_mul_hi_u32 s10, s69, s2
	s_addc_u32 s3, s3, s11
	s_addc_u32 s8, s10, 0
	s_mul_i32 s2, s69, s2
	s_add_u32 s2, s3, s2
	s_addc_u32 s3, 0, s8
	s_mul_hi_u32 s8, s33, s2
	s_mul_i32 s2, s33, s2
	s_mul_i32 s3, s33, s3
	v_mov_b32_e32 v2, s2
	s_add_i32 s8, s8, s3
	v_sub_co_u32_e32 v2, vcc, s87, v2
	s_cmp_lg_u64 vcc, 0
	s_subb_u32 s2, s69, s8
	v_subrev_co_u32_e32 v4, vcc, s33, v2
	s_cmp_lg_u64 vcc, 0
	s_subb_u32 s3, s2, 0
	v_subrev_co_u32_e32 v5, vcc, s33, v4
	s_cmp_lg_u64 vcc, 0
	s_subb_u32 s8, s3, 0
	v_cmp_le_u32_e32 vcc, s33, v4
	s_cmp_eq_u32 s3, 0
	v_cndmask_b32_e64 v6, 0, -1, vcc
	s_cselect_b64 vcc, -1, 0
	v_cndmask_b32_e32 v6, -1, v6, vcc
	v_mov_b32_e32 v7, s3
	v_mov_b32_e32 v8, s8
	v_cmp_ne_u32_e32 vcc, 0, v6
	v_cndmask_b32_e32 v6, v7, v8, vcc
	v_cndmask_b32_e32 v4, v4, v5, vcc
	v_cmp_le_u32_e32 vcc, s33, v2
	s_cmp_eq_u32 s2, 0
	v_cndmask_b32_e64 v5, 0, -1, vcc
	s_cselect_b64 vcc, -1, 0
	v_cndmask_b32_e32 v5, -1, v5, vcc
	v_mov_b32_e32 v7, s2
	v_cmp_ne_u32_e32 vcc, 0, v5
	v_cndmask_b32_e32 v5, v7, v6, vcc
	v_cndmask_b32_e32 v4, v2, v4, vcc
	s_cbranch_execnz .LBB92_103
.LBB92_102:                             ;   in Loop: Header=BB92_10 Depth=1
	v_cvt_f32_u32_e32 v2, s33
	s_sub_i32 s2, 0, s33
	v_rcp_iflag_f32_e32 v2, v2
	v_mul_f32_e32 v2, 0x4f7ffffe, v2
	v_cvt_u32_f32_e32 v2, v2
	v_mul_lo_u32 v4, s2, v2
	v_mul_hi_u32 v4, v2, v4
	v_add_u32_e32 v2, v2, v4
	v_mul_hi_u32 v2, s87, v2
	v_mul_lo_u32 v2, v2, s33
	v_sub_u32_e32 v2, s87, v2
	v_subrev_u32_e32 v4, s33, v2
	v_cmp_le_u32_e32 vcc, s33, v2
	v_cndmask_b32_e32 v2, v2, v4, vcc
	v_subrev_u32_e32 v4, s33, v2
	v_cmp_le_u32_e32 vcc, s33, v2
	v_cndmask_b32_e32 v2, v2, v4, vcc
	v_pk_mov_b32 v[4:5], v[2:3], v[2:3] op_sel:[0,1]
.LBB92_103:                             ;   in Loop: Header=BB92_10 Depth=1
	v_mov_b32_e32 v2, s69
	v_sub_co_u32_e32 v4, vcc, s87, v4
	v_subb_co_u32_e32 v5, vcc, v2, v5, vcc
	v_cmp_gt_u64_e32 vcc, v[4:5], v[0:1]
	s_mov_b64 s[8:9], 0
                                        ; implicit-def: $vgpr29
	s_and_saveexec_b64 s[2:3], vcc
	s_cbranch_execz .LBB92_112
; %bb.104:                              ;   in Loop: Header=BB92_10 Depth=1
	v_pk_mov_b32 v[6:7], v[12:13], v[12:13] op_sel:[0,1]
	v_pk_mov_b32 v[8:9], v[0:1], v[0:1] op_sel:[0,1]
                                        ; implicit-def: $sgpr10_sgpr11
	s_branch .LBB92_106
.LBB92_105:                             ;   in Loop: Header=BB92_106 Depth=2
	s_or_b64 exec, exec, s[20:21]
	s_waitcnt lgkmcnt(0)
	s_barrier
	ds_read_b64 v[28:29], v3 offset:3072
	v_mov_b32_e32 v2, s86
	v_add_co_u32_e32 v8, vcc, s33, v8
	v_addc_co_u32_e32 v9, vcc, v9, v2, vcc
	s_waitcnt lgkmcnt(0)
	v_readfirstlane_b32 s20, v28
	s_cmp_lg_u32 s20, 0
	s_cselect_b64 s[20:21], -1, 0
	v_cmp_ge_u64_e32 vcc, v[8:9], v[4:5]
	s_or_b64 s[22:23], vcc, s[20:21]
	s_and_b64 s[22:23], exec, s[22:23]
	s_or_b64 s[8:9], s[22:23], s[8:9]
	v_mov_b32_e32 v2, s67
	v_add_co_u32_e32 v6, vcc, s66, v6
	s_andn2_b64 s[10:11], s[10:11], exec
	s_and_b64 s[20:21], s[20:21], exec
	v_addc_co_u32_e32 v7, vcc, v7, v2, vcc
	s_or_b64 s[10:11], s[10:11], s[20:21]
	s_barrier
	s_andn2_b64 exec, exec, s[8:9]
	s_cbranch_execz .LBB92_111
.LBB92_106:                             ;   Parent Loop BB92_10 Depth=1
                                        ; =>  This Inner Loop Header: Depth=2
	v_cmp_gt_u64_e32 vcc, s[52:53], v[8:9]
	s_waitcnt vmcnt(0)
	v_mov_b32_e32 v27, 0
	s_and_saveexec_b64 s[20:21], vcc
	s_cbranch_execz .LBB92_108
; %bb.107:                              ;   in Loop: Header=BB92_106 Depth=2
	global_load_dword v27, v[6:7], off
.LBB92_108:                             ;   in Loop: Header=BB92_106 Depth=2
	s_or_b64 exec, exec, s[20:21]
	s_and_saveexec_b64 s[20:21], vcc
	s_cbranch_execz .LBB92_105
; %bb.109:                              ;   in Loop: Header=BB92_106 Depth=2
	s_waitcnt vmcnt(0)
	v_xor_b32_e32 v2, 0x80000000, v27
	v_and_b32_e32 v2, s80, v2
	v_cmp_eq_u32_e32 vcc, s81, v2
	s_and_b64 exec, exec, vcc
	s_cbranch_execz .LBB92_105
; %bb.110:                              ;   in Loop: Header=BB92_106 Depth=2
	ds_write_b64 v3, v[26:27] offset:3072
	s_branch .LBB92_105
.LBB92_111:                             ;   in Loop: Header=BB92_10 Depth=1
	s_or_b64 exec, exec, s[8:9]
	s_and_b64 s[8:9], s[10:11], exec
.LBB92_112:                             ;   in Loop: Header=BB92_10 Depth=1
	s_or_b64 exec, exec, s[2:3]
	s_mov_b64 s[20:21], -1
	s_mov_b64 s[2:3], 0
	s_mov_b64 s[10:11], 0
.LBB92_113:                             ;   in Loop: Header=BB92_10 Depth=1
	s_andn2_b64 s[22:23], s[94:95], exec
	s_and_b64 s[2:3], s[2:3], exec
	s_or_b64 s[94:95], s[22:23], s[2:3]
	s_andn2_b64 s[2:3], s[62:63], exec
	s_and_b64 s[20:21], s[20:21], exec
	s_or_b64 s[62:63], s[2:3], s[20:21]
	;; [unrolled: 3-line block ×3, first 2 shown]
	s_and_saveexec_b64 s[10:11], s[8:9]
	s_cbranch_execz .LBB92_9
; %bb.114:                              ;   in Loop: Header=BB92_10 Depth=1
	s_xor_b64 s[2:3], s[18:19], -1
	s_andn2_b64 vcc, exec, s[2:3]
	s_mov_b32 s45, 1
	s_cbranch_vccnz .LBB92_125
; %bb.115:                              ;   in Loop: Header=BB92_10 Depth=1
	v_pk_mov_b32 v[4:5], s[12:13], s[12:13] op_sel:[0,1]
	v_cmp_gt_u64_e32 vcc, s[72:73], v[4:5]
	s_mov_b64 s[2:3], -1
                                        ; implicit-def: $sgpr45
                                        ; implicit-def: $sgpr8
                                        ; implicit-def: $sgpr9
	s_cbranch_vccnz .LBB92_121
; %bb.116:                              ;   in Loop: Header=BB92_10 Depth=1
	ds_read_b64 v[4:5], v3 offset:5120
	s_waitcnt lgkmcnt(0)
	v_cmp_ne_u64_e32 vcc, 0, v[4:5]
	s_cbranch_vccnz .LBB92_120
; %bb.117:                              ;   in Loop: Header=BB92_10 Depth=1
	s_mov_b64 s[2:3], exec
	v_readlane_b32 s8, v50, 0
	v_readlane_b32 s9, v50, 1
	s_and_b64 s[8:9], s[2:3], s[8:9]
	s_mov_b64 exec, s[8:9]
	s_cbranch_execz .LBB92_119
; %bb.118:                              ;   in Loop: Header=BB92_10 Depth=1
	v_pk_mov_b32 v[4:5], s[12:13], s[12:13] op_sel:[0,1]
	ds_write_b64 v3, v[4:5] offset:5128
.LBB92_119:                             ;   in Loop: Header=BB92_10 Depth=1
	s_or_b64 exec, exec, s[2:3]
	s_waitcnt lgkmcnt(0)
	s_barrier
.LBB92_120:                             ;   in Loop: Header=BB92_10 Depth=1
	s_and_b32 s8, s81, s39
	s_or_b32 s9, s80, s44
	s_mov_b64 s[2:3], 0
	s_mov_b32 s45, 8
.LBB92_121:                             ;   in Loop: Header=BB92_10 Depth=1
	s_andn2_b64 vcc, exec, s[2:3]
	s_cbranch_vccnz .LBB92_123
; %bb.122:                              ;   in Loop: Header=BB92_10 Depth=1
	s_sub_u32 s72, s72, s12
	s_subb_u32 s73, s73, s13
	s_mov_b64 s[2:3], -1
	s_mov_b32 s45, 0
	s_mov_b32 s8, s81
	;; [unrolled: 1-line block ×3, first 2 shown]
.LBB92_123:                             ;   in Loop: Header=BB92_10 Depth=1
	s_mov_b32 s80, s9
	s_mov_b32 s81, s8
	s_mov_b64 s[12:13], -1
	s_and_b64 vcc, exec, s[2:3]
	s_cbranch_vccnz .LBB92_126
.LBB92_124:                             ;   in Loop: Header=BB92_10 Depth=1
	s_mov_b64 s[2:3], -1
                                        ; implicit-def: $sgpr16_sgpr17
                                        ; implicit-def: $sgpr20_sgpr21
                                        ; implicit-def: $sgpr18_sgpr19
	s_and_saveexec_b64 s[6:7], s[2:3]
	s_xor_b64 s[2:3], exec, s[6:7]
	s_cbranch_execz .LBB92_8
	s_branch .LBB92_275
.LBB92_125:                             ;   in Loop: Header=BB92_10 Depth=1
	s_mov_b64 s[72:73], 1
	s_mov_b64 s[12:13], -1
	s_branch .LBB92_124
.LBB92_126:                             ;   in Loop: Header=BB92_10 Depth=1
	s_cmp_eq_u64 s[24:25], 1
	s_cselect_b64 s[2:3], -1, 0
	s_cmp_eq_u64 s[72:73], 1
	s_cselect_b64 s[8:9], -1, 0
	s_and_b64 s[28:29], s[2:3], s[8:9]
	s_mov_b64 s[8:9], -1
	s_and_b64 vcc, exec, s[28:29]
	s_cbranch_vccz .LBB92_141
; %bb.127:                              ;   in Loop: Header=BB92_10 Depth=1
	ds_read_b64 v[4:5], v3 offset:5120
	s_waitcnt lgkmcnt(0)
	s_barrier
	v_readfirstlane_b32 s2, v4
	v_readfirstlane_b32 s3, v5
	s_mov_b64 s[8:9], exec
	v_readlane_b32 s16, v50, 14
	v_readlane_b32 s17, v50, 15
	s_and_b64 s[16:17], s[8:9], s[16:17]
	s_mov_b64 exec, s[16:17]
	s_cbranch_execz .LBB92_129
; %bb.128:                              ;   in Loop: Header=BB92_10 Depth=1
	ds_write_b32 v35, v3
.LBB92_129:                             ;   in Loop: Header=BB92_10 Depth=1
	s_or_b64 exec, exec, s[8:9]
	s_lshl_b32 s8, 1, s38
	s_and_b32 s9, s81, s39
	s_or_b32 s81, s9, s8
	s_or_b32 s80, s80, s44
	s_cmp_eq_u64 s[2:3], 0
	s_waitcnt lgkmcnt(0)
	s_barrier
	s_cbranch_scc1 .LBB92_147
; %bb.130:                              ;   in Loop: Header=BB92_10 Depth=1
	v_readlane_b32 s8, v50, 20
	s_add_u32 s18, s8, s2
	v_readlane_b32 s8, v50, 21
	s_addc_u32 s9, s8, s3
	s_mov_b32 s8, s71
	s_cmp_lg_u64 s[8:9], 0
	s_cbranch_scc0 .LBB92_192
; %bb.131:                              ;   in Loop: Header=BB92_10 Depth=1
	v_cvt_f32_u32_e32 v2, s33
	s_sub_u32 s8, 0, s33
	s_subb_u32 s16, 0, 0
	v_mac_f32_e32 v2, 0, v40
	v_rcp_f32_e32 v2, v2
	v_mul_f32_e32 v2, 0x5f7ffffc, v2
	v_mul_f32_e32 v4, 0x2f800000, v2
	v_trunc_f32_e32 v4, v4
	v_mac_f32_e32 v2, 0xcf800000, v4
	v_cvt_u32_f32_e32 v4, v4
	v_cvt_u32_f32_e32 v2, v2
	v_readfirstlane_b32 s17, v4
	v_readfirstlane_b32 s19, v2
	s_mul_i32 s20, s8, s17
	s_mul_hi_u32 s22, s8, s19
	s_mul_i32 s21, s16, s19
	s_add_i32 s20, s22, s20
	s_mul_i32 s23, s8, s19
	s_add_i32 s20, s20, s21
	s_mul_hi_u32 s22, s19, s23
	s_mul_hi_u32 s21, s19, s20
	s_mul_i32 s19, s19, s20
	s_add_u32 s19, s22, s19
	s_addc_u32 s21, 0, s21
	s_mul_hi_u32 s26, s17, s23
	s_mul_i32 s23, s17, s23
	s_add_u32 s19, s19, s23
	s_mul_hi_u32 s22, s17, s20
	s_addc_u32 s19, s21, s26
	s_addc_u32 s21, s22, 0
	s_mul_i32 s20, s17, s20
	s_add_u32 s19, s19, s20
	s_addc_u32 s20, 0, s21
	v_add_co_u32_e32 v2, vcc, s19, v2
	s_cmp_lg_u64 vcc, 0
	s_addc_u32 s17, s17, s20
	v_readfirstlane_b32 s20, v2
	s_mul_i32 s19, s8, s17
	s_mul_hi_u32 s21, s8, s20
	s_add_i32 s19, s21, s19
	s_mul_i32 s16, s16, s20
	s_add_i32 s19, s19, s16
	s_mul_i32 s8, s8, s20
	s_mul_hi_u32 s21, s17, s8
	s_mul_i32 s22, s17, s8
	s_mul_i32 s26, s20, s19
	s_mul_hi_u32 s8, s20, s8
	s_mul_hi_u32 s23, s20, s19
	s_add_u32 s8, s8, s26
	s_addc_u32 s20, 0, s23
	s_add_u32 s8, s8, s22
	s_mul_hi_u32 s16, s17, s19
	s_addc_u32 s8, s20, s21
	s_addc_u32 s16, s16, 0
	s_mul_i32 s19, s17, s19
	s_add_u32 s8, s8, s19
	s_addc_u32 s16, 0, s16
	v_add_co_u32_e32 v2, vcc, s8, v2
	s_cmp_lg_u64 vcc, 0
	s_addc_u32 s8, s17, s16
	v_readfirstlane_b32 s19, v2
	s_mul_i32 s17, s18, s8
	s_mul_hi_u32 s20, s18, s19
	s_mul_hi_u32 s16, s18, s8
	s_add_u32 s17, s20, s17
	s_addc_u32 s16, 0, s16
	s_mul_hi_u32 s21, s9, s19
	s_mul_i32 s19, s9, s19
	s_add_u32 s17, s17, s19
	s_mul_hi_u32 s20, s9, s8
	s_addc_u32 s16, s16, s21
	s_addc_u32 s17, s20, 0
	s_mul_i32 s8, s9, s8
	s_add_u32 s8, s16, s8
	s_addc_u32 s16, 0, s17
	s_mul_hi_u32 s17, s33, s8
	s_mul_i32 s8, s33, s8
	s_mul_i32 s16, s33, s16
	v_mov_b32_e32 v2, s8
	s_add_i32 s17, s17, s16
	v_sub_co_u32_e32 v2, vcc, s18, v2
	s_cmp_lg_u64 vcc, 0
	s_subb_u32 s8, s9, s17
	v_subrev_co_u32_e32 v4, vcc, s33, v2
	s_cmp_lg_u64 vcc, 0
	s_subb_u32 s16, s8, 0
	v_subrev_co_u32_e32 v5, vcc, s33, v4
	s_cmp_lg_u64 vcc, 0
	s_subb_u32 s17, s16, 0
	v_cmp_le_u32_e32 vcc, s33, v4
	s_cmp_eq_u32 s16, 0
	v_cndmask_b32_e64 v6, 0, -1, vcc
	s_cselect_b64 vcc, -1, 0
	v_cndmask_b32_e32 v6, -1, v6, vcc
	v_mov_b32_e32 v7, s16
	v_mov_b32_e32 v8, s17
	v_cmp_ne_u32_e32 vcc, 0, v6
	v_cndmask_b32_e32 v6, v7, v8, vcc
	v_cndmask_b32_e32 v4, v4, v5, vcc
	v_cmp_le_u32_e32 vcc, s33, v2
	s_cmp_eq_u32 s8, 0
	v_cndmask_b32_e64 v5, 0, -1, vcc
	s_cselect_b64 vcc, -1, 0
	v_cndmask_b32_e32 v5, -1, v5, vcc
	v_mov_b32_e32 v7, s8
	v_cmp_ne_u32_e32 vcc, 0, v5
	v_cndmask_b32_e32 v5, v7, v6, vcc
	v_cndmask_b32_e32 v4, v2, v4, vcc
	s_cbranch_execnz .LBB92_133
.LBB92_132:                             ;   in Loop: Header=BB92_10 Depth=1
	v_cvt_f32_u32_e32 v2, s33
	s_sub_i32 s8, 0, s33
	v_rcp_iflag_f32_e32 v2, v2
	v_mul_f32_e32 v2, 0x4f7ffffe, v2
	v_cvt_u32_f32_e32 v2, v2
	v_mul_lo_u32 v4, s8, v2
	v_mul_hi_u32 v4, v2, v4
	v_add_u32_e32 v2, v2, v4
	v_mul_hi_u32 v2, s18, v2
	v_mul_lo_u32 v2, v2, s33
	v_sub_u32_e32 v2, s18, v2
	v_subrev_u32_e32 v4, s33, v2
	v_cmp_le_u32_e32 vcc, s33, v2
	v_cndmask_b32_e32 v2, v2, v4, vcc
	v_subrev_u32_e32 v4, s33, v2
	v_cmp_le_u32_e32 vcc, s33, v2
	v_cndmask_b32_e32 v2, v2, v4, vcc
	v_pk_mov_b32 v[4:5], v[2:3], v[2:3] op_sel:[0,1]
.LBB92_133:                             ;   in Loop: Header=BB92_10 Depth=1
	v_mov_b32_e32 v2, s9
	v_sub_co_u32_e32 v4, vcc, s18, v4
	v_subb_co_u32_e32 v5, vcc, v2, v5, vcc
	v_cmp_gt_u64_e32 vcc, v[4:5], v[0:1]
	s_mov_b64 s[8:9], 0
                                        ; implicit-def: $vgpr29
	s_and_saveexec_b64 s[16:17], vcc
	s_cbranch_execz .LBB92_149
; %bb.134:                              ;   in Loop: Header=BB92_10 Depth=1
	v_mov_b32_e32 v2, v14
	v_pk_mov_b32 v[6:7], v[0:1], v[0:1] op_sel:[0,1]
                                        ; implicit-def: $sgpr18_sgpr19
	s_branch .LBB92_136
.LBB92_135:                             ;   in Loop: Header=BB92_136 Depth=2
	s_or_b64 exec, exec, s[20:21]
	s_waitcnt lgkmcnt(0)
	s_barrier
	ds_read_b64 v[28:29], v3 offset:3072
	v_mov_b32_e32 v8, s86
	v_add_co_u32_e32 v6, vcc, s33, v6
	v_addc_co_u32_e32 v7, vcc, v7, v8, vcc
	s_waitcnt lgkmcnt(0)
	v_readfirstlane_b32 s20, v28
	s_cmp_lg_u32 s20, 0
	s_cselect_b64 s[20:21], -1, 0
	v_cmp_ge_u64_e32 vcc, v[6:7], v[4:5]
	s_or_b64 s[22:23], vcc, s[20:21]
	s_and_b64 s[22:23], exec, s[22:23]
	s_or_b64 s[8:9], s[22:23], s[8:9]
	s_andn2_b64 s[18:19], s[18:19], exec
	s_and_b64 s[20:21], s[20:21], exec
	v_add_u32_e32 v2, s89, v2
	s_or_b64 s[18:19], s[18:19], s[20:21]
	s_barrier
	s_andn2_b64 exec, exec, s[8:9]
	s_cbranch_execz .LBB92_148
.LBB92_136:                             ;   Parent Loop BB92_10 Depth=1
                                        ; =>  This Inner Loop Header: Depth=2
	v_cmp_gt_u64_e32 vcc, s[2:3], v[6:7]
	s_waitcnt vmcnt(0)
	v_mov_b32_e32 v27, 0
	s_and_saveexec_b64 s[20:21], vcc
	s_cbranch_execz .LBB92_138
; %bb.137:                              ;   in Loop: Header=BB92_136 Depth=2
	ds_read_b32 v27, v2
.LBB92_138:                             ;   in Loop: Header=BB92_136 Depth=2
	s_or_b64 exec, exec, s[20:21]
	s_and_saveexec_b64 s[20:21], vcc
	s_cbranch_execz .LBB92_135
; %bb.139:                              ;   in Loop: Header=BB92_136 Depth=2
	s_waitcnt lgkmcnt(0)
	v_xor_b32_e32 v8, 0x80000000, v27
	v_and_b32_e32 v8, s80, v8
	v_cmp_eq_u32_e32 vcc, s81, v8
	s_and_b64 exec, exec, vcc
	s_cbranch_execz .LBB92_135
; %bb.140:                              ;   in Loop: Header=BB92_136 Depth=2
	ds_write_b64 v3, v[26:27] offset:3072
	s_branch .LBB92_135
.LBB92_141:                             ;   in Loop: Header=BB92_10 Depth=1
                                        ; implicit-def: $sgpr18_sgpr19
                                        ; implicit-def: $sgpr20_sgpr21
                                        ; implicit-def: $sgpr16_sgpr17
	s_branch .LBB92_163
.LBB92_142:                             ;   in Loop: Header=BB92_10 Depth=1
                                        ; implicit-def: $vgpr4_vgpr5
	s_branch .LBB92_87
.LBB92_143:                             ;   in Loop: Header=BB92_10 Depth=1
	s_or_b64 exec, exec, s[2:3]
	s_waitcnt lgkmcnt(0)
	s_barrier
	s_mov_b64 s[2:3], exec
	v_readlane_b32 s6, v50, 0
	v_readlane_b32 s7, v50, 1
	s_and_b64 s[6:7], s[2:3], s[6:7]
	s_mov_b64 exec, s[6:7]
	s_cbranch_execz .LBB92_145
; %bb.144:                              ;   in Loop: Header=BB92_10 Depth=1
	ds_read_b32 v4, v3 offset:5144
	s_waitcnt lgkmcnt(0)
	v_ashrrev_i32_e32 v5, 31, v4
	ds_write_b64 v3, v[4:5] offset:5120
.LBB92_145:                             ;   in Loop: Header=BB92_10 Depth=1
	s_or_b64 exec, exec, s[2:3]
	s_waitcnt lgkmcnt(0)
	s_barrier
	s_mov_b64 s[2:3], -1
	s_and_b64 vcc, exec, s[82:83]
	s_cbranch_vccnz .LBB92_28
	s_branch .LBB92_38
.LBB92_146:                             ;   in Loop: Header=BB92_10 Depth=1
                                        ; implicit-def: $vgpr4_vgpr5
	s_branch .LBB92_102
.LBB92_147:                             ;   in Loop: Header=BB92_10 Depth=1
	s_mov_b64 s[18:19], -1
	s_mov_b64 s[8:9], 0
                                        ; implicit-def: $sgpr16_sgpr17
                                        ; implicit-def: $vgpr29
	s_mov_b64 s[20:21], s[18:19]
	s_cbranch_execnz .LBB92_150
	s_branch .LBB92_163
.LBB92_148:                             ;   in Loop: Header=BB92_10 Depth=1
	s_or_b64 exec, exec, s[8:9]
	s_and_b64 s[8:9], s[18:19], exec
.LBB92_149:                             ;   in Loop: Header=BB92_10 Depth=1
	s_or_b64 exec, exec, s[16:17]
	s_mov_b64 s[16:17], -1
	s_mov_b64 s[18:19], 0
	s_mov_b64 s[20:21], s[18:19]
	s_branch .LBB92_163
.LBB92_150:                             ;   in Loop: Header=BB92_10 Depth=1
	s_mov_b32 s68, s71
	s_cmp_lg_u64 s[68:69], 0
	s_cbranch_scc0 .LBB92_193
; %bb.151:                              ;   in Loop: Header=BB92_10 Depth=1
	v_cvt_f32_u32_e32 v2, s33
	s_sub_u32 s2, 0, s33
	s_subb_u32 s3, 0, 0
	v_mac_f32_e32 v2, 0, v40
	v_rcp_f32_e32 v2, v2
	v_mul_f32_e32 v2, 0x5f7ffffc, v2
	v_mul_f32_e32 v4, 0x2f800000, v2
	v_trunc_f32_e32 v4, v4
	v_mac_f32_e32 v2, 0xcf800000, v4
	v_cvt_u32_f32_e32 v4, v4
	v_cvt_u32_f32_e32 v2, v2
	v_readfirstlane_b32 s8, v4
	v_readfirstlane_b32 s9, v2
	s_mul_i32 s16, s2, s8
	s_mul_hi_u32 s18, s2, s9
	s_mul_i32 s17, s3, s9
	s_add_i32 s16, s18, s16
	s_mul_i32 s19, s2, s9
	s_add_i32 s16, s16, s17
	s_mul_hi_u32 s18, s9, s19
	s_mul_hi_u32 s17, s9, s16
	s_mul_i32 s9, s9, s16
	s_add_u32 s9, s18, s9
	s_addc_u32 s17, 0, s17
	s_mul_hi_u32 s20, s8, s19
	s_mul_i32 s19, s8, s19
	s_add_u32 s9, s9, s19
	s_mul_hi_u32 s18, s8, s16
	s_addc_u32 s9, s17, s20
	s_addc_u32 s17, s18, 0
	s_mul_i32 s16, s8, s16
	s_add_u32 s9, s9, s16
	s_addc_u32 s16, 0, s17
	v_add_co_u32_e32 v2, vcc, s9, v2
	s_cmp_lg_u64 vcc, 0
	s_addc_u32 s8, s8, s16
	v_readfirstlane_b32 s16, v2
	s_mul_i32 s9, s2, s8
	s_mul_hi_u32 s17, s2, s16
	s_add_i32 s9, s17, s9
	s_mul_i32 s3, s3, s16
	s_add_i32 s9, s9, s3
	s_mul_i32 s2, s2, s16
	s_mul_hi_u32 s17, s8, s2
	s_mul_i32 s18, s8, s2
	s_mul_i32 s20, s16, s9
	s_mul_hi_u32 s2, s16, s2
	s_mul_hi_u32 s19, s16, s9
	s_add_u32 s2, s2, s20
	s_addc_u32 s16, 0, s19
	s_add_u32 s2, s2, s18
	s_mul_hi_u32 s3, s8, s9
	s_addc_u32 s2, s16, s17
	s_addc_u32 s3, s3, 0
	s_mul_i32 s9, s8, s9
	s_add_u32 s2, s2, s9
	s_addc_u32 s3, 0, s3
	v_add_co_u32_e32 v2, vcc, s2, v2
	s_cmp_lg_u64 vcc, 0
	s_addc_u32 s2, s8, s3
	v_readfirstlane_b32 s9, v2
	s_mul_i32 s8, s87, s2
	s_mul_hi_u32 s16, s87, s9
	s_mul_hi_u32 s3, s87, s2
	s_add_u32 s8, s16, s8
	s_addc_u32 s3, 0, s3
	s_mul_hi_u32 s17, s69, s9
	s_mul_i32 s9, s69, s9
	s_add_u32 s8, s8, s9
	s_mul_hi_u32 s16, s69, s2
	s_addc_u32 s3, s3, s17
	s_addc_u32 s8, s16, 0
	s_mul_i32 s2, s69, s2
	s_add_u32 s2, s3, s2
	s_addc_u32 s3, 0, s8
	s_mul_hi_u32 s8, s33, s2
	s_mul_i32 s2, s33, s2
	s_mul_i32 s3, s33, s3
	v_mov_b32_e32 v2, s2
	s_add_i32 s8, s8, s3
	v_sub_co_u32_e32 v2, vcc, s87, v2
	s_cmp_lg_u64 vcc, 0
	s_subb_u32 s2, s69, s8
	v_subrev_co_u32_e32 v4, vcc, s33, v2
	s_cmp_lg_u64 vcc, 0
	s_subb_u32 s3, s2, 0
	v_subrev_co_u32_e32 v5, vcc, s33, v4
	s_cmp_lg_u64 vcc, 0
	s_subb_u32 s8, s3, 0
	v_cmp_le_u32_e32 vcc, s33, v4
	s_cmp_eq_u32 s3, 0
	v_cndmask_b32_e64 v6, 0, -1, vcc
	s_cselect_b64 vcc, -1, 0
	v_cndmask_b32_e32 v6, -1, v6, vcc
	v_mov_b32_e32 v7, s3
	v_mov_b32_e32 v8, s8
	v_cmp_ne_u32_e32 vcc, 0, v6
	v_cndmask_b32_e32 v6, v7, v8, vcc
	v_cndmask_b32_e32 v4, v4, v5, vcc
	v_cmp_le_u32_e32 vcc, s33, v2
	s_cmp_eq_u32 s2, 0
	v_cndmask_b32_e64 v5, 0, -1, vcc
	s_cselect_b64 vcc, -1, 0
	v_cndmask_b32_e32 v5, -1, v5, vcc
	v_mov_b32_e32 v7, s2
	v_cmp_ne_u32_e32 vcc, 0, v5
	v_cndmask_b32_e32 v5, v7, v6, vcc
	v_cndmask_b32_e32 v4, v2, v4, vcc
	s_cbranch_execnz .LBB92_153
.LBB92_152:                             ;   in Loop: Header=BB92_10 Depth=1
	v_cvt_f32_u32_e32 v2, s33
	s_sub_i32 s2, 0, s33
	v_rcp_iflag_f32_e32 v2, v2
	v_mul_f32_e32 v2, 0x4f7ffffe, v2
	v_cvt_u32_f32_e32 v2, v2
	v_mul_lo_u32 v4, s2, v2
	v_mul_hi_u32 v4, v2, v4
	v_add_u32_e32 v2, v2, v4
	v_mul_hi_u32 v2, s87, v2
	v_mul_lo_u32 v2, v2, s33
	v_sub_u32_e32 v2, s87, v2
	v_subrev_u32_e32 v4, s33, v2
	v_cmp_le_u32_e32 vcc, s33, v2
	v_cndmask_b32_e32 v2, v2, v4, vcc
	v_subrev_u32_e32 v4, s33, v2
	v_cmp_le_u32_e32 vcc, s33, v2
	v_cndmask_b32_e32 v2, v2, v4, vcc
	v_pk_mov_b32 v[4:5], v[2:3], v[2:3] op_sel:[0,1]
.LBB92_153:                             ;   in Loop: Header=BB92_10 Depth=1
	v_mov_b32_e32 v2, s69
	v_sub_co_u32_e32 v4, vcc, s87, v4
	v_subb_co_u32_e32 v5, vcc, v2, v5, vcc
	v_cmp_gt_u64_e32 vcc, v[4:5], v[0:1]
	s_mov_b64 s[8:9], 0
                                        ; implicit-def: $vgpr29
	s_and_saveexec_b64 s[2:3], vcc
	s_cbranch_execz .LBB92_162
; %bb.154:                              ;   in Loop: Header=BB92_10 Depth=1
	v_pk_mov_b32 v[6:7], v[12:13], v[12:13] op_sel:[0,1]
	v_pk_mov_b32 v[8:9], v[0:1], v[0:1] op_sel:[0,1]
                                        ; implicit-def: $sgpr16_sgpr17
	s_branch .LBB92_156
.LBB92_155:                             ;   in Loop: Header=BB92_156 Depth=2
	s_or_b64 exec, exec, s[18:19]
	s_waitcnt lgkmcnt(0)
	s_barrier
	ds_read_b64 v[28:29], v3 offset:3072
	v_mov_b32_e32 v2, s86
	v_add_co_u32_e32 v8, vcc, s33, v8
	v_addc_co_u32_e32 v9, vcc, v9, v2, vcc
	s_waitcnt lgkmcnt(0)
	v_readfirstlane_b32 s18, v28
	s_cmp_lg_u32 s18, 0
	s_cselect_b64 s[18:19], -1, 0
	v_cmp_ge_u64_e32 vcc, v[8:9], v[4:5]
	s_or_b64 s[20:21], vcc, s[18:19]
	s_and_b64 s[20:21], exec, s[20:21]
	s_or_b64 s[8:9], s[20:21], s[8:9]
	v_mov_b32_e32 v2, s67
	v_add_co_u32_e32 v6, vcc, s66, v6
	s_andn2_b64 s[16:17], s[16:17], exec
	s_and_b64 s[18:19], s[18:19], exec
	v_addc_co_u32_e32 v7, vcc, v7, v2, vcc
	s_or_b64 s[16:17], s[16:17], s[18:19]
	s_barrier
	s_andn2_b64 exec, exec, s[8:9]
	s_cbranch_execz .LBB92_161
.LBB92_156:                             ;   Parent Loop BB92_10 Depth=1
                                        ; =>  This Inner Loop Header: Depth=2
	v_cmp_gt_u64_e32 vcc, s[52:53], v[8:9]
	s_waitcnt vmcnt(0)
	v_mov_b32_e32 v27, 0
	s_and_saveexec_b64 s[18:19], vcc
	s_cbranch_execz .LBB92_158
; %bb.157:                              ;   in Loop: Header=BB92_156 Depth=2
	global_load_dword v27, v[6:7], off
.LBB92_158:                             ;   in Loop: Header=BB92_156 Depth=2
	s_or_b64 exec, exec, s[18:19]
	s_and_saveexec_b64 s[18:19], vcc
	s_cbranch_execz .LBB92_155
; %bb.159:                              ;   in Loop: Header=BB92_156 Depth=2
	s_waitcnt vmcnt(0)
	v_xor_b32_e32 v2, 0x80000000, v27
	v_and_b32_e32 v2, s80, v2
	v_cmp_eq_u32_e32 vcc, s81, v2
	s_and_b64 exec, exec, vcc
	s_cbranch_execz .LBB92_155
; %bb.160:                              ;   in Loop: Header=BB92_156 Depth=2
	ds_write_b64 v3, v[26:27] offset:3072
	s_branch .LBB92_155
.LBB92_161:                             ;   in Loop: Header=BB92_10 Depth=1
	s_or_b64 exec, exec, s[8:9]
	s_and_b64 s[8:9], s[16:17], exec
.LBB92_162:                             ;   in Loop: Header=BB92_10 Depth=1
	s_or_b64 exec, exec, s[2:3]
	s_mov_b64 s[20:21], -1
	s_mov_b64 s[18:19], 0
	s_mov_b64 s[16:17], 0
.LBB92_163:                             ;   in Loop: Header=BB92_10 Depth=1
	s_mov_b64 s[2:3], 0
                                        ; implicit-def: $sgpr45
	s_and_saveexec_b64 s[22:23], s[8:9]
	s_cbranch_execz .LBB92_274
; %bb.164:                              ;   in Loop: Header=BB92_10 Depth=1
	s_xor_b64 s[2:3], s[28:29], -1
	s_andn2_b64 vcc, exec, s[2:3]
	s_mov_b32 s45, 1
	s_cbranch_vccnz .LBB92_175
; %bb.165:                              ;   in Loop: Header=BB92_10 Depth=1
	v_pk_mov_b32 v[4:5], s[24:25], s[24:25] op_sel:[0,1]
	v_cmp_gt_u64_e32 vcc, s[72:73], v[4:5]
	s_mov_b64 s[2:3], -1
                                        ; implicit-def: $sgpr45
                                        ; implicit-def: $sgpr8
                                        ; implicit-def: $sgpr9
	s_cbranch_vccnz .LBB92_171
; %bb.166:                              ;   in Loop: Header=BB92_10 Depth=1
	ds_read_b64 v[4:5], v3 offset:5120
	s_waitcnt lgkmcnt(0)
	v_cmp_ne_u64_e32 vcc, 0, v[4:5]
	s_cbranch_vccnz .LBB92_170
; %bb.167:                              ;   in Loop: Header=BB92_10 Depth=1
	s_mov_b64 s[2:3], exec
	v_readlane_b32 s8, v50, 0
	v_readlane_b32 s9, v50, 1
	s_and_b64 s[8:9], s[2:3], s[8:9]
	s_mov_b64 exec, s[8:9]
	s_cbranch_execz .LBB92_169
; %bb.168:                              ;   in Loop: Header=BB92_10 Depth=1
	v_pk_mov_b32 v[4:5], s[24:25], s[24:25] op_sel:[0,1]
	ds_write_b64 v3, v[4:5] offset:5128
.LBB92_169:                             ;   in Loop: Header=BB92_10 Depth=1
	s_or_b64 exec, exec, s[2:3]
	s_waitcnt lgkmcnt(0)
	s_barrier
.LBB92_170:                             ;   in Loop: Header=BB92_10 Depth=1
	s_lshl_b32 s2, 1, s38
	s_and_b32 s3, s81, s39
	s_or_b32 s8, s3, s2
	s_or_b32 s9, s80, s44
	s_mov_b64 s[2:3], 0
	s_mov_b32 s45, 8
.LBB92_171:                             ;   in Loop: Header=BB92_10 Depth=1
	s_andn2_b64 vcc, exec, s[2:3]
	s_cbranch_vccnz .LBB92_173
; %bb.172:                              ;   in Loop: Header=BB92_10 Depth=1
	s_sub_u32 s72, s72, s24
	s_subb_u32 s73, s73, s25
	s_mov_b64 s[2:3], -1
	s_mov_b32 s45, 0
	s_mov_b32 s8, s81
	;; [unrolled: 1-line block ×3, first 2 shown]
.LBB92_173:                             ;   in Loop: Header=BB92_10 Depth=1
	s_mov_b32 s80, s9
	s_mov_b32 s81, s8
	s_andn2_b64 vcc, exec, s[2:3]
	s_mov_b64 s[2:3], -1
	s_cbranch_vccz .LBB92_176
.LBB92_174:                             ;   in Loop: Header=BB92_10 Depth=1
                                        ; implicit-def: $sgpr28_sgpr29
                                        ; implicit-def: $sgpr30_sgpr31
                                        ; implicit-def: $sgpr24_sgpr25
	s_branch .LBB92_273
.LBB92_175:                             ;   in Loop: Header=BB92_10 Depth=1
	s_mov_b64 s[72:73], 1
	s_mov_b64 s[2:3], -1
	s_cbranch_execnz .LBB92_174
.LBB92_176:                             ;   in Loop: Header=BB92_10 Depth=1
	s_cmp_eq_u64 s[14:15], 1
	s_cselect_b64 s[2:3], -1, 0
	s_cmp_eq_u64 s[72:73], 1
	s_cselect_b64 s[8:9], -1, 0
	s_and_b64 s[36:37], s[2:3], s[8:9]
	s_mov_b64 s[8:9], -1
	s_and_b64 vcc, exec, s[36:37]
	s_cbranch_vccz .LBB92_191
; %bb.177:                              ;   in Loop: Header=BB92_10 Depth=1
	ds_read_b64 v[4:5], v3 offset:5120
	s_waitcnt lgkmcnt(0)
	s_barrier
	v_readfirstlane_b32 s2, v4
	v_readfirstlane_b32 s3, v5
	s_mov_b64 s[8:9], exec
	v_readlane_b32 s24, v50, 14
	v_readlane_b32 s25, v50, 15
	s_and_b64 s[24:25], s[8:9], s[24:25]
	s_mov_b64 exec, s[24:25]
	s_cbranch_execz .LBB92_179
; %bb.178:                              ;   in Loop: Header=BB92_10 Depth=1
	ds_write_b32 v35, v3
.LBB92_179:                             ;   in Loop: Header=BB92_10 Depth=1
	s_or_b64 exec, exec, s[8:9]
	s_lshl_b32 s8, 2, s38
	s_and_b32 s9, s81, s39
	s_or_b32 s81, s9, s8
	s_or_b32 s80, s80, s44
	s_cmp_eq_u64 s[2:3], 0
	s_waitcnt lgkmcnt(0)
	s_barrier
	s_cbranch_scc1 .LBB92_194
; %bb.180:                              ;   in Loop: Header=BB92_10 Depth=1
	v_readlane_b32 s8, v50, 20
	s_add_u32 s26, s8, s2
	v_readlane_b32 s8, v50, 21
	s_addc_u32 s9, s8, s3
	s_mov_b32 s8, s71
	s_cmp_lg_u64 s[8:9], 0
	s_cbranch_scc0 .LBB92_239
; %bb.181:                              ;   in Loop: Header=BB92_10 Depth=1
	v_cvt_f32_u32_e32 v2, s33
	s_sub_u32 s8, 0, s33
	s_subb_u32 s24, 0, 0
	v_mac_f32_e32 v2, 0, v40
	v_rcp_f32_e32 v2, v2
	v_mul_f32_e32 v2, 0x5f7ffffc, v2
	v_mul_f32_e32 v4, 0x2f800000, v2
	v_trunc_f32_e32 v4, v4
	v_mac_f32_e32 v2, 0xcf800000, v4
	v_cvt_u32_f32_e32 v4, v4
	v_cvt_u32_f32_e32 v2, v2
	v_readfirstlane_b32 s25, v4
	v_readfirstlane_b32 s27, v2
	s_mul_i32 s28, s8, s25
	s_mul_hi_u32 s30, s8, s27
	s_mul_i32 s29, s24, s27
	s_add_i32 s28, s30, s28
	s_mul_i32 s31, s8, s27
	s_add_i32 s28, s28, s29
	s_mul_hi_u32 s30, s27, s31
	s_mul_hi_u32 s29, s27, s28
	s_mul_i32 s27, s27, s28
	s_add_u32 s27, s30, s27
	s_addc_u32 s29, 0, s29
	s_mul_hi_u32 s34, s25, s31
	s_mul_i32 s31, s25, s31
	s_add_u32 s27, s27, s31
	s_mul_hi_u32 s30, s25, s28
	s_addc_u32 s27, s29, s34
	s_addc_u32 s29, s30, 0
	s_mul_i32 s28, s25, s28
	s_add_u32 s27, s27, s28
	s_addc_u32 s28, 0, s29
	v_add_co_u32_e32 v2, vcc, s27, v2
	s_cmp_lg_u64 vcc, 0
	s_addc_u32 s25, s25, s28
	v_readfirstlane_b32 s28, v2
	s_mul_i32 s27, s8, s25
	s_mul_hi_u32 s29, s8, s28
	s_add_i32 s27, s29, s27
	s_mul_i32 s24, s24, s28
	s_add_i32 s27, s27, s24
	s_mul_i32 s8, s8, s28
	s_mul_hi_u32 s29, s25, s8
	s_mul_i32 s30, s25, s8
	s_mul_i32 s34, s28, s27
	s_mul_hi_u32 s8, s28, s8
	s_mul_hi_u32 s31, s28, s27
	s_add_u32 s8, s8, s34
	s_addc_u32 s28, 0, s31
	s_add_u32 s8, s8, s30
	s_mul_hi_u32 s24, s25, s27
	s_addc_u32 s8, s28, s29
	s_addc_u32 s24, s24, 0
	s_mul_i32 s27, s25, s27
	s_add_u32 s8, s8, s27
	s_addc_u32 s24, 0, s24
	v_add_co_u32_e32 v2, vcc, s8, v2
	s_cmp_lg_u64 vcc, 0
	s_addc_u32 s8, s25, s24
	v_readfirstlane_b32 s27, v2
	s_mul_i32 s25, s26, s8
	s_mul_hi_u32 s28, s26, s27
	s_mul_hi_u32 s24, s26, s8
	s_add_u32 s25, s28, s25
	s_addc_u32 s24, 0, s24
	s_mul_hi_u32 s29, s9, s27
	s_mul_i32 s27, s9, s27
	s_add_u32 s25, s25, s27
	s_mul_hi_u32 s28, s9, s8
	s_addc_u32 s24, s24, s29
	s_addc_u32 s25, s28, 0
	s_mul_i32 s8, s9, s8
	s_add_u32 s8, s24, s8
	s_addc_u32 s24, 0, s25
	s_mul_hi_u32 s25, s33, s8
	s_mul_i32 s8, s33, s8
	s_mul_i32 s24, s33, s24
	v_mov_b32_e32 v2, s8
	s_add_i32 s25, s25, s24
	v_sub_co_u32_e32 v2, vcc, s26, v2
	s_cmp_lg_u64 vcc, 0
	s_subb_u32 s8, s9, s25
	v_subrev_co_u32_e32 v4, vcc, s33, v2
	s_cmp_lg_u64 vcc, 0
	s_subb_u32 s24, s8, 0
	v_subrev_co_u32_e32 v5, vcc, s33, v4
	s_cmp_lg_u64 vcc, 0
	s_subb_u32 s25, s24, 0
	v_cmp_le_u32_e32 vcc, s33, v4
	s_cmp_eq_u32 s24, 0
	v_cndmask_b32_e64 v6, 0, -1, vcc
	s_cselect_b64 vcc, -1, 0
	v_cndmask_b32_e32 v6, -1, v6, vcc
	v_mov_b32_e32 v7, s24
	v_mov_b32_e32 v8, s25
	v_cmp_ne_u32_e32 vcc, 0, v6
	v_cndmask_b32_e32 v6, v7, v8, vcc
	v_cndmask_b32_e32 v4, v4, v5, vcc
	v_cmp_le_u32_e32 vcc, s33, v2
	s_cmp_eq_u32 s8, 0
	v_cndmask_b32_e64 v5, 0, -1, vcc
	s_cselect_b64 vcc, -1, 0
	v_cndmask_b32_e32 v5, -1, v5, vcc
	v_mov_b32_e32 v7, s8
	v_cmp_ne_u32_e32 vcc, 0, v5
	v_cndmask_b32_e32 v5, v7, v6, vcc
	v_cndmask_b32_e32 v4, v2, v4, vcc
	s_cbranch_execnz .LBB92_183
.LBB92_182:                             ;   in Loop: Header=BB92_10 Depth=1
	v_cvt_f32_u32_e32 v2, s33
	s_sub_i32 s8, 0, s33
	v_rcp_iflag_f32_e32 v2, v2
	v_mul_f32_e32 v2, 0x4f7ffffe, v2
	v_cvt_u32_f32_e32 v2, v2
	v_mul_lo_u32 v4, s8, v2
	v_mul_hi_u32 v4, v2, v4
	v_add_u32_e32 v2, v2, v4
	v_mul_hi_u32 v2, s26, v2
	v_mul_lo_u32 v2, v2, s33
	v_sub_u32_e32 v2, s26, v2
	v_subrev_u32_e32 v4, s33, v2
	v_cmp_le_u32_e32 vcc, s33, v2
	v_cndmask_b32_e32 v2, v2, v4, vcc
	v_subrev_u32_e32 v4, s33, v2
	v_cmp_le_u32_e32 vcc, s33, v2
	v_cndmask_b32_e32 v2, v2, v4, vcc
	v_pk_mov_b32 v[4:5], v[2:3], v[2:3] op_sel:[0,1]
.LBB92_183:                             ;   in Loop: Header=BB92_10 Depth=1
	v_mov_b32_e32 v2, s9
	v_sub_co_u32_e32 v4, vcc, s26, v4
	v_subb_co_u32_e32 v5, vcc, v2, v5, vcc
	v_cmp_gt_u64_e32 vcc, v[4:5], v[0:1]
	s_mov_b64 s[8:9], 0
                                        ; implicit-def: $vgpr29
	s_and_saveexec_b64 s[24:25], vcc
	s_cbranch_execz .LBB92_196
; %bb.184:                              ;   in Loop: Header=BB92_10 Depth=1
	v_mov_b32_e32 v2, v14
	v_pk_mov_b32 v[6:7], v[0:1], v[0:1] op_sel:[0,1]
                                        ; implicit-def: $sgpr26_sgpr27
	s_branch .LBB92_186
.LBB92_185:                             ;   in Loop: Header=BB92_186 Depth=2
	s_or_b64 exec, exec, s[28:29]
	s_waitcnt lgkmcnt(0)
	s_barrier
	ds_read_b64 v[28:29], v3 offset:3072
	v_mov_b32_e32 v8, s86
	v_add_co_u32_e32 v6, vcc, s33, v6
	v_addc_co_u32_e32 v7, vcc, v7, v8, vcc
	s_waitcnt lgkmcnt(0)
	v_readfirstlane_b32 s28, v28
	s_cmp_lg_u32 s28, 0
	s_cselect_b64 s[28:29], -1, 0
	v_cmp_ge_u64_e32 vcc, v[6:7], v[4:5]
	s_or_b64 s[30:31], vcc, s[28:29]
	s_and_b64 s[30:31], exec, s[30:31]
	s_or_b64 s[8:9], s[30:31], s[8:9]
	s_andn2_b64 s[26:27], s[26:27], exec
	s_and_b64 s[28:29], s[28:29], exec
	v_add_u32_e32 v2, s89, v2
	s_or_b64 s[26:27], s[26:27], s[28:29]
	s_barrier
	s_andn2_b64 exec, exec, s[8:9]
	s_cbranch_execz .LBB92_195
.LBB92_186:                             ;   Parent Loop BB92_10 Depth=1
                                        ; =>  This Inner Loop Header: Depth=2
	v_cmp_gt_u64_e32 vcc, s[2:3], v[6:7]
	s_waitcnt vmcnt(0)
	v_mov_b32_e32 v27, 0
	s_and_saveexec_b64 s[28:29], vcc
	s_cbranch_execz .LBB92_188
; %bb.187:                              ;   in Loop: Header=BB92_186 Depth=2
	ds_read_b32 v27, v2
.LBB92_188:                             ;   in Loop: Header=BB92_186 Depth=2
	s_or_b64 exec, exec, s[28:29]
	s_and_saveexec_b64 s[28:29], vcc
	s_cbranch_execz .LBB92_185
; %bb.189:                              ;   in Loop: Header=BB92_186 Depth=2
	s_waitcnt lgkmcnt(0)
	v_xor_b32_e32 v8, 0x80000000, v27
	v_and_b32_e32 v8, s80, v8
	v_cmp_eq_u32_e32 vcc, s81, v8
	s_and_b64 exec, exec, vcc
	s_cbranch_execz .LBB92_185
; %bb.190:                              ;   in Loop: Header=BB92_186 Depth=2
	ds_write_b64 v3, v[26:27] offset:3072
	s_branch .LBB92_185
.LBB92_191:                             ;   in Loop: Header=BB92_10 Depth=1
                                        ; implicit-def: $sgpr24_sgpr25
                                        ; implicit-def: $sgpr30_sgpr31
                                        ; implicit-def: $sgpr28_sgpr29
	s_branch .LBB92_210
.LBB92_192:                             ;   in Loop: Header=BB92_10 Depth=1
                                        ; implicit-def: $vgpr4_vgpr5
	s_branch .LBB92_132
.LBB92_193:                             ;   in Loop: Header=BB92_10 Depth=1
                                        ; implicit-def: $vgpr4_vgpr5
	s_branch .LBB92_152
.LBB92_194:                             ;   in Loop: Header=BB92_10 Depth=1
	s_mov_b64 s[24:25], -1
	s_mov_b64 s[8:9], 0
                                        ; implicit-def: $sgpr28_sgpr29
                                        ; implicit-def: $vgpr29
	s_mov_b64 s[30:31], s[24:25]
	s_cbranch_execnz .LBB92_197
	s_branch .LBB92_210
.LBB92_195:                             ;   in Loop: Header=BB92_10 Depth=1
	s_or_b64 exec, exec, s[8:9]
	s_and_b64 s[8:9], s[26:27], exec
.LBB92_196:                             ;   in Loop: Header=BB92_10 Depth=1
	s_or_b64 exec, exec, s[24:25]
	s_mov_b64 s[28:29], -1
	s_mov_b64 s[24:25], 0
	s_mov_b64 s[30:31], s[24:25]
	s_branch .LBB92_210
.LBB92_197:                             ;   in Loop: Header=BB92_10 Depth=1
	s_mov_b32 s68, s71
	s_cmp_lg_u64 s[68:69], 0
	s_cbranch_scc0 .LBB92_240
; %bb.198:                              ;   in Loop: Header=BB92_10 Depth=1
	v_cvt_f32_u32_e32 v2, s33
	s_sub_u32 s2, 0, s33
	s_subb_u32 s3, 0, 0
	v_mac_f32_e32 v2, 0, v40
	v_rcp_f32_e32 v2, v2
	v_mul_f32_e32 v2, 0x5f7ffffc, v2
	v_mul_f32_e32 v4, 0x2f800000, v2
	v_trunc_f32_e32 v4, v4
	v_mac_f32_e32 v2, 0xcf800000, v4
	v_cvt_u32_f32_e32 v4, v4
	v_cvt_u32_f32_e32 v2, v2
	v_readfirstlane_b32 s8, v4
	v_readfirstlane_b32 s9, v2
	s_mul_i32 s24, s2, s8
	s_mul_hi_u32 s26, s2, s9
	s_mul_i32 s25, s3, s9
	s_add_i32 s24, s26, s24
	s_mul_i32 s27, s2, s9
	s_add_i32 s24, s24, s25
	s_mul_hi_u32 s26, s9, s27
	s_mul_hi_u32 s25, s9, s24
	s_mul_i32 s9, s9, s24
	s_add_u32 s9, s26, s9
	s_addc_u32 s25, 0, s25
	s_mul_hi_u32 s28, s8, s27
	s_mul_i32 s27, s8, s27
	s_add_u32 s9, s9, s27
	s_mul_hi_u32 s26, s8, s24
	s_addc_u32 s9, s25, s28
	s_addc_u32 s25, s26, 0
	s_mul_i32 s24, s8, s24
	s_add_u32 s9, s9, s24
	s_addc_u32 s24, 0, s25
	v_add_co_u32_e32 v2, vcc, s9, v2
	s_cmp_lg_u64 vcc, 0
	s_addc_u32 s8, s8, s24
	v_readfirstlane_b32 s24, v2
	s_mul_i32 s9, s2, s8
	s_mul_hi_u32 s25, s2, s24
	s_add_i32 s9, s25, s9
	s_mul_i32 s3, s3, s24
	s_add_i32 s9, s9, s3
	s_mul_i32 s2, s2, s24
	s_mul_hi_u32 s25, s8, s2
	s_mul_i32 s26, s8, s2
	s_mul_i32 s28, s24, s9
	s_mul_hi_u32 s2, s24, s2
	s_mul_hi_u32 s27, s24, s9
	s_add_u32 s2, s2, s28
	s_addc_u32 s24, 0, s27
	s_add_u32 s2, s2, s26
	s_mul_hi_u32 s3, s8, s9
	s_addc_u32 s2, s24, s25
	s_addc_u32 s3, s3, 0
	s_mul_i32 s9, s8, s9
	s_add_u32 s2, s2, s9
	s_addc_u32 s3, 0, s3
	v_add_co_u32_e32 v2, vcc, s2, v2
	s_cmp_lg_u64 vcc, 0
	s_addc_u32 s2, s8, s3
	v_readfirstlane_b32 s9, v2
	s_mul_i32 s8, s87, s2
	s_mul_hi_u32 s24, s87, s9
	s_mul_hi_u32 s3, s87, s2
	s_add_u32 s8, s24, s8
	s_addc_u32 s3, 0, s3
	s_mul_hi_u32 s25, s69, s9
	s_mul_i32 s9, s69, s9
	s_add_u32 s8, s8, s9
	s_mul_hi_u32 s24, s69, s2
	s_addc_u32 s3, s3, s25
	s_addc_u32 s8, s24, 0
	s_mul_i32 s2, s69, s2
	s_add_u32 s2, s3, s2
	s_addc_u32 s3, 0, s8
	s_mul_hi_u32 s8, s33, s2
	s_mul_i32 s2, s33, s2
	s_mul_i32 s3, s33, s3
	v_mov_b32_e32 v2, s2
	s_add_i32 s8, s8, s3
	v_sub_co_u32_e32 v2, vcc, s87, v2
	s_cmp_lg_u64 vcc, 0
	s_subb_u32 s2, s69, s8
	v_subrev_co_u32_e32 v4, vcc, s33, v2
	s_cmp_lg_u64 vcc, 0
	s_subb_u32 s3, s2, 0
	v_subrev_co_u32_e32 v5, vcc, s33, v4
	s_cmp_lg_u64 vcc, 0
	s_subb_u32 s8, s3, 0
	v_cmp_le_u32_e32 vcc, s33, v4
	s_cmp_eq_u32 s3, 0
	v_cndmask_b32_e64 v6, 0, -1, vcc
	s_cselect_b64 vcc, -1, 0
	v_cndmask_b32_e32 v6, -1, v6, vcc
	v_mov_b32_e32 v7, s3
	v_mov_b32_e32 v8, s8
	v_cmp_ne_u32_e32 vcc, 0, v6
	v_cndmask_b32_e32 v6, v7, v8, vcc
	v_cndmask_b32_e32 v4, v4, v5, vcc
	v_cmp_le_u32_e32 vcc, s33, v2
	s_cmp_eq_u32 s2, 0
	v_cndmask_b32_e64 v5, 0, -1, vcc
	s_cselect_b64 vcc, -1, 0
	v_cndmask_b32_e32 v5, -1, v5, vcc
	v_mov_b32_e32 v7, s2
	v_cmp_ne_u32_e32 vcc, 0, v5
	v_cndmask_b32_e32 v5, v7, v6, vcc
	v_cndmask_b32_e32 v4, v2, v4, vcc
	s_cbranch_execnz .LBB92_200
.LBB92_199:                             ;   in Loop: Header=BB92_10 Depth=1
	v_cvt_f32_u32_e32 v2, s33
	s_sub_i32 s2, 0, s33
	v_rcp_iflag_f32_e32 v2, v2
	v_mul_f32_e32 v2, 0x4f7ffffe, v2
	v_cvt_u32_f32_e32 v2, v2
	v_mul_lo_u32 v4, s2, v2
	v_mul_hi_u32 v4, v2, v4
	v_add_u32_e32 v2, v2, v4
	v_mul_hi_u32 v2, s87, v2
	v_mul_lo_u32 v2, v2, s33
	v_sub_u32_e32 v2, s87, v2
	v_subrev_u32_e32 v4, s33, v2
	v_cmp_le_u32_e32 vcc, s33, v2
	v_cndmask_b32_e32 v2, v2, v4, vcc
	v_subrev_u32_e32 v4, s33, v2
	v_cmp_le_u32_e32 vcc, s33, v2
	v_cndmask_b32_e32 v2, v2, v4, vcc
	v_pk_mov_b32 v[4:5], v[2:3], v[2:3] op_sel:[0,1]
.LBB92_200:                             ;   in Loop: Header=BB92_10 Depth=1
	v_mov_b32_e32 v2, s69
	v_sub_co_u32_e32 v4, vcc, s87, v4
	v_subb_co_u32_e32 v5, vcc, v2, v5, vcc
	v_cmp_gt_u64_e32 vcc, v[4:5], v[0:1]
	s_mov_b64 s[8:9], 0
                                        ; implicit-def: $vgpr29
	s_and_saveexec_b64 s[2:3], vcc
	s_cbranch_execz .LBB92_209
; %bb.201:                              ;   in Loop: Header=BB92_10 Depth=1
	v_pk_mov_b32 v[6:7], v[12:13], v[12:13] op_sel:[0,1]
	v_pk_mov_b32 v[8:9], v[0:1], v[0:1] op_sel:[0,1]
                                        ; implicit-def: $sgpr24_sgpr25
	s_branch .LBB92_203
.LBB92_202:                             ;   in Loop: Header=BB92_203 Depth=2
	s_or_b64 exec, exec, s[26:27]
	s_waitcnt lgkmcnt(0)
	s_barrier
	ds_read_b64 v[28:29], v3 offset:3072
	v_mov_b32_e32 v2, s86
	v_add_co_u32_e32 v8, vcc, s33, v8
	v_addc_co_u32_e32 v9, vcc, v9, v2, vcc
	s_waitcnt lgkmcnt(0)
	v_readfirstlane_b32 s26, v28
	s_cmp_lg_u32 s26, 0
	s_cselect_b64 s[26:27], -1, 0
	v_cmp_ge_u64_e32 vcc, v[8:9], v[4:5]
	s_or_b64 s[28:29], vcc, s[26:27]
	s_and_b64 s[28:29], exec, s[28:29]
	s_or_b64 s[8:9], s[28:29], s[8:9]
	v_mov_b32_e32 v2, s67
	v_add_co_u32_e32 v6, vcc, s66, v6
	s_andn2_b64 s[24:25], s[24:25], exec
	s_and_b64 s[26:27], s[26:27], exec
	v_addc_co_u32_e32 v7, vcc, v7, v2, vcc
	s_or_b64 s[24:25], s[24:25], s[26:27]
	s_barrier
	s_andn2_b64 exec, exec, s[8:9]
	s_cbranch_execz .LBB92_208
.LBB92_203:                             ;   Parent Loop BB92_10 Depth=1
                                        ; =>  This Inner Loop Header: Depth=2
	v_cmp_gt_u64_e32 vcc, s[52:53], v[8:9]
	s_waitcnt vmcnt(0)
	v_mov_b32_e32 v27, 0
	s_and_saveexec_b64 s[26:27], vcc
	s_cbranch_execz .LBB92_205
; %bb.204:                              ;   in Loop: Header=BB92_203 Depth=2
	global_load_dword v27, v[6:7], off
.LBB92_205:                             ;   in Loop: Header=BB92_203 Depth=2
	s_or_b64 exec, exec, s[26:27]
	s_and_saveexec_b64 s[26:27], vcc
	s_cbranch_execz .LBB92_202
; %bb.206:                              ;   in Loop: Header=BB92_203 Depth=2
	s_waitcnt vmcnt(0)
	v_xor_b32_e32 v2, 0x80000000, v27
	v_and_b32_e32 v2, s80, v2
	v_cmp_eq_u32_e32 vcc, s81, v2
	s_and_b64 exec, exec, vcc
	s_cbranch_execz .LBB92_202
; %bb.207:                              ;   in Loop: Header=BB92_203 Depth=2
	ds_write_b64 v3, v[26:27] offset:3072
	s_branch .LBB92_202
.LBB92_208:                             ;   in Loop: Header=BB92_10 Depth=1
	s_or_b64 exec, exec, s[8:9]
	s_and_b64 s[8:9], s[24:25], exec
.LBB92_209:                             ;   in Loop: Header=BB92_10 Depth=1
	s_or_b64 exec, exec, s[2:3]
	s_mov_b64 s[30:31], -1
	s_mov_b64 s[24:25], 0
	s_mov_b64 s[28:29], 0
.LBB92_210:                             ;   in Loop: Header=BB92_10 Depth=1
	s_mov_b64 s[2:3], 0
                                        ; implicit-def: $sgpr45
	s_and_saveexec_b64 s[34:35], s[8:9]
	s_cbranch_execz .LBB92_272
; %bb.211:                              ;   in Loop: Header=BB92_10 Depth=1
	s_xor_b64 s[2:3], s[36:37], -1
	s_andn2_b64 vcc, exec, s[2:3]
	s_mov_b32 s45, 1
	s_cbranch_vccnz .LBB92_222
; %bb.212:                              ;   in Loop: Header=BB92_10 Depth=1
	v_pk_mov_b32 v[4:5], s[14:15], s[14:15] op_sel:[0,1]
	v_cmp_gt_u64_e32 vcc, s[72:73], v[4:5]
	s_mov_b64 s[2:3], -1
                                        ; implicit-def: $sgpr45
                                        ; implicit-def: $sgpr8
                                        ; implicit-def: $sgpr9
	s_cbranch_vccnz .LBB92_218
; %bb.213:                              ;   in Loop: Header=BB92_10 Depth=1
	ds_read_b64 v[4:5], v3 offset:5120
	s_waitcnt lgkmcnt(0)
	v_cmp_ne_u64_e32 vcc, 0, v[4:5]
	s_cbranch_vccnz .LBB92_217
; %bb.214:                              ;   in Loop: Header=BB92_10 Depth=1
	s_mov_b64 s[2:3], exec
	v_readlane_b32 s8, v50, 0
	v_readlane_b32 s9, v50, 1
	s_and_b64 s[8:9], s[2:3], s[8:9]
	s_mov_b64 exec, s[8:9]
	s_cbranch_execz .LBB92_216
; %bb.215:                              ;   in Loop: Header=BB92_10 Depth=1
	v_pk_mov_b32 v[4:5], s[14:15], s[14:15] op_sel:[0,1]
	ds_write_b64 v3, v[4:5] offset:5128
.LBB92_216:                             ;   in Loop: Header=BB92_10 Depth=1
	s_or_b64 exec, exec, s[2:3]
	s_waitcnt lgkmcnt(0)
	s_barrier
.LBB92_217:                             ;   in Loop: Header=BB92_10 Depth=1
	s_lshl_b32 s2, 2, s38
	s_and_b32 s3, s81, s39
	s_or_b32 s8, s3, s2
	s_or_b32 s9, s80, s44
	s_mov_b64 s[2:3], 0
	s_mov_b32 s45, 8
.LBB92_218:                             ;   in Loop: Header=BB92_10 Depth=1
	s_andn2_b64 vcc, exec, s[2:3]
	s_cbranch_vccnz .LBB92_220
; %bb.219:                              ;   in Loop: Header=BB92_10 Depth=1
	s_sub_u32 s72, s72, s14
	s_subb_u32 s73, s73, s15
	s_mov_b64 s[2:3], -1
	s_mov_b32 s45, 0
	s_mov_b32 s8, s81
	;; [unrolled: 1-line block ×3, first 2 shown]
.LBB92_220:                             ;   in Loop: Header=BB92_10 Depth=1
	s_mov_b32 s80, s9
	s_mov_b32 s81, s8
	s_andn2_b64 vcc, exec, s[2:3]
	s_mov_b64 s[40:41], -1
	s_cbranch_vccz .LBB92_223
.LBB92_221:                             ;   in Loop: Header=BB92_10 Depth=1
                                        ; implicit-def: $sgpr2_sgpr3
                                        ; implicit-def: $sgpr26_sgpr27
                                        ; implicit-def: $sgpr8_sgpr9
	s_branch .LBB92_271
.LBB92_222:                             ;   in Loop: Header=BB92_10 Depth=1
	s_mov_b64 s[72:73], 1
	s_mov_b64 s[40:41], -1
	s_cbranch_execnz .LBB92_221
.LBB92_223:                             ;   in Loop: Header=BB92_10 Depth=1
	s_cmp_eq_u64 s[6:7], 1
	s_cselect_b64 s[2:3], -1, 0
	s_cmp_eq_u64 s[72:73], 1
	s_cselect_b64 s[8:9], -1, 0
	s_and_b64 s[14:15], s[2:3], s[8:9]
	s_mov_b64 s[36:37], -1
	s_and_b64 vcc, exec, s[14:15]
	s_cbranch_vccz .LBB92_238
; %bb.224:                              ;   in Loop: Header=BB92_10 Depth=1
	ds_read_b64 v[4:5], v3 offset:5120
	s_waitcnt lgkmcnt(0)
	s_barrier
	v_readfirstlane_b32 s2, v4
	v_readfirstlane_b32 s3, v5
	s_mov_b64 s[8:9], exec
	v_readlane_b32 s26, v50, 14
	v_readlane_b32 s27, v50, 15
	s_and_b64 s[26:27], s[8:9], s[26:27]
	s_mov_b64 exec, s[26:27]
	s_cbranch_execz .LBB92_226
; %bb.225:                              ;   in Loop: Header=BB92_10 Depth=1
	ds_write_b32 v35, v3
.LBB92_226:                             ;   in Loop: Header=BB92_10 Depth=1
	s_or_b64 exec, exec, s[8:9]
	s_or_b32 s81, s81, s44
	s_or_b32 s80, s80, s44
	s_cmp_eq_u64 s[2:3], 0
	s_waitcnt lgkmcnt(0)
	s_barrier
	s_cbranch_scc1 .LBB92_241
; %bb.227:                              ;   in Loop: Header=BB92_10 Depth=1
	v_readlane_b32 s8, v50, 20
	s_add_u32 s36, s8, s2
	v_readlane_b32 s8, v50, 21
	s_addc_u32 s9, s8, s3
	s_mov_b32 s8, s71
	s_cmp_lg_u64 s[8:9], 0
	s_cbranch_scc0 .LBB92_277
; %bb.228:                              ;   in Loop: Header=BB92_10 Depth=1
	v_cvt_f32_u32_e32 v2, s33
	s_sub_u32 s8, 0, s33
	s_subb_u32 s26, 0, 0
	v_mac_f32_e32 v2, 0, v40
	v_rcp_f32_e32 v2, v2
	v_mul_f32_e32 v2, 0x5f7ffffc, v2
	v_mul_f32_e32 v4, 0x2f800000, v2
	v_trunc_f32_e32 v4, v4
	v_mac_f32_e32 v2, 0xcf800000, v4
	v_cvt_u32_f32_e32 v4, v4
	v_cvt_u32_f32_e32 v2, v2
	v_readfirstlane_b32 s27, v4
	v_readfirstlane_b32 s37, v2
	s_mul_i32 s38, s8, s27
	s_mul_hi_u32 s40, s8, s37
	s_mul_i32 s39, s26, s37
	s_add_i32 s38, s40, s38
	s_mul_i32 s41, s8, s37
	s_add_i32 s38, s38, s39
	s_mul_hi_u32 s40, s37, s41
	s_mul_hi_u32 s39, s37, s38
	s_mul_i32 s37, s37, s38
	s_add_u32 s37, s40, s37
	s_addc_u32 s39, 0, s39
	s_mul_hi_u32 s42, s27, s41
	s_mul_i32 s41, s27, s41
	s_add_u32 s37, s37, s41
	s_mul_hi_u32 s40, s27, s38
	s_addc_u32 s37, s39, s42
	s_addc_u32 s39, s40, 0
	s_mul_i32 s38, s27, s38
	s_add_u32 s37, s37, s38
	s_addc_u32 s38, 0, s39
	v_add_co_u32_e32 v2, vcc, s37, v2
	s_cmp_lg_u64 vcc, 0
	s_addc_u32 s27, s27, s38
	v_readfirstlane_b32 s38, v2
	s_mul_i32 s37, s8, s27
	s_mul_hi_u32 s39, s8, s38
	s_add_i32 s37, s39, s37
	s_mul_i32 s26, s26, s38
	s_add_i32 s37, s37, s26
	s_mul_i32 s8, s8, s38
	s_mul_hi_u32 s39, s27, s8
	s_mul_i32 s40, s27, s8
	s_mul_i32 s42, s38, s37
	s_mul_hi_u32 s8, s38, s8
	s_mul_hi_u32 s41, s38, s37
	s_add_u32 s8, s8, s42
	s_addc_u32 s38, 0, s41
	s_add_u32 s8, s8, s40
	s_mul_hi_u32 s26, s27, s37
	s_addc_u32 s8, s38, s39
	s_addc_u32 s26, s26, 0
	s_mul_i32 s37, s27, s37
	s_add_u32 s8, s8, s37
	s_addc_u32 s26, 0, s26
	v_add_co_u32_e32 v2, vcc, s8, v2
	s_cmp_lg_u64 vcc, 0
	s_addc_u32 s8, s27, s26
	v_readfirstlane_b32 s37, v2
	s_mul_i32 s27, s36, s8
	s_mul_hi_u32 s38, s36, s37
	s_mul_hi_u32 s26, s36, s8
	s_add_u32 s27, s38, s27
	s_addc_u32 s26, 0, s26
	s_mul_hi_u32 s39, s9, s37
	s_mul_i32 s37, s9, s37
	s_add_u32 s27, s27, s37
	s_mul_hi_u32 s38, s9, s8
	s_addc_u32 s26, s26, s39
	s_addc_u32 s27, s38, 0
	s_mul_i32 s8, s9, s8
	s_add_u32 s8, s26, s8
	s_addc_u32 s26, 0, s27
	s_mul_hi_u32 s27, s33, s8
	s_mul_i32 s8, s33, s8
	s_mul_i32 s26, s33, s26
	v_mov_b32_e32 v2, s8
	s_add_i32 s27, s27, s26
	v_sub_co_u32_e32 v2, vcc, s36, v2
	s_cmp_lg_u64 vcc, 0
	s_subb_u32 s8, s9, s27
	v_subrev_co_u32_e32 v4, vcc, s33, v2
	s_cmp_lg_u64 vcc, 0
	s_subb_u32 s26, s8, 0
	v_subrev_co_u32_e32 v5, vcc, s33, v4
	s_cmp_lg_u64 vcc, 0
	s_subb_u32 s27, s26, 0
	v_cmp_le_u32_e32 vcc, s33, v4
	s_cmp_eq_u32 s26, 0
	v_cndmask_b32_e64 v6, 0, -1, vcc
	s_cselect_b64 vcc, -1, 0
	v_cndmask_b32_e32 v6, -1, v6, vcc
	v_mov_b32_e32 v7, s26
	v_mov_b32_e32 v8, s27
	v_cmp_ne_u32_e32 vcc, 0, v6
	v_cndmask_b32_e32 v6, v7, v8, vcc
	v_cndmask_b32_e32 v4, v4, v5, vcc
	v_cmp_le_u32_e32 vcc, s33, v2
	s_cmp_eq_u32 s8, 0
	v_cndmask_b32_e64 v5, 0, -1, vcc
	s_cselect_b64 vcc, -1, 0
	v_cndmask_b32_e32 v5, -1, v5, vcc
	v_mov_b32_e32 v7, s8
	v_cmp_ne_u32_e32 vcc, 0, v5
	v_cndmask_b32_e32 v5, v7, v6, vcc
	v_cndmask_b32_e32 v4, v2, v4, vcc
	s_cbranch_execnz .LBB92_230
.LBB92_229:                             ;   in Loop: Header=BB92_10 Depth=1
	v_cvt_f32_u32_e32 v2, s33
	s_sub_i32 s8, 0, s33
	v_rcp_iflag_f32_e32 v2, v2
	v_mul_f32_e32 v2, 0x4f7ffffe, v2
	v_cvt_u32_f32_e32 v2, v2
	v_mul_lo_u32 v4, s8, v2
	v_mul_hi_u32 v4, v2, v4
	v_add_u32_e32 v2, v2, v4
	v_mul_hi_u32 v2, s36, v2
	v_mul_lo_u32 v2, v2, s33
	v_sub_u32_e32 v2, s36, v2
	v_subrev_u32_e32 v4, s33, v2
	v_cmp_le_u32_e32 vcc, s33, v2
	v_cndmask_b32_e32 v2, v2, v4, vcc
	v_subrev_u32_e32 v4, s33, v2
	v_cmp_le_u32_e32 vcc, s33, v2
	v_cndmask_b32_e32 v2, v2, v4, vcc
	v_pk_mov_b32 v[4:5], v[2:3], v[2:3] op_sel:[0,1]
.LBB92_230:                             ;   in Loop: Header=BB92_10 Depth=1
	v_mov_b32_e32 v2, s9
	v_sub_co_u32_e32 v4, vcc, s36, v4
	v_subb_co_u32_e32 v5, vcc, v2, v5, vcc
	v_cmp_gt_u64_e32 vcc, v[4:5], v[0:1]
	s_mov_b64 s[36:37], 0
                                        ; implicit-def: $vgpr29
	s_and_saveexec_b64 s[8:9], vcc
	s_cbranch_execz .LBB92_243
; %bb.231:                              ;   in Loop: Header=BB92_10 Depth=1
	s_mov_b64 s[26:27], 0
	v_mov_b32_e32 v2, v14
	v_pk_mov_b32 v[6:7], v[0:1], v[0:1] op_sel:[0,1]
                                        ; implicit-def: $sgpr36_sgpr37
	s_branch .LBB92_233
.LBB92_232:                             ;   in Loop: Header=BB92_233 Depth=2
	s_or_b64 exec, exec, s[38:39]
	s_waitcnt lgkmcnt(0)
	s_barrier
	ds_read_b64 v[28:29], v3 offset:3072
	v_mov_b32_e32 v8, s86
	v_add_co_u32_e32 v6, vcc, s33, v6
	v_addc_co_u32_e32 v7, vcc, v7, v8, vcc
	s_waitcnt lgkmcnt(0)
	v_readfirstlane_b32 s38, v28
	s_cmp_lg_u32 s38, 0
	s_cselect_b64 s[38:39], -1, 0
	v_cmp_ge_u64_e32 vcc, v[6:7], v[4:5]
	s_or_b64 s[40:41], vcc, s[38:39]
	s_and_b64 s[40:41], exec, s[40:41]
	s_or_b64 s[26:27], s[40:41], s[26:27]
	s_andn2_b64 s[36:37], s[36:37], exec
	s_and_b64 s[38:39], s[38:39], exec
	v_add_u32_e32 v2, s89, v2
	s_or_b64 s[36:37], s[36:37], s[38:39]
	s_barrier
	s_andn2_b64 exec, exec, s[26:27]
	s_cbranch_execz .LBB92_242
.LBB92_233:                             ;   Parent Loop BB92_10 Depth=1
                                        ; =>  This Inner Loop Header: Depth=2
	v_cmp_gt_u64_e32 vcc, s[2:3], v[6:7]
	s_waitcnt vmcnt(0)
	v_mov_b32_e32 v27, 0
	s_and_saveexec_b64 s[38:39], vcc
	s_cbranch_execz .LBB92_235
; %bb.234:                              ;   in Loop: Header=BB92_233 Depth=2
	ds_read_b32 v27, v2
.LBB92_235:                             ;   in Loop: Header=BB92_233 Depth=2
	s_or_b64 exec, exec, s[38:39]
	s_and_saveexec_b64 s[38:39], vcc
	s_cbranch_execz .LBB92_232
; %bb.236:                              ;   in Loop: Header=BB92_233 Depth=2
	s_waitcnt lgkmcnt(0)
	v_xor_b32_e32 v8, 0x80000000, v27
	v_and_b32_e32 v8, s80, v8
	v_cmp_eq_u32_e32 vcc, s81, v8
	s_and_b64 exec, exec, vcc
	s_cbranch_execz .LBB92_232
; %bb.237:                              ;   in Loop: Header=BB92_233 Depth=2
	ds_write_b64 v3, v[26:27] offset:3072
	s_branch .LBB92_232
.LBB92_238:                             ;   in Loop: Header=BB92_10 Depth=1
                                        ; implicit-def: $sgpr2_sgpr3
                                        ; implicit-def: $sgpr26_sgpr27
                                        ; implicit-def: $sgpr8_sgpr9
	s_branch .LBB92_257
.LBB92_239:                             ;   in Loop: Header=BB92_10 Depth=1
                                        ; implicit-def: $vgpr4_vgpr5
	s_branch .LBB92_182
.LBB92_240:                             ;   in Loop: Header=BB92_10 Depth=1
                                        ; implicit-def: $vgpr4_vgpr5
	s_branch .LBB92_199
.LBB92_241:                             ;   in Loop: Header=BB92_10 Depth=1
	s_mov_b64 s[2:3], -1
	s_mov_b64 s[36:37], 0
                                        ; implicit-def: $sgpr8_sgpr9
                                        ; implicit-def: $vgpr29
	s_mov_b64 s[26:27], s[2:3]
	s_cbranch_execnz .LBB92_244
	s_branch .LBB92_257
.LBB92_242:                             ;   in Loop: Header=BB92_10 Depth=1
	s_or_b64 exec, exec, s[26:27]
	s_and_b64 s[36:37], s[36:37], exec
.LBB92_243:                             ;   in Loop: Header=BB92_10 Depth=1
	s_or_b64 exec, exec, s[8:9]
	s_mov_b64 s[8:9], -1
	s_mov_b64 s[2:3], 0
	s_mov_b64 s[26:27], s[2:3]
	s_branch .LBB92_257
.LBB92_244:                             ;   in Loop: Header=BB92_10 Depth=1
	s_mov_b32 s68, s71
	s_cmp_lg_u64 s[68:69], 0
	s_cbranch_scc0 .LBB92_278
; %bb.245:                              ;   in Loop: Header=BB92_10 Depth=1
	v_cvt_f32_u32_e32 v2, s33
	s_sub_u32 s2, 0, s33
	s_subb_u32 s3, 0, 0
	v_mac_f32_e32 v2, 0, v40
	v_rcp_f32_e32 v2, v2
	v_mul_f32_e32 v2, 0x5f7ffffc, v2
	v_mul_f32_e32 v4, 0x2f800000, v2
	v_trunc_f32_e32 v4, v4
	v_mac_f32_e32 v2, 0xcf800000, v4
	v_cvt_u32_f32_e32 v4, v4
	v_cvt_u32_f32_e32 v2, v2
	v_readfirstlane_b32 s8, v4
	v_readfirstlane_b32 s9, v2
	s_mul_i32 s26, s2, s8
	s_mul_hi_u32 s36, s2, s9
	s_mul_i32 s27, s3, s9
	s_add_i32 s26, s36, s26
	s_mul_i32 s37, s2, s9
	s_add_i32 s26, s26, s27
	s_mul_hi_u32 s36, s9, s37
	s_mul_hi_u32 s27, s9, s26
	s_mul_i32 s9, s9, s26
	s_add_u32 s9, s36, s9
	s_addc_u32 s27, 0, s27
	s_mul_hi_u32 s38, s8, s37
	s_mul_i32 s37, s8, s37
	s_add_u32 s9, s9, s37
	s_mul_hi_u32 s36, s8, s26
	s_addc_u32 s9, s27, s38
	s_addc_u32 s27, s36, 0
	s_mul_i32 s26, s8, s26
	s_add_u32 s9, s9, s26
	s_addc_u32 s26, 0, s27
	v_add_co_u32_e32 v2, vcc, s9, v2
	s_cmp_lg_u64 vcc, 0
	s_addc_u32 s8, s8, s26
	v_readfirstlane_b32 s26, v2
	s_mul_i32 s9, s2, s8
	s_mul_hi_u32 s27, s2, s26
	s_add_i32 s9, s27, s9
	s_mul_i32 s3, s3, s26
	s_add_i32 s9, s9, s3
	s_mul_i32 s2, s2, s26
	s_mul_hi_u32 s27, s8, s2
	s_mul_i32 s36, s8, s2
	s_mul_i32 s38, s26, s9
	s_mul_hi_u32 s2, s26, s2
	s_mul_hi_u32 s37, s26, s9
	s_add_u32 s2, s2, s38
	s_addc_u32 s26, 0, s37
	s_add_u32 s2, s2, s36
	s_mul_hi_u32 s3, s8, s9
	s_addc_u32 s2, s26, s27
	s_addc_u32 s3, s3, 0
	s_mul_i32 s9, s8, s9
	s_add_u32 s2, s2, s9
	s_addc_u32 s3, 0, s3
	v_add_co_u32_e32 v2, vcc, s2, v2
	s_cmp_lg_u64 vcc, 0
	s_addc_u32 s2, s8, s3
	v_readfirstlane_b32 s9, v2
	s_mul_i32 s8, s87, s2
	s_mul_hi_u32 s26, s87, s9
	s_mul_hi_u32 s3, s87, s2
	s_add_u32 s8, s26, s8
	s_addc_u32 s3, 0, s3
	s_mul_hi_u32 s27, s69, s9
	s_mul_i32 s9, s69, s9
	s_add_u32 s8, s8, s9
	s_mul_hi_u32 s26, s69, s2
	s_addc_u32 s3, s3, s27
	s_addc_u32 s8, s26, 0
	s_mul_i32 s2, s69, s2
	s_add_u32 s2, s3, s2
	s_addc_u32 s3, 0, s8
	s_mul_hi_u32 s8, s33, s2
	s_mul_i32 s2, s33, s2
	s_mul_i32 s3, s33, s3
	v_mov_b32_e32 v2, s2
	s_add_i32 s8, s8, s3
	v_sub_co_u32_e32 v2, vcc, s87, v2
	s_cmp_lg_u64 vcc, 0
	s_subb_u32 s2, s69, s8
	v_subrev_co_u32_e32 v4, vcc, s33, v2
	s_cmp_lg_u64 vcc, 0
	s_subb_u32 s3, s2, 0
	v_subrev_co_u32_e32 v5, vcc, s33, v4
	s_cmp_lg_u64 vcc, 0
	s_subb_u32 s8, s3, 0
	v_cmp_le_u32_e32 vcc, s33, v4
	s_cmp_eq_u32 s3, 0
	v_cndmask_b32_e64 v6, 0, -1, vcc
	s_cselect_b64 vcc, -1, 0
	v_cndmask_b32_e32 v6, -1, v6, vcc
	v_mov_b32_e32 v7, s3
	v_mov_b32_e32 v8, s8
	v_cmp_ne_u32_e32 vcc, 0, v6
	v_cndmask_b32_e32 v6, v7, v8, vcc
	v_cndmask_b32_e32 v4, v4, v5, vcc
	v_cmp_le_u32_e32 vcc, s33, v2
	s_cmp_eq_u32 s2, 0
	v_cndmask_b32_e64 v5, 0, -1, vcc
	s_cselect_b64 vcc, -1, 0
	v_cndmask_b32_e32 v5, -1, v5, vcc
	v_mov_b32_e32 v7, s2
	v_cmp_ne_u32_e32 vcc, 0, v5
	v_cndmask_b32_e32 v5, v7, v6, vcc
	v_cndmask_b32_e32 v4, v2, v4, vcc
	s_cbranch_execnz .LBB92_247
.LBB92_246:                             ;   in Loop: Header=BB92_10 Depth=1
	v_cvt_f32_u32_e32 v2, s33
	s_sub_i32 s2, 0, s33
	v_rcp_iflag_f32_e32 v2, v2
	v_mul_f32_e32 v2, 0x4f7ffffe, v2
	v_cvt_u32_f32_e32 v2, v2
	v_mul_lo_u32 v4, s2, v2
	v_mul_hi_u32 v4, v2, v4
	v_add_u32_e32 v2, v2, v4
	v_mul_hi_u32 v2, s87, v2
	v_mul_lo_u32 v2, v2, s33
	v_sub_u32_e32 v2, s87, v2
	v_subrev_u32_e32 v4, s33, v2
	v_cmp_le_u32_e32 vcc, s33, v2
	v_cndmask_b32_e32 v2, v2, v4, vcc
	v_subrev_u32_e32 v4, s33, v2
	v_cmp_le_u32_e32 vcc, s33, v2
	v_cndmask_b32_e32 v2, v2, v4, vcc
	v_pk_mov_b32 v[4:5], v[2:3], v[2:3] op_sel:[0,1]
.LBB92_247:                             ;   in Loop: Header=BB92_10 Depth=1
	v_mov_b32_e32 v2, s69
	v_sub_co_u32_e32 v4, vcc, s87, v4
	v_subb_co_u32_e32 v5, vcc, v2, v5, vcc
	v_cmp_gt_u64_e32 vcc, v[4:5], v[0:1]
	s_mov_b64 s[36:37], 0
                                        ; implicit-def: $vgpr29
	s_and_saveexec_b64 s[2:3], vcc
	s_cbranch_execz .LBB92_256
; %bb.248:                              ;   in Loop: Header=BB92_10 Depth=1
	s_mov_b64 s[8:9], 0
	v_pk_mov_b32 v[6:7], v[12:13], v[12:13] op_sel:[0,1]
	v_pk_mov_b32 v[8:9], v[0:1], v[0:1] op_sel:[0,1]
                                        ; implicit-def: $sgpr26_sgpr27
	s_branch .LBB92_250
.LBB92_249:                             ;   in Loop: Header=BB92_250 Depth=2
	s_or_b64 exec, exec, s[36:37]
	s_waitcnt lgkmcnt(0)
	s_barrier
	ds_read_b64 v[28:29], v3 offset:3072
	v_mov_b32_e32 v2, s86
	v_add_co_u32_e32 v8, vcc, s33, v8
	v_addc_co_u32_e32 v9, vcc, v9, v2, vcc
	s_waitcnt lgkmcnt(0)
	v_readfirstlane_b32 s36, v28
	s_cmp_lg_u32 s36, 0
	s_cselect_b64 s[36:37], -1, 0
	v_cmp_ge_u64_e32 vcc, v[8:9], v[4:5]
	s_or_b64 s[38:39], vcc, s[36:37]
	s_and_b64 s[38:39], exec, s[38:39]
	s_or_b64 s[8:9], s[38:39], s[8:9]
	v_mov_b32_e32 v2, s67
	v_add_co_u32_e32 v6, vcc, s66, v6
	s_andn2_b64 s[26:27], s[26:27], exec
	s_and_b64 s[36:37], s[36:37], exec
	v_addc_co_u32_e32 v7, vcc, v7, v2, vcc
	s_or_b64 s[26:27], s[26:27], s[36:37]
	s_barrier
	s_andn2_b64 exec, exec, s[8:9]
	s_cbranch_execz .LBB92_255
.LBB92_250:                             ;   Parent Loop BB92_10 Depth=1
                                        ; =>  This Inner Loop Header: Depth=2
	v_cmp_gt_u64_e32 vcc, s[52:53], v[8:9]
	s_waitcnt vmcnt(0)
	v_mov_b32_e32 v27, 0
	s_and_saveexec_b64 s[36:37], vcc
	s_cbranch_execz .LBB92_252
; %bb.251:                              ;   in Loop: Header=BB92_250 Depth=2
	global_load_dword v27, v[6:7], off
.LBB92_252:                             ;   in Loop: Header=BB92_250 Depth=2
	s_or_b64 exec, exec, s[36:37]
	s_and_saveexec_b64 s[36:37], vcc
	s_cbranch_execz .LBB92_249
; %bb.253:                              ;   in Loop: Header=BB92_250 Depth=2
	s_waitcnt vmcnt(0)
	v_xor_b32_e32 v2, 0x80000000, v27
	v_and_b32_e32 v2, s80, v2
	v_cmp_eq_u32_e32 vcc, s81, v2
	s_and_b64 exec, exec, vcc
	s_cbranch_execz .LBB92_249
; %bb.254:                              ;   in Loop: Header=BB92_250 Depth=2
	ds_write_b64 v3, v[26:27] offset:3072
	s_branch .LBB92_249
.LBB92_255:                             ;   in Loop: Header=BB92_10 Depth=1
	s_or_b64 exec, exec, s[8:9]
	s_and_b64 s[36:37], s[26:27], exec
.LBB92_256:                             ;   in Loop: Header=BB92_10 Depth=1
	s_or_b64 exec, exec, s[2:3]
	s_mov_b64 s[26:27], -1
	s_mov_b64 s[2:3], 0
	s_mov_b64 s[8:9], 0
.LBB92_257:                             ;   in Loop: Header=BB92_10 Depth=1
	s_mov_b64 s[40:41], 0
                                        ; implicit-def: $sgpr45
                                        ; implicit-def: $sgpr42_sgpr43
	s_and_saveexec_b64 s[38:39], s[36:37]
	s_cbranch_execz .LBB92_270
; %bb.258:                              ;   in Loop: Header=BB92_10 Depth=1
	s_xor_b64 s[14:15], s[14:15], -1
	s_mov_b64 s[42:43], 1
	s_andn2_b64 vcc, exec, s[14:15]
	s_mov_b32 s45, 1
	s_cbranch_vccnz .LBB92_269
; %bb.259:                              ;   in Loop: Header=BB92_10 Depth=1
	v_pk_mov_b32 v[4:5], s[6:7], s[6:7] op_sel:[0,1]
	v_cmp_gt_u64_e32 vcc, s[72:73], v[4:5]
	s_cbranch_vccnz .LBB92_265
; %bb.260:                              ;   in Loop: Header=BB92_10 Depth=1
	ds_read_b64 v[4:5], v3 offset:5120
	s_waitcnt lgkmcnt(0)
	v_cmp_ne_u64_e32 vcc, 0, v[4:5]
	s_cbranch_vccnz .LBB92_264
; %bb.261:                              ;   in Loop: Header=BB92_10 Depth=1
	s_mov_b64 s[14:15], exec
	v_readlane_b32 s36, v50, 0
	v_readlane_b32 s37, v50, 1
	s_and_b64 s[36:37], s[14:15], s[36:37]
	s_mov_b64 exec, s[36:37]
	s_cbranch_execz .LBB92_263
; %bb.262:                              ;   in Loop: Header=BB92_10 Depth=1
	v_pk_mov_b32 v[4:5], s[6:7], s[6:7] op_sel:[0,1]
	ds_write_b64 v3, v[4:5] offset:5128
.LBB92_263:                             ;   in Loop: Header=BB92_10 Depth=1
	s_or_b64 exec, exec, s[14:15]
	s_waitcnt lgkmcnt(0)
	s_barrier
.LBB92_264:                             ;   in Loop: Header=BB92_10 Depth=1
	s_or_b32 s36, s81, s44
	s_or_b32 s37, s80, s44
	s_mov_b64 s[14:15], 0
	s_mov_b32 s45, 8
	s_branch .LBB92_266
.LBB92_265:                             ;   in Loop: Header=BB92_10 Depth=1
	s_mov_b64 s[14:15], -1
                                        ; implicit-def: $sgpr45
                                        ; implicit-def: $sgpr36
                                        ; implicit-def: $sgpr37
.LBB92_266:                             ;   in Loop: Header=BB92_10 Depth=1
	s_andn2_b64 vcc, exec, s[14:15]
	s_cbranch_vccnz .LBB92_268
; %bb.267:                              ;   in Loop: Header=BB92_10 Depth=1
	s_sub_u32 s72, s72, s6
	s_subb_u32 s73, s73, s7
	s_mov_b32 s45, 8
	s_mov_b32 s36, s81
	;; [unrolled: 1-line block ×3, first 2 shown]
.LBB92_268:                             ;   in Loop: Header=BB92_10 Depth=1
	s_mov_b64 s[42:43], s[72:73]
	s_mov_b32 s81, s36
	s_mov_b32 s80, s37
.LBB92_269:                             ;   in Loop: Header=BB92_10 Depth=1
	s_mov_b64 s[40:41], exec
.LBB92_270:                             ;   in Loop: Header=BB92_10 Depth=1
	s_or_b64 exec, exec, s[38:39]
	s_mov_b64 s[72:73], s[42:43]
.LBB92_271:                             ;   in Loop: Header=BB92_10 Depth=1
	s_andn2_b64 s[6:7], s[24:25], exec
	s_and_b64 s[2:3], s[2:3], exec
	s_or_b64 s[24:25], s[6:7], s[2:3]
	s_andn2_b64 s[2:3], s[30:31], exec
	s_and_b64 s[6:7], s[26:27], exec
	s_or_b64 s[30:31], s[2:3], s[6:7]
	;; [unrolled: 3-line block ×3, first 2 shown]
	s_and_b64 s[2:3], s[40:41], exec
.LBB92_272:                             ;   in Loop: Header=BB92_10 Depth=1
	s_or_b64 exec, exec, s[34:35]
	v_readlane_b32 s36, v50, 37
	v_readlane_b32 s37, v50, 38
.LBB92_273:                             ;   in Loop: Header=BB92_10 Depth=1
	s_andn2_b64 s[6:7], s[18:19], exec
	s_and_b64 s[8:9], s[24:25], exec
	s_or_b64 s[18:19], s[6:7], s[8:9]
	s_andn2_b64 s[6:7], s[20:21], exec
	s_and_b64 s[8:9], s[30:31], exec
	s_or_b64 s[20:21], s[6:7], s[8:9]
	;; [unrolled: 3-line block ×3, first 2 shown]
	s_and_b64 s[2:3], s[2:3], exec
.LBB92_274:                             ;   in Loop: Header=BB92_10 Depth=1
	s_or_b64 exec, exec, s[22:23]
	s_and_saveexec_b64 s[6:7], s[2:3]
	s_xor_b64 s[2:3], exec, s[6:7]
	s_cbranch_execz .LBB92_8
.LBB92_275:                             ;   in Loop: Header=BB92_10 Depth=1
	s_and_b32 s6, s45, -9
	s_cmp_eq_u32 s6, 0
	s_cbranch_scc1 .LBB92_6
; %bb.276:                              ;   in Loop: Header=BB92_10 Depth=1
	s_mov_b64 s[6:7], -1
                                        ; implicit-def: $sgpr80
                                        ; implicit-def: $sgpr72_sgpr73
                                        ; implicit-def: $sgpr50
                                        ; implicit-def: $sgpr51
	s_mov_b64 s[8:9], -1
	s_branch .LBB92_7
.LBB92_277:                             ;   in Loop: Header=BB92_10 Depth=1
                                        ; implicit-def: $vgpr4_vgpr5
	s_branch .LBB92_229
.LBB92_278:                             ;   in Loop: Header=BB92_10 Depth=1
                                        ; implicit-def: $vgpr4_vgpr5
	s_branch .LBB92_246
.LBB92_279:
	s_or_b64 exec, exec, s[90:91]
	s_xor_b64 s[6:7], s[64:65], -1
	s_xor_b64 s[0:1], s[76:77], -1
	;; [unrolled: 1-line block ×3, first 2 shown]
	s_mov_b64 s[2:3], 0
	s_and_saveexec_b64 s[8:9], s[0:1]
	s_xor_b64 s[0:1], exec, s[8:9]
	s_cbranch_execnz .LBB92_284
; %bb.280:
	s_andn2_saveexec_b64 s[0:1], s[0:1]
	s_cbranch_execnz .LBB92_297
.LBB92_281:
	s_or_b64 exec, exec, s[0:1]
	s_and_saveexec_b64 s[0:1], s[2:3]
.LBB92_282:
	; divergent unreachable
.LBB92_283:
	s_endpgm
.LBB92_284:
	s_and_saveexec_b64 s[2:3], s[6:7]
	s_xor_b64 s[2:3], exec, s[2:3]
	s_cbranch_execz .LBB92_295
; %bb.285:
	s_and_saveexec_b64 s[6:7], s[4:5]
	s_xor_b64 s[4:5], exec, s[6:7]
; %bb.286:
	v_xor_b32_e32 v29, 0x80000000, v2
; %bb.287:
	s_or_b64 exec, exec, s[4:5]
	v_readlane_b32 s6, v50, 6
	v_readlane_b32 s18, v50, 10
	;; [unrolled: 1-line block ×3, first 2 shown]
	s_mul_i32 s4, s7, s18
	s_mul_hi_u32 s5, s6, s18
	s_add_i32 s5, s5, s4
	s_mul_i32 s4, s6, s18
	s_lshl_b64 s[4:5], s[4:5], 2
	v_readlane_b32 s6, v50, 8
	v_readlane_b32 s7, v50, 9
	s_add_u32 s4, s6, s4
	s_addc_u32 s5, s7, s5
	v_mov_b32_e32 v2, 0
	v_readlane_b32 s19, v50, 11
	global_store_dword v2, v29, s[4:5]
	s_mov_b64 s[4:5], exec
	v_readlane_b32 s6, v50, 12
	v_readlane_b32 s7, v50, 13
	s_and_b64 s[6:7], s[4:5], s[6:7]
	s_mov_b64 exec, s[6:7]
	s_cbranch_execz .LBB92_294
; %bb.288:
	s_mov_b64 s[6:7], 0
                                        ; implicit-def: $sgpr8_sgpr9
                                        ; implicit-def: $sgpr12_sgpr13
                                        ; implicit-def: $sgpr10_sgpr11
	s_branch .LBB92_290
.LBB92_289:                             ;   in Loop: Header=BB92_290 Depth=1
	s_or_b64 exec, exec, s[14:15]
	s_and_b64 s[14:15], exec, s[12:13]
	s_or_b64 s[6:7], s[14:15], s[6:7]
	s_andn2_b64 s[8:9], s[8:9], exec
	s_and_b64 s[14:15], s[10:11], exec
	s_or_b64 s[8:9], s[8:9], s[14:15]
	s_andn2_b64 exec, exec, s[6:7]
	s_cbranch_execz .LBB92_292
.LBB92_290:                             ; =>This Inner Loop Header: Depth=1
	global_load_dword v4, v[12:13], off
	v_pk_mov_b32 v[2:3], v[0:1], v[0:1] op_sel:[0,1]
	s_or_b64 s[10:11], s[10:11], exec
	s_or_b64 s[12:13], s[12:13], exec
                                        ; implicit-def: $vgpr0_vgpr1
	s_waitcnt vmcnt(0)
	v_cmp_ne_u32_e32 vcc, v4, v29
	s_and_saveexec_b64 s[14:15], vcc
	s_cbranch_execz .LBB92_289
; %bb.291:                              ;   in Loop: Header=BB92_290 Depth=1
	v_mov_b32_e32 v1, s86
	v_add_co_u32_e32 v0, vcc, s33, v2
	v_addc_co_u32_e32 v1, vcc, v3, v1, vcc
	v_mov_b32_e32 v4, s67
	v_add_co_u32_e32 v12, vcc, s66, v12
	v_addc_co_u32_e32 v13, vcc, v13, v4, vcc
	v_cmp_le_u64_e32 vcc, s[52:53], v[0:1]
	s_andn2_b64 s[12:13], s[12:13], exec
	s_and_b64 s[16:17], vcc, exec
	s_andn2_b64 s[10:11], s[10:11], exec
	s_or_b64 s[12:13], s[12:13], s[16:17]
	s_branch .LBB92_289
.LBB92_292:
	s_or_b64 exec, exec, s[6:7]
	s_and_saveexec_b64 s[6:7], s[8:9]
	s_xor_b64 s[6:7], exec, s[6:7]
	s_cbranch_execz .LBB92_294
; %bb.293:
	v_readlane_b32 s8, v50, 2
	v_readlane_b32 s9, v50, 3
	s_mul_i32 s6, s9, s18
	s_mul_hi_u32 s7, s8, s18
	s_add_i32 s7, s7, s6
	s_mul_i32 s6, s8, s18
	s_lshl_b64 s[6:7], s[6:7], 3
	v_readlane_b32 s8, v50, 4
	v_readlane_b32 s9, v50, 5
	s_add_u32 s6, s8, s6
	s_addc_u32 s7, s9, s7
	v_mov_b32_e32 v0, 0
	global_store_dwordx2 v0, v[2:3], s[6:7]
.LBB92_294:
	s_or_b64 exec, exec, s[4:5]
.LBB92_295:
	s_or_saveexec_b64 s[2:3], s[2:3]
	s_mov_b64 s[4:5], 0
	s_xor_b64 exec, exec, s[2:3]
	s_cbranch_execnz .LBB92_298
.LBB92_296:
	s_or_b64 exec, exec, s[2:3]
	s_and_b64 s[2:3], s[4:5], exec
	s_andn2_saveexec_b64 s[0:1], s[0:1]
	s_cbranch_execz .LBB92_281
.LBB92_297:
	s_or_b64 s[2:3], s[2:3], exec
	s_trap 2
	s_or_b64 exec, exec, s[0:1]
	s_and_saveexec_b64 s[0:1], s[2:3]
	s_cbranch_execnz .LBB92_282
	s_branch .LBB92_283
.LBB92_298:
	s_mov_b64 s[4:5], exec
	s_trap 2
	s_branch .LBB92_296
	.section	.rodata,"a",@progbits
	.p2align	6, 0x0
	.amdhsa_kernel _ZN2at6native12_GLOBAL__N_112gatherMedianIimLi1EEEvNS_4cuda6detail10TensorInfoIT_T0_EENS5_IlS7_EENS5_IKS6_S7_EES7_S7_S7_b
		.amdhsa_group_segment_fixed_size 5152
		.amdhsa_private_segment_fixed_size 0
		.amdhsa_kernarg_size 1536
		.amdhsa_user_sgpr_count 6
		.amdhsa_user_sgpr_private_segment_buffer 1
		.amdhsa_user_sgpr_dispatch_ptr 0
		.amdhsa_user_sgpr_queue_ptr 0
		.amdhsa_user_sgpr_kernarg_segment_ptr 1
		.amdhsa_user_sgpr_dispatch_id 0
		.amdhsa_user_sgpr_flat_scratch_init 0
		.amdhsa_user_sgpr_kernarg_preload_length 0
		.amdhsa_user_sgpr_kernarg_preload_offset 0
		.amdhsa_user_sgpr_private_segment_size 0
		.amdhsa_uses_dynamic_stack 0
		.amdhsa_system_sgpr_private_segment_wavefront_offset 0
		.amdhsa_system_sgpr_workgroup_id_x 1
		.amdhsa_system_sgpr_workgroup_id_y 1
		.amdhsa_system_sgpr_workgroup_id_z 1
		.amdhsa_system_sgpr_workgroup_info 0
		.amdhsa_system_vgpr_workitem_id 0
		.amdhsa_next_free_vgpr 51
		.amdhsa_next_free_sgpr 96
		.amdhsa_accum_offset 52
		.amdhsa_reserve_vcc 1
		.amdhsa_reserve_flat_scratch 0
		.amdhsa_float_round_mode_32 0
		.amdhsa_float_round_mode_16_64 0
		.amdhsa_float_denorm_mode_32 3
		.amdhsa_float_denorm_mode_16_64 3
		.amdhsa_dx10_clamp 1
		.amdhsa_ieee_mode 1
		.amdhsa_fp16_overflow 0
		.amdhsa_tg_split 0
		.amdhsa_exception_fp_ieee_invalid_op 0
		.amdhsa_exception_fp_denorm_src 0
		.amdhsa_exception_fp_ieee_div_zero 0
		.amdhsa_exception_fp_ieee_overflow 0
		.amdhsa_exception_fp_ieee_underflow 0
		.amdhsa_exception_fp_ieee_inexact 0
		.amdhsa_exception_int_div_zero 0
	.end_amdhsa_kernel
	.section	.text._ZN2at6native12_GLOBAL__N_112gatherMedianIimLi1EEEvNS_4cuda6detail10TensorInfoIT_T0_EENS5_IlS7_EENS5_IKS6_S7_EES7_S7_S7_b,"axG",@progbits,_ZN2at6native12_GLOBAL__N_112gatherMedianIimLi1EEEvNS_4cuda6detail10TensorInfoIT_T0_EENS5_IlS7_EENS5_IKS6_S7_EES7_S7_S7_b,comdat
.Lfunc_end92:
	.size	_ZN2at6native12_GLOBAL__N_112gatherMedianIimLi1EEEvNS_4cuda6detail10TensorInfoIT_T0_EENS5_IlS7_EENS5_IKS6_S7_EES7_S7_S7_b, .Lfunc_end92-_ZN2at6native12_GLOBAL__N_112gatherMedianIimLi1EEEvNS_4cuda6detail10TensorInfoIT_T0_EENS5_IlS7_EENS5_IKS6_S7_EES7_S7_S7_b
                                        ; -- End function
	.section	.AMDGPU.csdata,"",@progbits
; Kernel info:
; codeLenInByte = 15416
; NumSgprs: 100
; NumVgprs: 51
; NumAgprs: 0
; TotalNumVgprs: 51
; ScratchSize: 0
; MemoryBound: 0
; FloatMode: 240
; IeeeMode: 1
; LDSByteSize: 5152 bytes/workgroup (compile time only)
; SGPRBlocks: 12
; VGPRBlocks: 6
; NumSGPRsForWavesPerEU: 100
; NumVGPRsForWavesPerEU: 51
; AccumOffset: 52
; Occupancy: 8
; WaveLimiterHint : 1
; COMPUTE_PGM_RSRC2:SCRATCH_EN: 0
; COMPUTE_PGM_RSRC2:USER_SGPR: 6
; COMPUTE_PGM_RSRC2:TRAP_HANDLER: 0
; COMPUTE_PGM_RSRC2:TGID_X_EN: 1
; COMPUTE_PGM_RSRC2:TGID_Y_EN: 1
; COMPUTE_PGM_RSRC2:TGID_Z_EN: 1
; COMPUTE_PGM_RSRC2:TIDIG_COMP_CNT: 0
; COMPUTE_PGM_RSRC3_GFX90A:ACCUM_OFFSET: 12
; COMPUTE_PGM_RSRC3_GFX90A:TG_SPLIT: 0
	.section	.text._ZN2at6native12_GLOBAL__N_112gatherMedianIimLi2EEEvNS_4cuda6detail10TensorInfoIT_T0_EENS5_IlS7_EENS5_IKS6_S7_EES7_S7_S7_b,"axG",@progbits,_ZN2at6native12_GLOBAL__N_112gatherMedianIimLi2EEEvNS_4cuda6detail10TensorInfoIT_T0_EENS5_IlS7_EENS5_IKS6_S7_EES7_S7_S7_b,comdat
	.globl	_ZN2at6native12_GLOBAL__N_112gatherMedianIimLi2EEEvNS_4cuda6detail10TensorInfoIT_T0_EENS5_IlS7_EENS5_IKS6_S7_EES7_S7_S7_b ; -- Begin function _ZN2at6native12_GLOBAL__N_112gatherMedianIimLi2EEEvNS_4cuda6detail10TensorInfoIT_T0_EENS5_IlS7_EENS5_IKS6_S7_EES7_S7_S7_b
	.p2align	8
	.type	_ZN2at6native12_GLOBAL__N_112gatherMedianIimLi2EEEvNS_4cuda6detail10TensorInfoIT_T0_EENS5_IlS7_EENS5_IKS6_S7_EES7_S7_S7_b,@function
_ZN2at6native12_GLOBAL__N_112gatherMedianIimLi2EEEvNS_4cuda6detail10TensorInfoIT_T0_EENS5_IlS7_EENS5_IKS6_S7_EES7_S7_S7_b: ; @_ZN2at6native12_GLOBAL__N_112gatherMedianIimLi2EEEvNS_4cuda6detail10TensorInfoIT_T0_EENS5_IlS7_EENS5_IKS6_S7_EES7_S7_S7_b
; %bb.0:
	s_load_dwordx4 s[52:55], s[4:5], 0x4e0
	s_load_dwordx2 s[12:13], s[4:5], 0x500
	s_add_u32 s14, s4, 0x500
	s_addc_u32 s15, s5, 0
	s_mov_b32 s25, 0
	s_waitcnt lgkmcnt(0)
	v_mov_b32_e32 v2, s54
	s_mul_i32 s0, s13, s8
	s_add_i32 s0, s0, s7
	s_mul_i32 s0, s0, s12
	v_mov_b32_e32 v3, s55
	s_add_i32 s24, s0, s6
	v_cmp_ge_u64_e32 vcc, s[24:25], v[2:3]
	s_cbranch_vccnz .LBB93_289
; %bb.1:
	s_load_dwordx2 s[18:19], s[4:5], 0x10
	s_load_dwordx2 s[2:3], s[4:5], 0x350
	;; [unrolled: 1-line block ×3, first 2 shown]
	s_mov_b64 s[16:17], 0
	s_mov_b64 s[0:1], 0
	s_waitcnt lgkmcnt(0)
	v_pk_mov_b32 v[2:3], s[18:19], s[18:19] op_sel:[0,1]
	v_cmp_lt_u64_e32 vcc, s[24:25], v[2:3]
	s_cbranch_vccnz .LBB93_3
; %bb.2:
	v_cvt_f32_u32_e32 v1, s18
	s_sub_i32 s0, 0, s18
	v_rcp_iflag_f32_e32 v1, v1
	v_mul_f32_e32 v1, 0x4f7ffffe, v1
	v_cvt_u32_f32_e32 v1, v1
	v_readfirstlane_b32 s1, v1
	s_mul_i32 s0, s0, s1
	s_mul_hi_u32 s0, s1, s0
	s_add_i32 s1, s1, s0
	s_mul_hi_u32 s0, s24, s1
	s_mul_i32 s7, s0, s18
	s_sub_i32 s7, s24, s7
	s_add_i32 s1, s0, 1
	s_sub_i32 s8, s7, s18
	s_cmp_ge_u32 s7, s18
	s_cselect_b32 s0, s1, s0
	s_cselect_b32 s7, s8, s7
	s_add_i32 s1, s0, 1
	s_cmp_ge_u32 s7, s18
	s_cselect_b32 s0, s1, s0
.LBB93_3:
	s_load_dwordx2 s[68:69], s[4:5], 0x4f0
                                        ; implicit-def: $vgpr42 : SGPR spill to VGPR lane
	v_pk_mov_b32 v[2:3], s[10:11], s[10:11] op_sel:[0,1]
	v_writelane_b32 v42, s0, 0
	v_writelane_b32 v42, s1, 1
	v_cmp_lt_u64_e32 vcc, s[24:25], v[2:3]
	v_writelane_b32 v42, s18, 2
	v_writelane_b32 v42, s19, 3
	s_cbranch_vccnz .LBB93_5
; %bb.4:
	v_cvt_f32_u32_e32 v1, s10
	s_sub_i32 s0, 0, s10
	v_rcp_iflag_f32_e32 v1, v1
	v_mul_f32_e32 v1, 0x4f7ffffe, v1
	v_cvt_u32_f32_e32 v1, v1
	v_readfirstlane_b32 s1, v1
	s_mul_i32 s0, s0, s1
	s_mul_hi_u32 s0, s1, s0
	s_add_i32 s1, s1, s0
	s_mul_hi_u32 s0, s24, s1
	s_mul_i32 s7, s0, s10
	s_sub_i32 s7, s24, s7
	s_add_i32 s1, s0, 1
	s_sub_i32 s8, s7, s10
	s_cmp_ge_u32 s7, s10
	s_cselect_b32 s0, s1, s0
	s_cselect_b32 s7, s8, s7
	s_add_i32 s1, s0, 1
	s_cmp_ge_u32 s7, s10
	s_cselect_b32 s16, s1, s0
.LBB93_5:
	v_writelane_b32 v42, s16, 4
	v_pk_mov_b32 v[2:3], s[2:3], s[2:3] op_sel:[0,1]
	v_writelane_b32 v42, s17, 5
	v_cmp_lt_u64_e32 vcc, s[24:25], v[2:3]
	v_writelane_b32 v42, s10, 6
	s_mov_b64 s[16:17], 0
	v_writelane_b32 v42, s11, 7
	s_cbranch_vccnz .LBB93_7
; %bb.6:
	v_cvt_f32_u32_e32 v1, s2
	s_sub_i32 s0, 0, s2
	v_rcp_iflag_f32_e32 v1, v1
	v_mul_f32_e32 v1, 0x4f7ffffe, v1
	v_cvt_u32_f32_e32 v1, v1
	v_readfirstlane_b32 s1, v1
	s_mul_i32 s0, s0, s1
	s_mul_hi_u32 s0, s1, s0
	s_add_i32 s1, s1, s0
	s_mul_hi_u32 s0, s24, s1
	s_mul_i32 s7, s0, s2
	s_sub_i32 s7, s24, s7
	s_add_i32 s1, s0, 1
	s_sub_i32 s8, s7, s2
	s_cmp_ge_u32 s7, s2
	s_cselect_b32 s0, s1, s0
	s_cselect_b32 s7, s8, s7
	s_add_i32 s1, s0, 1
	s_cmp_ge_u32 s7, s2
	s_cselect_b32 s16, s1, s0
.LBB93_7:
	s_load_dwordx2 s[18:19], s[4:5], 0x340
	v_cmp_eq_u32_e64 s[0:1], 0, v0
	s_mov_b64 s[8:9], exec
	v_writelane_b32 v42, s0, 8
	v_writelane_b32 v42, s1, 9
	s_and_b64 s[0:1], s[8:9], s[0:1]
	s_mov_b64 exec, s[0:1]
	s_cbranch_execz .LBB93_9
; %bb.8:
	v_mov_b32_e32 v2, 0
	v_mov_b32_e32 v3, v2
	ds_write_b64 v2, v[2:3] offset:5136
.LBB93_9:
	s_or_b64 exec, exec, s[8:9]
	s_load_dwordx2 s[0:1], s[4:5], 0x1a0
	v_mov_b32_e32 v3, 0
	s_waitcnt lgkmcnt(0)
	s_barrier
	v_writelane_b32 v42, s0, 10
	s_barrier
	ds_read_b64 v[4:5], v3 offset:5136
	v_writelane_b32 v42, s1, 11
	s_load_dwordx2 s[0:1], s[4:5], 0x0
	s_load_dwordx4 s[8:11], s[4:5], 0x410
	s_waitcnt lgkmcnt(0)
	v_readfirstlane_b32 s20, v4
	v_readfirstlane_b32 s21, v5
	v_writelane_b32 v42, s0, 12
	v_writelane_b32 v42, s1, 13
	s_mov_b64 s[22:23], exec
	v_readlane_b32 s0, v42, 8
	v_readlane_b32 s1, v42, 9
	s_and_b64 s[0:1], s[22:23], s[0:1]
	s_mov_b64 exec, s[0:1]
	s_cbranch_execz .LBB93_11
; %bb.10:
	v_mov_b32_e32 v4, s52
	v_mov_b32_e32 v5, s53
	;; [unrolled: 1-line block ×3, first 2 shown]
	ds_write_b32 v3, v3 offset:5144
	ds_write_b128 v3, v[2:5] offset:5120
.LBB93_11:
	s_or_b64 exec, exec, s[22:23]
	s_load_dword s7, s[4:5], 0x4f8
	s_load_dwordx4 s[28:31], s[4:5], 0x270
                                        ; kill: killed $sgpr4 killed $sgpr5
	v_cmp_lt_i64_e64 s[0:1], s[20:21], 1
	v_mov_b32_e32 v1, v3
	v_mov_b32_e32 v4, 0x300
	s_waitcnt lgkmcnt(0)
	s_bitcmp1_b32 s7, 0
	v_writelane_b32 v42, s28, 14
	v_writelane_b32 v42, s29, 15
	;; [unrolled: 1-line block ×4, first 2 shown]
	s_load_dwordx4 s[28:31], s[4:5], 0xd0
	s_cselect_b64 s[4:5], -1, 0
	s_not_b64 s[20:21], s[20:21]
	s_or_b64 s[0:1], s[4:5], s[0:1]
	s_add_u32 s4, s20, s52
	s_addc_u32 s5, s21, s53
	s_lshr_b64 s[4:5], s[4:5], 1
	s_add_u32 s4, s4, 1
	s_waitcnt lgkmcnt(0)
	v_writelane_b32 v42, s28, 18
	s_addc_u32 s5, s5, 0
	v_writelane_b32 v42, s29, 19
	s_and_b64 s[0:1], s[0:1], exec
	v_writelane_b32 v42, s30, 20
	s_mul_i32 s0, s16, s3
	s_mul_hi_u32 s1, s16, s2
	v_writelane_b32 v42, s31, 21
	s_cselect_b32 s83, s5, s53
	s_cselect_b32 s82, s4, s52
	s_add_i32 s1, s1, s0
	s_mul_i32 s0, s16, s2
	s_mov_b32 s2, s24
	v_writelane_b32 v42, s2, 22
	s_sub_u32 s0, s24, s0
	v_writelane_b32 v42, s3, 23
	s_subb_u32 s1, 0, s1
	s_mul_i32 s2, s0, s11
	s_mul_hi_u32 s3, s0, s10
	s_add_i32 s2, s3, s2
	s_mul_i32 s1, s1, s10
	s_add_i32 s1, s2, s1
	s_mul_i32 s2, s16, s9
	s_mul_hi_u32 s3, s16, s8
	s_add_i32 s3, s3, s2
	s_mul_i32 s2, s16, s8
	s_lshl_b64 s[2:3], s[2:3], 2
	s_mul_i32 s0, s0, s10
	s_add_u32 s2, s18, s2
	s_addc_u32 s3, s19, s3
	s_lshl_b64 s[0:1], s[0:1], 2
	s_add_u32 s33, s2, s0
	s_addc_u32 s84, s3, s1
	v_cmp_gt_u64_e64 s[0:1], s[52:53], v[0:1]
	v_writelane_b32 v42, s0, 24
	v_writelane_b32 v42, s1, 25
	v_cmp_gt_u32_e64 s[0:1], 2, v0
	v_writelane_b32 v42, s0, 26
	v_mov_b32_e32 v5, 0
	v_writelane_b32 v42, s1, 27
	v_cmp_gt_u64_e64 s[0:1], s[52:53], v[4:5]
	v_writelane_b32 v42, s0, 28
	v_mbcnt_lo_u32_b32 v2, -1, 0
	v_writelane_b32 v42, s1, 29
	v_mad_u64_u32 v[4:5], s[0:1], v0, s68, 0
	v_mbcnt_hi_u32_b32 v26, -1, v2
	v_mov_b32_e32 v2, v5
	v_mad_u64_u32 v[6:7], s[0:1], v0, s69, v[2:3]
	s_barrier
	s_load_dword s0, s[14:15], 0xc
	v_cmp_gt_u32_e32 vcc, 64, v0
	v_cmp_gt_i32_e64 s[8:9], 4, v26
	s_and_b64 s[80:81], vcc, s[8:9]
	v_mov_b32_e32 v5, v6
	s_waitcnt lgkmcnt(0)
	s_and_b32 s55, s0, 0xffff
	s_bfe_u32 s1, s0, 0xa0006
	v_cmp_gt_u16_e64 s[2:3], s0, 63
	v_writelane_b32 v42, s2, 30
	s_add_u32 s0, s55, -1
	v_writelane_b32 v42, s3, 31
	s_addc_u32 s2, 0, -1
	s_add_u32 s85, s0, s52
	s_addc_u32 s87, s2, s53
	s_cmp_lt_u32 s6, s12
	v_writelane_b32 v42, s0, 32
	s_cselect_b32 s0, 12, 18
	s_add_u32 s88, s14, s0
	v_writelane_b32 v42, s2, 33
	s_addc_u32 s89, s15, 0
	s_add_i32 s0, s1, -1
	s_bfe_u32 s2, s55, 0x30006
	s_cmp_gt_u32 s0, 6
	s_cselect_b64 s[6:7], -1, 0
	v_writelane_b32 v42, s6, 34
	s_and_b32 s0, s1, 0x3f8
	v_lshlrev_b64 v[4:5], 2, v[4:5]
	v_lshrrev_b32_e32 v2, 4, v0
	v_writelane_b32 v42, s7, 35
	s_cmp_lg_u32 s2, 0
	v_mov_b32_e32 v28, s84
	v_add_co_u32_e32 v14, vcc, s33, v4
	v_and_b32_e32 v29, 60, v2
	v_lshlrev_b32_e32 v2, 2, v26
	v_writelane_b32 v42, s2, 36
	s_cselect_b64 s[2:3], -1, 0
	s_mov_b32 s79, 0
	v_lshlrev_b32_e32 v12, 2, v0
	v_addc_co_u32_e32 v15, vcc, v28, v5, vcc
	v_and_b32_e32 v30, 0x100, v2
	v_lshlrev_b64 v[4:5], v26, -1
	v_writelane_b32 v42, s2, 37
	v_mov_b32_e32 v2, 0xc00
	v_cmp_eq_u32_e64 s[4:5], 0, v26
	v_add_u32_e32 v27, 0xc00, v12
	v_mov_b32_e32 v13, v3
	v_not_b32_e32 v17, v5
	v_not_b32_e32 v16, v4
	s_mov_b32 s54, s79
	v_writelane_b32 v42, s3, 38
	v_lshlrev_b32_e32 v31, 4, v0
	v_lshl_or_b32 v32, v26, 3, v2
	s_lshl_b32 s1, s55, 2
	s_mov_b32 s2, 30
	s_mov_b64 s[94:95], 0
	v_mov_b32_e32 v18, 1
	v_mov_b32_e32 v33, 0x4f800000
	;; [unrolled: 1-line block ×3, first 2 shown]
	s_mov_b32 s3, 0
	s_mov_b32 s27, 0
	s_mov_b32 s26, 0
                                        ; implicit-def: $sgpr56_sgpr57
                                        ; implicit-def: $sgpr76_sgpr77
                                        ; implicit-def: $sgpr58_sgpr59
                                        ; implicit-def: $sgpr60_sgpr61
                                        ; implicit-def: $sgpr62_sgpr63
                                        ; implicit-def: $sgpr66_sgpr67
	s_branch .LBB93_16
.LBB93_12:                              ;   in Loop: Header=BB93_16 Depth=1
	s_xor_b32 s3, s3, 1
	s_add_i32 s14, s2, -2
	s_cmp_eq_u32 s2, 0
	s_mov_b64 s[8:9], 0
	s_cselect_b64 s[10:11], -1, 0
	s_mov_b32 s2, s14
.LBB93_13:                              ;   in Loop: Header=BB93_16 Depth=1
	s_andn2_b64 s[14:15], s[20:21], exec
	s_and_b64 s[8:9], s[8:9], exec
	s_or_b64 s[20:21], s[14:15], s[8:9]
	s_andn2_b64 s[22:23], s[22:23], exec
	s_andn2_b64 s[18:19], s[18:19], exec
	s_orn2_b64 s[14:15], s[10:11], exec
.LBB93_14:                              ;   in Loop: Header=BB93_16 Depth=1
	s_or_b64 exec, exec, s[6:7]
	s_andn2_b64 s[6:7], s[66:67], exec
	s_and_b64 s[8:9], s[20:21], exec
	s_or_b64 s[66:67], s[6:7], s[8:9]
	s_andn2_b64 s[6:7], s[62:63], exec
	s_and_b64 s[8:9], s[22:23], exec
	s_or_b64 s[62:63], s[6:7], s[8:9]
	;; [unrolled: 3-line block ×3, first 2 shown]
	s_orn2_b64 s[18:19], s[14:15], exec
.LBB93_15:                              ;   in Loop: Header=BB93_16 Depth=1
	s_or_b64 exec, exec, s[12:13]
	s_and_b64 s[6:7], exec, s[18:19]
	s_or_b64 s[94:95], s[6:7], s[94:95]
	s_andn2_b64 s[6:7], s[58:59], exec
	s_and_b64 s[8:9], s[66:67], exec
	s_or_b64 s[58:59], s[6:7], s[8:9]
	s_andn2_b64 s[6:7], s[76:77], exec
	s_and_b64 s[8:9], s[62:63], exec
	;; [unrolled: 3-line block ×3, first 2 shown]
	v_mov_b32_e32 v2, s27
	s_or_b64 s[56:57], s[6:7], s[8:9]
	s_andn2_b64 exec, exec, s[94:95]
	s_cbranch_execz .LBB93_285
.LBB93_16:                              ; =>This Loop Header: Depth=1
                                        ;     Child Loop BB93_24 Depth 2
                                        ;     Child Loop BB93_39 Depth 2
	;; [unrolled: 1-line block ×16, first 2 shown]
	ds_read_b128 v[4:7], v3 offset:5120
	s_waitcnt lgkmcnt(0)
	v_readfirstlane_b32 s65, v5
	v_readfirstlane_b32 s64, v4
	s_cmp_lg_u64 s[64:65], 0
	s_cbranch_scc1 .LBB93_46
; %bb.17:                               ;   in Loop: Header=BB93_16 Depth=1
	v_readlane_b32 s6, v42, 28
	v_readlane_b32 s7, v42, 29
	s_and_b64 vcc, exec, s[6:7]
	s_cbranch_vccz .LBB93_32
; %bb.18:                               ;   in Loop: Header=BB93_16 Depth=1
	s_mov_b64 s[6:7], 0x301
	v_cmp_gt_u64_e32 vcc, s[6:7], v[6:7]
	s_mov_b64 s[64:65], 0
	s_mov_b64 s[6:7], 0
	s_cbranch_vccz .LBB93_33
; %bb.19:                               ;   in Loop: Header=BB93_16 Depth=1
	v_mov_b32_e32 v2, 0
	s_mov_b64 s[6:7], exec
	v_readlane_b32 s8, v42, 24
	v_readlane_b32 s9, v42, 25
	s_and_b64 s[8:9], s[6:7], s[8:9]
	s_mov_b64 exec, s[8:9]
	s_cbranch_execz .LBB93_21
; %bb.20:                               ;   in Loop: Header=BB93_16 Depth=1
	global_load_dword v2, v[14:15], off
.LBB93_21:                              ;   in Loop: Header=BB93_16 Depth=1
	s_or_b64 exec, exec, s[6:7]
	s_mov_b64 s[8:9], exec
	v_readlane_b32 s6, v42, 24
	v_readlane_b32 s7, v42, 25
	s_and_b64 s[6:7], s[8:9], s[6:7]
	s_mov_b64 exec, s[6:7]
	s_cbranch_execz .LBB93_149
; %bb.22:                               ;   in Loop: Header=BB93_16 Depth=1
	global_load_ushort v6, v3, s[88:89]
	s_mov_b64 s[12:13], 0
	v_pk_mov_b32 v[4:5], v[0:1], v[0:1] op_sel:[0,1]
	s_branch .LBB93_24
.LBB93_23:                              ;   in Loop: Header=BB93_24 Depth=2
	s_or_b64 exec, exec, s[6:7]
	s_waitcnt vmcnt(0)
	v_mov_b32_e32 v2, v7
	s_andn2_b64 exec, exec, s[12:13]
	s_cbranch_execz .LBB93_149
.LBB93_24:                              ;   Parent Loop BB93_16 Depth=1
                                        ; =>  This Inner Loop Header: Depth=2
	s_waitcnt vmcnt(0)
	v_add_co_u32_sdwa v4, vcc, v4, v6 dst_sel:DWORD dst_unused:UNUSED_PAD src0_sel:DWORD src1_sel:WORD_0
	v_addc_co_u32_e32 v5, vcc, 0, v5, vcc
	v_cmp_gt_u64_e64 s[6:7], s[52:53], v[4:5]
	v_cmp_le_u64_e32 vcc, s[52:53], v[4:5]
	s_waitcnt lgkmcnt(0)
	v_mov_b32_e32 v8, 0
	v_mov_b32_e32 v7, 0
	s_and_saveexec_b64 s[10:11], s[6:7]
	s_cbranch_execz .LBB93_26
; %bb.25:                               ;   in Loop: Header=BB93_24 Depth=2
	v_mul_lo_u32 v7, v5, s68
	v_mul_lo_u32 v9, v4, s69
	v_mad_u64_u32 v[10:11], s[6:7], v4, s68, 0
	v_add3_u32 v11, v11, v9, v7
	v_lshlrev_b64 v[10:11], 2, v[10:11]
	v_add_co_u32_e64 v10, s[6:7], s33, v10
	v_addc_co_u32_e64 v11, s[6:7], v28, v11, s[6:7]
	global_load_dword v7, v[10:11], off
.LBB93_26:                              ;   in Loop: Header=BB93_24 Depth=2
	s_or_b64 exec, exec, s[10:11]
	v_xor_b32_e32 v9, 0x80000000, v2
	v_and_b32_e32 v9, s26, v9
	v_cmp_eq_u32_e64 s[10:11], s27, v9
	s_cmp_lg_u64 s[10:11], 0
	s_cselect_b64 s[6:7], -1, 0
	s_and_b64 s[6:7], s[4:5], s[6:7]
	s_and_saveexec_b64 s[14:15], s[6:7]
	s_cbranch_execz .LBB93_30
; %bb.27:                               ;   in Loop: Header=BB93_24 Depth=2
	s_mov_b64 s[18:19], exec
	v_mbcnt_lo_u32_b32 v8, s18, 0
	v_mbcnt_hi_u32_b32 v8, s19, v8
	s_bcnt1_i32_b64 s20, s[10:11]
	v_cmp_eq_u32_e64 s[6:7], 0, v8
                                        ; implicit-def: $vgpr9
	s_and_saveexec_b64 s[16:17], s[6:7]
	s_cbranch_execz .LBB93_29
; %bb.28:                               ;   in Loop: Header=BB93_24 Depth=2
	s_bcnt1_i32_b64 s6, s[18:19]
	s_mul_i32 s6, s20, s6
	v_mov_b32_e32 v9, s6
	ds_add_rtn_u32 v9, v3, v9 offset:5144
.LBB93_29:                              ;   in Loop: Header=BB93_24 Depth=2
	s_or_b64 exec, exec, s[16:17]
	s_waitcnt lgkmcnt(0)
	v_readfirstlane_b32 s6, v9
	v_mov_b32_e32 v9, s6
	v_mad_u32_u24 v8, s20, v8, v9
.LBB93_30:                              ;   in Loop: Header=BB93_24 Depth=2
	s_or_b64 exec, exec, s[14:15]
	ds_bpermute_b32 v8, v30, v8
	s_and_b64 s[6:7], exec, vcc
	s_or_b64 s[12:13], s[6:7], s[12:13]
	s_and_saveexec_b64 s[6:7], s[10:11]
	s_cbranch_execz .LBB93_23
; %bb.31:                               ;   in Loop: Header=BB93_24 Depth=2
	v_and_b32_e32 v10, s10, v16
	v_and_b32_e32 v9, s11, v17
	v_bcnt_u32_b32 v10, v10, 0
	v_bcnt_u32_b32 v9, v9, v10
	v_lshlrev_b32_e32 v9, 2, v9
	s_waitcnt lgkmcnt(0)
	v_lshl_add_u32 v8, v8, 2, v9
	ds_write_b32 v8, v2
	s_branch .LBB93_23
.LBB93_32:                              ;   in Loop: Header=BB93_16 Depth=1
	s_mov_b64 s[64:65], -1
	s_mov_b64 s[6:7], 0
.LBB93_33:                              ;   in Loop: Header=BB93_16 Depth=1
	s_and_b64 vcc, exec, s[64:65]
	s_cbranch_vccz .LBB93_44
.LBB93_34:                              ;   in Loop: Header=BB93_16 Depth=1
	s_waitcnt vmcnt(0)
	v_mov_b32_e32 v2, 0
	s_mov_b64 s[6:7], exec
	v_readlane_b32 s8, v42, 24
	v_readlane_b32 s9, v42, 25
	s_and_b64 s[8:9], s[6:7], s[8:9]
	s_mov_b64 exec, s[8:9]
	s_cbranch_execz .LBB93_36
; %bb.35:                               ;   in Loop: Header=BB93_16 Depth=1
	global_load_dword v2, v[14:15], off
.LBB93_36:                              ;   in Loop: Header=BB93_16 Depth=1
	s_or_b64 exec, exec, s[6:7]
	s_mov_b64 s[8:9], exec
	v_readlane_b32 s6, v42, 24
	v_readlane_b32 s7, v42, 25
	s_and_b64 s[6:7], s[8:9], s[6:7]
	s_mov_b64 exec, s[6:7]
	s_cbranch_execz .LBB93_41
; %bb.37:                               ;   in Loop: Header=BB93_16 Depth=1
	global_load_ushort v4, v3, s[88:89]
	s_mov_b64 s[10:11], 0
	v_mov_b32_e32 v6, v12
	s_waitcnt vmcnt(0)
	v_and_b32_e32 v7, 0xffff, v4
	v_lshlrev_b32_e32 v8, 2, v7
	v_pk_mov_b32 v[4:5], v[0:1], v[0:1] op_sel:[0,1]
	s_branch .LBB93_39
.LBB93_38:                              ;   in Loop: Header=BB93_39 Depth=2
	s_or_b64 exec, exec, s[12:13]
	s_and_b64 s[6:7], exec, vcc
	s_or_b64 s[10:11], s[6:7], s[10:11]
	ds_write_b32 v6, v2
	v_add_u32_e32 v6, v6, v8
	s_waitcnt vmcnt(0)
	v_mov_b32_e32 v2, v9
	s_andn2_b64 exec, exec, s[10:11]
	s_cbranch_execz .LBB93_41
.LBB93_39:                              ;   Parent Loop BB93_16 Depth=1
                                        ; =>  This Inner Loop Header: Depth=2
	v_add_co_u32_e32 v4, vcc, v4, v7
	v_addc_co_u32_e32 v5, vcc, 0, v5, vcc
	v_cmp_gt_u64_e64 s[6:7], s[52:53], v[4:5]
	v_cmp_le_u64_e32 vcc, s[52:53], v[4:5]
	v_mov_b32_e32 v9, 0
	s_and_saveexec_b64 s[12:13], s[6:7]
	s_cbranch_execz .LBB93_38
; %bb.40:                               ;   in Loop: Header=BB93_39 Depth=2
	v_mul_lo_u32 v9, v5, s68
	v_mul_lo_u32 v19, v4, s69
	v_mad_u64_u32 v[10:11], s[6:7], v4, s68, 0
	v_add3_u32 v11, v11, v19, v9
	v_lshlrev_b64 v[10:11], 2, v[10:11]
	v_mov_b32_e32 v9, s84
	v_add_co_u32_e64 v10, s[6:7], s33, v10
	v_addc_co_u32_e64 v11, s[6:7], v9, v11, s[6:7]
	global_load_dword v9, v[10:11], off
	s_branch .LBB93_38
.LBB93_41:                              ;   in Loop: Header=BB93_16 Depth=1
	s_or_b64 exec, exec, s[8:9]
	s_waitcnt lgkmcnt(0)
	s_barrier
	s_mov_b64 s[6:7], exec
	v_readlane_b32 s8, v42, 8
	v_readlane_b32 s9, v42, 9
	s_and_b64 s[8:9], s[6:7], s[8:9]
	s_mov_b64 exec, s[8:9]
	s_cbranch_execz .LBB93_43
; %bb.42:                               ;   in Loop: Header=BB93_16 Depth=1
	v_pk_mov_b32 v[4:5], s[52:53], s[52:53] op_sel:[0,1]
	ds_write_b64 v3, v[4:5] offset:5120
.LBB93_43:                              ;   in Loop: Header=BB93_16 Depth=1
	s_or_b64 exec, exec, s[6:7]
	s_mov_b64 s[6:7], -1
	s_waitcnt lgkmcnt(0)
	s_barrier
                                        ; implicit-def: $sgpr64_sgpr65
.LBB93_44:                              ;   in Loop: Header=BB93_16 Depth=1
	s_and_b64 vcc, exec, s[6:7]
	s_cbranch_vccz .LBB93_46
; %bb.45:                               ;   in Loop: Header=BB93_16 Depth=1
	ds_read_b64 v[4:5], v3 offset:5120
	s_waitcnt lgkmcnt(0)
	v_readfirstlane_b32 s64, v4
.LBB93_46:                              ;   in Loop: Header=BB93_16 Depth=1
	s_cmp_lt_i32 s64, 1
	s_cbranch_scc0 .LBB93_61
; %bb.47:                               ;   in Loop: Header=BB93_16 Depth=1
	global_load_ushort v19, v3, s[88:89]
	s_mov_b32 s6, s79
	s_waitcnt vmcnt(0)
	v_readfirstlane_b32 s7, v19
	s_and_b32 s7, 0xffff, s7
	s_lshl_b32 s65, s7, 2
	s_mov_b32 s7, s53
	s_cmp_lg_u64 s[6:7], 0
	s_cbranch_scc0 .LBB93_81
; %bb.48:                               ;   in Loop: Header=BB93_16 Depth=1
	v_cvt_f32_u32_e32 v2, s65
	s_sub_u32 s6, 0, s65
	s_subb_u32 s7, 0, 0
	v_mac_f32_e32 v2, 0, v33
	v_rcp_f32_e32 v2, v2
	v_mul_f32_e32 v2, 0x5f7ffffc, v2
	v_mul_f32_e32 v4, 0x2f800000, v2
	v_trunc_f32_e32 v4, v4
	v_mac_f32_e32 v2, 0xcf800000, v4
	v_cvt_u32_f32_e32 v4, v4
	v_cvt_u32_f32_e32 v2, v2
	v_readfirstlane_b32 s8, v4
	v_readfirstlane_b32 s9, v2
	s_mul_i32 s10, s6, s8
	s_mul_hi_u32 s12, s6, s9
	s_mul_i32 s11, s7, s9
	s_add_i32 s10, s12, s10
	s_mul_i32 s13, s6, s9
	s_add_i32 s10, s10, s11
	s_mul_hi_u32 s12, s9, s13
	s_mul_hi_u32 s11, s9, s10
	s_mul_i32 s9, s9, s10
	s_add_u32 s9, s12, s9
	s_addc_u32 s11, 0, s11
	s_mul_hi_u32 s14, s8, s13
	s_mul_i32 s13, s8, s13
	s_add_u32 s9, s9, s13
	s_mul_hi_u32 s12, s8, s10
	s_addc_u32 s9, s11, s14
	s_addc_u32 s11, s12, 0
	s_mul_i32 s10, s8, s10
	s_add_u32 s9, s9, s10
	s_addc_u32 s10, 0, s11
	v_add_co_u32_e32 v2, vcc, s9, v2
	s_cmp_lg_u64 vcc, 0
	s_addc_u32 s8, s8, s10
	v_readfirstlane_b32 s10, v2
	s_mul_i32 s9, s6, s8
	s_mul_hi_u32 s11, s6, s10
	s_add_i32 s9, s11, s9
	s_mul_i32 s7, s7, s10
	s_add_i32 s9, s9, s7
	s_mul_i32 s6, s6, s10
	s_mul_hi_u32 s11, s8, s6
	s_mul_i32 s12, s8, s6
	s_mul_i32 s14, s10, s9
	s_mul_hi_u32 s6, s10, s6
	s_mul_hi_u32 s13, s10, s9
	s_add_u32 s6, s6, s14
	s_addc_u32 s10, 0, s13
	s_add_u32 s6, s6, s12
	s_mul_hi_u32 s7, s8, s9
	s_addc_u32 s6, s10, s11
	s_addc_u32 s7, s7, 0
	s_mul_i32 s9, s8, s9
	s_add_u32 s6, s6, s9
	s_addc_u32 s7, 0, s7
	v_add_co_u32_e32 v2, vcc, s6, v2
	s_cmp_lg_u64 vcc, 0
	s_addc_u32 s6, s8, s7
	v_readfirstlane_b32 s9, v2
	s_mul_i32 s8, s52, s6
	s_mul_hi_u32 s10, s52, s9
	s_mul_hi_u32 s7, s52, s6
	s_add_u32 s8, s10, s8
	s_addc_u32 s7, 0, s7
	s_mul_hi_u32 s11, s53, s9
	s_mul_i32 s9, s53, s9
	s_add_u32 s8, s8, s9
	s_mul_hi_u32 s10, s53, s6
	s_addc_u32 s7, s7, s11
	s_addc_u32 s8, s10, 0
	s_mul_i32 s6, s53, s6
	s_add_u32 s6, s7, s6
	s_addc_u32 s7, 0, s8
	s_mul_hi_u32 s8, s65, s6
	s_mul_i32 s6, s65, s6
	s_mul_i32 s7, s65, s7
	v_mov_b32_e32 v2, s6
	s_add_i32 s8, s8, s7
	v_sub_co_u32_e32 v2, vcc, s52, v2
	s_cmp_lg_u64 vcc, 0
	s_subb_u32 s6, s53, s8
	v_subrev_co_u32_e32 v4, vcc, s65, v2
	s_cmp_lg_u64 vcc, 0
	s_subb_u32 s7, s6, 0
	v_subrev_co_u32_e32 v5, vcc, s65, v4
	s_cmp_lg_u64 vcc, 0
	s_subb_u32 s8, s7, 0
	v_cmp_le_u32_e32 vcc, s65, v4
	s_cmp_eq_u32 s7, 0
	v_cndmask_b32_e64 v6, 0, -1, vcc
	s_cselect_b64 vcc, -1, 0
	v_cndmask_b32_e32 v6, -1, v6, vcc
	v_mov_b32_e32 v7, s7
	v_mov_b32_e32 v8, s8
	v_cmp_ne_u32_e32 vcc, 0, v6
	v_cndmask_b32_e32 v6, v7, v8, vcc
	v_cndmask_b32_e32 v4, v4, v5, vcc
	v_cmp_le_u32_e32 vcc, s65, v2
	s_cmp_eq_u32 s6, 0
	v_cndmask_b32_e64 v5, 0, -1, vcc
	s_cselect_b64 vcc, -1, 0
	v_cndmask_b32_e32 v5, -1, v5, vcc
	v_mov_b32_e32 v7, s6
	v_cmp_ne_u32_e32 vcc, 0, v5
	v_cndmask_b32_e32 v5, v7, v6, vcc
	v_cndmask_b32_e32 v4, v2, v4, vcc
	s_cbranch_execnz .LBB93_50
.LBB93_49:                              ;   in Loop: Header=BB93_16 Depth=1
	v_cvt_f32_u32_e32 v2, s65
	s_sub_i32 s6, 0, s65
	v_rcp_iflag_f32_e32 v2, v2
	v_mul_f32_e32 v2, 0x4f7ffffe, v2
	v_cvt_u32_f32_e32 v2, v2
	v_mul_lo_u32 v4, s6, v2
	v_mul_hi_u32 v4, v2, v4
	v_add_u32_e32 v2, v2, v4
	v_mul_hi_u32 v2, s52, v2
	v_mul_lo_u32 v2, v2, s65
	v_sub_u32_e32 v2, s52, v2
	v_subrev_u32_e32 v4, s65, v2
	v_cmp_le_u32_e32 vcc, s65, v2
	v_cndmask_b32_e32 v2, v2, v4, vcc
	v_subrev_u32_e32 v4, s65, v2
	v_cmp_le_u32_e32 vcc, s65, v2
	v_cndmask_b32_e32 v2, v2, v4, vcc
	v_pk_mov_b32 v[4:5], v[2:3], v[2:3] op_sel:[0,1]
.LBB93_50:                              ;   in Loop: Header=BB93_16 Depth=1
	v_mov_b32_e32 v2, s53
	v_sub_co_u32_e32 v22, vcc, s52, v4
	v_subb_co_u32_e32 v23, vcc, v2, v5, vcc
	v_pk_mov_b32 v[4:5], 0, 0
	v_cmp_gt_u64_e32 vcc, v[22:23], v[12:13]
	s_mov_b64 s[70:71], 0
	v_pk_mov_b32 v[6:7], v[4:5], v[4:5] op_sel:[0,1]
	v_pk_mov_b32 v[8:9], v[4:5], v[4:5] op_sel:[0,1]
	;; [unrolled: 1-line block ×3, first 2 shown]
	s_and_saveexec_b64 s[50:51], vcc
	s_cbranch_execz .LBB93_54
; %bb.51:                               ;   in Loop: Header=BB93_16 Depth=1
	s_and_b32 s78, s2, 0xfe
	s_mov_b64 s[74:75], 0
	s_mov_b64 s[72:73], 0
	;; [unrolled: 1-line block ×4, first 2 shown]
	v_pk_mov_b32 v[24:25], v[12:13], v[12:13] op_sel:[0,1]
.LBB93_52:                              ;   Parent Loop BB93_16 Depth=1
                                        ; =>  This Inner Loop Header: Depth=2
	v_mul_lo_u32 v2, v25, s68
	v_mul_lo_u32 v6, v24, s69
	v_mad_u64_u32 v[4:5], s[6:7], v24, s68, 0
	v_add3_u32 v5, v5, v6, v2
	v_lshlrev_b64 v[4:5], 2, v[4:5]
	v_mov_b32_e32 v7, s84
	v_add_co_u32_e64 v4, s[6:7], s33, v4
	s_lshl_b64 s[8:9], s[68:69], 2
	v_addc_co_u32_e64 v5, s[6:7], v7, v5, s[6:7]
	v_mov_b32_e32 v2, s9
	v_add_co_u32_e64 v6, s[6:7], s8, v4
	v_addc_co_u32_e64 v7, s[6:7], v5, v2, s[6:7]
	global_load_dword v8, v[4:5], off
	global_load_dword v9, v[6:7], off
	v_add_co_u32_e64 v4, s[6:7], s8, v6
	v_addc_co_u32_e64 v5, s[6:7], v7, v2, s[6:7]
	global_load_dword v6, v[4:5], off
	v_add_co_u32_e64 v4, s[6:7], s8, v4
	v_addc_co_u32_e64 v5, s[6:7], v5, v2, s[6:7]
	global_load_dword v2, v[4:5], off
	v_add_co_u32_e32 v24, vcc, s65, v24
	v_addc_co_u32_e32 v25, vcc, 0, v25, vcc
	v_cmp_ge_u64_e32 vcc, v[24:25], v[22:23]
	s_waitcnt vmcnt(3)
	v_xor_b32_e32 v4, 0x80000000, v8
	v_and_b32_e32 v7, s26, v4
	v_bfe_u32 v4, v4, s78, 2
	s_waitcnt vmcnt(2)
	v_xor_b32_e32 v5, 0x80000000, v9
	v_cmp_eq_u32_e64 s[10:11], s27, v7
	v_cmp_eq_u32_e64 s[6:7], 0, v4
	s_waitcnt vmcnt(1)
	v_xor_b32_e32 v6, 0x80000000, v6
	v_and_b32_e32 v7, s26, v5
	v_bfe_u32 v5, v5, s78, 2
	v_cmp_eq_u32_e64 s[28:29], 1, v4
	v_cmp_eq_u32_e64 s[30:31], 2, v4
	;; [unrolled: 1-line block ×3, first 2 shown]
	s_waitcnt vmcnt(0)
	v_xor_b32_e32 v2, 0x80000000, v2
	v_and_b32_e32 v4, s26, v6
	v_bfe_u32 v6, v6, s78, 2
	s_and_b64 s[6:7], s[10:11], s[6:7]
	v_cmp_eq_u32_e64 s[12:13], s27, v7
	v_cmp_eq_u32_e64 s[22:23], 0, v5
	;; [unrolled: 1-line block ×5, first 2 shown]
	v_cndmask_b32_e64 v5, 0, 1, s[6:7]
	v_cmp_eq_u32_e64 s[18:19], s27, v4
	v_and_b32_e32 v4, s26, v2
	v_bfe_u32 v2, v2, s78, 2
	v_cmp_eq_u32_e64 s[6:7], 0, v6
	s_and_b64 s[8:9], s[12:13], s[22:23]
	v_cmp_eq_u32_e64 s[22:23], s27, v4
	v_cmp_eq_u32_e64 s[44:45], 0, v2
	s_and_b64 s[6:7], s[18:19], s[6:7]
	v_cmp_ne_u32_e64 s[42:43], 0, v5
	v_cndmask_b32_e64 v5, 0, 1, s[8:9]
	v_cmp_eq_u32_e64 s[46:47], 1, v2
	v_cmp_eq_u32_e64 s[48:49], 2, v2
	v_cmp_eq_u32_e64 s[24:25], 3, v2
	v_cndmask_b32_e64 v2, 0, 1, s[6:7]
	s_and_b64 s[8:9], s[22:23], s[44:45]
	v_cmp_ne_u32_e64 s[6:7], 0, v2
	v_cndmask_b32_e64 v2, 0, 1, s[8:9]
	s_bcnt1_i32_b64 s86, s[42:43]
	v_cmp_ne_u32_e64 s[42:43], 0, v5
	s_bcnt1_i32_b64 s8, s[6:7]
	v_cmp_ne_u32_e64 s[6:7], 0, v2
	s_bcnt1_i32_b64 s42, s[42:43]
	s_bcnt1_i32_b64 s6, s[6:7]
	s_add_u32 s7, s86, s92
	s_addc_u32 s9, 0, s93
	s_add_u32 s7, s7, s42
	s_addc_u32 s9, s9, 0
	;; [unrolled: 2-line block ×4, first 2 shown]
	s_and_b64 s[6:7], s[10:11], s[28:29]
	v_cmp_eq_u32_e64 s[38:39], 1, v6
	v_cndmask_b32_e64 v2, 0, 1, s[6:7]
	s_and_b64 s[6:7], s[12:13], s[34:35]
	v_cmp_eq_u32_e64 s[40:41], 2, v6
	v_cmp_eq_u32_e64 s[20:21], 3, v6
	v_cndmask_b32_e64 v6, 0, 1, s[6:7]
	s_and_b64 s[6:7], s[18:19], s[38:39]
	v_cndmask_b32_e64 v7, 0, 1, s[6:7]
	s_and_b64 s[6:7], s[22:23], s[46:47]
	v_cndmask_b32_e64 v8, 0, 1, s[6:7]
	v_cmp_ne_u32_e64 s[6:7], 0, v2
	v_cmp_ne_u32_e64 s[28:29], 0, v6
	;; [unrolled: 1-line block ×4, first 2 shown]
	s_bcnt1_i32_b64 s6, s[6:7]
	s_bcnt1_i32_b64 s7, s[28:29]
	;; [unrolled: 1-line block ×4, first 2 shown]
	s_add_u32 s6, s6, s90
	s_addc_u32 s28, 0, s91
	s_add_u32 s6, s6, s7
	s_addc_u32 s7, s28, 0
	;; [unrolled: 2-line block ×4, first 2 shown]
	s_and_b64 s[6:7], s[10:11], s[30:31]
	v_cndmask_b32_e64 v2, 0, 1, s[6:7]
	s_and_b64 s[6:7], s[12:13], s[36:37]
	v_cndmask_b32_e64 v8, 0, 1, s[6:7]
	s_and_b64 s[6:7], s[18:19], s[40:41]
	v_cndmask_b32_e64 v9, 0, 1, s[6:7]
	s_and_b64 s[6:7], s[22:23], s[48:49]
	v_cndmask_b32_e64 v10, 0, 1, s[6:7]
	v_cmp_ne_u32_e64 s[6:7], 0, v2
	v_cmp_ne_u32_e64 s[28:29], 0, v8
	;; [unrolled: 1-line block ×4, first 2 shown]
	s_bcnt1_i32_b64 s6, s[6:7]
	s_bcnt1_i32_b64 s7, s[28:29]
	;; [unrolled: 1-line block ×4, first 2 shown]
	s_add_u32 s6, s6, s72
	s_addc_u32 s28, 0, s73
	s_add_u32 s6, s6, s7
	s_addc_u32 s7, s28, 0
	;; [unrolled: 2-line block ×4, first 2 shown]
	s_and_b64 s[6:7], s[10:11], s[14:15]
	v_cndmask_b32_e64 v2, 0, 1, s[6:7]
	s_and_b64 s[6:7], s[12:13], s[16:17]
	v_cndmask_b32_e64 v10, 0, 1, s[6:7]
	;; [unrolled: 2-line block ×4, first 2 shown]
	v_cmp_ne_u32_e64 s[6:7], 0, v2
	v_cmp_ne_u32_e64 s[10:11], 0, v10
	;; [unrolled: 1-line block ×4, first 2 shown]
	s_bcnt1_i32_b64 s6, s[6:7]
	s_bcnt1_i32_b64 s7, s[10:11]
	s_bcnt1_i32_b64 s8, s[12:13]
	s_bcnt1_i32_b64 s9, s[14:15]
	s_add_u32 s6, s6, s74
	s_addc_u32 s10, 0, s75
	s_add_u32 s6, s6, s7
	s_addc_u32 s7, s10, 0
	s_add_u32 s6, s6, s8
	s_addc_u32 s7, s7, 0
	s_add_u32 s74, s6, s9
	s_addc_u32 s75, s7, 0
	v_pk_mov_b32 v[4:5], s[92:93], s[92:93] op_sel:[0,1]
	v_pk_mov_b32 v[6:7], s[90:91], s[90:91] op_sel:[0,1]
	;; [unrolled: 1-line block ×3, first 2 shown]
	s_or_b64 s[70:71], vcc, s[70:71]
	v_pk_mov_b32 v[10:11], s[74:75], s[74:75] op_sel:[0,1]
	s_andn2_b64 exec, exec, s[70:71]
	s_cbranch_execnz .LBB93_52
; %bb.53:                               ;   in Loop: Header=BB93_16 Depth=1
	s_or_b64 exec, exec, s[70:71]
.LBB93_54:                              ;   in Loop: Header=BB93_16 Depth=1
	s_or_b64 exec, exec, s[50:51]
	v_add_co_u32_e32 v22, vcc, v22, v0
	v_addc_co_u32_e32 v23, vcc, 0, v23, vcc
	v_cmp_gt_u64_e32 vcc, s[52:53], v[22:23]
	v_mov_b32_e32 v2, 0
	s_and_saveexec_b64 s[8:9], vcc
	s_cbranch_execz .LBB93_56
; %bb.55:                               ;   in Loop: Header=BB93_16 Depth=1
	v_mul_lo_u32 v2, v23, s68
	v_mul_lo_u32 v20, v22, s69
	v_mad_u64_u32 v[24:25], s[6:7], v22, s68, 0
	v_add3_u32 v25, v25, v20, v2
	v_lshlrev_b64 v[24:25], 2, v[24:25]
	v_mov_b32_e32 v2, s84
	v_add_co_u32_e64 v24, s[6:7], s33, v24
	v_addc_co_u32_e64 v25, s[6:7], v2, v25, s[6:7]
	global_load_dword v2, v[24:25], off
.LBB93_56:                              ;   in Loop: Header=BB93_16 Depth=1
	s_or_b64 exec, exec, s[8:9]
	s_and_saveexec_b64 s[8:9], vcc
	s_cbranch_execz .LBB93_63
; %bb.57:                               ;   in Loop: Header=BB93_16 Depth=1
	s_and_b32 s14, s2, 0xfe
	s_mov_b64 s[10:11], 0
	s_branch .LBB93_59
.LBB93_58:                              ;   in Loop: Header=BB93_59 Depth=2
	s_or_b64 exec, exec, s[12:13]
	s_waitcnt vmcnt(0)
	v_xor_b32_e32 v2, 0x80000000, v2
	s_and_b64 s[6:7], exec, vcc
	v_and_b32_e32 v24, s26, v2
	v_bfe_u32 v2, v2, s14, 2
	s_or_b64 s[10:11], s[6:7], s[10:11]
	v_cmp_eq_u32_e32 vcc, s27, v24
	v_cmp_eq_u32_e64 s[6:7], 0, v2
	s_and_b64 s[6:7], vcc, s[6:7]
	v_cndmask_b32_e64 v24, 0, 1, s[6:7]
	v_cmp_ne_u32_e64 s[6:7], 0, v24
	s_bcnt1_i32_b64 s6, s[6:7]
	v_add_co_u32_e64 v4, s[6:7], s6, v4
	v_addc_co_u32_e64 v5, s[6:7], 0, v5, s[6:7]
	v_cmp_eq_u32_e64 s[6:7], 1, v2
	s_and_b64 s[6:7], vcc, s[6:7]
	v_cndmask_b32_e64 v24, 0, 1, s[6:7]
	v_cmp_ne_u32_e64 s[6:7], 0, v24
	s_bcnt1_i32_b64 s6, s[6:7]
	v_add_co_u32_e64 v6, s[6:7], s6, v6
	v_addc_co_u32_e64 v7, s[6:7], 0, v7, s[6:7]
	;; [unrolled: 7-line block ×3, first 2 shown]
	v_cmp_eq_u32_e64 s[6:7], 3, v2
	s_and_b64 s[6:7], vcc, s[6:7]
	v_cndmask_b32_e64 v2, 0, 1, s[6:7]
	v_cmp_ne_u32_e32 vcc, 0, v2
	s_bcnt1_i32_b64 s6, vcc
	v_add_co_u32_e32 v10, vcc, s6, v10
	v_addc_co_u32_e32 v11, vcc, 0, v11, vcc
	v_mov_b32_e32 v2, v20
	s_andn2_b64 exec, exec, s[10:11]
	s_cbranch_execz .LBB93_62
.LBB93_59:                              ;   Parent Loop BB93_16 Depth=1
                                        ; =>  This Inner Loop Header: Depth=2
	v_add_co_u32_sdwa v22, vcc, v22, v19 dst_sel:DWORD dst_unused:UNUSED_PAD src0_sel:DWORD src1_sel:WORD_0
	v_addc_co_u32_e32 v23, vcc, 0, v23, vcc
	v_cmp_gt_u64_e64 s[6:7], s[52:53], v[22:23]
	v_cmp_le_u64_e32 vcc, s[52:53], v[22:23]
	v_mov_b32_e32 v20, 0
	s_and_saveexec_b64 s[12:13], s[6:7]
	s_cbranch_execz .LBB93_58
; %bb.60:                               ;   in Loop: Header=BB93_59 Depth=2
	v_mul_lo_u32 v20, v23, s68
	v_mul_lo_u32 v34, v22, s69
	v_mad_u64_u32 v[24:25], s[6:7], v22, s68, 0
	v_add3_u32 v25, v25, v34, v20
	v_lshlrev_b64 v[24:25], 2, v[24:25]
	v_mov_b32_e32 v20, s84
	v_add_co_u32_e64 v24, s[6:7], s33, v24
	v_addc_co_u32_e64 v25, s[6:7], v20, v25, s[6:7]
	global_load_dword v20, v[24:25], off
	s_branch .LBB93_58
.LBB93_61:                              ;   in Loop: Header=BB93_16 Depth=1
                                        ; implicit-def: $vgpr10_vgpr11
                                        ; implicit-def: $vgpr6_vgpr7
	s_cbranch_execnz .LBB93_64
	s_branch .LBB93_73
.LBB93_62:                              ;   in Loop: Header=BB93_16 Depth=1
	s_or_b64 exec, exec, s[10:11]
.LBB93_63:                              ;   in Loop: Header=BB93_16 Depth=1
	s_or_b64 exec, exec, s[8:9]
	s_branch .LBB93_73
.LBB93_64:                              ;   in Loop: Header=BB93_16 Depth=1
	global_load_ushort v2, v3, s[88:89]
	s_mov_b64 s[70:71], 0
	s_waitcnt vmcnt(0)
	v_readfirstlane_b32 s6, v2
	s_and_b32 s6, 0xffff, s6
	s_lshl_b32 s65, s6, 2
	v_cvt_f32_u32_e32 v4, s65
	s_sub_i32 s6, 0, s65
	v_and_b32_e32 v19, 0xffff, v2
	v_rcp_iflag_f32_e32 v8, v4
	v_pk_mov_b32 v[4:5], 0, 0
	v_pk_mov_b32 v[6:7], v[4:5], v[4:5] op_sel:[0,1]
	v_mul_f32_e32 v8, 0x4f7ffffe, v8
	v_cvt_u32_f32_e32 v10, v8
	v_pk_mov_b32 v[8:9], v[4:5], v[4:5] op_sel:[0,1]
	v_readfirstlane_b32 s7, v10
	s_mul_i32 s6, s6, s7
	s_mul_hi_u32 s6, s7, s6
	s_add_i32 s7, s7, s6
	s_mul_hi_u32 s6, s64, s7
	s_mul_i32 s6, s6, s65
	s_sub_i32 s6, s64, s6
	s_sub_i32 s7, s6, s65
	s_cmp_ge_u32 s6, s65
	s_cselect_b32 s6, s7, s6
	s_sub_i32 s7, s6, s65
	s_cmp_ge_u32 s6, s65
	s_cselect_b32 s6, s7, s6
	s_sub_i32 s78, s64, s6
	v_cmp_gt_u32_e32 vcc, s78, v12
	v_pk_mov_b32 v[10:11], v[4:5], v[4:5] op_sel:[0,1]
	s_and_saveexec_b64 s[72:73], vcc
	s_cbranch_execz .LBB93_68
; %bb.65:                               ;   in Loop: Header=BB93_16 Depth=1
	s_and_b32 s86, s2, 0xfe
	v_lshlrev_b32_e32 v2, 4, v19
	v_mov_b32_e32 v20, v31
	s_mov_b64 s[74:75], 0
	s_mov_b64 s[90:91], 0
	;; [unrolled: 1-line block ×4, first 2 shown]
	v_pk_mov_b32 v[22:23], v[12:13], v[12:13] op_sel:[0,1]
.LBB93_66:                              ;   Parent Loop BB93_16 Depth=1
                                        ; =>  This Inner Loop Header: Depth=2
	ds_read_b128 v[4:7], v20
	v_add_co_u32_e32 v22, vcc, s65, v22
	v_addc_co_u32_e32 v23, vcc, 0, v23, vcc
	s_waitcnt lgkmcnt(0)
	v_xor_b32_e32 v4, 0x80000000, v4
	v_xor_b32_e32 v5, 0x80000000, v5
	v_and_b32_e32 v8, s26, v4
	v_bfe_u32 v4, v4, s86, 2
	v_xor_b32_e32 v6, 0x80000000, v6
	v_and_b32_e32 v9, s26, v5
	v_bfe_u32 v5, v5, s86, 2
	v_cmp_eq_u32_e64 s[16:17], s27, v8
	v_cmp_eq_u32_e64 s[6:7], 0, v4
	v_xor_b32_e32 v7, 0x80000000, v7
	v_and_b32_e32 v10, s26, v6
	v_bfe_u32 v6, v6, s86, 2
	v_cmp_eq_u32_e64 s[14:15], s27, v9
	v_cmp_eq_u32_e64 s[28:29], 0, v5
	s_and_b64 s[6:7], s[16:17], s[6:7]
	v_and_b32_e32 v11, s26, v7
	v_bfe_u32 v7, v7, s86, 2
	v_cmp_eq_u32_e64 s[12:13], s27, v10
	v_cmp_eq_u32_e64 s[30:31], 0, v6
	;; [unrolled: 1-line block ×5, first 2 shown]
	v_cndmask_b32_e64 v4, 0, 1, s[6:7]
	s_and_b64 s[6:7], s[14:15], s[28:29]
	v_cmp_eq_u32_e64 s[10:11], s27, v11
	v_cmp_eq_u32_e64 s[34:35], 0, v7
	;; [unrolled: 1-line block ×5, first 2 shown]
	v_cndmask_b32_e64 v5, 0, 1, s[6:7]
	s_and_b64 s[6:7], s[12:13], s[30:31]
	v_cmp_eq_u32_e64 s[40:41], 1, v6
	v_cmp_eq_u32_e64 s[48:49], 2, v6
	;; [unrolled: 1-line block ×3, first 2 shown]
	v_cndmask_b32_e64 v6, 0, 1, s[6:7]
	s_and_b64 s[6:7], s[10:11], s[34:35]
	v_cmp_eq_u32_e64 s[42:43], 1, v7
	v_cmp_eq_u32_e64 s[50:51], 2, v7
	;; [unrolled: 1-line block ×3, first 2 shown]
	v_cndmask_b32_e64 v7, 0, 1, s[6:7]
	v_cmp_ne_u32_e64 s[6:7], 0, v4
	v_cmp_ne_u32_e64 s[28:29], 0, v5
	v_cmp_ne_u32_e64 s[30:31], 0, v6
	v_cmp_ne_u32_e64 s[34:35], 0, v7
	s_bcnt1_i32_b64 s6, s[6:7]
	s_bcnt1_i32_b64 s7, s[28:29]
	s_bcnt1_i32_b64 s28, s[30:31]
	s_bcnt1_i32_b64 s29, s[34:35]
	s_add_u32 s6, s6, s8
	s_addc_u32 s8, 0, s9
	s_add_u32 s6, s6, s7
	s_addc_u32 s7, s8, 0
	s_add_u32 s6, s6, s28
	s_addc_u32 s7, s7, 0
	s_add_u32 s8, s6, s29
	s_addc_u32 s9, s7, 0
	s_and_b64 s[6:7], s[16:17], s[36:37]
	v_cndmask_b32_e64 v6, 0, 1, s[6:7]
	s_and_b64 s[6:7], s[14:15], s[38:39]
	v_cndmask_b32_e64 v7, 0, 1, s[6:7]
	s_and_b64 s[6:7], s[12:13], s[40:41]
	v_cndmask_b32_e64 v8, 0, 1, s[6:7]
	s_and_b64 s[6:7], s[10:11], s[42:43]
	v_cndmask_b32_e64 v9, 0, 1, s[6:7]
	v_cmp_ne_u32_e64 s[6:7], 0, v6
	v_cmp_ne_u32_e64 s[28:29], 0, v7
	v_cmp_ne_u32_e64 s[30:31], 0, v8
	v_cmp_ne_u32_e64 s[34:35], 0, v9
	s_bcnt1_i32_b64 s6, s[6:7]
	s_bcnt1_i32_b64 s7, s[28:29]
	s_bcnt1_i32_b64 s28, s[30:31]
	s_bcnt1_i32_b64 s29, s[34:35]
	s_add_u32 s6, s6, s92
	s_addc_u32 s30, 0, s93
	s_add_u32 s6, s6, s7
	s_addc_u32 s7, s30, 0
	s_add_u32 s6, s6, s28
	s_addc_u32 s7, s7, 0
	s_add_u32 s92, s6, s29
	s_addc_u32 s93, s7, 0
	s_and_b64 s[6:7], s[16:17], s[44:45]
	v_cndmask_b32_e64 v8, 0, 1, s[6:7]
	s_and_b64 s[6:7], s[14:15], s[46:47]
	v_cndmask_b32_e64 v9, 0, 1, s[6:7]
	s_and_b64 s[6:7], s[12:13], s[48:49]
	v_cndmask_b32_e64 v10, 0, 1, s[6:7]
	s_and_b64 s[6:7], s[10:11], s[50:51]
	v_cndmask_b32_e64 v11, 0, 1, s[6:7]
	v_cmp_ne_u32_e64 s[6:7], 0, v8
	v_cmp_ne_u32_e64 s[28:29], 0, v9
	v_cmp_ne_u32_e64 s[30:31], 0, v10
	v_cmp_ne_u32_e64 s[34:35], 0, v11
	s_bcnt1_i32_b64 s6, s[6:7]
	s_bcnt1_i32_b64 s7, s[28:29]
	s_bcnt1_i32_b64 s28, s[30:31]
	s_bcnt1_i32_b64 s29, s[34:35]
	s_add_u32 s6, s6, s90
	s_addc_u32 s30, 0, s91
	s_add_u32 s6, s6, s7
	s_addc_u32 s7, s30, 0
	s_add_u32 s6, s6, s28
	s_addc_u32 s7, s7, 0
	s_add_u32 s90, s6, s29
	s_addc_u32 s91, s7, 0
	s_and_b64 s[6:7], s[16:17], s[24:25]
	v_cndmask_b32_e64 v10, 0, 1, s[6:7]
	s_and_b64 s[6:7], s[14:15], s[22:23]
	v_cndmask_b32_e64 v11, 0, 1, s[6:7]
	s_and_b64 s[6:7], s[12:13], s[20:21]
	v_cndmask_b32_e64 v24, 0, 1, s[6:7]
	s_and_b64 s[6:7], s[10:11], s[18:19]
	v_cndmask_b32_e64 v25, 0, 1, s[6:7]
	v_cmp_ne_u32_e64 s[6:7], 0, v10
	v_cmp_ne_u32_e64 s[10:11], 0, v11
	;; [unrolled: 1-line block ×4, first 2 shown]
	s_bcnt1_i32_b64 s6, s[6:7]
	s_bcnt1_i32_b64 s7, s[10:11]
	;; [unrolled: 1-line block ×4, first 2 shown]
	s_add_u32 s6, s6, s74
	s_addc_u32 s12, 0, s75
	s_add_u32 s6, s6, s7
	s_addc_u32 s7, s12, 0
	;; [unrolled: 2-line block ×3, first 2 shown]
	s_add_u32 s74, s6, s11
	v_cmp_le_u64_e32 vcc, s[78:79], v[22:23]
	s_addc_u32 s75, s7, 0
	v_add_u32_e32 v20, v20, v2
	v_pk_mov_b32 v[4:5], s[8:9], s[8:9] op_sel:[0,1]
	v_pk_mov_b32 v[6:7], s[92:93], s[92:93] op_sel:[0,1]
	;; [unrolled: 1-line block ×3, first 2 shown]
	s_or_b64 s[70:71], vcc, s[70:71]
	v_pk_mov_b32 v[10:11], s[74:75], s[74:75] op_sel:[0,1]
	s_andn2_b64 exec, exec, s[70:71]
	s_cbranch_execnz .LBB93_66
; %bb.67:                               ;   in Loop: Header=BB93_16 Depth=1
	s_or_b64 exec, exec, s[70:71]
.LBB93_68:                              ;   in Loop: Header=BB93_16 Depth=1
	s_or_b64 exec, exec, s[72:73]
	v_add_u32_e32 v2, s78, v0
	v_cmp_gt_u32_e32 vcc, s64, v2
	s_and_saveexec_b64 s[8:9], vcc
	s_cbranch_execz .LBB93_72
; %bb.69:                               ;   in Loop: Header=BB93_16 Depth=1
	s_and_b32 s78, s64, 0x7fffffff
	s_and_b32 s20, s2, 0xfe
	v_lshlrev_b32_e32 v20, 2, v2
	s_mov_b64 s[18:19], 0
	v_pk_mov_b32 v[22:23], v[2:3], v[2:3] op_sel:[0,1]
.LBB93_70:                              ;   Parent Loop BB93_16 Depth=1
                                        ; =>  This Inner Loop Header: Depth=2
	ds_read_b32 v2, v20
	v_add_co_u32_e32 v22, vcc, v22, v19
	v_addc_co_u32_e32 v23, vcc, 0, v23, vcc
	s_waitcnt lgkmcnt(0)
	v_xor_b32_e32 v2, 0x80000000, v2
	v_and_b32_e32 v24, s26, v2
	v_bfe_u32 v2, v2, s20, 2
	v_cmp_eq_u32_e64 s[6:7], s27, v24
	v_cmp_eq_u32_e64 s[10:11], 0, v2
	;; [unrolled: 1-line block ×3, first 2 shown]
	s_and_b64 s[10:11], s[6:7], s[10:11]
	v_cmp_eq_u32_e64 s[14:15], 2, v2
	v_cmp_eq_u32_e64 s[16:17], 3, v2
	v_cndmask_b32_e64 v2, 0, 1, s[10:11]
	s_and_b64 s[10:11], s[6:7], s[12:13]
	v_cndmask_b32_e64 v24, 0, 1, s[10:11]
	s_and_b64 s[10:11], s[6:7], s[14:15]
	s_and_b64 s[6:7], s[6:7], s[16:17]
	v_cndmask_b32_e64 v34, 0, 1, s[6:7]
	v_cmp_ne_u32_e64 s[6:7], 0, v2
	s_bcnt1_i32_b64 s6, s[6:7]
	v_cndmask_b32_e64 v25, 0, 1, s[10:11]
	v_cmp_ne_u32_e64 s[10:11], 0, v24
	v_add_co_u32_e64 v4, s[6:7], s6, v4
	s_bcnt1_i32_b64 s10, s[10:11]
	v_addc_co_u32_e64 v5, s[6:7], 0, v5, s[6:7]
	v_cmp_ne_u32_e64 s[12:13], 0, v25
	v_cmp_ne_u32_e64 s[14:15], 0, v34
	v_add_co_u32_e64 v6, s[6:7], s10, v6
	v_cmp_le_u64_e32 vcc, s[78:79], v[22:23]
	s_bcnt1_i32_b64 s11, s[12:13]
	s_bcnt1_i32_b64 s12, s[14:15]
	v_addc_co_u32_e64 v7, s[6:7], 0, v7, s[6:7]
	v_add_co_u32_e64 v8, s[6:7], s11, v8
	s_or_b64 s[18:19], vcc, s[18:19]
	v_add_co_u32_e32 v10, vcc, s12, v10
	v_add_u32_e32 v20, s65, v20
	v_addc_co_u32_e64 v9, s[6:7], 0, v9, s[6:7]
	v_addc_co_u32_e32 v11, vcc, 0, v11, vcc
	s_andn2_b64 exec, exec, s[18:19]
	s_cbranch_execnz .LBB93_70
; %bb.71:                               ;   in Loop: Header=BB93_16 Depth=1
	s_or_b64 exec, exec, s[18:19]
.LBB93_72:                              ;   in Loop: Header=BB93_16 Depth=1
	s_or_b64 exec, exec, s[8:9]
.LBB93_73:                              ;   in Loop: Header=BB93_16 Depth=1
	s_lshl_b32 s8, s3, 6
	s_and_saveexec_b64 s[6:7], s[4:5]
	s_cbranch_execz .LBB93_75
; %bb.74:                               ;   in Loop: Header=BB93_16 Depth=1
	s_waitcnt vmcnt(0)
	v_or_b32_e32 v2, s8, v29
	v_lshlrev_b32_e32 v2, 3, v2
	ds_write_b128 v2, v[4:7] offset:3072
	ds_write_b128 v2, v[8:11] offset:3088
.LBB93_75:                              ;   in Loop: Header=BB93_16 Depth=1
	s_or_b64 exec, exec, s[6:7]
	s_waitcnt lgkmcnt(0)
	s_barrier
	s_and_saveexec_b64 s[6:7], s[80:81]
	s_cbranch_execz .LBB93_87
; %bb.76:                               ;   in Loop: Header=BB93_16 Depth=1
	v_readlane_b32 s10, v42, 30
	v_readlane_b32 s11, v42, 31
	s_andn2_b64 vcc, exec, s[10:11]
	v_pk_mov_b32 v[4:5], 0, 0
	s_cbranch_vccnz .LBB93_86
; %bb.77:                               ;   in Loop: Header=BB93_16 Depth=1
	v_readlane_b32 s10, v42, 34
	v_readlane_b32 s11, v42, 35
	s_andn2_b64 vcc, exec, s[10:11]
	s_cbranch_vccnz .LBB93_82
; %bb.78:                               ;   in Loop: Header=BB93_16 Depth=1
	s_waitcnt vmcnt(0)
	v_lshl_add_u32 v2, s3, 9, v32
	s_mov_b32 s9, 0
	v_pk_mov_b32 v[4:5], 0, 0
.LBB93_79:                              ;   Parent Loop BB93_16 Depth=1
                                        ; =>  This Inner Loop Header: Depth=2
	ds_read2_b64 v[6:9], v2 offset1:4
	ds_read2_b64 v[22:25], v2 offset0:8 offset1:12
	ds_read2_b64 v[34:37], v2 offset0:16 offset1:20
	;; [unrolled: 1-line block ×3, first 2 shown]
	s_add_i32 s9, s9, 8
	s_waitcnt lgkmcnt(3)
	v_add_co_u32_e32 v4, vcc, v6, v4
	v_addc_co_u32_e32 v5, vcc, v7, v5, vcc
	v_add_co_u32_e32 v4, vcc, v8, v4
	v_addc_co_u32_e32 v5, vcc, v9, v5, vcc
	s_waitcnt lgkmcnt(2)
	v_add_co_u32_e32 v4, vcc, v22, v4
	v_addc_co_u32_e32 v5, vcc, v23, v5, vcc
	v_add_co_u32_e32 v4, vcc, v24, v4
	v_addc_co_u32_e32 v5, vcc, v25, v5, vcc
	;; [unrolled: 5-line block ×3, first 2 shown]
	s_waitcnt lgkmcnt(0)
	v_add_co_u32_e32 v4, vcc, v38, v4
	v_addc_co_u32_e32 v5, vcc, v39, v5, vcc
	v_add_co_u32_e32 v4, vcc, v40, v4
	v_add_u32_e32 v2, 0x100, v2
	s_cmp_eq_u32 s0, s9
	v_addc_co_u32_e32 v5, vcc, v41, v5, vcc
	s_cbranch_scc0 .LBB93_79
; %bb.80:                               ;   in Loop: Header=BB93_16 Depth=1
	s_mov_b32 s9, s0
	s_branch .LBB93_83
.LBB93_81:                              ;   in Loop: Header=BB93_16 Depth=1
                                        ; implicit-def: $vgpr4_vgpr5
	s_branch .LBB93_49
.LBB93_82:                              ;   in Loop: Header=BB93_16 Depth=1
	s_mov_b32 s9, 0
	v_pk_mov_b32 v[4:5], 0, 0
.LBB93_83:                              ;   in Loop: Header=BB93_16 Depth=1
	v_readlane_b32 s10, v42, 37
	v_readlane_b32 s11, v42, 38
	s_andn2_b64 vcc, exec, s[10:11]
	s_cbranch_vccnz .LBB93_86
; %bb.84:                               ;   in Loop: Header=BB93_16 Depth=1
	s_lshl_b32 s10, s3, 9
	s_lshl_b32 s9, s9, 5
	s_add_i32 s10, s10, s9
	s_waitcnt vmcnt(0)
	v_add_u32_e32 v2, s10, v32
	v_readlane_b32 s9, v42, 36
.LBB93_85:                              ;   Parent Loop BB93_16 Depth=1
                                        ; =>  This Inner Loop Header: Depth=2
	ds_read_b64 v[6:7], v2
	s_add_i32 s9, s9, -1
	v_add_u32_e32 v2, 32, v2
	s_cmp_lg_u32 s9, 0
	s_waitcnt lgkmcnt(0)
	v_add_co_u32_e32 v4, vcc, v6, v4
	v_addc_co_u32_e32 v5, vcc, v7, v5, vcc
	s_cbranch_scc1 .LBB93_85
.LBB93_86:                              ;   in Loop: Header=BB93_16 Depth=1
	s_waitcnt vmcnt(0)
	v_add_lshl_u32 v2, s8, v26, 3
	ds_write_b64 v2, v[4:5] offset:3072
.LBB93_87:                              ;   in Loop: Header=BB93_16 Depth=1
	s_or_b64 exec, exec, s[6:7]
	s_lshl_b32 s6, s8, 3
	s_waitcnt vmcnt(0)
	v_mov_b32_e32 v2, s6
	s_waitcnt lgkmcnt(0)
	s_barrier
	ds_read_b128 v[4:7], v2 offset:3072
	ds_read_b128 v[8:11], v2 offset:3088
	s_and_b32 s40, s2, 0xfe
	s_lshl_b32 s48, 3, s40
	s_not_b32 s41, s48
	s_waitcnt lgkmcnt(1)
	v_readfirstlane_b32 s15, v5
	v_readfirstlane_b32 s14, v4
	s_cmp_eq_u64 s[14:15], 1
	s_cselect_b64 s[6:7], -1, 0
	s_cmp_eq_u64 s[82:83], 1
	s_cselect_b64 s[8:9], -1, 0
	s_and_b64 s[20:21], s[6:7], s[8:9]
	v_readfirstlane_b32 s28, v6
	v_readfirstlane_b32 s29, v7
	s_waitcnt lgkmcnt(0)
	v_readfirstlane_b32 s16, v8
	v_readfirstlane_b32 s17, v9
	;; [unrolled: 1-line block ×4, first 2 shown]
	s_mov_b64 s[18:19], -1
	s_and_b64 vcc, exec, s[20:21]
	s_cbranch_vccz .LBB93_102
; %bb.88:                               ;   in Loop: Header=BB93_16 Depth=1
	ds_read_b64 v[4:5], v3 offset:5120
	s_waitcnt lgkmcnt(0)
	s_barrier
	v_readfirstlane_b32 s6, v4
	v_readfirstlane_b32 s7, v5
	s_mov_b64 s[8:9], exec
	v_readlane_b32 s12, v42, 26
	v_readlane_b32 s13, v42, 27
	s_and_b64 s[12:13], s[8:9], s[12:13]
	s_mov_b64 exec, s[12:13]
	s_cbranch_execz .LBB93_90
; %bb.89:                               ;   in Loop: Header=BB93_16 Depth=1
	ds_write_b32 v27, v3
.LBB93_90:                              ;   in Loop: Header=BB93_16 Depth=1
	s_or_b64 exec, exec, s[8:9]
	s_and_b32 s27, s27, s41
	s_or_b32 s26, s26, s48
	s_cmp_eq_u64 s[6:7], 0
	s_waitcnt lgkmcnt(0)
	s_barrier
	s_cbranch_scc1 .LBB93_103
; %bb.91:                               ;   in Loop: Header=BB93_16 Depth=1
	v_readlane_b32 s8, v42, 32
	s_add_u32 s22, s8, s6
	v_readlane_b32 s8, v42, 33
	s_addc_u32 s9, s8, s7
	s_mov_b32 s8, s79
	s_cmp_lg_u64 s[8:9], 0
	s_cbranch_scc0 .LBB93_148
; %bb.92:                               ;   in Loop: Header=BB93_16 Depth=1
	v_cvt_f32_u32_e32 v2, s55
	s_sub_u32 s8, 0, s55
	s_subb_u32 s12, 0, 0
	v_mac_f32_e32 v2, 0, v33
	v_rcp_f32_e32 v2, v2
	v_mul_f32_e32 v2, 0x5f7ffffc, v2
	v_mul_f32_e32 v4, 0x2f800000, v2
	v_trunc_f32_e32 v4, v4
	v_mac_f32_e32 v2, 0xcf800000, v4
	v_cvt_u32_f32_e32 v4, v4
	v_cvt_u32_f32_e32 v2, v2
	v_readfirstlane_b32 s13, v4
	v_readfirstlane_b32 s23, v2
	s_mul_i32 s24, s8, s13
	s_mul_hi_u32 s30, s8, s23
	s_mul_i32 s25, s12, s23
	s_add_i32 s24, s30, s24
	s_mul_i32 s31, s8, s23
	s_add_i32 s24, s24, s25
	s_mul_hi_u32 s30, s23, s31
	s_mul_hi_u32 s25, s23, s24
	s_mul_i32 s23, s23, s24
	s_add_u32 s23, s30, s23
	s_addc_u32 s25, 0, s25
	s_mul_hi_u32 s34, s13, s31
	s_mul_i32 s31, s13, s31
	s_add_u32 s23, s23, s31
	s_mul_hi_u32 s30, s13, s24
	s_addc_u32 s23, s25, s34
	s_addc_u32 s25, s30, 0
	s_mul_i32 s24, s13, s24
	s_add_u32 s23, s23, s24
	s_addc_u32 s24, 0, s25
	v_add_co_u32_e32 v2, vcc, s23, v2
	s_cmp_lg_u64 vcc, 0
	s_addc_u32 s13, s13, s24
	v_readfirstlane_b32 s24, v2
	s_mul_i32 s23, s8, s13
	s_mul_hi_u32 s25, s8, s24
	s_add_i32 s23, s25, s23
	s_mul_i32 s12, s12, s24
	s_add_i32 s23, s23, s12
	s_mul_i32 s8, s8, s24
	s_mul_hi_u32 s25, s13, s8
	s_mul_i32 s30, s13, s8
	s_mul_i32 s34, s24, s23
	s_mul_hi_u32 s8, s24, s8
	s_mul_hi_u32 s31, s24, s23
	s_add_u32 s8, s8, s34
	s_addc_u32 s24, 0, s31
	s_add_u32 s8, s8, s30
	s_mul_hi_u32 s12, s13, s23
	s_addc_u32 s8, s24, s25
	s_addc_u32 s12, s12, 0
	s_mul_i32 s23, s13, s23
	s_add_u32 s8, s8, s23
	s_addc_u32 s12, 0, s12
	v_add_co_u32_e32 v2, vcc, s8, v2
	s_cmp_lg_u64 vcc, 0
	s_addc_u32 s8, s13, s12
	v_readfirstlane_b32 s23, v2
	s_mul_i32 s13, s22, s8
	s_mul_hi_u32 s24, s22, s23
	s_mul_hi_u32 s12, s22, s8
	s_add_u32 s13, s24, s13
	s_addc_u32 s12, 0, s12
	s_mul_hi_u32 s25, s9, s23
	s_mul_i32 s23, s9, s23
	s_add_u32 s13, s13, s23
	s_mul_hi_u32 s24, s9, s8
	s_addc_u32 s12, s12, s25
	s_addc_u32 s13, s24, 0
	s_mul_i32 s8, s9, s8
	s_add_u32 s8, s12, s8
	s_addc_u32 s12, 0, s13
	s_mul_hi_u32 s13, s55, s8
	s_mul_i32 s8, s55, s8
	s_mul_i32 s12, s55, s12
	v_mov_b32_e32 v2, s8
	s_add_i32 s13, s13, s12
	v_sub_co_u32_e32 v2, vcc, s22, v2
	s_cmp_lg_u64 vcc, 0
	s_subb_u32 s8, s9, s13
	v_subrev_co_u32_e32 v4, vcc, s55, v2
	s_cmp_lg_u64 vcc, 0
	s_subb_u32 s12, s8, 0
	v_subrev_co_u32_e32 v5, vcc, s55, v4
	s_cmp_lg_u64 vcc, 0
	s_subb_u32 s13, s12, 0
	v_cmp_le_u32_e32 vcc, s55, v4
	s_cmp_eq_u32 s12, 0
	v_cndmask_b32_e64 v6, 0, -1, vcc
	s_cselect_b64 vcc, -1, 0
	v_cndmask_b32_e32 v6, -1, v6, vcc
	v_mov_b32_e32 v7, s12
	v_mov_b32_e32 v8, s13
	v_cmp_ne_u32_e32 vcc, 0, v6
	v_cndmask_b32_e32 v6, v7, v8, vcc
	v_cndmask_b32_e32 v4, v4, v5, vcc
	v_cmp_le_u32_e32 vcc, s55, v2
	s_cmp_eq_u32 s8, 0
	v_cndmask_b32_e64 v5, 0, -1, vcc
	s_cselect_b64 vcc, -1, 0
	v_cndmask_b32_e32 v5, -1, v5, vcc
	v_mov_b32_e32 v7, s8
	v_cmp_ne_u32_e32 vcc, 0, v5
	v_cndmask_b32_e32 v5, v7, v6, vcc
	v_cndmask_b32_e32 v4, v2, v4, vcc
	s_cbranch_execnz .LBB93_94
.LBB93_93:                              ;   in Loop: Header=BB93_16 Depth=1
	v_cvt_f32_u32_e32 v2, s55
	s_sub_i32 s8, 0, s55
	v_rcp_iflag_f32_e32 v2, v2
	v_mul_f32_e32 v2, 0x4f7ffffe, v2
	v_cvt_u32_f32_e32 v2, v2
	v_mul_lo_u32 v4, s8, v2
	v_mul_hi_u32 v4, v2, v4
	v_add_u32_e32 v2, v2, v4
	v_mul_hi_u32 v2, s22, v2
	v_mul_lo_u32 v2, v2, s55
	v_sub_u32_e32 v2, s22, v2
	v_subrev_u32_e32 v4, s55, v2
	v_cmp_le_u32_e32 vcc, s55, v2
	v_cndmask_b32_e32 v2, v2, v4, vcc
	v_subrev_u32_e32 v4, s55, v2
	v_cmp_le_u32_e32 vcc, s55, v2
	v_cndmask_b32_e32 v2, v2, v4, vcc
	v_pk_mov_b32 v[4:5], v[2:3], v[2:3] op_sel:[0,1]
.LBB93_94:                              ;   in Loop: Header=BB93_16 Depth=1
	v_mov_b32_e32 v2, s9
	v_sub_co_u32_e32 v4, vcc, s22, v4
	v_subb_co_u32_e32 v5, vcc, v2, v5, vcc
	v_cmp_gt_u64_e32 vcc, v[4:5], v[0:1]
	s_mov_b64 s[8:9], 0
                                        ; implicit-def: $vgpr21
	s_and_saveexec_b64 s[12:13], vcc
	s_cbranch_execz .LBB93_105
; %bb.95:                               ;   in Loop: Header=BB93_16 Depth=1
	v_mov_b32_e32 v2, v12
	v_pk_mov_b32 v[6:7], v[0:1], v[0:1] op_sel:[0,1]
                                        ; implicit-def: $sgpr22_sgpr23
	s_branch .LBB93_97
.LBB93_96:                              ;   in Loop: Header=BB93_97 Depth=2
	s_or_b64 exec, exec, s[24:25]
	s_waitcnt lgkmcnt(0)
	s_barrier
	ds_read_b64 v[20:21], v3 offset:3072
	v_mov_b32_e32 v8, s54
	v_add_co_u32_e32 v6, vcc, s55, v6
	v_addc_co_u32_e32 v7, vcc, v7, v8, vcc
	s_waitcnt lgkmcnt(0)
	v_readfirstlane_b32 s24, v20
	s_cmp_lg_u32 s24, 0
	s_cselect_b64 s[24:25], -1, 0
	v_cmp_ge_u64_e32 vcc, v[6:7], v[4:5]
	s_or_b64 s[30:31], vcc, s[24:25]
	s_and_b64 s[30:31], exec, s[30:31]
	s_or_b64 s[8:9], s[30:31], s[8:9]
	s_andn2_b64 s[22:23], s[22:23], exec
	s_and_b64 s[24:25], s[24:25], exec
	v_add_u32_e32 v2, s1, v2
	s_or_b64 s[22:23], s[22:23], s[24:25]
	s_barrier
	s_andn2_b64 exec, exec, s[8:9]
	s_cbranch_execz .LBB93_104
.LBB93_97:                              ;   Parent Loop BB93_16 Depth=1
                                        ; =>  This Inner Loop Header: Depth=2
	v_cmp_gt_u64_e32 vcc, s[6:7], v[6:7]
	v_mov_b32_e32 v19, 0
	s_and_saveexec_b64 s[24:25], vcc
	s_cbranch_execz .LBB93_99
; %bb.98:                               ;   in Loop: Header=BB93_97 Depth=2
	ds_read_b32 v19, v2
.LBB93_99:                              ;   in Loop: Header=BB93_97 Depth=2
	s_or_b64 exec, exec, s[24:25]
	s_and_saveexec_b64 s[24:25], vcc
	s_cbranch_execz .LBB93_96
; %bb.100:                              ;   in Loop: Header=BB93_97 Depth=2
	s_waitcnt lgkmcnt(0)
	v_xor_b32_e32 v8, 0x80000000, v19
	v_and_b32_e32 v8, s26, v8
	v_cmp_eq_u32_e32 vcc, s27, v8
	s_and_b64 exec, exec, vcc
	s_cbranch_execz .LBB93_96
; %bb.101:                              ;   in Loop: Header=BB93_97 Depth=2
	ds_write_b64 v3, v[18:19] offset:3072
	s_branch .LBB93_96
.LBB93_102:                             ;   in Loop: Header=BB93_16 Depth=1
	s_mov_b64 s[8:9], -1
                                        ; implicit-def: $sgpr6_sgpr7
                                        ; implicit-def: $sgpr22_sgpr23
                                        ; implicit-def: $sgpr12_sgpr13
	s_branch .LBB93_119
.LBB93_103:                             ;   in Loop: Header=BB93_16 Depth=1
	s_mov_b64 s[6:7], -1
	s_mov_b64 s[8:9], 0
                                        ; implicit-def: $sgpr12_sgpr13
                                        ; implicit-def: $vgpr21
	s_mov_b64 s[22:23], s[6:7]
	s_cbranch_execnz .LBB93_106
	s_branch .LBB93_119
.LBB93_104:                             ;   in Loop: Header=BB93_16 Depth=1
	s_or_b64 exec, exec, s[8:9]
	s_and_b64 s[8:9], s[22:23], exec
.LBB93_105:                             ;   in Loop: Header=BB93_16 Depth=1
	s_or_b64 exec, exec, s[12:13]
	s_mov_b64 s[12:13], -1
	s_mov_b64 s[6:7], 0
	s_mov_b64 s[22:23], s[6:7]
	s_branch .LBB93_119
.LBB93_106:                             ;   in Loop: Header=BB93_16 Depth=1
	s_mov_b32 s86, s79
	s_cmp_lg_u64 s[86:87], 0
	s_cbranch_scc0 .LBB93_152
; %bb.107:                              ;   in Loop: Header=BB93_16 Depth=1
	v_cvt_f32_u32_e32 v2, s55
	s_sub_u32 s6, 0, s55
	s_subb_u32 s7, 0, 0
	v_mac_f32_e32 v2, 0, v33
	v_rcp_f32_e32 v2, v2
	v_mul_f32_e32 v2, 0x5f7ffffc, v2
	v_mul_f32_e32 v4, 0x2f800000, v2
	v_trunc_f32_e32 v4, v4
	v_mac_f32_e32 v2, 0xcf800000, v4
	v_cvt_u32_f32_e32 v4, v4
	v_cvt_u32_f32_e32 v2, v2
	v_readfirstlane_b32 s8, v4
	v_readfirstlane_b32 s9, v2
	s_mul_i32 s12, s6, s8
	s_mul_hi_u32 s22, s6, s9
	s_mul_i32 s13, s7, s9
	s_add_i32 s12, s22, s12
	s_mul_i32 s23, s6, s9
	s_add_i32 s12, s12, s13
	s_mul_hi_u32 s22, s9, s23
	s_mul_hi_u32 s13, s9, s12
	s_mul_i32 s9, s9, s12
	s_add_u32 s9, s22, s9
	s_addc_u32 s13, 0, s13
	s_mul_hi_u32 s24, s8, s23
	s_mul_i32 s23, s8, s23
	s_add_u32 s9, s9, s23
	s_mul_hi_u32 s22, s8, s12
	s_addc_u32 s9, s13, s24
	s_addc_u32 s13, s22, 0
	s_mul_i32 s12, s8, s12
	s_add_u32 s9, s9, s12
	s_addc_u32 s12, 0, s13
	v_add_co_u32_e32 v2, vcc, s9, v2
	s_cmp_lg_u64 vcc, 0
	s_addc_u32 s8, s8, s12
	v_readfirstlane_b32 s12, v2
	s_mul_i32 s9, s6, s8
	s_mul_hi_u32 s13, s6, s12
	s_add_i32 s9, s13, s9
	s_mul_i32 s7, s7, s12
	s_add_i32 s9, s9, s7
	s_mul_i32 s6, s6, s12
	s_mul_hi_u32 s13, s8, s6
	s_mul_i32 s22, s8, s6
	s_mul_i32 s24, s12, s9
	s_mul_hi_u32 s6, s12, s6
	s_mul_hi_u32 s23, s12, s9
	s_add_u32 s6, s6, s24
	s_addc_u32 s12, 0, s23
	s_add_u32 s6, s6, s22
	s_mul_hi_u32 s7, s8, s9
	s_addc_u32 s6, s12, s13
	s_addc_u32 s7, s7, 0
	s_mul_i32 s9, s8, s9
	s_add_u32 s6, s6, s9
	s_addc_u32 s7, 0, s7
	v_add_co_u32_e32 v2, vcc, s6, v2
	s_cmp_lg_u64 vcc, 0
	s_addc_u32 s6, s8, s7
	v_readfirstlane_b32 s9, v2
	s_mul_i32 s8, s85, s6
	s_mul_hi_u32 s12, s85, s9
	s_mul_hi_u32 s7, s85, s6
	s_add_u32 s8, s12, s8
	s_addc_u32 s7, 0, s7
	s_mul_hi_u32 s13, s87, s9
	s_mul_i32 s9, s87, s9
	s_add_u32 s8, s8, s9
	s_mul_hi_u32 s12, s87, s6
	s_addc_u32 s7, s7, s13
	s_addc_u32 s8, s12, 0
	s_mul_i32 s6, s87, s6
	s_add_u32 s6, s7, s6
	s_addc_u32 s7, 0, s8
	s_mul_hi_u32 s8, s55, s6
	s_mul_i32 s6, s55, s6
	s_mul_i32 s7, s55, s7
	v_mov_b32_e32 v2, s6
	s_add_i32 s8, s8, s7
	v_sub_co_u32_e32 v2, vcc, s85, v2
	s_cmp_lg_u64 vcc, 0
	s_subb_u32 s6, s87, s8
	v_subrev_co_u32_e32 v4, vcc, s55, v2
	s_cmp_lg_u64 vcc, 0
	s_subb_u32 s7, s6, 0
	v_subrev_co_u32_e32 v5, vcc, s55, v4
	s_cmp_lg_u64 vcc, 0
	s_subb_u32 s8, s7, 0
	v_cmp_le_u32_e32 vcc, s55, v4
	s_cmp_eq_u32 s7, 0
	v_cndmask_b32_e64 v6, 0, -1, vcc
	s_cselect_b64 vcc, -1, 0
	v_cndmask_b32_e32 v6, -1, v6, vcc
	v_mov_b32_e32 v7, s7
	v_mov_b32_e32 v8, s8
	v_cmp_ne_u32_e32 vcc, 0, v6
	v_cndmask_b32_e32 v6, v7, v8, vcc
	v_cndmask_b32_e32 v4, v4, v5, vcc
	v_cmp_le_u32_e32 vcc, s55, v2
	s_cmp_eq_u32 s6, 0
	v_cndmask_b32_e64 v5, 0, -1, vcc
	s_cselect_b64 vcc, -1, 0
	v_cndmask_b32_e32 v5, -1, v5, vcc
	v_mov_b32_e32 v7, s6
	v_cmp_ne_u32_e32 vcc, 0, v5
	v_cndmask_b32_e32 v5, v7, v6, vcc
	v_cndmask_b32_e32 v4, v2, v4, vcc
	s_cbranch_execnz .LBB93_109
.LBB93_108:                             ;   in Loop: Header=BB93_16 Depth=1
	v_cvt_f32_u32_e32 v2, s55
	s_sub_i32 s6, 0, s55
	v_rcp_iflag_f32_e32 v2, v2
	v_mul_f32_e32 v2, 0x4f7ffffe, v2
	v_cvt_u32_f32_e32 v2, v2
	v_mul_lo_u32 v4, s6, v2
	v_mul_hi_u32 v4, v2, v4
	v_add_u32_e32 v2, v2, v4
	v_mul_hi_u32 v2, s85, v2
	v_mul_lo_u32 v2, v2, s55
	v_sub_u32_e32 v2, s85, v2
	v_subrev_u32_e32 v4, s55, v2
	v_cmp_le_u32_e32 vcc, s55, v2
	v_cndmask_b32_e32 v2, v2, v4, vcc
	v_subrev_u32_e32 v4, s55, v2
	v_cmp_le_u32_e32 vcc, s55, v2
	v_cndmask_b32_e32 v2, v2, v4, vcc
	v_pk_mov_b32 v[4:5], v[2:3], v[2:3] op_sel:[0,1]
.LBB93_109:                             ;   in Loop: Header=BB93_16 Depth=1
	v_mov_b32_e32 v2, s87
	v_sub_co_u32_e32 v4, vcc, s85, v4
	v_subb_co_u32_e32 v5, vcc, v2, v5, vcc
	v_cmp_gt_u64_e32 vcc, v[4:5], v[0:1]
	s_mov_b64 s[8:9], 0
                                        ; implicit-def: $vgpr21
	s_and_saveexec_b64 s[12:13], vcc
	s_cbranch_execz .LBB93_118
; %bb.110:                              ;   in Loop: Header=BB93_16 Depth=1
	v_pk_mov_b32 v[6:7], v[0:1], v[0:1] op_sel:[0,1]
                                        ; implicit-def: $sgpr22_sgpr23
	s_branch .LBB93_112
.LBB93_111:                             ;   in Loop: Header=BB93_112 Depth=2
	s_or_b64 exec, exec, s[6:7]
	s_waitcnt lgkmcnt(0)
	s_barrier
	ds_read_b64 v[20:21], v3 offset:3072
	v_mov_b32_e32 v2, s54
	v_add_co_u32_e32 v6, vcc, s55, v6
	v_addc_co_u32_e32 v7, vcc, v7, v2, vcc
	s_waitcnt lgkmcnt(0)
	v_readfirstlane_b32 s6, v20
	s_cmp_lg_u32 s6, 0
	s_cselect_b64 s[6:7], -1, 0
	v_cmp_ge_u64_e32 vcc, v[6:7], v[4:5]
	s_or_b64 s[24:25], vcc, s[6:7]
	s_and_b64 s[24:25], exec, s[24:25]
	s_or_b64 s[8:9], s[24:25], s[8:9]
	s_andn2_b64 s[22:23], s[22:23], exec
	s_and_b64 s[6:7], s[6:7], exec
	s_or_b64 s[22:23], s[22:23], s[6:7]
	s_barrier
	s_andn2_b64 exec, exec, s[8:9]
	s_cbranch_execz .LBB93_117
.LBB93_112:                             ;   Parent Loop BB93_16 Depth=1
                                        ; =>  This Inner Loop Header: Depth=2
	v_cmp_gt_u64_e32 vcc, s[52:53], v[6:7]
	s_waitcnt vmcnt(0)
	v_mov_b32_e32 v19, 0
	s_and_saveexec_b64 s[24:25], vcc
	s_cbranch_execz .LBB93_114
; %bb.113:                              ;   in Loop: Header=BB93_112 Depth=2
	v_mul_lo_u32 v2, v7, s68
	v_mul_lo_u32 v10, v6, s69
	v_mad_u64_u32 v[8:9], s[6:7], v6, s68, 0
	v_add3_u32 v9, v9, v10, v2
	v_lshlrev_b64 v[8:9], 2, v[8:9]
	v_mov_b32_e32 v2, s84
	v_add_co_u32_e64 v8, s[6:7], s33, v8
	v_addc_co_u32_e64 v9, s[6:7], v2, v9, s[6:7]
	global_load_dword v19, v[8:9], off
.LBB93_114:                             ;   in Loop: Header=BB93_112 Depth=2
	s_or_b64 exec, exec, s[24:25]
	s_and_saveexec_b64 s[6:7], vcc
	s_cbranch_execz .LBB93_111
; %bb.115:                              ;   in Loop: Header=BB93_112 Depth=2
	s_waitcnt vmcnt(0)
	v_xor_b32_e32 v2, 0x80000000, v19
	v_and_b32_e32 v2, s26, v2
	v_cmp_eq_u32_e32 vcc, s27, v2
	s_and_b64 exec, exec, vcc
	s_cbranch_execz .LBB93_111
; %bb.116:                              ;   in Loop: Header=BB93_112 Depth=2
	ds_write_b64 v3, v[18:19] offset:3072
	s_branch .LBB93_111
.LBB93_117:                             ;   in Loop: Header=BB93_16 Depth=1
	s_or_b64 exec, exec, s[8:9]
	s_and_b64 s[8:9], s[22:23], exec
.LBB93_118:                             ;   in Loop: Header=BB93_16 Depth=1
	s_or_b64 exec, exec, s[12:13]
	s_mov_b64 s[22:23], -1
	s_mov_b64 s[6:7], 0
	s_mov_b64 s[12:13], 0
.LBB93_119:                             ;   in Loop: Header=BB93_16 Depth=1
	s_andn2_b64 s[24:25], s[66:67], exec
	s_and_b64 s[6:7], s[6:7], exec
	s_or_b64 s[66:67], s[24:25], s[6:7]
	s_andn2_b64 s[6:7], s[62:63], exec
	s_and_b64 s[22:23], s[22:23], exec
	s_or_b64 s[62:63], s[6:7], s[22:23]
	;; [unrolled: 3-line block ×3, first 2 shown]
	s_and_saveexec_b64 s[12:13], s[8:9]
	s_cbranch_execz .LBB93_15
; %bb.120:                              ;   in Loop: Header=BB93_16 Depth=1
	s_xor_b64 s[6:7], s[20:21], -1
	s_andn2_b64 vcc, exec, s[6:7]
	s_mov_b32 s49, 1
	s_cbranch_vccnz .LBB93_131
; %bb.121:                              ;   in Loop: Header=BB93_16 Depth=1
	v_pk_mov_b32 v[4:5], s[14:15], s[14:15] op_sel:[0,1]
	v_cmp_gt_u64_e32 vcc, s[82:83], v[4:5]
	s_mov_b64 s[6:7], -1
                                        ; implicit-def: $sgpr49
                                        ; implicit-def: $sgpr8
                                        ; implicit-def: $sgpr9
	s_cbranch_vccnz .LBB93_127
; %bb.122:                              ;   in Loop: Header=BB93_16 Depth=1
	ds_read_b64 v[4:5], v3 offset:5120
	s_waitcnt lgkmcnt(0)
	v_cmp_ne_u64_e32 vcc, 0, v[4:5]
	s_cbranch_vccnz .LBB93_126
; %bb.123:                              ;   in Loop: Header=BB93_16 Depth=1
	s_mov_b64 s[6:7], exec
	v_readlane_b32 s8, v42, 8
	v_readlane_b32 s9, v42, 9
	s_and_b64 s[8:9], s[6:7], s[8:9]
	s_mov_b64 exec, s[8:9]
	s_cbranch_execz .LBB93_125
; %bb.124:                              ;   in Loop: Header=BB93_16 Depth=1
	v_pk_mov_b32 v[4:5], s[14:15], s[14:15] op_sel:[0,1]
	ds_write_b64 v3, v[4:5] offset:5128
.LBB93_125:                             ;   in Loop: Header=BB93_16 Depth=1
	s_or_b64 exec, exec, s[6:7]
	s_waitcnt lgkmcnt(0)
	s_barrier
.LBB93_126:                             ;   in Loop: Header=BB93_16 Depth=1
	s_and_b32 s8, s27, s41
	s_or_b32 s9, s26, s48
	s_mov_b64 s[6:7], 0
	s_mov_b32 s49, 8
.LBB93_127:                             ;   in Loop: Header=BB93_16 Depth=1
	s_andn2_b64 vcc, exec, s[6:7]
	s_cbranch_vccnz .LBB93_129
; %bb.128:                              ;   in Loop: Header=BB93_16 Depth=1
	s_sub_u32 s82, s82, s14
	s_subb_u32 s83, s83, s15
	s_mov_b64 s[6:7], -1
	s_mov_b32 s49, 0
	s_mov_b32 s8, s27
	;; [unrolled: 1-line block ×3, first 2 shown]
.LBB93_129:                             ;   in Loop: Header=BB93_16 Depth=1
	s_mov_b32 s26, s9
	s_mov_b32 s27, s8
	s_mov_b64 s[14:15], -1
	s_and_b64 vcc, exec, s[6:7]
	s_cbranch_vccnz .LBB93_132
.LBB93_130:                             ;   in Loop: Header=BB93_16 Depth=1
	s_mov_b64 s[6:7], -1
                                        ; implicit-def: $sgpr18_sgpr19
                                        ; implicit-def: $sgpr22_sgpr23
                                        ; implicit-def: $sgpr20_sgpr21
	s_and_saveexec_b64 s[8:9], s[6:7]
	s_xor_b64 s[6:7], exec, s[8:9]
	s_cbranch_execz .LBB93_14
	s_branch .LBB93_281
.LBB93_131:                             ;   in Loop: Header=BB93_16 Depth=1
	s_mov_b64 s[82:83], 1
	s_mov_b64 s[14:15], -1
	s_branch .LBB93_130
.LBB93_132:                             ;   in Loop: Header=BB93_16 Depth=1
	s_cmp_eq_u64 s[28:29], 1
	s_cselect_b64 s[6:7], -1, 0
	s_cmp_eq_u64 s[82:83], 1
	s_cselect_b64 s[8:9], -1, 0
	s_and_b64 s[30:31], s[6:7], s[8:9]
	s_mov_b64 s[8:9], -1
	s_and_b64 vcc, exec, s[30:31]
	s_cbranch_vccz .LBB93_147
; %bb.133:                              ;   in Loop: Header=BB93_16 Depth=1
	ds_read_b64 v[4:5], v3 offset:5120
	s_waitcnt lgkmcnt(0)
	s_barrier
	v_readfirstlane_b32 s6, v4
	v_readfirstlane_b32 s7, v5
	s_mov_b64 s[8:9], exec
	v_readlane_b32 s18, v42, 26
	v_readlane_b32 s19, v42, 27
	s_and_b64 s[18:19], s[8:9], s[18:19]
	s_mov_b64 exec, s[18:19]
	s_cbranch_execz .LBB93_135
; %bb.134:                              ;   in Loop: Header=BB93_16 Depth=1
	ds_write_b32 v27, v3
.LBB93_135:                             ;   in Loop: Header=BB93_16 Depth=1
	s_or_b64 exec, exec, s[8:9]
	s_lshl_b32 s8, 1, s40
	s_and_b32 s9, s27, s41
	s_or_b32 s27, s9, s8
	s_or_b32 s26, s26, s48
	s_cmp_eq_u64 s[6:7], 0
	s_waitcnt lgkmcnt(0)
	s_barrier
	s_cbranch_scc1 .LBB93_153
; %bb.136:                              ;   in Loop: Header=BB93_16 Depth=1
	v_readlane_b32 s8, v42, 32
	s_add_u32 s20, s8, s6
	v_readlane_b32 s8, v42, 33
	s_addc_u32 s9, s8, s7
	s_mov_b32 s8, s79
	s_cmp_lg_u64 s[8:9], 0
	s_cbranch_scc0 .LBB93_198
; %bb.137:                              ;   in Loop: Header=BB93_16 Depth=1
	v_cvt_f32_u32_e32 v2, s55
	s_sub_u32 s8, 0, s55
	s_subb_u32 s18, 0, 0
	v_mac_f32_e32 v2, 0, v33
	v_rcp_f32_e32 v2, v2
	v_mul_f32_e32 v2, 0x5f7ffffc, v2
	v_mul_f32_e32 v4, 0x2f800000, v2
	v_trunc_f32_e32 v4, v4
	v_mac_f32_e32 v2, 0xcf800000, v4
	v_cvt_u32_f32_e32 v4, v4
	v_cvt_u32_f32_e32 v2, v2
	v_readfirstlane_b32 s19, v4
	v_readfirstlane_b32 s21, v2
	s_mul_i32 s22, s8, s19
	s_mul_hi_u32 s24, s8, s21
	s_mul_i32 s23, s18, s21
	s_add_i32 s22, s24, s22
	s_mul_i32 s25, s8, s21
	s_add_i32 s22, s22, s23
	s_mul_hi_u32 s24, s21, s25
	s_mul_hi_u32 s23, s21, s22
	s_mul_i32 s21, s21, s22
	s_add_u32 s21, s24, s21
	s_addc_u32 s23, 0, s23
	s_mul_hi_u32 s34, s19, s25
	s_mul_i32 s25, s19, s25
	s_add_u32 s21, s21, s25
	s_mul_hi_u32 s24, s19, s22
	s_addc_u32 s21, s23, s34
	s_addc_u32 s23, s24, 0
	s_mul_i32 s22, s19, s22
	s_add_u32 s21, s21, s22
	s_addc_u32 s22, 0, s23
	v_add_co_u32_e32 v2, vcc, s21, v2
	s_cmp_lg_u64 vcc, 0
	s_addc_u32 s19, s19, s22
	v_readfirstlane_b32 s22, v2
	s_mul_i32 s21, s8, s19
	s_mul_hi_u32 s23, s8, s22
	s_add_i32 s21, s23, s21
	s_mul_i32 s18, s18, s22
	s_add_i32 s21, s21, s18
	s_mul_i32 s8, s8, s22
	s_mul_hi_u32 s23, s19, s8
	s_mul_i32 s24, s19, s8
	s_mul_i32 s34, s22, s21
	s_mul_hi_u32 s8, s22, s8
	s_mul_hi_u32 s25, s22, s21
	s_add_u32 s8, s8, s34
	s_addc_u32 s22, 0, s25
	s_add_u32 s8, s8, s24
	s_mul_hi_u32 s18, s19, s21
	s_addc_u32 s8, s22, s23
	s_addc_u32 s18, s18, 0
	s_mul_i32 s21, s19, s21
	s_add_u32 s8, s8, s21
	s_addc_u32 s18, 0, s18
	v_add_co_u32_e32 v2, vcc, s8, v2
	s_cmp_lg_u64 vcc, 0
	s_addc_u32 s8, s19, s18
	v_readfirstlane_b32 s21, v2
	s_mul_i32 s19, s20, s8
	s_mul_hi_u32 s22, s20, s21
	s_mul_hi_u32 s18, s20, s8
	s_add_u32 s19, s22, s19
	s_addc_u32 s18, 0, s18
	s_mul_hi_u32 s23, s9, s21
	s_mul_i32 s21, s9, s21
	s_add_u32 s19, s19, s21
	s_mul_hi_u32 s22, s9, s8
	s_addc_u32 s18, s18, s23
	s_addc_u32 s19, s22, 0
	s_mul_i32 s8, s9, s8
	s_add_u32 s8, s18, s8
	s_addc_u32 s18, 0, s19
	s_mul_hi_u32 s19, s55, s8
	s_mul_i32 s8, s55, s8
	s_mul_i32 s18, s55, s18
	v_mov_b32_e32 v2, s8
	s_add_i32 s19, s19, s18
	v_sub_co_u32_e32 v2, vcc, s20, v2
	s_cmp_lg_u64 vcc, 0
	s_subb_u32 s8, s9, s19
	v_subrev_co_u32_e32 v4, vcc, s55, v2
	s_cmp_lg_u64 vcc, 0
	s_subb_u32 s18, s8, 0
	v_subrev_co_u32_e32 v5, vcc, s55, v4
	s_cmp_lg_u64 vcc, 0
	s_subb_u32 s19, s18, 0
	v_cmp_le_u32_e32 vcc, s55, v4
	s_cmp_eq_u32 s18, 0
	v_cndmask_b32_e64 v6, 0, -1, vcc
	s_cselect_b64 vcc, -1, 0
	v_cndmask_b32_e32 v6, -1, v6, vcc
	v_mov_b32_e32 v7, s18
	v_mov_b32_e32 v8, s19
	v_cmp_ne_u32_e32 vcc, 0, v6
	v_cndmask_b32_e32 v6, v7, v8, vcc
	v_cndmask_b32_e32 v4, v4, v5, vcc
	v_cmp_le_u32_e32 vcc, s55, v2
	s_cmp_eq_u32 s8, 0
	v_cndmask_b32_e64 v5, 0, -1, vcc
	s_cselect_b64 vcc, -1, 0
	v_cndmask_b32_e32 v5, -1, v5, vcc
	v_mov_b32_e32 v7, s8
	v_cmp_ne_u32_e32 vcc, 0, v5
	v_cndmask_b32_e32 v5, v7, v6, vcc
	v_cndmask_b32_e32 v4, v2, v4, vcc
	s_cbranch_execnz .LBB93_139
.LBB93_138:                             ;   in Loop: Header=BB93_16 Depth=1
	v_cvt_f32_u32_e32 v2, s55
	s_sub_i32 s8, 0, s55
	v_rcp_iflag_f32_e32 v2, v2
	v_mul_f32_e32 v2, 0x4f7ffffe, v2
	v_cvt_u32_f32_e32 v2, v2
	v_mul_lo_u32 v4, s8, v2
	v_mul_hi_u32 v4, v2, v4
	v_add_u32_e32 v2, v2, v4
	v_mul_hi_u32 v2, s20, v2
	v_mul_lo_u32 v2, v2, s55
	v_sub_u32_e32 v2, s20, v2
	v_subrev_u32_e32 v4, s55, v2
	v_cmp_le_u32_e32 vcc, s55, v2
	v_cndmask_b32_e32 v2, v2, v4, vcc
	v_subrev_u32_e32 v4, s55, v2
	v_cmp_le_u32_e32 vcc, s55, v2
	v_cndmask_b32_e32 v2, v2, v4, vcc
	v_pk_mov_b32 v[4:5], v[2:3], v[2:3] op_sel:[0,1]
.LBB93_139:                             ;   in Loop: Header=BB93_16 Depth=1
	v_mov_b32_e32 v2, s9
	v_sub_co_u32_e32 v4, vcc, s20, v4
	v_subb_co_u32_e32 v5, vcc, v2, v5, vcc
	v_cmp_gt_u64_e32 vcc, v[4:5], v[0:1]
	s_mov_b64 s[8:9], 0
                                        ; implicit-def: $vgpr21
	s_and_saveexec_b64 s[18:19], vcc
	s_cbranch_execz .LBB93_155
; %bb.140:                              ;   in Loop: Header=BB93_16 Depth=1
	v_mov_b32_e32 v2, v12
	v_pk_mov_b32 v[6:7], v[0:1], v[0:1] op_sel:[0,1]
                                        ; implicit-def: $sgpr20_sgpr21
	s_branch .LBB93_142
.LBB93_141:                             ;   in Loop: Header=BB93_142 Depth=2
	s_or_b64 exec, exec, s[22:23]
	s_waitcnt lgkmcnt(0)
	s_barrier
	ds_read_b64 v[20:21], v3 offset:3072
	v_mov_b32_e32 v8, s54
	v_add_co_u32_e32 v6, vcc, s55, v6
	v_addc_co_u32_e32 v7, vcc, v7, v8, vcc
	s_waitcnt lgkmcnt(0)
	v_readfirstlane_b32 s22, v20
	s_cmp_lg_u32 s22, 0
	s_cselect_b64 s[22:23], -1, 0
	v_cmp_ge_u64_e32 vcc, v[6:7], v[4:5]
	s_or_b64 s[24:25], vcc, s[22:23]
	s_and_b64 s[24:25], exec, s[24:25]
	s_or_b64 s[8:9], s[24:25], s[8:9]
	s_andn2_b64 s[20:21], s[20:21], exec
	s_and_b64 s[22:23], s[22:23], exec
	v_add_u32_e32 v2, s1, v2
	s_or_b64 s[20:21], s[20:21], s[22:23]
	s_barrier
	s_andn2_b64 exec, exec, s[8:9]
	s_cbranch_execz .LBB93_154
.LBB93_142:                             ;   Parent Loop BB93_16 Depth=1
                                        ; =>  This Inner Loop Header: Depth=2
	v_cmp_gt_u64_e32 vcc, s[6:7], v[6:7]
	s_waitcnt vmcnt(0)
	v_mov_b32_e32 v19, 0
	s_and_saveexec_b64 s[22:23], vcc
	s_cbranch_execz .LBB93_144
; %bb.143:                              ;   in Loop: Header=BB93_142 Depth=2
	ds_read_b32 v19, v2
.LBB93_144:                             ;   in Loop: Header=BB93_142 Depth=2
	s_or_b64 exec, exec, s[22:23]
	s_and_saveexec_b64 s[22:23], vcc
	s_cbranch_execz .LBB93_141
; %bb.145:                              ;   in Loop: Header=BB93_142 Depth=2
	s_waitcnt lgkmcnt(0)
	v_xor_b32_e32 v8, 0x80000000, v19
	v_and_b32_e32 v8, s26, v8
	v_cmp_eq_u32_e32 vcc, s27, v8
	s_and_b64 exec, exec, vcc
	s_cbranch_execz .LBB93_141
; %bb.146:                              ;   in Loop: Header=BB93_142 Depth=2
	ds_write_b64 v3, v[18:19] offset:3072
	s_branch .LBB93_141
.LBB93_147:                             ;   in Loop: Header=BB93_16 Depth=1
                                        ; implicit-def: $sgpr20_sgpr21
                                        ; implicit-def: $sgpr22_sgpr23
                                        ; implicit-def: $sgpr18_sgpr19
	s_branch .LBB93_169
.LBB93_148:                             ;   in Loop: Header=BB93_16 Depth=1
                                        ; implicit-def: $vgpr4_vgpr5
	s_branch .LBB93_93
.LBB93_149:                             ;   in Loop: Header=BB93_16 Depth=1
	s_or_b64 exec, exec, s[8:9]
	s_waitcnt lgkmcnt(0)
	s_barrier
	s_mov_b64 s[6:7], exec
	v_readlane_b32 s8, v42, 8
	v_readlane_b32 s9, v42, 9
	s_and_b64 s[8:9], s[6:7], s[8:9]
	s_mov_b64 exec, s[8:9]
	s_cbranch_execz .LBB93_151
; %bb.150:                              ;   in Loop: Header=BB93_16 Depth=1
	ds_read_b32 v4, v3 offset:5144
	s_waitcnt lgkmcnt(0)
	v_ashrrev_i32_e32 v5, 31, v4
	ds_write_b64 v3, v[4:5] offset:5120
.LBB93_151:                             ;   in Loop: Header=BB93_16 Depth=1
	s_or_b64 exec, exec, s[6:7]
	s_waitcnt lgkmcnt(0)
	s_barrier
	s_mov_b64 s[6:7], -1
	s_and_b64 vcc, exec, s[64:65]
	s_cbranch_vccnz .LBB93_34
	s_branch .LBB93_44
.LBB93_152:                             ;   in Loop: Header=BB93_16 Depth=1
                                        ; implicit-def: $vgpr4_vgpr5
	s_branch .LBB93_108
.LBB93_153:                             ;   in Loop: Header=BB93_16 Depth=1
	s_mov_b64 s[20:21], -1
	s_mov_b64 s[8:9], 0
                                        ; implicit-def: $sgpr18_sgpr19
                                        ; implicit-def: $vgpr21
	s_mov_b64 s[22:23], s[20:21]
	s_cbranch_execnz .LBB93_156
	s_branch .LBB93_169
.LBB93_154:                             ;   in Loop: Header=BB93_16 Depth=1
	s_or_b64 exec, exec, s[8:9]
	s_and_b64 s[8:9], s[20:21], exec
.LBB93_155:                             ;   in Loop: Header=BB93_16 Depth=1
	s_or_b64 exec, exec, s[18:19]
	s_mov_b64 s[18:19], -1
	s_mov_b64 s[20:21], 0
	s_mov_b64 s[22:23], s[20:21]
	s_branch .LBB93_169
.LBB93_156:                             ;   in Loop: Header=BB93_16 Depth=1
	s_mov_b32 s86, s79
	s_cmp_lg_u64 s[86:87], 0
	s_cbranch_scc0 .LBB93_199
; %bb.157:                              ;   in Loop: Header=BB93_16 Depth=1
	v_cvt_f32_u32_e32 v2, s55
	s_sub_u32 s6, 0, s55
	s_subb_u32 s7, 0, 0
	v_mac_f32_e32 v2, 0, v33
	v_rcp_f32_e32 v2, v2
	v_mul_f32_e32 v2, 0x5f7ffffc, v2
	v_mul_f32_e32 v4, 0x2f800000, v2
	v_trunc_f32_e32 v4, v4
	v_mac_f32_e32 v2, 0xcf800000, v4
	v_cvt_u32_f32_e32 v4, v4
	v_cvt_u32_f32_e32 v2, v2
	v_readfirstlane_b32 s8, v4
	v_readfirstlane_b32 s9, v2
	s_mul_i32 s18, s6, s8
	s_mul_hi_u32 s20, s6, s9
	s_mul_i32 s19, s7, s9
	s_add_i32 s18, s20, s18
	s_mul_i32 s21, s6, s9
	s_add_i32 s18, s18, s19
	s_mul_hi_u32 s20, s9, s21
	s_mul_hi_u32 s19, s9, s18
	s_mul_i32 s9, s9, s18
	s_add_u32 s9, s20, s9
	s_addc_u32 s19, 0, s19
	s_mul_hi_u32 s22, s8, s21
	s_mul_i32 s21, s8, s21
	s_add_u32 s9, s9, s21
	s_mul_hi_u32 s20, s8, s18
	s_addc_u32 s9, s19, s22
	s_addc_u32 s19, s20, 0
	s_mul_i32 s18, s8, s18
	s_add_u32 s9, s9, s18
	s_addc_u32 s18, 0, s19
	v_add_co_u32_e32 v2, vcc, s9, v2
	s_cmp_lg_u64 vcc, 0
	s_addc_u32 s8, s8, s18
	v_readfirstlane_b32 s18, v2
	s_mul_i32 s9, s6, s8
	s_mul_hi_u32 s19, s6, s18
	s_add_i32 s9, s19, s9
	s_mul_i32 s7, s7, s18
	s_add_i32 s9, s9, s7
	s_mul_i32 s6, s6, s18
	s_mul_hi_u32 s19, s8, s6
	s_mul_i32 s20, s8, s6
	s_mul_i32 s22, s18, s9
	s_mul_hi_u32 s6, s18, s6
	s_mul_hi_u32 s21, s18, s9
	s_add_u32 s6, s6, s22
	s_addc_u32 s18, 0, s21
	s_add_u32 s6, s6, s20
	s_mul_hi_u32 s7, s8, s9
	s_addc_u32 s6, s18, s19
	s_addc_u32 s7, s7, 0
	s_mul_i32 s9, s8, s9
	s_add_u32 s6, s6, s9
	s_addc_u32 s7, 0, s7
	v_add_co_u32_e32 v2, vcc, s6, v2
	s_cmp_lg_u64 vcc, 0
	s_addc_u32 s6, s8, s7
	v_readfirstlane_b32 s9, v2
	s_mul_i32 s8, s85, s6
	s_mul_hi_u32 s18, s85, s9
	s_mul_hi_u32 s7, s85, s6
	s_add_u32 s8, s18, s8
	s_addc_u32 s7, 0, s7
	s_mul_hi_u32 s19, s87, s9
	s_mul_i32 s9, s87, s9
	s_add_u32 s8, s8, s9
	s_mul_hi_u32 s18, s87, s6
	s_addc_u32 s7, s7, s19
	s_addc_u32 s8, s18, 0
	s_mul_i32 s6, s87, s6
	s_add_u32 s6, s7, s6
	s_addc_u32 s7, 0, s8
	s_mul_hi_u32 s8, s55, s6
	s_mul_i32 s6, s55, s6
	s_mul_i32 s7, s55, s7
	v_mov_b32_e32 v2, s6
	s_add_i32 s8, s8, s7
	v_sub_co_u32_e32 v2, vcc, s85, v2
	s_cmp_lg_u64 vcc, 0
	s_subb_u32 s6, s87, s8
	v_subrev_co_u32_e32 v4, vcc, s55, v2
	s_cmp_lg_u64 vcc, 0
	s_subb_u32 s7, s6, 0
	v_subrev_co_u32_e32 v5, vcc, s55, v4
	s_cmp_lg_u64 vcc, 0
	s_subb_u32 s8, s7, 0
	v_cmp_le_u32_e32 vcc, s55, v4
	s_cmp_eq_u32 s7, 0
	v_cndmask_b32_e64 v6, 0, -1, vcc
	s_cselect_b64 vcc, -1, 0
	v_cndmask_b32_e32 v6, -1, v6, vcc
	v_mov_b32_e32 v7, s7
	v_mov_b32_e32 v8, s8
	v_cmp_ne_u32_e32 vcc, 0, v6
	v_cndmask_b32_e32 v6, v7, v8, vcc
	v_cndmask_b32_e32 v4, v4, v5, vcc
	v_cmp_le_u32_e32 vcc, s55, v2
	s_cmp_eq_u32 s6, 0
	v_cndmask_b32_e64 v5, 0, -1, vcc
	s_cselect_b64 vcc, -1, 0
	v_cndmask_b32_e32 v5, -1, v5, vcc
	v_mov_b32_e32 v7, s6
	v_cmp_ne_u32_e32 vcc, 0, v5
	v_cndmask_b32_e32 v5, v7, v6, vcc
	v_cndmask_b32_e32 v4, v2, v4, vcc
	s_cbranch_execnz .LBB93_159
.LBB93_158:                             ;   in Loop: Header=BB93_16 Depth=1
	v_cvt_f32_u32_e32 v2, s55
	s_sub_i32 s6, 0, s55
	v_rcp_iflag_f32_e32 v2, v2
	v_mul_f32_e32 v2, 0x4f7ffffe, v2
	v_cvt_u32_f32_e32 v2, v2
	v_mul_lo_u32 v4, s6, v2
	v_mul_hi_u32 v4, v2, v4
	v_add_u32_e32 v2, v2, v4
	v_mul_hi_u32 v2, s85, v2
	v_mul_lo_u32 v2, v2, s55
	v_sub_u32_e32 v2, s85, v2
	v_subrev_u32_e32 v4, s55, v2
	v_cmp_le_u32_e32 vcc, s55, v2
	v_cndmask_b32_e32 v2, v2, v4, vcc
	v_subrev_u32_e32 v4, s55, v2
	v_cmp_le_u32_e32 vcc, s55, v2
	v_cndmask_b32_e32 v2, v2, v4, vcc
	v_pk_mov_b32 v[4:5], v[2:3], v[2:3] op_sel:[0,1]
.LBB93_159:                             ;   in Loop: Header=BB93_16 Depth=1
	v_mov_b32_e32 v2, s87
	v_sub_co_u32_e32 v4, vcc, s85, v4
	v_subb_co_u32_e32 v5, vcc, v2, v5, vcc
	v_cmp_gt_u64_e32 vcc, v[4:5], v[0:1]
	s_mov_b64 s[8:9], 0
                                        ; implicit-def: $vgpr21
	s_and_saveexec_b64 s[18:19], vcc
	s_cbranch_execz .LBB93_168
; %bb.160:                              ;   in Loop: Header=BB93_16 Depth=1
	v_pk_mov_b32 v[6:7], v[0:1], v[0:1] op_sel:[0,1]
                                        ; implicit-def: $sgpr20_sgpr21
	s_branch .LBB93_162
.LBB93_161:                             ;   in Loop: Header=BB93_162 Depth=2
	s_or_b64 exec, exec, s[6:7]
	s_waitcnt lgkmcnt(0)
	s_barrier
	ds_read_b64 v[20:21], v3 offset:3072
	v_mov_b32_e32 v2, s54
	v_add_co_u32_e32 v6, vcc, s55, v6
	v_addc_co_u32_e32 v7, vcc, v7, v2, vcc
	s_waitcnt lgkmcnt(0)
	v_readfirstlane_b32 s6, v20
	s_cmp_lg_u32 s6, 0
	s_cselect_b64 s[6:7], -1, 0
	v_cmp_ge_u64_e32 vcc, v[6:7], v[4:5]
	s_or_b64 s[22:23], vcc, s[6:7]
	s_and_b64 s[22:23], exec, s[22:23]
	s_or_b64 s[8:9], s[22:23], s[8:9]
	s_andn2_b64 s[20:21], s[20:21], exec
	s_and_b64 s[6:7], s[6:7], exec
	s_or_b64 s[20:21], s[20:21], s[6:7]
	s_barrier
	s_andn2_b64 exec, exec, s[8:9]
	s_cbranch_execz .LBB93_167
.LBB93_162:                             ;   Parent Loop BB93_16 Depth=1
                                        ; =>  This Inner Loop Header: Depth=2
	v_cmp_gt_u64_e32 vcc, s[52:53], v[6:7]
	s_waitcnt vmcnt(0)
	v_mov_b32_e32 v19, 0
	s_and_saveexec_b64 s[22:23], vcc
	s_cbranch_execz .LBB93_164
; %bb.163:                              ;   in Loop: Header=BB93_162 Depth=2
	v_mul_lo_u32 v2, v7, s68
	v_mul_lo_u32 v10, v6, s69
	v_mad_u64_u32 v[8:9], s[6:7], v6, s68, 0
	v_add3_u32 v9, v9, v10, v2
	v_lshlrev_b64 v[8:9], 2, v[8:9]
	v_mov_b32_e32 v2, s84
	v_add_co_u32_e64 v8, s[6:7], s33, v8
	v_addc_co_u32_e64 v9, s[6:7], v2, v9, s[6:7]
	global_load_dword v19, v[8:9], off
.LBB93_164:                             ;   in Loop: Header=BB93_162 Depth=2
	s_or_b64 exec, exec, s[22:23]
	s_and_saveexec_b64 s[6:7], vcc
	s_cbranch_execz .LBB93_161
; %bb.165:                              ;   in Loop: Header=BB93_162 Depth=2
	s_waitcnt vmcnt(0)
	v_xor_b32_e32 v2, 0x80000000, v19
	v_and_b32_e32 v2, s26, v2
	v_cmp_eq_u32_e32 vcc, s27, v2
	s_and_b64 exec, exec, vcc
	s_cbranch_execz .LBB93_161
; %bb.166:                              ;   in Loop: Header=BB93_162 Depth=2
	ds_write_b64 v3, v[18:19] offset:3072
	s_branch .LBB93_161
.LBB93_167:                             ;   in Loop: Header=BB93_16 Depth=1
	s_or_b64 exec, exec, s[8:9]
	s_and_b64 s[8:9], s[20:21], exec
.LBB93_168:                             ;   in Loop: Header=BB93_16 Depth=1
	s_or_b64 exec, exec, s[18:19]
	s_mov_b64 s[22:23], -1
	s_mov_b64 s[20:21], 0
	s_mov_b64 s[18:19], 0
.LBB93_169:                             ;   in Loop: Header=BB93_16 Depth=1
	s_mov_b64 s[6:7], 0
                                        ; implicit-def: $sgpr49
	s_and_saveexec_b64 s[24:25], s[8:9]
	s_cbranch_execz .LBB93_280
; %bb.170:                              ;   in Loop: Header=BB93_16 Depth=1
	s_xor_b64 s[6:7], s[30:31], -1
	s_andn2_b64 vcc, exec, s[6:7]
	s_mov_b32 s49, 1
	s_cbranch_vccnz .LBB93_181
; %bb.171:                              ;   in Loop: Header=BB93_16 Depth=1
	v_pk_mov_b32 v[4:5], s[28:29], s[28:29] op_sel:[0,1]
	v_cmp_gt_u64_e32 vcc, s[82:83], v[4:5]
	s_mov_b64 s[6:7], -1
                                        ; implicit-def: $sgpr49
                                        ; implicit-def: $sgpr8
                                        ; implicit-def: $sgpr9
	s_cbranch_vccnz .LBB93_177
; %bb.172:                              ;   in Loop: Header=BB93_16 Depth=1
	ds_read_b64 v[4:5], v3 offset:5120
	s_waitcnt lgkmcnt(0)
	v_cmp_ne_u64_e32 vcc, 0, v[4:5]
	s_cbranch_vccnz .LBB93_176
; %bb.173:                              ;   in Loop: Header=BB93_16 Depth=1
	s_mov_b64 s[6:7], exec
	v_readlane_b32 s8, v42, 8
	v_readlane_b32 s9, v42, 9
	s_and_b64 s[8:9], s[6:7], s[8:9]
	s_mov_b64 exec, s[8:9]
	s_cbranch_execz .LBB93_175
; %bb.174:                              ;   in Loop: Header=BB93_16 Depth=1
	v_pk_mov_b32 v[4:5], s[28:29], s[28:29] op_sel:[0,1]
	ds_write_b64 v3, v[4:5] offset:5128
.LBB93_175:                             ;   in Loop: Header=BB93_16 Depth=1
	s_or_b64 exec, exec, s[6:7]
	s_waitcnt lgkmcnt(0)
	s_barrier
.LBB93_176:                             ;   in Loop: Header=BB93_16 Depth=1
	s_lshl_b32 s6, 1, s40
	s_and_b32 s7, s27, s41
	s_or_b32 s8, s7, s6
	s_or_b32 s9, s26, s48
	s_mov_b64 s[6:7], 0
	s_mov_b32 s49, 8
.LBB93_177:                             ;   in Loop: Header=BB93_16 Depth=1
	s_andn2_b64 vcc, exec, s[6:7]
	s_cbranch_vccnz .LBB93_179
; %bb.178:                              ;   in Loop: Header=BB93_16 Depth=1
	s_sub_u32 s82, s82, s28
	s_subb_u32 s83, s83, s29
	s_mov_b64 s[6:7], -1
	s_mov_b32 s49, 0
	s_mov_b32 s8, s27
	;; [unrolled: 1-line block ×3, first 2 shown]
.LBB93_179:                             ;   in Loop: Header=BB93_16 Depth=1
	s_mov_b32 s26, s9
	s_mov_b32 s27, s8
	s_andn2_b64 vcc, exec, s[6:7]
	s_mov_b64 s[6:7], -1
	s_cbranch_vccz .LBB93_182
.LBB93_180:                             ;   in Loop: Header=BB93_16 Depth=1
                                        ; implicit-def: $sgpr30_sgpr31
                                        ; implicit-def: $sgpr34_sgpr35
                                        ; implicit-def: $sgpr28_sgpr29
	s_branch .LBB93_279
.LBB93_181:                             ;   in Loop: Header=BB93_16 Depth=1
	s_mov_b64 s[82:83], 1
	s_mov_b64 s[6:7], -1
	s_cbranch_execnz .LBB93_180
.LBB93_182:                             ;   in Loop: Header=BB93_16 Depth=1
	s_cmp_eq_u64 s[16:17], 1
	s_cselect_b64 s[6:7], -1, 0
	s_cmp_eq_u64 s[82:83], 1
	s_cselect_b64 s[8:9], -1, 0
	s_and_b64 s[38:39], s[6:7], s[8:9]
	s_mov_b64 s[8:9], -1
	s_and_b64 vcc, exec, s[38:39]
	s_cbranch_vccz .LBB93_197
; %bb.183:                              ;   in Loop: Header=BB93_16 Depth=1
	ds_read_b64 v[4:5], v3 offset:5120
	s_waitcnt lgkmcnt(0)
	s_barrier
	v_readfirstlane_b32 s6, v4
	v_readfirstlane_b32 s7, v5
	s_mov_b64 s[8:9], exec
	v_readlane_b32 s28, v42, 26
	v_readlane_b32 s29, v42, 27
	s_and_b64 s[28:29], s[8:9], s[28:29]
	s_mov_b64 exec, s[28:29]
	s_cbranch_execz .LBB93_185
; %bb.184:                              ;   in Loop: Header=BB93_16 Depth=1
	ds_write_b32 v27, v3
.LBB93_185:                             ;   in Loop: Header=BB93_16 Depth=1
	s_or_b64 exec, exec, s[8:9]
	s_lshl_b32 s8, 2, s40
	s_and_b32 s9, s27, s41
	s_or_b32 s27, s9, s8
	s_or_b32 s26, s26, s48
	s_cmp_eq_u64 s[6:7], 0
	s_waitcnt lgkmcnt(0)
	s_barrier
	s_cbranch_scc1 .LBB93_200
; %bb.186:                              ;   in Loop: Header=BB93_16 Depth=1
	v_readlane_b32 s8, v42, 32
	s_add_u32 s30, s8, s6
	v_readlane_b32 s8, v42, 33
	s_addc_u32 s9, s8, s7
	s_mov_b32 s8, s79
	s_cmp_lg_u64 s[8:9], 0
	s_cbranch_scc0 .LBB93_245
; %bb.187:                              ;   in Loop: Header=BB93_16 Depth=1
	v_cvt_f32_u32_e32 v2, s55
	s_sub_u32 s8, 0, s55
	s_subb_u32 s28, 0, 0
	v_mac_f32_e32 v2, 0, v33
	v_rcp_f32_e32 v2, v2
	v_mul_f32_e32 v2, 0x5f7ffffc, v2
	v_mul_f32_e32 v4, 0x2f800000, v2
	v_trunc_f32_e32 v4, v4
	v_mac_f32_e32 v2, 0xcf800000, v4
	v_cvt_u32_f32_e32 v4, v4
	v_cvt_u32_f32_e32 v2, v2
	v_readfirstlane_b32 s29, v4
	v_readfirstlane_b32 s31, v2
	s_mul_i32 s34, s8, s29
	s_mul_hi_u32 s36, s8, s31
	s_mul_i32 s35, s28, s31
	s_add_i32 s34, s36, s34
	s_mul_i32 s37, s8, s31
	s_add_i32 s34, s34, s35
	s_mul_hi_u32 s36, s31, s37
	s_mul_hi_u32 s35, s31, s34
	s_mul_i32 s31, s31, s34
	s_add_u32 s31, s36, s31
	s_addc_u32 s35, 0, s35
	s_mul_hi_u32 s42, s29, s37
	s_mul_i32 s37, s29, s37
	s_add_u32 s31, s31, s37
	s_mul_hi_u32 s36, s29, s34
	s_addc_u32 s31, s35, s42
	s_addc_u32 s35, s36, 0
	s_mul_i32 s34, s29, s34
	s_add_u32 s31, s31, s34
	s_addc_u32 s34, 0, s35
	v_add_co_u32_e32 v2, vcc, s31, v2
	s_cmp_lg_u64 vcc, 0
	s_addc_u32 s29, s29, s34
	v_readfirstlane_b32 s34, v2
	s_mul_i32 s31, s8, s29
	s_mul_hi_u32 s35, s8, s34
	s_add_i32 s31, s35, s31
	s_mul_i32 s28, s28, s34
	s_add_i32 s31, s31, s28
	s_mul_i32 s8, s8, s34
	s_mul_hi_u32 s35, s29, s8
	s_mul_i32 s36, s29, s8
	s_mul_i32 s42, s34, s31
	s_mul_hi_u32 s8, s34, s8
	s_mul_hi_u32 s37, s34, s31
	s_add_u32 s8, s8, s42
	s_addc_u32 s34, 0, s37
	s_add_u32 s8, s8, s36
	s_mul_hi_u32 s28, s29, s31
	s_addc_u32 s8, s34, s35
	s_addc_u32 s28, s28, 0
	s_mul_i32 s31, s29, s31
	s_add_u32 s8, s8, s31
	s_addc_u32 s28, 0, s28
	v_add_co_u32_e32 v2, vcc, s8, v2
	s_cmp_lg_u64 vcc, 0
	s_addc_u32 s8, s29, s28
	v_readfirstlane_b32 s31, v2
	s_mul_i32 s29, s30, s8
	s_mul_hi_u32 s34, s30, s31
	s_mul_hi_u32 s28, s30, s8
	s_add_u32 s29, s34, s29
	s_addc_u32 s28, 0, s28
	s_mul_hi_u32 s35, s9, s31
	s_mul_i32 s31, s9, s31
	s_add_u32 s29, s29, s31
	s_mul_hi_u32 s34, s9, s8
	s_addc_u32 s28, s28, s35
	s_addc_u32 s29, s34, 0
	s_mul_i32 s8, s9, s8
	s_add_u32 s8, s28, s8
	s_addc_u32 s28, 0, s29
	s_mul_hi_u32 s29, s55, s8
	s_mul_i32 s8, s55, s8
	s_mul_i32 s28, s55, s28
	v_mov_b32_e32 v2, s8
	s_add_i32 s29, s29, s28
	v_sub_co_u32_e32 v2, vcc, s30, v2
	s_cmp_lg_u64 vcc, 0
	s_subb_u32 s8, s9, s29
	v_subrev_co_u32_e32 v4, vcc, s55, v2
	s_cmp_lg_u64 vcc, 0
	s_subb_u32 s28, s8, 0
	v_subrev_co_u32_e32 v5, vcc, s55, v4
	s_cmp_lg_u64 vcc, 0
	s_subb_u32 s29, s28, 0
	v_cmp_le_u32_e32 vcc, s55, v4
	s_cmp_eq_u32 s28, 0
	v_cndmask_b32_e64 v6, 0, -1, vcc
	s_cselect_b64 vcc, -1, 0
	v_cndmask_b32_e32 v6, -1, v6, vcc
	v_mov_b32_e32 v7, s28
	v_mov_b32_e32 v8, s29
	v_cmp_ne_u32_e32 vcc, 0, v6
	v_cndmask_b32_e32 v6, v7, v8, vcc
	v_cndmask_b32_e32 v4, v4, v5, vcc
	v_cmp_le_u32_e32 vcc, s55, v2
	s_cmp_eq_u32 s8, 0
	v_cndmask_b32_e64 v5, 0, -1, vcc
	s_cselect_b64 vcc, -1, 0
	v_cndmask_b32_e32 v5, -1, v5, vcc
	v_mov_b32_e32 v7, s8
	v_cmp_ne_u32_e32 vcc, 0, v5
	v_cndmask_b32_e32 v5, v7, v6, vcc
	v_cndmask_b32_e32 v4, v2, v4, vcc
	s_cbranch_execnz .LBB93_189
.LBB93_188:                             ;   in Loop: Header=BB93_16 Depth=1
	v_cvt_f32_u32_e32 v2, s55
	s_sub_i32 s8, 0, s55
	v_rcp_iflag_f32_e32 v2, v2
	v_mul_f32_e32 v2, 0x4f7ffffe, v2
	v_cvt_u32_f32_e32 v2, v2
	v_mul_lo_u32 v4, s8, v2
	v_mul_hi_u32 v4, v2, v4
	v_add_u32_e32 v2, v2, v4
	v_mul_hi_u32 v2, s30, v2
	v_mul_lo_u32 v2, v2, s55
	v_sub_u32_e32 v2, s30, v2
	v_subrev_u32_e32 v4, s55, v2
	v_cmp_le_u32_e32 vcc, s55, v2
	v_cndmask_b32_e32 v2, v2, v4, vcc
	v_subrev_u32_e32 v4, s55, v2
	v_cmp_le_u32_e32 vcc, s55, v2
	v_cndmask_b32_e32 v2, v2, v4, vcc
	v_pk_mov_b32 v[4:5], v[2:3], v[2:3] op_sel:[0,1]
.LBB93_189:                             ;   in Loop: Header=BB93_16 Depth=1
	v_mov_b32_e32 v2, s9
	v_sub_co_u32_e32 v4, vcc, s30, v4
	v_subb_co_u32_e32 v5, vcc, v2, v5, vcc
	v_cmp_gt_u64_e32 vcc, v[4:5], v[0:1]
	s_mov_b64 s[8:9], 0
                                        ; implicit-def: $vgpr21
	s_and_saveexec_b64 s[28:29], vcc
	s_cbranch_execz .LBB93_202
; %bb.190:                              ;   in Loop: Header=BB93_16 Depth=1
	v_mov_b32_e32 v2, v12
	v_pk_mov_b32 v[6:7], v[0:1], v[0:1] op_sel:[0,1]
                                        ; implicit-def: $sgpr30_sgpr31
	s_branch .LBB93_192
.LBB93_191:                             ;   in Loop: Header=BB93_192 Depth=2
	s_or_b64 exec, exec, s[34:35]
	s_waitcnt lgkmcnt(0)
	s_barrier
	ds_read_b64 v[20:21], v3 offset:3072
	v_mov_b32_e32 v8, s54
	v_add_co_u32_e32 v6, vcc, s55, v6
	v_addc_co_u32_e32 v7, vcc, v7, v8, vcc
	s_waitcnt lgkmcnt(0)
	v_readfirstlane_b32 s34, v20
	s_cmp_lg_u32 s34, 0
	s_cselect_b64 s[34:35], -1, 0
	v_cmp_ge_u64_e32 vcc, v[6:7], v[4:5]
	s_or_b64 s[36:37], vcc, s[34:35]
	s_and_b64 s[36:37], exec, s[36:37]
	s_or_b64 s[8:9], s[36:37], s[8:9]
	s_andn2_b64 s[30:31], s[30:31], exec
	s_and_b64 s[34:35], s[34:35], exec
	v_add_u32_e32 v2, s1, v2
	s_or_b64 s[30:31], s[30:31], s[34:35]
	s_barrier
	s_andn2_b64 exec, exec, s[8:9]
	s_cbranch_execz .LBB93_201
.LBB93_192:                             ;   Parent Loop BB93_16 Depth=1
                                        ; =>  This Inner Loop Header: Depth=2
	v_cmp_gt_u64_e32 vcc, s[6:7], v[6:7]
	s_waitcnt vmcnt(0)
	v_mov_b32_e32 v19, 0
	s_and_saveexec_b64 s[34:35], vcc
	s_cbranch_execz .LBB93_194
; %bb.193:                              ;   in Loop: Header=BB93_192 Depth=2
	ds_read_b32 v19, v2
.LBB93_194:                             ;   in Loop: Header=BB93_192 Depth=2
	s_or_b64 exec, exec, s[34:35]
	s_and_saveexec_b64 s[34:35], vcc
	s_cbranch_execz .LBB93_191
; %bb.195:                              ;   in Loop: Header=BB93_192 Depth=2
	s_waitcnt lgkmcnt(0)
	v_xor_b32_e32 v8, 0x80000000, v19
	v_and_b32_e32 v8, s26, v8
	v_cmp_eq_u32_e32 vcc, s27, v8
	s_and_b64 exec, exec, vcc
	s_cbranch_execz .LBB93_191
; %bb.196:                              ;   in Loop: Header=BB93_192 Depth=2
	ds_write_b64 v3, v[18:19] offset:3072
	s_branch .LBB93_191
.LBB93_197:                             ;   in Loop: Header=BB93_16 Depth=1
                                        ; implicit-def: $sgpr28_sgpr29
                                        ; implicit-def: $sgpr34_sgpr35
                                        ; implicit-def: $sgpr30_sgpr31
	s_branch .LBB93_216
.LBB93_198:                             ;   in Loop: Header=BB93_16 Depth=1
                                        ; implicit-def: $vgpr4_vgpr5
	s_branch .LBB93_138
.LBB93_199:                             ;   in Loop: Header=BB93_16 Depth=1
                                        ; implicit-def: $vgpr4_vgpr5
	s_branch .LBB93_158
.LBB93_200:                             ;   in Loop: Header=BB93_16 Depth=1
	s_mov_b64 s[28:29], -1
	s_mov_b64 s[8:9], 0
                                        ; implicit-def: $sgpr30_sgpr31
                                        ; implicit-def: $vgpr21
	s_mov_b64 s[34:35], s[28:29]
	s_cbranch_execnz .LBB93_203
	s_branch .LBB93_216
.LBB93_201:                             ;   in Loop: Header=BB93_16 Depth=1
	s_or_b64 exec, exec, s[8:9]
	s_and_b64 s[8:9], s[30:31], exec
.LBB93_202:                             ;   in Loop: Header=BB93_16 Depth=1
	s_or_b64 exec, exec, s[28:29]
	s_mov_b64 s[30:31], -1
	s_mov_b64 s[28:29], 0
	s_mov_b64 s[34:35], s[28:29]
	s_branch .LBB93_216
.LBB93_203:                             ;   in Loop: Header=BB93_16 Depth=1
	s_mov_b32 s86, s79
	s_cmp_lg_u64 s[86:87], 0
	s_cbranch_scc0 .LBB93_246
; %bb.204:                              ;   in Loop: Header=BB93_16 Depth=1
	v_cvt_f32_u32_e32 v2, s55
	s_sub_u32 s6, 0, s55
	s_subb_u32 s7, 0, 0
	v_mac_f32_e32 v2, 0, v33
	v_rcp_f32_e32 v2, v2
	v_mul_f32_e32 v2, 0x5f7ffffc, v2
	v_mul_f32_e32 v4, 0x2f800000, v2
	v_trunc_f32_e32 v4, v4
	v_mac_f32_e32 v2, 0xcf800000, v4
	v_cvt_u32_f32_e32 v4, v4
	v_cvt_u32_f32_e32 v2, v2
	v_readfirstlane_b32 s8, v4
	v_readfirstlane_b32 s9, v2
	s_mul_i32 s28, s6, s8
	s_mul_hi_u32 s30, s6, s9
	s_mul_i32 s29, s7, s9
	s_add_i32 s28, s30, s28
	s_mul_i32 s31, s6, s9
	s_add_i32 s28, s28, s29
	s_mul_hi_u32 s30, s9, s31
	s_mul_hi_u32 s29, s9, s28
	s_mul_i32 s9, s9, s28
	s_add_u32 s9, s30, s9
	s_addc_u32 s29, 0, s29
	s_mul_hi_u32 s34, s8, s31
	s_mul_i32 s31, s8, s31
	s_add_u32 s9, s9, s31
	s_mul_hi_u32 s30, s8, s28
	s_addc_u32 s9, s29, s34
	s_addc_u32 s29, s30, 0
	s_mul_i32 s28, s8, s28
	s_add_u32 s9, s9, s28
	s_addc_u32 s28, 0, s29
	v_add_co_u32_e32 v2, vcc, s9, v2
	s_cmp_lg_u64 vcc, 0
	s_addc_u32 s8, s8, s28
	v_readfirstlane_b32 s28, v2
	s_mul_i32 s9, s6, s8
	s_mul_hi_u32 s29, s6, s28
	s_add_i32 s9, s29, s9
	s_mul_i32 s7, s7, s28
	s_add_i32 s9, s9, s7
	s_mul_i32 s6, s6, s28
	s_mul_hi_u32 s29, s8, s6
	s_mul_i32 s30, s8, s6
	s_mul_i32 s34, s28, s9
	s_mul_hi_u32 s6, s28, s6
	s_mul_hi_u32 s31, s28, s9
	s_add_u32 s6, s6, s34
	s_addc_u32 s28, 0, s31
	s_add_u32 s6, s6, s30
	s_mul_hi_u32 s7, s8, s9
	s_addc_u32 s6, s28, s29
	s_addc_u32 s7, s7, 0
	s_mul_i32 s9, s8, s9
	s_add_u32 s6, s6, s9
	s_addc_u32 s7, 0, s7
	v_add_co_u32_e32 v2, vcc, s6, v2
	s_cmp_lg_u64 vcc, 0
	s_addc_u32 s6, s8, s7
	v_readfirstlane_b32 s9, v2
	s_mul_i32 s8, s85, s6
	s_mul_hi_u32 s28, s85, s9
	s_mul_hi_u32 s7, s85, s6
	s_add_u32 s8, s28, s8
	s_addc_u32 s7, 0, s7
	s_mul_hi_u32 s29, s87, s9
	s_mul_i32 s9, s87, s9
	s_add_u32 s8, s8, s9
	s_mul_hi_u32 s28, s87, s6
	s_addc_u32 s7, s7, s29
	s_addc_u32 s8, s28, 0
	s_mul_i32 s6, s87, s6
	s_add_u32 s6, s7, s6
	s_addc_u32 s7, 0, s8
	s_mul_hi_u32 s8, s55, s6
	s_mul_i32 s6, s55, s6
	s_mul_i32 s7, s55, s7
	v_mov_b32_e32 v2, s6
	s_add_i32 s8, s8, s7
	v_sub_co_u32_e32 v2, vcc, s85, v2
	s_cmp_lg_u64 vcc, 0
	s_subb_u32 s6, s87, s8
	v_subrev_co_u32_e32 v4, vcc, s55, v2
	s_cmp_lg_u64 vcc, 0
	s_subb_u32 s7, s6, 0
	v_subrev_co_u32_e32 v5, vcc, s55, v4
	s_cmp_lg_u64 vcc, 0
	s_subb_u32 s8, s7, 0
	v_cmp_le_u32_e32 vcc, s55, v4
	s_cmp_eq_u32 s7, 0
	v_cndmask_b32_e64 v6, 0, -1, vcc
	s_cselect_b64 vcc, -1, 0
	v_cndmask_b32_e32 v6, -1, v6, vcc
	v_mov_b32_e32 v7, s7
	v_mov_b32_e32 v8, s8
	v_cmp_ne_u32_e32 vcc, 0, v6
	v_cndmask_b32_e32 v6, v7, v8, vcc
	v_cndmask_b32_e32 v4, v4, v5, vcc
	v_cmp_le_u32_e32 vcc, s55, v2
	s_cmp_eq_u32 s6, 0
	v_cndmask_b32_e64 v5, 0, -1, vcc
	s_cselect_b64 vcc, -1, 0
	v_cndmask_b32_e32 v5, -1, v5, vcc
	v_mov_b32_e32 v7, s6
	v_cmp_ne_u32_e32 vcc, 0, v5
	v_cndmask_b32_e32 v5, v7, v6, vcc
	v_cndmask_b32_e32 v4, v2, v4, vcc
	s_cbranch_execnz .LBB93_206
.LBB93_205:                             ;   in Loop: Header=BB93_16 Depth=1
	v_cvt_f32_u32_e32 v2, s55
	s_sub_i32 s6, 0, s55
	v_rcp_iflag_f32_e32 v2, v2
	v_mul_f32_e32 v2, 0x4f7ffffe, v2
	v_cvt_u32_f32_e32 v2, v2
	v_mul_lo_u32 v4, s6, v2
	v_mul_hi_u32 v4, v2, v4
	v_add_u32_e32 v2, v2, v4
	v_mul_hi_u32 v2, s85, v2
	v_mul_lo_u32 v2, v2, s55
	v_sub_u32_e32 v2, s85, v2
	v_subrev_u32_e32 v4, s55, v2
	v_cmp_le_u32_e32 vcc, s55, v2
	v_cndmask_b32_e32 v2, v2, v4, vcc
	v_subrev_u32_e32 v4, s55, v2
	v_cmp_le_u32_e32 vcc, s55, v2
	v_cndmask_b32_e32 v2, v2, v4, vcc
	v_pk_mov_b32 v[4:5], v[2:3], v[2:3] op_sel:[0,1]
.LBB93_206:                             ;   in Loop: Header=BB93_16 Depth=1
	v_mov_b32_e32 v2, s87
	v_sub_co_u32_e32 v4, vcc, s85, v4
	v_subb_co_u32_e32 v5, vcc, v2, v5, vcc
	v_cmp_gt_u64_e32 vcc, v[4:5], v[0:1]
	s_mov_b64 s[8:9], 0
                                        ; implicit-def: $vgpr21
	s_and_saveexec_b64 s[28:29], vcc
	s_cbranch_execz .LBB93_215
; %bb.207:                              ;   in Loop: Header=BB93_16 Depth=1
	v_pk_mov_b32 v[6:7], v[0:1], v[0:1] op_sel:[0,1]
                                        ; implicit-def: $sgpr30_sgpr31
	s_branch .LBB93_209
.LBB93_208:                             ;   in Loop: Header=BB93_209 Depth=2
	s_or_b64 exec, exec, s[6:7]
	s_waitcnt lgkmcnt(0)
	s_barrier
	ds_read_b64 v[20:21], v3 offset:3072
	v_mov_b32_e32 v2, s54
	v_add_co_u32_e32 v6, vcc, s55, v6
	v_addc_co_u32_e32 v7, vcc, v7, v2, vcc
	s_waitcnt lgkmcnt(0)
	v_readfirstlane_b32 s6, v20
	s_cmp_lg_u32 s6, 0
	s_cselect_b64 s[6:7], -1, 0
	v_cmp_ge_u64_e32 vcc, v[6:7], v[4:5]
	s_or_b64 s[34:35], vcc, s[6:7]
	s_and_b64 s[34:35], exec, s[34:35]
	s_or_b64 s[8:9], s[34:35], s[8:9]
	s_andn2_b64 s[30:31], s[30:31], exec
	s_and_b64 s[6:7], s[6:7], exec
	s_or_b64 s[30:31], s[30:31], s[6:7]
	s_barrier
	s_andn2_b64 exec, exec, s[8:9]
	s_cbranch_execz .LBB93_214
.LBB93_209:                             ;   Parent Loop BB93_16 Depth=1
                                        ; =>  This Inner Loop Header: Depth=2
	v_cmp_gt_u64_e32 vcc, s[52:53], v[6:7]
	s_waitcnt vmcnt(0)
	v_mov_b32_e32 v19, 0
	s_and_saveexec_b64 s[34:35], vcc
	s_cbranch_execz .LBB93_211
; %bb.210:                              ;   in Loop: Header=BB93_209 Depth=2
	v_mul_lo_u32 v2, v7, s68
	v_mul_lo_u32 v10, v6, s69
	v_mad_u64_u32 v[8:9], s[6:7], v6, s68, 0
	v_add3_u32 v9, v9, v10, v2
	v_lshlrev_b64 v[8:9], 2, v[8:9]
	v_mov_b32_e32 v2, s84
	v_add_co_u32_e64 v8, s[6:7], s33, v8
	v_addc_co_u32_e64 v9, s[6:7], v2, v9, s[6:7]
	global_load_dword v19, v[8:9], off
.LBB93_211:                             ;   in Loop: Header=BB93_209 Depth=2
	s_or_b64 exec, exec, s[34:35]
	s_and_saveexec_b64 s[6:7], vcc
	s_cbranch_execz .LBB93_208
; %bb.212:                              ;   in Loop: Header=BB93_209 Depth=2
	s_waitcnt vmcnt(0)
	v_xor_b32_e32 v2, 0x80000000, v19
	v_and_b32_e32 v2, s26, v2
	v_cmp_eq_u32_e32 vcc, s27, v2
	s_and_b64 exec, exec, vcc
	s_cbranch_execz .LBB93_208
; %bb.213:                              ;   in Loop: Header=BB93_209 Depth=2
	ds_write_b64 v3, v[18:19] offset:3072
	s_branch .LBB93_208
.LBB93_214:                             ;   in Loop: Header=BB93_16 Depth=1
	s_or_b64 exec, exec, s[8:9]
	s_and_b64 s[8:9], s[30:31], exec
.LBB93_215:                             ;   in Loop: Header=BB93_16 Depth=1
	s_or_b64 exec, exec, s[28:29]
	s_mov_b64 s[34:35], -1
	s_mov_b64 s[28:29], 0
	s_mov_b64 s[30:31], 0
.LBB93_216:                             ;   in Loop: Header=BB93_16 Depth=1
	s_mov_b64 s[6:7], 0
                                        ; implicit-def: $sgpr49
	s_and_saveexec_b64 s[36:37], s[8:9]
	s_cbranch_execz .LBB93_278
; %bb.217:                              ;   in Loop: Header=BB93_16 Depth=1
	s_xor_b64 s[6:7], s[38:39], -1
	s_andn2_b64 vcc, exec, s[6:7]
	s_mov_b32 s49, 1
	s_cbranch_vccnz .LBB93_228
; %bb.218:                              ;   in Loop: Header=BB93_16 Depth=1
	v_pk_mov_b32 v[4:5], s[16:17], s[16:17] op_sel:[0,1]
	v_cmp_gt_u64_e32 vcc, s[82:83], v[4:5]
	s_mov_b64 s[6:7], -1
                                        ; implicit-def: $sgpr49
                                        ; implicit-def: $sgpr8
                                        ; implicit-def: $sgpr9
	s_cbranch_vccnz .LBB93_224
; %bb.219:                              ;   in Loop: Header=BB93_16 Depth=1
	ds_read_b64 v[4:5], v3 offset:5120
	s_waitcnt lgkmcnt(0)
	v_cmp_ne_u64_e32 vcc, 0, v[4:5]
	s_cbranch_vccnz .LBB93_223
; %bb.220:                              ;   in Loop: Header=BB93_16 Depth=1
	s_mov_b64 s[6:7], exec
	v_readlane_b32 s8, v42, 8
	v_readlane_b32 s9, v42, 9
	s_and_b64 s[8:9], s[6:7], s[8:9]
	s_mov_b64 exec, s[8:9]
	s_cbranch_execz .LBB93_222
; %bb.221:                              ;   in Loop: Header=BB93_16 Depth=1
	v_pk_mov_b32 v[4:5], s[16:17], s[16:17] op_sel:[0,1]
	ds_write_b64 v3, v[4:5] offset:5128
.LBB93_222:                             ;   in Loop: Header=BB93_16 Depth=1
	s_or_b64 exec, exec, s[6:7]
	s_waitcnt lgkmcnt(0)
	s_barrier
.LBB93_223:                             ;   in Loop: Header=BB93_16 Depth=1
	s_lshl_b32 s6, 2, s40
	s_and_b32 s7, s27, s41
	s_or_b32 s8, s7, s6
	s_or_b32 s9, s26, s48
	s_mov_b64 s[6:7], 0
	s_mov_b32 s49, 8
.LBB93_224:                             ;   in Loop: Header=BB93_16 Depth=1
	s_andn2_b64 vcc, exec, s[6:7]
	s_cbranch_vccnz .LBB93_226
; %bb.225:                              ;   in Loop: Header=BB93_16 Depth=1
	s_sub_u32 s82, s82, s16
	s_subb_u32 s83, s83, s17
	s_mov_b64 s[6:7], -1
	s_mov_b32 s49, 0
	s_mov_b32 s8, s27
	;; [unrolled: 1-line block ×3, first 2 shown]
.LBB93_226:                             ;   in Loop: Header=BB93_16 Depth=1
	s_mov_b32 s26, s9
	s_mov_b32 s27, s8
	s_andn2_b64 vcc, exec, s[6:7]
	s_mov_b64 s[44:45], -1
	s_cbranch_vccz .LBB93_229
.LBB93_227:                             ;   in Loop: Header=BB93_16 Depth=1
                                        ; implicit-def: $sgpr6_sgpr7
                                        ; implicit-def: $sgpr38_sgpr39
                                        ; implicit-def: $sgpr8_sgpr9
	s_branch .LBB93_277
.LBB93_228:                             ;   in Loop: Header=BB93_16 Depth=1
	s_mov_b64 s[82:83], 1
	s_mov_b64 s[44:45], -1
	s_cbranch_execnz .LBB93_227
.LBB93_229:                             ;   in Loop: Header=BB93_16 Depth=1
	s_cmp_eq_u64 s[10:11], 1
	s_cselect_b64 s[6:7], -1, 0
	s_cmp_eq_u64 s[82:83], 1
	s_cselect_b64 s[8:9], -1, 0
	s_and_b64 s[16:17], s[6:7], s[8:9]
	s_mov_b64 s[40:41], -1
	s_and_b64 vcc, exec, s[16:17]
	s_cbranch_vccz .LBB93_244
; %bb.230:                              ;   in Loop: Header=BB93_16 Depth=1
	ds_read_b64 v[4:5], v3 offset:5120
	s_waitcnt lgkmcnt(0)
	s_barrier
	v_readfirstlane_b32 s6, v4
	v_readfirstlane_b32 s7, v5
	s_mov_b64 s[8:9], exec
	v_readlane_b32 s38, v42, 26
	v_readlane_b32 s39, v42, 27
	s_and_b64 s[38:39], s[8:9], s[38:39]
	s_mov_b64 exec, s[38:39]
	s_cbranch_execz .LBB93_232
; %bb.231:                              ;   in Loop: Header=BB93_16 Depth=1
	ds_write_b32 v27, v3
.LBB93_232:                             ;   in Loop: Header=BB93_16 Depth=1
	s_or_b64 exec, exec, s[8:9]
	s_or_b32 s27, s27, s48
	s_or_b32 s26, s26, s48
	s_cmp_eq_u64 s[6:7], 0
	s_waitcnt lgkmcnt(0)
	s_barrier
	s_cbranch_scc1 .LBB93_247
; %bb.233:                              ;   in Loop: Header=BB93_16 Depth=1
	v_readlane_b32 s8, v42, 32
	s_add_u32 s40, s8, s6
	v_readlane_b32 s8, v42, 33
	s_addc_u32 s9, s8, s7
	s_mov_b32 s8, s79
	s_cmp_lg_u64 s[8:9], 0
	s_cbranch_scc0 .LBB93_283
; %bb.234:                              ;   in Loop: Header=BB93_16 Depth=1
	v_cvt_f32_u32_e32 v2, s55
	s_sub_u32 s8, 0, s55
	s_subb_u32 s38, 0, 0
	v_mac_f32_e32 v2, 0, v33
	v_rcp_f32_e32 v2, v2
	v_mul_f32_e32 v2, 0x5f7ffffc, v2
	v_mul_f32_e32 v4, 0x2f800000, v2
	v_trunc_f32_e32 v4, v4
	v_mac_f32_e32 v2, 0xcf800000, v4
	v_cvt_u32_f32_e32 v4, v4
	v_cvt_u32_f32_e32 v2, v2
	v_readfirstlane_b32 s39, v4
	v_readfirstlane_b32 s41, v2
	s_mul_i32 s42, s8, s39
	s_mul_hi_u32 s44, s8, s41
	s_mul_i32 s43, s38, s41
	s_add_i32 s42, s44, s42
	s_mul_i32 s45, s8, s41
	s_add_i32 s42, s42, s43
	s_mul_hi_u32 s44, s41, s45
	s_mul_hi_u32 s43, s41, s42
	s_mul_i32 s41, s41, s42
	s_add_u32 s41, s44, s41
	s_addc_u32 s43, 0, s43
	s_mul_hi_u32 s46, s39, s45
	s_mul_i32 s45, s39, s45
	s_add_u32 s41, s41, s45
	s_mul_hi_u32 s44, s39, s42
	s_addc_u32 s41, s43, s46
	s_addc_u32 s43, s44, 0
	s_mul_i32 s42, s39, s42
	s_add_u32 s41, s41, s42
	s_addc_u32 s42, 0, s43
	v_add_co_u32_e32 v2, vcc, s41, v2
	s_cmp_lg_u64 vcc, 0
	s_addc_u32 s39, s39, s42
	v_readfirstlane_b32 s42, v2
	s_mul_i32 s41, s8, s39
	s_mul_hi_u32 s43, s8, s42
	s_add_i32 s41, s43, s41
	s_mul_i32 s38, s38, s42
	s_add_i32 s41, s41, s38
	s_mul_i32 s8, s8, s42
	s_mul_hi_u32 s43, s39, s8
	s_mul_i32 s44, s39, s8
	s_mul_i32 s46, s42, s41
	s_mul_hi_u32 s8, s42, s8
	s_mul_hi_u32 s45, s42, s41
	s_add_u32 s8, s8, s46
	s_addc_u32 s42, 0, s45
	s_add_u32 s8, s8, s44
	s_mul_hi_u32 s38, s39, s41
	s_addc_u32 s8, s42, s43
	s_addc_u32 s38, s38, 0
	s_mul_i32 s41, s39, s41
	s_add_u32 s8, s8, s41
	s_addc_u32 s38, 0, s38
	v_add_co_u32_e32 v2, vcc, s8, v2
	s_cmp_lg_u64 vcc, 0
	s_addc_u32 s8, s39, s38
	v_readfirstlane_b32 s41, v2
	s_mul_i32 s39, s40, s8
	s_mul_hi_u32 s42, s40, s41
	s_mul_hi_u32 s38, s40, s8
	s_add_u32 s39, s42, s39
	s_addc_u32 s38, 0, s38
	s_mul_hi_u32 s43, s9, s41
	s_mul_i32 s41, s9, s41
	s_add_u32 s39, s39, s41
	s_mul_hi_u32 s42, s9, s8
	s_addc_u32 s38, s38, s43
	s_addc_u32 s39, s42, 0
	s_mul_i32 s8, s9, s8
	s_add_u32 s8, s38, s8
	s_addc_u32 s38, 0, s39
	s_mul_hi_u32 s39, s55, s8
	s_mul_i32 s8, s55, s8
	s_mul_i32 s38, s55, s38
	v_mov_b32_e32 v2, s8
	s_add_i32 s39, s39, s38
	v_sub_co_u32_e32 v2, vcc, s40, v2
	s_cmp_lg_u64 vcc, 0
	s_subb_u32 s8, s9, s39
	v_subrev_co_u32_e32 v4, vcc, s55, v2
	s_cmp_lg_u64 vcc, 0
	s_subb_u32 s38, s8, 0
	v_subrev_co_u32_e32 v5, vcc, s55, v4
	s_cmp_lg_u64 vcc, 0
	s_subb_u32 s39, s38, 0
	v_cmp_le_u32_e32 vcc, s55, v4
	s_cmp_eq_u32 s38, 0
	v_cndmask_b32_e64 v6, 0, -1, vcc
	s_cselect_b64 vcc, -1, 0
	v_cndmask_b32_e32 v6, -1, v6, vcc
	v_mov_b32_e32 v7, s38
	v_mov_b32_e32 v8, s39
	v_cmp_ne_u32_e32 vcc, 0, v6
	v_cndmask_b32_e32 v6, v7, v8, vcc
	v_cndmask_b32_e32 v4, v4, v5, vcc
	v_cmp_le_u32_e32 vcc, s55, v2
	s_cmp_eq_u32 s8, 0
	v_cndmask_b32_e64 v5, 0, -1, vcc
	s_cselect_b64 vcc, -1, 0
	v_cndmask_b32_e32 v5, -1, v5, vcc
	v_mov_b32_e32 v7, s8
	v_cmp_ne_u32_e32 vcc, 0, v5
	v_cndmask_b32_e32 v5, v7, v6, vcc
	v_cndmask_b32_e32 v4, v2, v4, vcc
	s_cbranch_execnz .LBB93_236
.LBB93_235:                             ;   in Loop: Header=BB93_16 Depth=1
	v_cvt_f32_u32_e32 v2, s55
	s_sub_i32 s8, 0, s55
	v_rcp_iflag_f32_e32 v2, v2
	v_mul_f32_e32 v2, 0x4f7ffffe, v2
	v_cvt_u32_f32_e32 v2, v2
	v_mul_lo_u32 v4, s8, v2
	v_mul_hi_u32 v4, v2, v4
	v_add_u32_e32 v2, v2, v4
	v_mul_hi_u32 v2, s40, v2
	v_mul_lo_u32 v2, v2, s55
	v_sub_u32_e32 v2, s40, v2
	v_subrev_u32_e32 v4, s55, v2
	v_cmp_le_u32_e32 vcc, s55, v2
	v_cndmask_b32_e32 v2, v2, v4, vcc
	v_subrev_u32_e32 v4, s55, v2
	v_cmp_le_u32_e32 vcc, s55, v2
	v_cndmask_b32_e32 v2, v2, v4, vcc
	v_pk_mov_b32 v[4:5], v[2:3], v[2:3] op_sel:[0,1]
.LBB93_236:                             ;   in Loop: Header=BB93_16 Depth=1
	v_mov_b32_e32 v2, s9
	v_sub_co_u32_e32 v4, vcc, s40, v4
	v_subb_co_u32_e32 v5, vcc, v2, v5, vcc
	v_cmp_gt_u64_e32 vcc, v[4:5], v[0:1]
	s_mov_b64 s[40:41], 0
                                        ; implicit-def: $vgpr21
	s_and_saveexec_b64 s[8:9], vcc
	s_cbranch_execz .LBB93_249
; %bb.237:                              ;   in Loop: Header=BB93_16 Depth=1
	s_mov_b64 s[38:39], 0
	v_mov_b32_e32 v2, v12
	v_pk_mov_b32 v[6:7], v[0:1], v[0:1] op_sel:[0,1]
                                        ; implicit-def: $sgpr40_sgpr41
	s_branch .LBB93_239
.LBB93_238:                             ;   in Loop: Header=BB93_239 Depth=2
	s_or_b64 exec, exec, s[42:43]
	s_waitcnt lgkmcnt(0)
	s_barrier
	ds_read_b64 v[20:21], v3 offset:3072
	v_mov_b32_e32 v8, s54
	v_add_co_u32_e32 v6, vcc, s55, v6
	v_addc_co_u32_e32 v7, vcc, v7, v8, vcc
	s_waitcnt lgkmcnt(0)
	v_readfirstlane_b32 s42, v20
	s_cmp_lg_u32 s42, 0
	s_cselect_b64 s[42:43], -1, 0
	v_cmp_ge_u64_e32 vcc, v[6:7], v[4:5]
	s_or_b64 s[44:45], vcc, s[42:43]
	s_and_b64 s[44:45], exec, s[44:45]
	s_or_b64 s[38:39], s[44:45], s[38:39]
	s_andn2_b64 s[40:41], s[40:41], exec
	s_and_b64 s[42:43], s[42:43], exec
	v_add_u32_e32 v2, s1, v2
	s_or_b64 s[40:41], s[40:41], s[42:43]
	s_barrier
	s_andn2_b64 exec, exec, s[38:39]
	s_cbranch_execz .LBB93_248
.LBB93_239:                             ;   Parent Loop BB93_16 Depth=1
                                        ; =>  This Inner Loop Header: Depth=2
	v_cmp_gt_u64_e32 vcc, s[6:7], v[6:7]
	s_waitcnt vmcnt(0)
	v_mov_b32_e32 v19, 0
	s_and_saveexec_b64 s[42:43], vcc
	s_cbranch_execz .LBB93_241
; %bb.240:                              ;   in Loop: Header=BB93_239 Depth=2
	ds_read_b32 v19, v2
.LBB93_241:                             ;   in Loop: Header=BB93_239 Depth=2
	s_or_b64 exec, exec, s[42:43]
	s_and_saveexec_b64 s[42:43], vcc
	s_cbranch_execz .LBB93_238
; %bb.242:                              ;   in Loop: Header=BB93_239 Depth=2
	s_waitcnt lgkmcnt(0)
	v_xor_b32_e32 v8, 0x80000000, v19
	v_and_b32_e32 v8, s26, v8
	v_cmp_eq_u32_e32 vcc, s27, v8
	s_and_b64 exec, exec, vcc
	s_cbranch_execz .LBB93_238
; %bb.243:                              ;   in Loop: Header=BB93_239 Depth=2
	ds_write_b64 v3, v[18:19] offset:3072
	s_branch .LBB93_238
.LBB93_244:                             ;   in Loop: Header=BB93_16 Depth=1
                                        ; implicit-def: $sgpr6_sgpr7
                                        ; implicit-def: $sgpr38_sgpr39
                                        ; implicit-def: $sgpr8_sgpr9
	s_branch .LBB93_263
.LBB93_245:                             ;   in Loop: Header=BB93_16 Depth=1
                                        ; implicit-def: $vgpr4_vgpr5
	s_branch .LBB93_188
.LBB93_246:                             ;   in Loop: Header=BB93_16 Depth=1
                                        ; implicit-def: $vgpr4_vgpr5
	s_branch .LBB93_205
.LBB93_247:                             ;   in Loop: Header=BB93_16 Depth=1
	s_mov_b64 s[6:7], -1
	s_mov_b64 s[40:41], 0
                                        ; implicit-def: $sgpr8_sgpr9
                                        ; implicit-def: $vgpr21
	s_mov_b64 s[38:39], s[6:7]
	s_cbranch_execnz .LBB93_250
	s_branch .LBB93_263
.LBB93_248:                             ;   in Loop: Header=BB93_16 Depth=1
	s_or_b64 exec, exec, s[38:39]
	s_and_b64 s[40:41], s[40:41], exec
.LBB93_249:                             ;   in Loop: Header=BB93_16 Depth=1
	s_or_b64 exec, exec, s[8:9]
	s_mov_b64 s[8:9], -1
	s_mov_b64 s[6:7], 0
	s_mov_b64 s[38:39], s[6:7]
	s_branch .LBB93_263
.LBB93_250:                             ;   in Loop: Header=BB93_16 Depth=1
	s_mov_b32 s86, s79
	s_cmp_lg_u64 s[86:87], 0
	s_cbranch_scc0 .LBB93_284
; %bb.251:                              ;   in Loop: Header=BB93_16 Depth=1
	v_cvt_f32_u32_e32 v2, s55
	s_sub_u32 s6, 0, s55
	s_subb_u32 s7, 0, 0
	v_mac_f32_e32 v2, 0, v33
	v_rcp_f32_e32 v2, v2
	v_mul_f32_e32 v2, 0x5f7ffffc, v2
	v_mul_f32_e32 v4, 0x2f800000, v2
	v_trunc_f32_e32 v4, v4
	v_mac_f32_e32 v2, 0xcf800000, v4
	v_cvt_u32_f32_e32 v4, v4
	v_cvt_u32_f32_e32 v2, v2
	v_readfirstlane_b32 s8, v4
	v_readfirstlane_b32 s9, v2
	s_mul_i32 s38, s6, s8
	s_mul_hi_u32 s40, s6, s9
	s_mul_i32 s39, s7, s9
	s_add_i32 s38, s40, s38
	s_mul_i32 s41, s6, s9
	s_add_i32 s38, s38, s39
	s_mul_hi_u32 s40, s9, s41
	s_mul_hi_u32 s39, s9, s38
	s_mul_i32 s9, s9, s38
	s_add_u32 s9, s40, s9
	s_addc_u32 s39, 0, s39
	s_mul_hi_u32 s42, s8, s41
	s_mul_i32 s41, s8, s41
	s_add_u32 s9, s9, s41
	s_mul_hi_u32 s40, s8, s38
	s_addc_u32 s9, s39, s42
	s_addc_u32 s39, s40, 0
	s_mul_i32 s38, s8, s38
	s_add_u32 s9, s9, s38
	s_addc_u32 s38, 0, s39
	v_add_co_u32_e32 v2, vcc, s9, v2
	s_cmp_lg_u64 vcc, 0
	s_addc_u32 s8, s8, s38
	v_readfirstlane_b32 s38, v2
	s_mul_i32 s9, s6, s8
	s_mul_hi_u32 s39, s6, s38
	s_add_i32 s9, s39, s9
	s_mul_i32 s7, s7, s38
	s_add_i32 s9, s9, s7
	s_mul_i32 s6, s6, s38
	s_mul_hi_u32 s39, s8, s6
	s_mul_i32 s40, s8, s6
	s_mul_i32 s42, s38, s9
	s_mul_hi_u32 s6, s38, s6
	s_mul_hi_u32 s41, s38, s9
	s_add_u32 s6, s6, s42
	s_addc_u32 s38, 0, s41
	s_add_u32 s6, s6, s40
	s_mul_hi_u32 s7, s8, s9
	s_addc_u32 s6, s38, s39
	s_addc_u32 s7, s7, 0
	s_mul_i32 s9, s8, s9
	s_add_u32 s6, s6, s9
	s_addc_u32 s7, 0, s7
	v_add_co_u32_e32 v2, vcc, s6, v2
	s_cmp_lg_u64 vcc, 0
	s_addc_u32 s6, s8, s7
	v_readfirstlane_b32 s9, v2
	s_mul_i32 s8, s85, s6
	s_mul_hi_u32 s38, s85, s9
	s_mul_hi_u32 s7, s85, s6
	s_add_u32 s8, s38, s8
	s_addc_u32 s7, 0, s7
	s_mul_hi_u32 s39, s87, s9
	s_mul_i32 s9, s87, s9
	s_add_u32 s8, s8, s9
	s_mul_hi_u32 s38, s87, s6
	s_addc_u32 s7, s7, s39
	s_addc_u32 s8, s38, 0
	s_mul_i32 s6, s87, s6
	s_add_u32 s6, s7, s6
	s_addc_u32 s7, 0, s8
	s_mul_hi_u32 s8, s55, s6
	s_mul_i32 s6, s55, s6
	s_mul_i32 s7, s55, s7
	v_mov_b32_e32 v2, s6
	s_add_i32 s8, s8, s7
	v_sub_co_u32_e32 v2, vcc, s85, v2
	s_cmp_lg_u64 vcc, 0
	s_subb_u32 s6, s87, s8
	v_subrev_co_u32_e32 v4, vcc, s55, v2
	s_cmp_lg_u64 vcc, 0
	s_subb_u32 s7, s6, 0
	v_subrev_co_u32_e32 v5, vcc, s55, v4
	s_cmp_lg_u64 vcc, 0
	s_subb_u32 s8, s7, 0
	v_cmp_le_u32_e32 vcc, s55, v4
	s_cmp_eq_u32 s7, 0
	v_cndmask_b32_e64 v6, 0, -1, vcc
	s_cselect_b64 vcc, -1, 0
	v_cndmask_b32_e32 v6, -1, v6, vcc
	v_mov_b32_e32 v7, s7
	v_mov_b32_e32 v8, s8
	v_cmp_ne_u32_e32 vcc, 0, v6
	v_cndmask_b32_e32 v6, v7, v8, vcc
	v_cndmask_b32_e32 v4, v4, v5, vcc
	v_cmp_le_u32_e32 vcc, s55, v2
	s_cmp_eq_u32 s6, 0
	v_cndmask_b32_e64 v5, 0, -1, vcc
	s_cselect_b64 vcc, -1, 0
	v_cndmask_b32_e32 v5, -1, v5, vcc
	v_mov_b32_e32 v7, s6
	v_cmp_ne_u32_e32 vcc, 0, v5
	v_cndmask_b32_e32 v5, v7, v6, vcc
	v_cndmask_b32_e32 v4, v2, v4, vcc
	s_cbranch_execnz .LBB93_253
.LBB93_252:                             ;   in Loop: Header=BB93_16 Depth=1
	v_cvt_f32_u32_e32 v2, s55
	s_sub_i32 s6, 0, s55
	v_rcp_iflag_f32_e32 v2, v2
	v_mul_f32_e32 v2, 0x4f7ffffe, v2
	v_cvt_u32_f32_e32 v2, v2
	v_mul_lo_u32 v4, s6, v2
	v_mul_hi_u32 v4, v2, v4
	v_add_u32_e32 v2, v2, v4
	v_mul_hi_u32 v2, s85, v2
	v_mul_lo_u32 v2, v2, s55
	v_sub_u32_e32 v2, s85, v2
	v_subrev_u32_e32 v4, s55, v2
	v_cmp_le_u32_e32 vcc, s55, v2
	v_cndmask_b32_e32 v2, v2, v4, vcc
	v_subrev_u32_e32 v4, s55, v2
	v_cmp_le_u32_e32 vcc, s55, v2
	v_cndmask_b32_e32 v2, v2, v4, vcc
	v_pk_mov_b32 v[4:5], v[2:3], v[2:3] op_sel:[0,1]
.LBB93_253:                             ;   in Loop: Header=BB93_16 Depth=1
	v_mov_b32_e32 v2, s87
	v_sub_co_u32_e32 v4, vcc, s85, v4
	v_subb_co_u32_e32 v5, vcc, v2, v5, vcc
	v_cmp_gt_u64_e32 vcc, v[4:5], v[0:1]
	s_mov_b64 s[40:41], 0
                                        ; implicit-def: $vgpr21
	s_and_saveexec_b64 s[8:9], vcc
	s_cbranch_execz .LBB93_262
; %bb.254:                              ;   in Loop: Header=BB93_16 Depth=1
	s_mov_b64 s[38:39], 0
	v_pk_mov_b32 v[6:7], v[0:1], v[0:1] op_sel:[0,1]
                                        ; implicit-def: $sgpr40_sgpr41
	s_branch .LBB93_256
.LBB93_255:                             ;   in Loop: Header=BB93_256 Depth=2
	s_or_b64 exec, exec, s[6:7]
	s_waitcnt lgkmcnt(0)
	s_barrier
	ds_read_b64 v[20:21], v3 offset:3072
	v_mov_b32_e32 v2, s54
	v_add_co_u32_e32 v6, vcc, s55, v6
	v_addc_co_u32_e32 v7, vcc, v7, v2, vcc
	s_waitcnt lgkmcnt(0)
	v_readfirstlane_b32 s6, v20
	s_cmp_lg_u32 s6, 0
	s_cselect_b64 s[6:7], -1, 0
	v_cmp_ge_u64_e32 vcc, v[6:7], v[4:5]
	s_or_b64 s[42:43], vcc, s[6:7]
	s_and_b64 s[42:43], exec, s[42:43]
	s_or_b64 s[38:39], s[42:43], s[38:39]
	s_andn2_b64 s[40:41], s[40:41], exec
	s_and_b64 s[6:7], s[6:7], exec
	s_or_b64 s[40:41], s[40:41], s[6:7]
	s_barrier
	s_andn2_b64 exec, exec, s[38:39]
	s_cbranch_execz .LBB93_261
.LBB93_256:                             ;   Parent Loop BB93_16 Depth=1
                                        ; =>  This Inner Loop Header: Depth=2
	v_cmp_gt_u64_e32 vcc, s[52:53], v[6:7]
	s_waitcnt vmcnt(0)
	v_mov_b32_e32 v19, 0
	s_and_saveexec_b64 s[42:43], vcc
	s_cbranch_execz .LBB93_258
; %bb.257:                              ;   in Loop: Header=BB93_256 Depth=2
	v_mul_lo_u32 v2, v7, s68
	v_mul_lo_u32 v10, v6, s69
	v_mad_u64_u32 v[8:9], s[6:7], v6, s68, 0
	v_add3_u32 v9, v9, v10, v2
	v_lshlrev_b64 v[8:9], 2, v[8:9]
	v_mov_b32_e32 v2, s84
	v_add_co_u32_e64 v8, s[6:7], s33, v8
	v_addc_co_u32_e64 v9, s[6:7], v2, v9, s[6:7]
	global_load_dword v19, v[8:9], off
.LBB93_258:                             ;   in Loop: Header=BB93_256 Depth=2
	s_or_b64 exec, exec, s[42:43]
	s_and_saveexec_b64 s[6:7], vcc
	s_cbranch_execz .LBB93_255
; %bb.259:                              ;   in Loop: Header=BB93_256 Depth=2
	s_waitcnt vmcnt(0)
	v_xor_b32_e32 v2, 0x80000000, v19
	v_and_b32_e32 v2, s26, v2
	v_cmp_eq_u32_e32 vcc, s27, v2
	s_and_b64 exec, exec, vcc
	s_cbranch_execz .LBB93_255
; %bb.260:                              ;   in Loop: Header=BB93_256 Depth=2
	ds_write_b64 v3, v[18:19] offset:3072
	s_branch .LBB93_255
.LBB93_261:                             ;   in Loop: Header=BB93_16 Depth=1
	s_or_b64 exec, exec, s[38:39]
	s_and_b64 s[40:41], s[40:41], exec
.LBB93_262:                             ;   in Loop: Header=BB93_16 Depth=1
	s_or_b64 exec, exec, s[8:9]
	s_mov_b64 s[38:39], -1
	s_mov_b64 s[6:7], 0
	s_mov_b64 s[8:9], 0
.LBB93_263:                             ;   in Loop: Header=BB93_16 Depth=1
	s_mov_b64 s[44:45], 0
                                        ; implicit-def: $sgpr49
                                        ; implicit-def: $sgpr46_sgpr47
	s_and_saveexec_b64 s[42:43], s[40:41]
	s_cbranch_execz .LBB93_276
; %bb.264:                              ;   in Loop: Header=BB93_16 Depth=1
	s_xor_b64 s[16:17], s[16:17], -1
	s_mov_b64 s[46:47], 1
	s_andn2_b64 vcc, exec, s[16:17]
	s_mov_b32 s49, 1
	s_cbranch_vccnz .LBB93_275
; %bb.265:                              ;   in Loop: Header=BB93_16 Depth=1
	v_pk_mov_b32 v[4:5], s[10:11], s[10:11] op_sel:[0,1]
	v_cmp_gt_u64_e32 vcc, s[82:83], v[4:5]
	s_cbranch_vccnz .LBB93_271
; %bb.266:                              ;   in Loop: Header=BB93_16 Depth=1
	ds_read_b64 v[4:5], v3 offset:5120
	s_waitcnt lgkmcnt(0)
	v_cmp_ne_u64_e32 vcc, 0, v[4:5]
	s_cbranch_vccnz .LBB93_270
; %bb.267:                              ;   in Loop: Header=BB93_16 Depth=1
	s_mov_b64 s[16:17], exec
	v_readlane_b32 s40, v42, 8
	v_readlane_b32 s41, v42, 9
	s_and_b64 s[40:41], s[16:17], s[40:41]
	s_mov_b64 exec, s[40:41]
	s_cbranch_execz .LBB93_269
; %bb.268:                              ;   in Loop: Header=BB93_16 Depth=1
	v_pk_mov_b32 v[4:5], s[10:11], s[10:11] op_sel:[0,1]
	ds_write_b64 v3, v[4:5] offset:5128
.LBB93_269:                             ;   in Loop: Header=BB93_16 Depth=1
	s_or_b64 exec, exec, s[16:17]
	s_waitcnt lgkmcnt(0)
	s_barrier
.LBB93_270:                             ;   in Loop: Header=BB93_16 Depth=1
	s_or_b32 s40, s27, s48
	s_or_b32 s41, s26, s48
	s_mov_b64 s[16:17], 0
	s_mov_b32 s49, 8
	s_branch .LBB93_272
.LBB93_271:                             ;   in Loop: Header=BB93_16 Depth=1
	s_mov_b64 s[16:17], -1
                                        ; implicit-def: $sgpr49
                                        ; implicit-def: $sgpr40
                                        ; implicit-def: $sgpr41
.LBB93_272:                             ;   in Loop: Header=BB93_16 Depth=1
	s_andn2_b64 vcc, exec, s[16:17]
	s_cbranch_vccnz .LBB93_274
; %bb.273:                              ;   in Loop: Header=BB93_16 Depth=1
	s_sub_u32 s82, s82, s10
	s_subb_u32 s83, s83, s11
	s_mov_b32 s49, 8
	s_mov_b32 s40, s27
	;; [unrolled: 1-line block ×3, first 2 shown]
.LBB93_274:                             ;   in Loop: Header=BB93_16 Depth=1
	s_mov_b64 s[46:47], s[82:83]
	s_mov_b32 s27, s40
	s_mov_b32 s26, s41
.LBB93_275:                             ;   in Loop: Header=BB93_16 Depth=1
	s_mov_b64 s[44:45], exec
.LBB93_276:                             ;   in Loop: Header=BB93_16 Depth=1
	s_or_b64 exec, exec, s[42:43]
	s_mov_b64 s[82:83], s[46:47]
.LBB93_277:                             ;   in Loop: Header=BB93_16 Depth=1
	s_andn2_b64 s[10:11], s[28:29], exec
	s_and_b64 s[6:7], s[6:7], exec
	s_or_b64 s[28:29], s[10:11], s[6:7]
	s_andn2_b64 s[6:7], s[34:35], exec
	s_and_b64 s[10:11], s[38:39], exec
	s_or_b64 s[34:35], s[6:7], s[10:11]
	;; [unrolled: 3-line block ×3, first 2 shown]
	s_and_b64 s[6:7], s[44:45], exec
.LBB93_278:                             ;   in Loop: Header=BB93_16 Depth=1
	s_or_b64 exec, exec, s[36:37]
.LBB93_279:                             ;   in Loop: Header=BB93_16 Depth=1
	s_andn2_b64 s[8:9], s[20:21], exec
	s_and_b64 s[10:11], s[28:29], exec
	s_or_b64 s[20:21], s[8:9], s[10:11]
	s_andn2_b64 s[8:9], s[22:23], exec
	s_and_b64 s[10:11], s[34:35], exec
	s_or_b64 s[22:23], s[8:9], s[10:11]
	;; [unrolled: 3-line block ×3, first 2 shown]
	s_and_b64 s[6:7], s[6:7], exec
.LBB93_280:                             ;   in Loop: Header=BB93_16 Depth=1
	s_or_b64 exec, exec, s[24:25]
	s_and_saveexec_b64 s[8:9], s[6:7]
	s_xor_b64 s[6:7], exec, s[8:9]
	s_cbranch_execz .LBB93_14
.LBB93_281:                             ;   in Loop: Header=BB93_16 Depth=1
	s_and_b32 s8, s49, -9
	s_cmp_eq_u32 s8, 0
	s_cbranch_scc1 .LBB93_12
; %bb.282:                              ;   in Loop: Header=BB93_16 Depth=1
	s_mov_b64 s[8:9], -1
                                        ; implicit-def: $sgpr26
                                        ; implicit-def: $sgpr82_sgpr83
                                        ; implicit-def: $sgpr2
                                        ; implicit-def: $sgpr3
	s_mov_b64 s[10:11], -1
	s_branch .LBB93_13
.LBB93_283:                             ;   in Loop: Header=BB93_16 Depth=1
                                        ; implicit-def: $vgpr4_vgpr5
	s_branch .LBB93_235
.LBB93_284:                             ;   in Loop: Header=BB93_16 Depth=1
                                        ; implicit-def: $vgpr4_vgpr5
	s_branch .LBB93_252
.LBB93_285:
	s_or_b64 exec, exec, s[94:95]
	s_xor_b64 s[8:9], s[76:77], -1
	s_xor_b64 s[0:1], s[56:57], -1
	;; [unrolled: 1-line block ×3, first 2 shown]
	s_mov_b64 s[4:5], 0
	s_and_saveexec_b64 s[2:3], s[0:1]
	s_xor_b64 s[0:1], exec, s[2:3]
	s_cbranch_execnz .LBB93_290
; %bb.286:
	s_andn2_saveexec_b64 s[0:1], s[0:1]
	s_cbranch_execnz .LBB93_303
.LBB93_287:
	s_or_b64 exec, exec, s[0:1]
	s_and_saveexec_b64 s[0:1], s[4:5]
.LBB93_288:
	; divergent unreachable
.LBB93_289:
	s_endpgm
.LBB93_290:
	s_and_saveexec_b64 s[2:3], s[8:9]
	s_xor_b64 s[4:5], exec, s[2:3]
	s_cbranch_execz .LBB93_301
; %bb.291:
	s_and_saveexec_b64 s[2:3], s[6:7]
	s_xor_b64 s[6:7], exec, s[2:3]
; %bb.292:
	v_xor_b32_e32 v21, 0x80000000, v2
; %bb.293:
	s_or_b64 exec, exec, s[6:7]
	v_readlane_b32 s6, v42, 2
	v_readlane_b32 s2, v42, 0
	;; [unrolled: 1-line block ×4, first 2 shown]
	s_mov_b32 s8, s2
	s_mul_i32 s2, s2, s7
	s_mul_hi_u32 s3, s8, s6
	s_add_i32 s3, s3, s2
	s_mul_i32 s2, s8, s6
	v_readlane_b32 s18, v42, 22
	v_readlane_b32 s12, v42, 18
	s_sub_u32 s2, s18, s2
	v_readlane_b32 s14, v42, 20
	v_readlane_b32 s15, v42, 21
	s_subb_u32 s3, 0, s3
	s_mul_i32 s6, s2, s15
	s_mul_hi_u32 s7, s2, s14
	v_readlane_b32 s13, v42, 19
	s_add_i32 s6, s7, s6
	s_mul_i32 s3, s3, s14
	s_add_i32 s3, s6, s3
	s_mul_i32 s6, s8, s13
	s_mul_hi_u32 s7, s8, s12
	s_add_i32 s7, s7, s6
	s_mul_i32 s6, s8, s12
	s_lshl_b64 s[6:7], s[6:7], 2
	v_readlane_b32 s8, v42, 12
	s_mul_i32 s2, s2, s14
	v_readlane_b32 s9, v42, 13
	s_add_u32 s6, s8, s6
	s_addc_u32 s7, s9, s7
	s_lshl_b64 s[2:3], s[2:3], 2
	s_add_u32 s2, s6, s2
	s_addc_u32 s3, s7, s3
	v_mov_b32_e32 v2, 0
	v_readlane_b32 s19, v42, 23
	global_store_dword v2, v21, s[2:3]
	s_mov_b64 s[6:7], exec
	v_readlane_b32 s2, v42, 24
	v_readlane_b32 s3, v42, 25
	s_and_b64 s[2:3], s[6:7], s[2:3]
	s_mov_b64 exec, s[2:3]
	s_cbranch_execz .LBB93_300
; %bb.294:
	s_mov_b64 s[2:3], 0
	v_mov_b32_e32 v4, s84
                                        ; implicit-def: $sgpr8_sgpr9
                                        ; implicit-def: $sgpr12_sgpr13
                                        ; implicit-def: $sgpr10_sgpr11
	s_branch .LBB93_296
.LBB93_295:                             ;   in Loop: Header=BB93_296 Depth=1
	s_or_b64 exec, exec, s[14:15]
	s_and_b64 s[14:15], exec, s[12:13]
	s_or_b64 s[2:3], s[14:15], s[2:3]
	s_andn2_b64 s[8:9], s[8:9], exec
	s_and_b64 s[14:15], s[10:11], exec
	s_or_b64 s[8:9], s[8:9], s[14:15]
	s_andn2_b64 exec, exec, s[2:3]
	s_cbranch_execz .LBB93_298
.LBB93_296:                             ; =>This Inner Loop Header: Depth=1
	v_pk_mov_b32 v[2:3], v[0:1], v[0:1] op_sel:[0,1]
	v_mul_lo_u32 v5, v3, s68
	v_mul_lo_u32 v6, v2, s69
	v_mad_u64_u32 v[0:1], s[14:15], v2, s68, 0
	v_add3_u32 v1, v1, v6, v5
	v_lshlrev_b64 v[0:1], 2, v[0:1]
	v_add_co_u32_e32 v0, vcc, s33, v0
	v_addc_co_u32_e32 v1, vcc, v4, v1, vcc
	global_load_dword v0, v[0:1], off
	s_or_b64 s[10:11], s[10:11], exec
	s_or_b64 s[12:13], s[12:13], exec
	s_waitcnt vmcnt(0)
	v_cmp_ne_u32_e32 vcc, v0, v21
                                        ; implicit-def: $vgpr0_vgpr1
	s_and_saveexec_b64 s[14:15], vcc
	s_cbranch_execz .LBB93_295
; %bb.297:                              ;   in Loop: Header=BB93_296 Depth=1
	v_mov_b32_e32 v1, s54
	v_add_co_u32_e32 v0, vcc, s55, v2
	v_addc_co_u32_e32 v1, vcc, v3, v1, vcc
	v_cmp_le_u64_e32 vcc, s[52:53], v[0:1]
	s_andn2_b64 s[12:13], s[12:13], exec
	s_and_b64 s[16:17], vcc, exec
	s_andn2_b64 s[10:11], s[10:11], exec
	s_or_b64 s[12:13], s[12:13], s[16:17]
	s_branch .LBB93_295
.LBB93_298:
	s_or_b64 exec, exec, s[2:3]
	s_and_saveexec_b64 s[2:3], s[8:9]
	s_xor_b64 s[2:3], exec, s[2:3]
	s_cbranch_execz .LBB93_300
; %bb.299:
	v_readlane_b32 s8, v42, 6
	v_readlane_b32 s2, v42, 4
	;; [unrolled: 1-line block ×4, first 2 shown]
	s_mov_b32 s10, s2
	s_mul_i32 s2, s2, s9
	s_mul_hi_u32 s3, s10, s8
	s_add_i32 s3, s3, s2
	s_mul_i32 s2, s10, s8
	v_readlane_b32 s12, v42, 14
	s_sub_u32 s2, s18, s2
	v_readlane_b32 s14, v42, 16
	v_readlane_b32 s15, v42, 17
	s_subb_u32 s3, 0, s3
	s_mul_i32 s8, s2, s15
	s_mul_hi_u32 s9, s2, s14
	v_readlane_b32 s13, v42, 15
	s_add_i32 s8, s9, s8
	s_mul_i32 s3, s3, s14
	s_add_i32 s3, s8, s3
	s_mul_i32 s8, s10, s13
	s_mul_hi_u32 s9, s10, s12
	s_add_i32 s9, s9, s8
	s_mul_i32 s8, s10, s12
	s_lshl_b64 s[8:9], s[8:9], 3
	v_readlane_b32 s10, v42, 10
	s_mul_i32 s2, s2, s14
	v_readlane_b32 s11, v42, 11
	s_add_u32 s8, s10, s8
	s_addc_u32 s9, s11, s9
	s_lshl_b64 s[2:3], s[2:3], 3
	s_add_u32 s2, s8, s2
	s_addc_u32 s3, s9, s3
	v_mov_b32_e32 v0, 0
	global_store_dwordx2 v0, v[2:3], s[2:3]
.LBB93_300:
	s_or_b64 exec, exec, s[6:7]
.LBB93_301:
	s_or_saveexec_b64 s[2:3], s[4:5]
	s_mov_b64 s[4:5], 0
	s_xor_b64 exec, exec, s[2:3]
	s_cbranch_execnz .LBB93_304
.LBB93_302:
	s_or_b64 exec, exec, s[2:3]
	s_and_b64 s[4:5], s[4:5], exec
	s_andn2_saveexec_b64 s[0:1], s[0:1]
	s_cbranch_execz .LBB93_287
.LBB93_303:
	s_or_b64 s[4:5], s[4:5], exec
	s_trap 2
	s_or_b64 exec, exec, s[0:1]
	s_and_saveexec_b64 s[0:1], s[4:5]
	s_cbranch_execnz .LBB93_288
	s_branch .LBB93_289
.LBB93_304:
	s_mov_b64 s[4:5], exec
	s_trap 2
	s_branch .LBB93_302
	.section	.rodata,"a",@progbits
	.p2align	6, 0x0
	.amdhsa_kernel _ZN2at6native12_GLOBAL__N_112gatherMedianIimLi2EEEvNS_4cuda6detail10TensorInfoIT_T0_EENS5_IlS7_EENS5_IKS6_S7_EES7_S7_S7_b
		.amdhsa_group_segment_fixed_size 5152
		.amdhsa_private_segment_fixed_size 0
		.amdhsa_kernarg_size 1536
		.amdhsa_user_sgpr_count 6
		.amdhsa_user_sgpr_private_segment_buffer 1
		.amdhsa_user_sgpr_dispatch_ptr 0
		.amdhsa_user_sgpr_queue_ptr 0
		.amdhsa_user_sgpr_kernarg_segment_ptr 1
		.amdhsa_user_sgpr_dispatch_id 0
		.amdhsa_user_sgpr_flat_scratch_init 0
		.amdhsa_user_sgpr_kernarg_preload_length 0
		.amdhsa_user_sgpr_kernarg_preload_offset 0
		.amdhsa_user_sgpr_private_segment_size 0
		.amdhsa_uses_dynamic_stack 0
		.amdhsa_system_sgpr_private_segment_wavefront_offset 0
		.amdhsa_system_sgpr_workgroup_id_x 1
		.amdhsa_system_sgpr_workgroup_id_y 1
		.amdhsa_system_sgpr_workgroup_id_z 1
		.amdhsa_system_sgpr_workgroup_info 0
		.amdhsa_system_vgpr_workitem_id 0
		.amdhsa_next_free_vgpr 43
		.amdhsa_next_free_sgpr 96
		.amdhsa_accum_offset 44
		.amdhsa_reserve_vcc 1
		.amdhsa_reserve_flat_scratch 0
		.amdhsa_float_round_mode_32 0
		.amdhsa_float_round_mode_16_64 0
		.amdhsa_float_denorm_mode_32 3
		.amdhsa_float_denorm_mode_16_64 3
		.amdhsa_dx10_clamp 1
		.amdhsa_ieee_mode 1
		.amdhsa_fp16_overflow 0
		.amdhsa_tg_split 0
		.amdhsa_exception_fp_ieee_invalid_op 0
		.amdhsa_exception_fp_denorm_src 0
		.amdhsa_exception_fp_ieee_div_zero 0
		.amdhsa_exception_fp_ieee_overflow 0
		.amdhsa_exception_fp_ieee_underflow 0
		.amdhsa_exception_fp_ieee_inexact 0
		.amdhsa_exception_int_div_zero 0
	.end_amdhsa_kernel
	.section	.text._ZN2at6native12_GLOBAL__N_112gatherMedianIimLi2EEEvNS_4cuda6detail10TensorInfoIT_T0_EENS5_IlS7_EENS5_IKS6_S7_EES7_S7_S7_b,"axG",@progbits,_ZN2at6native12_GLOBAL__N_112gatherMedianIimLi2EEEvNS_4cuda6detail10TensorInfoIT_T0_EENS5_IlS7_EENS5_IKS6_S7_EES7_S7_S7_b,comdat
.Lfunc_end93:
	.size	_ZN2at6native12_GLOBAL__N_112gatherMedianIimLi2EEEvNS_4cuda6detail10TensorInfoIT_T0_EENS5_IlS7_EENS5_IKS6_S7_EES7_S7_S7_b, .Lfunc_end93-_ZN2at6native12_GLOBAL__N_112gatherMedianIimLi2EEEvNS_4cuda6detail10TensorInfoIT_T0_EENS5_IlS7_EENS5_IKS6_S7_EES7_S7_S7_b
                                        ; -- End function
	.section	.AMDGPU.csdata,"",@progbits
; Kernel info:
; codeLenInByte = 15780
; NumSgprs: 100
; NumVgprs: 43
; NumAgprs: 0
; TotalNumVgprs: 43
; ScratchSize: 0
; MemoryBound: 0
; FloatMode: 240
; IeeeMode: 1
; LDSByteSize: 5152 bytes/workgroup (compile time only)
; SGPRBlocks: 12
; VGPRBlocks: 5
; NumSGPRsForWavesPerEU: 100
; NumVGPRsForWavesPerEU: 43
; AccumOffset: 44
; Occupancy: 8
; WaveLimiterHint : 1
; COMPUTE_PGM_RSRC2:SCRATCH_EN: 0
; COMPUTE_PGM_RSRC2:USER_SGPR: 6
; COMPUTE_PGM_RSRC2:TRAP_HANDLER: 0
; COMPUTE_PGM_RSRC2:TGID_X_EN: 1
; COMPUTE_PGM_RSRC2:TGID_Y_EN: 1
; COMPUTE_PGM_RSRC2:TGID_Z_EN: 1
; COMPUTE_PGM_RSRC2:TIDIG_COMP_CNT: 0
; COMPUTE_PGM_RSRC3_GFX90A:ACCUM_OFFSET: 10
; COMPUTE_PGM_RSRC3_GFX90A:TG_SPLIT: 0
	.section	.text._ZN2at6native12_GLOBAL__N_112gatherMedianIimLi3EEEvNS_4cuda6detail10TensorInfoIT_T0_EENS5_IlS7_EENS5_IKS6_S7_EES7_S7_S7_b,"axG",@progbits,_ZN2at6native12_GLOBAL__N_112gatherMedianIimLi3EEEvNS_4cuda6detail10TensorInfoIT_T0_EENS5_IlS7_EENS5_IKS6_S7_EES7_S7_S7_b,comdat
	.globl	_ZN2at6native12_GLOBAL__N_112gatherMedianIimLi3EEEvNS_4cuda6detail10TensorInfoIT_T0_EENS5_IlS7_EENS5_IKS6_S7_EES7_S7_S7_b ; -- Begin function _ZN2at6native12_GLOBAL__N_112gatherMedianIimLi3EEEvNS_4cuda6detail10TensorInfoIT_T0_EENS5_IlS7_EENS5_IKS6_S7_EES7_S7_S7_b
	.p2align	8
	.type	_ZN2at6native12_GLOBAL__N_112gatherMedianIimLi3EEEvNS_4cuda6detail10TensorInfoIT_T0_EENS5_IlS7_EENS5_IKS6_S7_EES7_S7_S7_b,@function
_ZN2at6native12_GLOBAL__N_112gatherMedianIimLi3EEEvNS_4cuda6detail10TensorInfoIT_T0_EENS5_IlS7_EENS5_IKS6_S7_EES7_S7_S7_b: ; @_ZN2at6native12_GLOBAL__N_112gatherMedianIimLi3EEEvNS_4cuda6detail10TensorInfoIT_T0_EENS5_IlS7_EENS5_IKS6_S7_EES7_S7_S7_b
; %bb.0:
	s_load_dwordx4 s[52:55], s[4:5], 0x4e0
	s_load_dwordx2 s[16:17], s[4:5], 0x500
	s_add_u32 s18, s4, 0x500
	s_addc_u32 s19, s5, 0
	s_mov_b32 s31, 0
	s_waitcnt lgkmcnt(0)
	v_mov_b32_e32 v2, s54
	s_mul_i32 s0, s17, s8
	s_add_i32 s0, s0, s7
	s_mul_i32 s0, s0, s16
	v_mov_b32_e32 v3, s55
	s_add_i32 s30, s0, s6
	v_cmp_ge_u64_e32 vcc, s[30:31], v[2:3]
	s_cbranch_vccnz .LBB94_295
; %bb.1:
	s_load_dwordx4 s[8:11], s[4:5], 0x10
	s_mov_b64 s[0:1], 0
                                        ; implicit-def: $vgpr42 : SGPR spill to VGPR lane
	v_writelane_b32 v42, s0, 0
	v_writelane_b32 v42, s1, 1
	s_waitcnt lgkmcnt(0)
	v_pk_mov_b32 v[2:3], s[10:11], s[10:11] op_sel:[0,1]
	v_cmp_lt_u64_e32 vcc, s[30:31], v[2:3]
	s_mov_b64 s[0:1], 0
	s_cbranch_vccnz .LBB94_3
; %bb.2:
	v_cvt_f32_u32_e32 v1, s10
	s_sub_i32 s0, 0, s10
	s_mov_b32 s13, 0
	v_rcp_iflag_f32_e32 v1, v1
	v_mul_f32_e32 v1, 0x4f7ffffe, v1
	v_cvt_u32_f32_e32 v1, v1
	v_readfirstlane_b32 s1, v1
	s_mul_i32 s0, s0, s1
	s_mul_hi_u32 s0, s1, s0
	s_add_i32 s1, s1, s0
	s_mul_hi_u32 s0, s30, s1
	s_mul_i32 s2, s0, s10
	s_sub_i32 s2, s30, s2
	s_add_i32 s1, s0, 1
	s_sub_i32 s3, s2, s10
	s_cmp_ge_u32 s2, s10
	s_cselect_b32 s0, s1, s0
	s_cselect_b32 s2, s3, s2
	s_add_i32 s1, s0, 1
	s_cmp_ge_u32 s2, s10
	s_cselect_b32 s12, s1, s0
	s_mov_b64 s[0:1], s[12:13]
.LBB94_3:
	s_mov_b64 s[12:13], s[0:1]
	s_load_dwordx4 s[0:3], s[4:5], 0x1b0
	v_writelane_b32 v42, s12, 2
	v_writelane_b32 v42, s13, 3
	v_pk_mov_b32 v[2:3], s[8:9], s[8:9] op_sel:[0,1]
	v_cmp_lt_u64_e32 vcc, s[12:13], v[2:3]
	s_waitcnt lgkmcnt(0)
	v_writelane_b32 v42, s0, 4
	v_writelane_b32 v42, s1, 5
	;; [unrolled: 1-line block ×4, first 2 shown]
	s_cbranch_vccnz .LBB94_5
; %bb.4:
	v_cvt_f32_u32_e32 v1, s8
	s_sub_i32 s0, 0, s8
	v_readlane_b32 s12, v42, 2
	v_readlane_b32 s13, v42, 3
	v_rcp_iflag_f32_e32 v1, v1
	v_mul_f32_e32 v1, 0x4f7ffffe, v1
	v_cvt_u32_f32_e32 v1, v1
	v_readfirstlane_b32 s1, v1
	s_mul_i32 s0, s0, s1
	s_mul_hi_u32 s0, s1, s0
	s_add_i32 s1, s1, s0
	s_mul_hi_u32 s0, s12, s1
	s_mul_i32 s2, s0, s8
	s_sub_i32 s2, s12, s2
	s_add_i32 s1, s0, 1
	s_sub_i32 s3, s2, s8
	s_cmp_ge_u32 s2, s8
	s_cselect_b32 s0, s1, s0
	s_cselect_b32 s2, s3, s2
	s_add_i32 s1, s0, 1
	s_cmp_ge_u32 s2, s8
	s_cselect_b32 s0, s1, s0
	v_writelane_b32 v42, s0, 0
	v_writelane_b32 v42, s1, 1
	s_load_dwordx4 s[0:3], s[4:5], 0x1b0
.LBB94_5:
	v_writelane_b32 v42, s8, 8
	s_waitcnt lgkmcnt(0)
	v_pk_mov_b32 v[2:3], s[2:3], s[2:3] op_sel:[0,1]
	v_writelane_b32 v42, s9, 9
	v_cmp_lt_u64_e32 vcc, s[30:31], v[2:3]
	v_writelane_b32 v42, s10, 10
	s_mov_b64 s[14:15], 0
	s_mov_b64 s[12:13], 0
	v_writelane_b32 v42, s11, 11
	s_cbranch_vccnz .LBB94_7
; %bb.6:
	v_cvt_f32_u32_e32 v1, s2
	s_load_dwordx4 s[0:3], s[4:5], 0x1b0
	s_load_dwordx4 s[8:11], s[4:5], 0x1b0
	s_mov_b32 s13, 0
	v_rcp_iflag_f32_e32 v1, v1
	s_waitcnt lgkmcnt(0)
	s_sub_i32 s0, 0, s2
	v_mul_f32_e32 v1, 0x4f7ffffe, v1
	v_cvt_u32_f32_e32 v1, v1
	v_readfirstlane_b32 s1, v1
	s_mul_i32 s0, s0, s1
	s_mul_hi_u32 s0, s1, s0
	s_add_i32 s1, s1, s0
	s_mul_hi_u32 s0, s30, s1
	s_mul_i32 s2, s0, s10
	s_load_dwordx4 s[8:11], s[4:5], 0x1b0
	s_sub_i32 s2, s30, s2
	s_add_i32 s1, s0, 1
	s_waitcnt lgkmcnt(0)
	s_sub_i32 s3, s2, s10
	s_load_dwordx4 s[8:11], s[4:5], 0x1b0
	s_waitcnt lgkmcnt(0)
	s_cmp_ge_u32 s2, s10
	s_load_dwordx4 s[8:11], s[4:5], 0x1b0
	s_cselect_b32 s0, s1, s0
	s_cselect_b32 s2, s3, s2
	s_add_i32 s1, s0, 1
	s_waitcnt lgkmcnt(0)
	s_cmp_ge_u32 s2, s10
	s_cselect_b32 s12, s1, s0
	s_load_dwordx4 s[0:3], s[4:5], 0x1b0
.LBB94_7:
	s_load_dwordx4 s[8:11], s[4:5], 0x350
	s_waitcnt lgkmcnt(0)
	v_pk_mov_b32 v[2:3], s[0:1], s[0:1] op_sel:[0,1]
	v_writelane_b32 v42, s12, 12
	v_cmp_lt_u64_e32 vcc, s[12:13], v[2:3]
	v_writelane_b32 v42, s13, 13
	s_cbranch_vccnz .LBB94_9
; %bb.8:
	s_load_dwordx4 s[12:15], s[4:5], 0x1b0
	s_waitcnt lgkmcnt(0)
	v_readlane_b32 s14, v42, 12
	v_readlane_b32 s15, v42, 13
	v_cvt_f32_u32_e32 v1, s12
	s_sub_i32 s0, 0, s12
	v_rcp_iflag_f32_e32 v1, v1
	v_mul_f32_e32 v1, 0x4f7ffffe, v1
	v_cvt_u32_f32_e32 v1, v1
	v_readfirstlane_b32 s1, v1
	s_mul_i32 s0, s0, s1
	s_mul_hi_u32 s0, s1, s0
	s_add_i32 s1, s1, s0
	s_mul_hi_u32 s0, s14, s1
	s_mul_i32 s2, s0, s12
	s_sub_i32 s2, s14, s2
	s_add_i32 s1, s0, 1
	s_sub_i32 s3, s2, s12
	s_cmp_ge_u32 s2, s12
	s_cselect_b32 s0, s1, s0
	s_cselect_b32 s2, s3, s2
	s_add_i32 s1, s0, 1
	s_cmp_ge_u32 s2, s12
	s_cselect_b32 s14, s1, s0
.LBB94_9:
	s_load_dwordx2 s[80:81], s[4:5], 0x4f0
	v_pk_mov_b32 v[2:3], s[10:11], s[10:11] op_sel:[0,1]
	v_cmp_lt_u64_e32 vcc, s[30:31], v[2:3]
	v_writelane_b32 v42, s14, 14
	s_mov_b64 s[2:3], 0
	s_mov_b64 s[20:21], 0
	v_writelane_b32 v42, s15, 15
	s_cbranch_vccnz .LBB94_11
; %bb.10:
	v_cvt_f32_u32_e32 v1, s10
	s_sub_i32 s0, 0, s10
	s_mov_b32 s21, 0
	v_rcp_iflag_f32_e32 v1, v1
	v_mul_f32_e32 v1, 0x4f7ffffe, v1
	v_cvt_u32_f32_e32 v1, v1
	v_readfirstlane_b32 s1, v1
	s_mul_i32 s0, s0, s1
	s_mul_hi_u32 s0, s1, s0
	s_add_i32 s1, s1, s0
	s_mul_hi_u32 s0, s30, s1
	s_mul_i32 s3, s0, s10
	s_sub_i32 s3, s30, s3
	s_add_i32 s1, s0, 1
	s_sub_i32 s7, s3, s10
	s_cmp_ge_u32 s3, s10
	s_cselect_b32 s0, s1, s0
	s_cselect_b32 s3, s7, s3
	s_add_i32 s1, s0, 1
	s_cmp_ge_u32 s3, s10
	s_cselect_b32 s20, s1, s0
.LBB94_11:
	s_load_dwordx2 s[22:23], s[4:5], 0x420
	s_load_dwordx4 s[12:15], s[4:5], 0x410
	v_pk_mov_b32 v[2:3], s[8:9], s[8:9] op_sel:[0,1]
	v_cmp_lt_u64_e32 vcc, s[20:21], v[2:3]
	s_cbranch_vccnz .LBB94_13
; %bb.12:
	v_cvt_f32_u32_e32 v1, s8
	s_sub_i32 s0, 0, s8
	v_rcp_iflag_f32_e32 v1, v1
	v_mul_f32_e32 v1, 0x4f7ffffe, v1
	v_cvt_u32_f32_e32 v1, v1
	v_readfirstlane_b32 s1, v1
	s_mul_i32 s0, s0, s1
	s_mul_hi_u32 s0, s1, s0
	s_add_i32 s1, s1, s0
	s_mul_hi_u32 s0, s20, s1
	s_mul_i32 s2, s0, s8
	s_sub_i32 s2, s20, s2
	s_add_i32 s1, s0, 1
	s_sub_i32 s3, s2, s8
	s_cmp_ge_u32 s2, s8
	s_cselect_b32 s0, s1, s0
	s_cselect_b32 s2, s3, s2
	s_add_i32 s1, s0, 1
	s_cmp_ge_u32 s2, s8
	s_cselect_b32 s2, s1, s0
.LBB94_13:
	s_load_dwordx2 s[0:1], s[4:5], 0x280
	s_load_dwordx4 s[24:27], s[4:5], 0x270
	s_waitcnt lgkmcnt(0)
	v_writelane_b32 v42, s0, 16
	v_writelane_b32 v42, s1, 17
	;; [unrolled: 1-line block ×4, first 2 shown]
	s_load_dwordx2 s[0:1], s[4:5], 0xe0
	v_writelane_b32 v42, s26, 20
	v_writelane_b32 v42, s27, 21
	s_load_dwordx4 s[24:27], s[4:5], 0xd0
	s_waitcnt lgkmcnt(0)
	v_writelane_b32 v42, s0, 22
	v_writelane_b32 v42, s1, 23
	v_cmp_eq_u32_e64 s[0:1], 0, v0
	v_writelane_b32 v42, s24, 24
	v_writelane_b32 v42, s25, 25
	;; [unrolled: 1-line block ×4, first 2 shown]
	s_load_dwordx2 s[24:25], s[4:5], 0x340
	s_mov_b64 s[26:27], exec
	v_writelane_b32 v42, s0, 28
	v_writelane_b32 v42, s1, 29
	s_and_b64 s[0:1], s[26:27], s[0:1]
	s_mov_b64 exec, s[0:1]
	s_cbranch_execz .LBB94_15
; %bb.14:
	v_mov_b32_e32 v2, 0
	v_mov_b32_e32 v3, v2
	ds_write_b64 v2, v[2:3] offset:5136
.LBB94_15:
	s_or_b64 exec, exec, s[26:27]
	s_load_dwordx2 s[0:1], s[4:5], 0x1a0
	v_mov_b32_e32 v3, 0
	s_waitcnt lgkmcnt(0)
	s_barrier
	v_writelane_b32 v42, s0, 30
	s_barrier
	ds_read_b64 v[4:5], v3 offset:5136
	v_writelane_b32 v42, s1, 31
	s_load_dwordx2 s[0:1], s[4:5], 0x0
	s_waitcnt lgkmcnt(0)
	v_readfirstlane_b32 s26, v4
	v_readfirstlane_b32 s27, v5
	v_writelane_b32 v42, s0, 32
	v_writelane_b32 v42, s1, 33
	s_mov_b64 s[28:29], exec
	v_readlane_b32 s0, v42, 28
	v_readlane_b32 s1, v42, 29
	s_and_b64 s[0:1], s[28:29], s[0:1]
	s_mov_b64 exec, s[0:1]
	s_cbranch_execz .LBB94_17
; %bb.16:
	v_mov_b32_e32 v4, s52
	v_mov_b32_e32 v5, s53
	v_mov_b32_e32 v2, v3
	ds_write_b32 v3, v3 offset:5144
	ds_write_b128 v3, v[2:5] offset:5120
.LBB94_17:
	s_or_b64 exec, exec, s[28:29]
	s_load_dword s3, s[4:5], 0x4f8
	v_cmp_lt_i64_e64 s[0:1], s[26:27], 1
	s_mul_i32 s7, s20, s11
	v_mov_b32_e32 v1, v3
	v_mov_b32_e32 v4, 0x300
	s_waitcnt lgkmcnt(0)
	s_bitcmp1_b32 s3, 0
	s_cselect_b64 s[4:5], -1, 0
	s_not_b64 s[26:27], s[26:27]
	s_or_b64 s[0:1], s[4:5], s[0:1]
	s_add_u32 s4, s26, s52
	s_addc_u32 s5, s27, s53
	s_lshr_b64 s[4:5], s[4:5], 1
	s_add_u32 s3, s4, 1
	s_addc_u32 s4, s5, 0
	s_and_b64 s[0:1], s[0:1], exec
	s_mul_hi_u32 s0, s20, s10
	s_cselect_b32 s93, s4, s53
	s_cselect_b32 s92, s3, s52
	s_add_i32 s0, s0, s7
	s_mul_i32 s1, s20, s10
	s_mov_b32 s4, s30
	v_writelane_b32 v42, s4, 34
	s_sub_u32 s3, s30, s1
	v_writelane_b32 v42, s5, 35
	s_subb_u32 s0, 0, s0
	s_mul_i32 s1, s3, s23
	s_mul_hi_u32 s4, s3, s22
	s_add_i32 s1, s4, s1
	s_mul_i32 s0, s0, s22
	s_add_i32 s1, s1, s0
	s_mul_i32 s0, s3, s22
	s_mul_i32 s3, s2, s9
	s_mul_hi_u32 s4, s2, s8
	s_add_i32 s4, s4, s3
	s_mul_i32 s3, s2, s8
	s_sub_u32 s3, s20, s3
	s_subb_u32 s4, s21, s4
	s_mul_i32 s5, s3, s15
	s_mul_hi_u32 s7, s3, s14
	s_add_i32 s5, s7, s5
	s_mul_i32 s4, s4, s14
	s_add_i32 s5, s5, s4
	s_mul_i32 s4, s3, s14
	s_mul_i32 s3, s2, s13
	s_mul_hi_u32 s7, s2, s12
	s_add_i32 s3, s7, s3
	s_mul_i32 s2, s2, s12
	s_lshl_b64 s[2:3], s[2:3], 2
	s_add_u32 s7, s24, s2
	s_addc_u32 s8, s25, s3
	s_lshl_b64 s[2:3], s[4:5], 2
	s_add_u32 s2, s7, s2
	s_addc_u32 s3, s8, s3
	;; [unrolled: 3-line block ×3, first 2 shown]
	v_cmp_gt_u64_e64 s[0:1], s[52:53], v[0:1]
	v_writelane_b32 v42, s0, 36
	v_writelane_b32 v42, s1, 37
	v_cmp_gt_u32_e64 s[0:1], 2, v0
	v_writelane_b32 v42, s0, 38
	v_mov_b32_e32 v5, 0
	v_writelane_b32 v42, s1, 39
	v_cmp_gt_u64_e64 s[0:1], s[52:53], v[4:5]
	v_writelane_b32 v42, s0, 40
	v_mbcnt_lo_u32_b32 v2, -1, 0
	v_writelane_b32 v42, s1, 41
	v_mad_u64_u32 v[4:5], s[0:1], v0, s80, 0
	v_mbcnt_hi_u32_b32 v26, -1, v2
	v_mov_b32_e32 v2, v5
	v_mad_u64_u32 v[6:7], s[0:1], v0, s81, v[2:3]
	s_barrier
	s_load_dword s0, s[18:19], 0xc
	v_cmp_gt_u32_e32 vcc, 64, v0
	v_cmp_gt_i32_e64 s[8:9], 4, v26
	s_and_b64 s[94:95], vcc, s[8:9]
	v_mov_b32_e32 v5, v6
	s_waitcnt lgkmcnt(0)
	s_and_b32 s55, s0, 0xffff
	s_bfe_u32 s1, s0, 0xa0006
	v_cmp_gt_u16_e64 s[2:3], s0, 63
	v_writelane_b32 v42, s2, 42
	s_add_u32 s0, s55, -1
	v_writelane_b32 v42, s3, 43
	s_addc_u32 s2, 0, -1
	s_add_u32 s85, s0, s52
	s_addc_u32 s83, s2, s53
	s_cmp_lt_u32 s6, s16
	v_writelane_b32 v42, s0, 44
	s_cselect_b32 s0, 12, 18
	s_add_u32 s64, s18, s0
	v_writelane_b32 v42, s2, 45
	s_addc_u32 s65, s19, 0
	s_add_i32 s0, s1, -1
	s_bfe_u32 s2, s55, 0x30006
	s_cmp_gt_u32 s0, 6
	s_cselect_b64 s[6:7], -1, 0
	v_writelane_b32 v42, s6, 46
	s_and_b32 s0, s1, 0x3f8
	v_lshlrev_b64 v[4:5], 2, v[4:5]
	v_lshrrev_b32_e32 v2, 4, v0
	v_writelane_b32 v42, s7, 47
	s_cmp_lg_u32 s2, 0
	v_mov_b32_e32 v28, s84
	v_add_co_u32_e32 v14, vcc, s33, v4
	v_and_b32_e32 v29, 60, v2
	v_lshlrev_b32_e32 v2, 2, v26
	v_writelane_b32 v42, s2, 48
	s_cselect_b64 s[2:3], -1, 0
	s_mov_b32 s91, 0
	v_lshlrev_b32_e32 v12, 2, v0
	v_addc_co_u32_e32 v15, vcc, v28, v5, vcc
	v_and_b32_e32 v30, 0x100, v2
	v_lshlrev_b64 v[4:5], v26, -1
	v_writelane_b32 v42, s2, 49
	v_mov_b32_e32 v2, 0xc00
	v_cmp_eq_u32_e64 s[4:5], 0, v26
	v_add_u32_e32 v27, 0xc00, v12
	v_mov_b32_e32 v13, v3
	v_not_b32_e32 v17, v5
	v_not_b32_e32 v16, v4
	s_mov_b32 s54, s91
	v_writelane_b32 v42, s3, 50
	v_lshlrev_b32_e32 v31, 4, v0
	v_lshl_or_b32 v32, v26, 3, v2
	s_lshl_b32 s1, s55, 2
	s_mov_b32 s2, 30
	s_mov_b64 s[86:87], 0
	v_mov_b32_e32 v18, 1
	v_mov_b32_e32 v33, 0x4f800000
	;; [unrolled: 1-line block ×3, first 2 shown]
	s_mov_b32 s3, 0
	s_mov_b32 s27, 0
	;; [unrolled: 1-line block ×3, first 2 shown]
                                        ; implicit-def: $sgpr70_sgpr71
                                        ; implicit-def: $sgpr78_sgpr79
                                        ; implicit-def: $sgpr74_sgpr75
                                        ; implicit-def: $sgpr68_sgpr69
                                        ; implicit-def: $sgpr56_sgpr57
                                        ; implicit-def: $sgpr58_sgpr59
	s_branch .LBB94_22
.LBB94_18:                              ;   in Loop: Header=BB94_22 Depth=1
	s_xor_b32 s3, s3, 1
	s_add_i32 s14, s2, -2
	s_cmp_eq_u32 s2, 0
	s_mov_b64 s[8:9], 0
	s_cselect_b64 s[10:11], -1, 0
	s_mov_b32 s2, s14
.LBB94_19:                              ;   in Loop: Header=BB94_22 Depth=1
	s_andn2_b64 s[14:15], s[20:21], exec
	s_and_b64 s[8:9], s[8:9], exec
	s_or_b64 s[20:21], s[14:15], s[8:9]
	s_andn2_b64 s[22:23], s[22:23], exec
	s_andn2_b64 s[18:19], s[18:19], exec
	s_orn2_b64 s[14:15], s[10:11], exec
.LBB94_20:                              ;   in Loop: Header=BB94_22 Depth=1
	s_or_b64 exec, exec, s[6:7]
	s_andn2_b64 s[6:7], s[58:59], exec
	s_and_b64 s[8:9], s[20:21], exec
	s_or_b64 s[58:59], s[6:7], s[8:9]
	s_andn2_b64 s[6:7], s[56:57], exec
	s_and_b64 s[8:9], s[22:23], exec
	s_or_b64 s[56:57], s[6:7], s[8:9]
	;; [unrolled: 3-line block ×3, first 2 shown]
	s_orn2_b64 s[18:19], s[14:15], exec
.LBB94_21:                              ;   in Loop: Header=BB94_22 Depth=1
	s_or_b64 exec, exec, s[12:13]
	s_and_b64 s[6:7], exec, s[18:19]
	s_or_b64 s[86:87], s[6:7], s[86:87]
	s_andn2_b64 s[6:7], s[74:75], exec
	s_and_b64 s[8:9], s[58:59], exec
	s_or_b64 s[74:75], s[6:7], s[8:9]
	s_andn2_b64 s[6:7], s[78:79], exec
	s_and_b64 s[8:9], s[56:57], exec
	;; [unrolled: 3-line block ×3, first 2 shown]
	v_mov_b32_e32 v2, s27
	s_or_b64 s[70:71], s[6:7], s[8:9]
	s_andn2_b64 exec, exec, s[86:87]
	s_cbranch_execz .LBB94_291
.LBB94_22:                              ; =>This Loop Header: Depth=1
                                        ;     Child Loop BB94_30 Depth 2
                                        ;     Child Loop BB94_45 Depth 2
	;; [unrolled: 1-line block ×16, first 2 shown]
	ds_read_b128 v[4:7], v3 offset:5120
	s_waitcnt lgkmcnt(0)
	v_readfirstlane_b32 s73, v5
	v_readfirstlane_b32 s72, v4
	s_cmp_lg_u64 s[72:73], 0
	s_cbranch_scc1 .LBB94_52
; %bb.23:                               ;   in Loop: Header=BB94_22 Depth=1
	v_readlane_b32 s6, v42, 40
	v_readlane_b32 s7, v42, 41
	s_and_b64 vcc, exec, s[6:7]
	s_cbranch_vccz .LBB94_38
; %bb.24:                               ;   in Loop: Header=BB94_22 Depth=1
	s_mov_b64 s[6:7], 0x301
	v_cmp_gt_u64_e32 vcc, s[6:7], v[6:7]
	s_mov_b64 s[72:73], 0
	s_mov_b64 s[6:7], 0
	s_cbranch_vccz .LBB94_39
; %bb.25:                               ;   in Loop: Header=BB94_22 Depth=1
	v_mov_b32_e32 v2, 0
	s_mov_b64 s[6:7], exec
	v_readlane_b32 s8, v42, 36
	v_readlane_b32 s9, v42, 37
	s_and_b64 s[8:9], s[6:7], s[8:9]
	s_mov_b64 exec, s[8:9]
	s_cbranch_execz .LBB94_27
; %bb.26:                               ;   in Loop: Header=BB94_22 Depth=1
	global_load_dword v2, v[14:15], off
.LBB94_27:                              ;   in Loop: Header=BB94_22 Depth=1
	s_or_b64 exec, exec, s[6:7]
	s_mov_b64 s[8:9], exec
	v_readlane_b32 s6, v42, 36
	v_readlane_b32 s7, v42, 37
	s_and_b64 s[6:7], s[8:9], s[6:7]
	s_mov_b64 exec, s[6:7]
	s_cbranch_execz .LBB94_155
; %bb.28:                               ;   in Loop: Header=BB94_22 Depth=1
	global_load_ushort v6, v3, s[64:65]
	s_mov_b64 s[12:13], 0
	v_pk_mov_b32 v[4:5], v[0:1], v[0:1] op_sel:[0,1]
	s_branch .LBB94_30
.LBB94_29:                              ;   in Loop: Header=BB94_30 Depth=2
	s_or_b64 exec, exec, s[6:7]
	s_waitcnt vmcnt(0)
	v_mov_b32_e32 v2, v7
	s_andn2_b64 exec, exec, s[12:13]
	s_cbranch_execz .LBB94_155
.LBB94_30:                              ;   Parent Loop BB94_22 Depth=1
                                        ; =>  This Inner Loop Header: Depth=2
	s_waitcnt vmcnt(0)
	v_add_co_u32_sdwa v4, vcc, v4, v6 dst_sel:DWORD dst_unused:UNUSED_PAD src0_sel:DWORD src1_sel:WORD_0
	v_addc_co_u32_e32 v5, vcc, 0, v5, vcc
	v_cmp_gt_u64_e64 s[6:7], s[52:53], v[4:5]
	v_cmp_le_u64_e32 vcc, s[52:53], v[4:5]
	s_waitcnt lgkmcnt(0)
	v_mov_b32_e32 v8, 0
	v_mov_b32_e32 v7, 0
	s_and_saveexec_b64 s[10:11], s[6:7]
	s_cbranch_execz .LBB94_32
; %bb.31:                               ;   in Loop: Header=BB94_30 Depth=2
	v_mul_lo_u32 v7, v5, s80
	v_mul_lo_u32 v9, v4, s81
	v_mad_u64_u32 v[10:11], s[6:7], v4, s80, 0
	v_add3_u32 v11, v11, v9, v7
	v_lshlrev_b64 v[10:11], 2, v[10:11]
	v_add_co_u32_e64 v10, s[6:7], s33, v10
	v_addc_co_u32_e64 v11, s[6:7], v28, v11, s[6:7]
	global_load_dword v7, v[10:11], off
.LBB94_32:                              ;   in Loop: Header=BB94_30 Depth=2
	s_or_b64 exec, exec, s[10:11]
	v_xor_b32_e32 v9, 0x80000000, v2
	v_and_b32_e32 v9, s26, v9
	v_cmp_eq_u32_e64 s[10:11], s27, v9
	s_cmp_lg_u64 s[10:11], 0
	s_cselect_b64 s[6:7], -1, 0
	s_and_b64 s[6:7], s[4:5], s[6:7]
	s_and_saveexec_b64 s[14:15], s[6:7]
	s_cbranch_execz .LBB94_36
; %bb.33:                               ;   in Loop: Header=BB94_30 Depth=2
	s_mov_b64 s[18:19], exec
	v_mbcnt_lo_u32_b32 v8, s18, 0
	v_mbcnt_hi_u32_b32 v8, s19, v8
	s_bcnt1_i32_b64 s20, s[10:11]
	v_cmp_eq_u32_e64 s[6:7], 0, v8
                                        ; implicit-def: $vgpr9
	s_and_saveexec_b64 s[16:17], s[6:7]
	s_cbranch_execz .LBB94_35
; %bb.34:                               ;   in Loop: Header=BB94_30 Depth=2
	s_bcnt1_i32_b64 s6, s[18:19]
	s_mul_i32 s6, s20, s6
	v_mov_b32_e32 v9, s6
	ds_add_rtn_u32 v9, v3, v9 offset:5144
.LBB94_35:                              ;   in Loop: Header=BB94_30 Depth=2
	s_or_b64 exec, exec, s[16:17]
	s_waitcnt lgkmcnt(0)
	v_readfirstlane_b32 s6, v9
	v_mov_b32_e32 v9, s6
	v_mad_u32_u24 v8, s20, v8, v9
.LBB94_36:                              ;   in Loop: Header=BB94_30 Depth=2
	s_or_b64 exec, exec, s[14:15]
	ds_bpermute_b32 v8, v30, v8
	s_and_b64 s[6:7], exec, vcc
	s_or_b64 s[12:13], s[6:7], s[12:13]
	s_and_saveexec_b64 s[6:7], s[10:11]
	s_cbranch_execz .LBB94_29
; %bb.37:                               ;   in Loop: Header=BB94_30 Depth=2
	v_and_b32_e32 v10, s10, v16
	v_and_b32_e32 v9, s11, v17
	v_bcnt_u32_b32 v10, v10, 0
	v_bcnt_u32_b32 v9, v9, v10
	v_lshlrev_b32_e32 v9, 2, v9
	s_waitcnt lgkmcnt(0)
	v_lshl_add_u32 v8, v8, 2, v9
	ds_write_b32 v8, v2
	s_branch .LBB94_29
.LBB94_38:                              ;   in Loop: Header=BB94_22 Depth=1
	s_mov_b64 s[72:73], -1
	s_mov_b64 s[6:7], 0
.LBB94_39:                              ;   in Loop: Header=BB94_22 Depth=1
	s_and_b64 vcc, exec, s[72:73]
	s_cbranch_vccz .LBB94_50
.LBB94_40:                              ;   in Loop: Header=BB94_22 Depth=1
	s_waitcnt vmcnt(0)
	v_mov_b32_e32 v2, 0
	s_mov_b64 s[6:7], exec
	v_readlane_b32 s8, v42, 36
	v_readlane_b32 s9, v42, 37
	s_and_b64 s[8:9], s[6:7], s[8:9]
	s_mov_b64 exec, s[8:9]
	s_cbranch_execz .LBB94_42
; %bb.41:                               ;   in Loop: Header=BB94_22 Depth=1
	global_load_dword v2, v[14:15], off
.LBB94_42:                              ;   in Loop: Header=BB94_22 Depth=1
	s_or_b64 exec, exec, s[6:7]
	s_mov_b64 s[8:9], exec
	v_readlane_b32 s6, v42, 36
	v_readlane_b32 s7, v42, 37
	s_and_b64 s[6:7], s[8:9], s[6:7]
	s_mov_b64 exec, s[6:7]
	s_cbranch_execz .LBB94_47
; %bb.43:                               ;   in Loop: Header=BB94_22 Depth=1
	global_load_ushort v4, v3, s[64:65]
	s_mov_b64 s[10:11], 0
	v_mov_b32_e32 v6, v12
	s_waitcnt vmcnt(0)
	v_and_b32_e32 v7, 0xffff, v4
	v_lshlrev_b32_e32 v8, 2, v7
	v_pk_mov_b32 v[4:5], v[0:1], v[0:1] op_sel:[0,1]
	s_branch .LBB94_45
.LBB94_44:                              ;   in Loop: Header=BB94_45 Depth=2
	s_or_b64 exec, exec, s[12:13]
	s_and_b64 s[6:7], exec, vcc
	s_or_b64 s[10:11], s[6:7], s[10:11]
	ds_write_b32 v6, v2
	v_add_u32_e32 v6, v6, v8
	s_waitcnt vmcnt(0)
	v_mov_b32_e32 v2, v9
	s_andn2_b64 exec, exec, s[10:11]
	s_cbranch_execz .LBB94_47
.LBB94_45:                              ;   Parent Loop BB94_22 Depth=1
                                        ; =>  This Inner Loop Header: Depth=2
	v_add_co_u32_e32 v4, vcc, v4, v7
	v_addc_co_u32_e32 v5, vcc, 0, v5, vcc
	v_cmp_gt_u64_e64 s[6:7], s[52:53], v[4:5]
	v_cmp_le_u64_e32 vcc, s[52:53], v[4:5]
	v_mov_b32_e32 v9, 0
	s_and_saveexec_b64 s[12:13], s[6:7]
	s_cbranch_execz .LBB94_44
; %bb.46:                               ;   in Loop: Header=BB94_45 Depth=2
	v_mul_lo_u32 v9, v5, s80
	v_mul_lo_u32 v19, v4, s81
	v_mad_u64_u32 v[10:11], s[6:7], v4, s80, 0
	v_add3_u32 v11, v11, v19, v9
	v_lshlrev_b64 v[10:11], 2, v[10:11]
	v_mov_b32_e32 v9, s84
	v_add_co_u32_e64 v10, s[6:7], s33, v10
	v_addc_co_u32_e64 v11, s[6:7], v9, v11, s[6:7]
	global_load_dword v9, v[10:11], off
	s_branch .LBB94_44
.LBB94_47:                              ;   in Loop: Header=BB94_22 Depth=1
	s_or_b64 exec, exec, s[8:9]
	s_waitcnt lgkmcnt(0)
	s_barrier
	s_mov_b64 s[6:7], exec
	v_readlane_b32 s8, v42, 28
	v_readlane_b32 s9, v42, 29
	s_and_b64 s[8:9], s[6:7], s[8:9]
	s_mov_b64 exec, s[8:9]
	s_cbranch_execz .LBB94_49
; %bb.48:                               ;   in Loop: Header=BB94_22 Depth=1
	v_pk_mov_b32 v[4:5], s[52:53], s[52:53] op_sel:[0,1]
	ds_write_b64 v3, v[4:5] offset:5120
.LBB94_49:                              ;   in Loop: Header=BB94_22 Depth=1
	s_or_b64 exec, exec, s[6:7]
	s_mov_b64 s[6:7], -1
	s_waitcnt lgkmcnt(0)
	s_barrier
                                        ; implicit-def: $sgpr72_sgpr73
.LBB94_50:                              ;   in Loop: Header=BB94_22 Depth=1
	s_and_b64 vcc, exec, s[6:7]
	s_cbranch_vccz .LBB94_52
; %bb.51:                               ;   in Loop: Header=BB94_22 Depth=1
	ds_read_b64 v[4:5], v3 offset:5120
	s_waitcnt lgkmcnt(0)
	v_readfirstlane_b32 s72, v4
.LBB94_52:                              ;   in Loop: Header=BB94_22 Depth=1
	s_cmp_lt_i32 s72, 1
	s_cbranch_scc0 .LBB94_67
; %bb.53:                               ;   in Loop: Header=BB94_22 Depth=1
	global_load_ushort v19, v3, s[64:65]
	s_mov_b32 s6, s91
	s_waitcnt vmcnt(0)
	v_readfirstlane_b32 s7, v19
	s_and_b32 s7, 0xffff, s7
	s_lshl_b32 s73, s7, 2
	s_mov_b32 s7, s53
	s_cmp_lg_u64 s[6:7], 0
	s_cbranch_scc0 .LBB94_87
; %bb.54:                               ;   in Loop: Header=BB94_22 Depth=1
	v_cvt_f32_u32_e32 v2, s73
	s_sub_u32 s6, 0, s73
	s_subb_u32 s7, 0, 0
	v_mac_f32_e32 v2, 0, v33
	v_rcp_f32_e32 v2, v2
	v_mul_f32_e32 v2, 0x5f7ffffc, v2
	v_mul_f32_e32 v4, 0x2f800000, v2
	v_trunc_f32_e32 v4, v4
	v_mac_f32_e32 v2, 0xcf800000, v4
	v_cvt_u32_f32_e32 v4, v4
	v_cvt_u32_f32_e32 v2, v2
	v_readfirstlane_b32 s8, v4
	v_readfirstlane_b32 s9, v2
	s_mul_i32 s10, s6, s8
	s_mul_hi_u32 s12, s6, s9
	s_mul_i32 s11, s7, s9
	s_add_i32 s10, s12, s10
	s_mul_i32 s13, s6, s9
	s_add_i32 s10, s10, s11
	s_mul_hi_u32 s12, s9, s13
	s_mul_hi_u32 s11, s9, s10
	s_mul_i32 s9, s9, s10
	s_add_u32 s9, s12, s9
	s_addc_u32 s11, 0, s11
	s_mul_hi_u32 s14, s8, s13
	s_mul_i32 s13, s8, s13
	s_add_u32 s9, s9, s13
	s_mul_hi_u32 s12, s8, s10
	s_addc_u32 s9, s11, s14
	s_addc_u32 s11, s12, 0
	s_mul_i32 s10, s8, s10
	s_add_u32 s9, s9, s10
	s_addc_u32 s10, 0, s11
	v_add_co_u32_e32 v2, vcc, s9, v2
	s_cmp_lg_u64 vcc, 0
	s_addc_u32 s8, s8, s10
	v_readfirstlane_b32 s10, v2
	s_mul_i32 s9, s6, s8
	s_mul_hi_u32 s11, s6, s10
	s_add_i32 s9, s11, s9
	s_mul_i32 s7, s7, s10
	s_add_i32 s9, s9, s7
	s_mul_i32 s6, s6, s10
	s_mul_hi_u32 s11, s8, s6
	s_mul_i32 s12, s8, s6
	s_mul_i32 s14, s10, s9
	s_mul_hi_u32 s6, s10, s6
	s_mul_hi_u32 s13, s10, s9
	s_add_u32 s6, s6, s14
	s_addc_u32 s10, 0, s13
	s_add_u32 s6, s6, s12
	s_mul_hi_u32 s7, s8, s9
	s_addc_u32 s6, s10, s11
	s_addc_u32 s7, s7, 0
	s_mul_i32 s9, s8, s9
	s_add_u32 s6, s6, s9
	s_addc_u32 s7, 0, s7
	v_add_co_u32_e32 v2, vcc, s6, v2
	s_cmp_lg_u64 vcc, 0
	s_addc_u32 s6, s8, s7
	v_readfirstlane_b32 s9, v2
	s_mul_i32 s8, s52, s6
	s_mul_hi_u32 s10, s52, s9
	s_mul_hi_u32 s7, s52, s6
	s_add_u32 s8, s10, s8
	s_addc_u32 s7, 0, s7
	s_mul_hi_u32 s11, s53, s9
	s_mul_i32 s9, s53, s9
	s_add_u32 s8, s8, s9
	s_mul_hi_u32 s10, s53, s6
	s_addc_u32 s7, s7, s11
	s_addc_u32 s8, s10, 0
	s_mul_i32 s6, s53, s6
	s_add_u32 s6, s7, s6
	s_addc_u32 s7, 0, s8
	s_mul_hi_u32 s8, s73, s6
	s_mul_i32 s6, s73, s6
	s_mul_i32 s7, s73, s7
	v_mov_b32_e32 v2, s6
	s_add_i32 s8, s8, s7
	v_sub_co_u32_e32 v2, vcc, s52, v2
	s_cmp_lg_u64 vcc, 0
	s_subb_u32 s6, s53, s8
	v_subrev_co_u32_e32 v4, vcc, s73, v2
	s_cmp_lg_u64 vcc, 0
	s_subb_u32 s7, s6, 0
	v_subrev_co_u32_e32 v5, vcc, s73, v4
	s_cmp_lg_u64 vcc, 0
	s_subb_u32 s8, s7, 0
	v_cmp_le_u32_e32 vcc, s73, v4
	s_cmp_eq_u32 s7, 0
	v_cndmask_b32_e64 v6, 0, -1, vcc
	s_cselect_b64 vcc, -1, 0
	v_cndmask_b32_e32 v6, -1, v6, vcc
	v_mov_b32_e32 v7, s7
	v_mov_b32_e32 v8, s8
	v_cmp_ne_u32_e32 vcc, 0, v6
	v_cndmask_b32_e32 v6, v7, v8, vcc
	v_cndmask_b32_e32 v4, v4, v5, vcc
	v_cmp_le_u32_e32 vcc, s73, v2
	s_cmp_eq_u32 s6, 0
	v_cndmask_b32_e64 v5, 0, -1, vcc
	s_cselect_b64 vcc, -1, 0
	v_cndmask_b32_e32 v5, -1, v5, vcc
	v_mov_b32_e32 v7, s6
	v_cmp_ne_u32_e32 vcc, 0, v5
	v_cndmask_b32_e32 v5, v7, v6, vcc
	v_cndmask_b32_e32 v4, v2, v4, vcc
	s_cbranch_execnz .LBB94_56
.LBB94_55:                              ;   in Loop: Header=BB94_22 Depth=1
	v_cvt_f32_u32_e32 v2, s73
	s_sub_i32 s6, 0, s73
	v_rcp_iflag_f32_e32 v2, v2
	v_mul_f32_e32 v2, 0x4f7ffffe, v2
	v_cvt_u32_f32_e32 v2, v2
	v_mul_lo_u32 v4, s6, v2
	v_mul_hi_u32 v4, v2, v4
	v_add_u32_e32 v2, v2, v4
	v_mul_hi_u32 v2, s52, v2
	v_mul_lo_u32 v2, v2, s73
	v_sub_u32_e32 v2, s52, v2
	v_subrev_u32_e32 v4, s73, v2
	v_cmp_le_u32_e32 vcc, s73, v2
	v_cndmask_b32_e32 v2, v2, v4, vcc
	v_subrev_u32_e32 v4, s73, v2
	v_cmp_le_u32_e32 vcc, s73, v2
	v_cndmask_b32_e32 v2, v2, v4, vcc
	v_pk_mov_b32 v[4:5], v[2:3], v[2:3] op_sel:[0,1]
.LBB94_56:                              ;   in Loop: Header=BB94_22 Depth=1
	v_mov_b32_e32 v2, s53
	v_sub_co_u32_e32 v22, vcc, s52, v4
	v_subb_co_u32_e32 v23, vcc, v2, v5, vcc
	v_pk_mov_b32 v[4:5], 0, 0
	v_cmp_gt_u64_e32 vcc, v[22:23], v[12:13]
	s_mov_b64 s[60:61], 0
	v_pk_mov_b32 v[6:7], v[4:5], v[4:5] op_sel:[0,1]
	v_pk_mov_b32 v[8:9], v[4:5], v[4:5] op_sel:[0,1]
	;; [unrolled: 1-line block ×3, first 2 shown]
	s_and_saveexec_b64 s[50:51], vcc
	s_cbranch_execz .LBB94_60
; %bb.57:                               ;   in Loop: Header=BB94_22 Depth=1
	s_and_b32 s82, s2, 0xfe
	s_mov_b64 s[62:63], 0
	s_mov_b64 s[76:77], 0
	;; [unrolled: 1-line block ×4, first 2 shown]
	v_pk_mov_b32 v[24:25], v[12:13], v[12:13] op_sel:[0,1]
.LBB94_58:                              ;   Parent Loop BB94_22 Depth=1
                                        ; =>  This Inner Loop Header: Depth=2
	v_mul_lo_u32 v2, v25, s80
	v_mul_lo_u32 v6, v24, s81
	v_mad_u64_u32 v[4:5], s[6:7], v24, s80, 0
	v_add3_u32 v5, v5, v6, v2
	v_lshlrev_b64 v[4:5], 2, v[4:5]
	v_mov_b32_e32 v7, s84
	v_add_co_u32_e64 v4, s[6:7], s33, v4
	s_lshl_b64 s[8:9], s[80:81], 2
	v_addc_co_u32_e64 v5, s[6:7], v7, v5, s[6:7]
	v_mov_b32_e32 v2, s9
	v_add_co_u32_e64 v6, s[6:7], s8, v4
	v_addc_co_u32_e64 v7, s[6:7], v5, v2, s[6:7]
	global_load_dword v8, v[4:5], off
	global_load_dword v9, v[6:7], off
	v_add_co_u32_e64 v4, s[6:7], s8, v6
	v_addc_co_u32_e64 v5, s[6:7], v7, v2, s[6:7]
	global_load_dword v6, v[4:5], off
	v_add_co_u32_e64 v4, s[6:7], s8, v4
	v_addc_co_u32_e64 v5, s[6:7], v5, v2, s[6:7]
	global_load_dword v2, v[4:5], off
	v_add_co_u32_e32 v24, vcc, s73, v24
	v_addc_co_u32_e32 v25, vcc, 0, v25, vcc
	v_cmp_ge_u64_e32 vcc, v[24:25], v[22:23]
	s_waitcnt vmcnt(3)
	v_xor_b32_e32 v4, 0x80000000, v8
	v_and_b32_e32 v7, s26, v4
	v_bfe_u32 v4, v4, s82, 2
	s_waitcnt vmcnt(2)
	v_xor_b32_e32 v5, 0x80000000, v9
	v_cmp_eq_u32_e64 s[10:11], s27, v7
	v_cmp_eq_u32_e64 s[6:7], 0, v4
	s_waitcnt vmcnt(1)
	v_xor_b32_e32 v6, 0x80000000, v6
	v_and_b32_e32 v7, s26, v5
	v_bfe_u32 v5, v5, s82, 2
	v_cmp_eq_u32_e64 s[28:29], 1, v4
	v_cmp_eq_u32_e64 s[30:31], 2, v4
	;; [unrolled: 1-line block ×3, first 2 shown]
	s_waitcnt vmcnt(0)
	v_xor_b32_e32 v2, 0x80000000, v2
	v_and_b32_e32 v4, s26, v6
	v_bfe_u32 v6, v6, s82, 2
	s_and_b64 s[6:7], s[10:11], s[6:7]
	v_cmp_eq_u32_e64 s[12:13], s27, v7
	v_cmp_eq_u32_e64 s[22:23], 0, v5
	;; [unrolled: 1-line block ×5, first 2 shown]
	v_cndmask_b32_e64 v5, 0, 1, s[6:7]
	v_cmp_eq_u32_e64 s[18:19], s27, v4
	v_and_b32_e32 v4, s26, v2
	v_bfe_u32 v2, v2, s82, 2
	v_cmp_eq_u32_e64 s[6:7], 0, v6
	s_and_b64 s[8:9], s[12:13], s[22:23]
	v_cmp_eq_u32_e64 s[22:23], s27, v4
	v_cmp_eq_u32_e64 s[44:45], 0, v2
	s_and_b64 s[6:7], s[18:19], s[6:7]
	v_cmp_ne_u32_e64 s[42:43], 0, v5
	v_cndmask_b32_e64 v5, 0, 1, s[8:9]
	v_cmp_eq_u32_e64 s[46:47], 1, v2
	v_cmp_eq_u32_e64 s[48:49], 2, v2
	;; [unrolled: 1-line block ×3, first 2 shown]
	v_cndmask_b32_e64 v2, 0, 1, s[6:7]
	s_and_b64 s[8:9], s[22:23], s[44:45]
	v_cmp_ne_u32_e64 s[6:7], 0, v2
	v_cndmask_b32_e64 v2, 0, 1, s[8:9]
	s_bcnt1_i32_b64 s90, s[42:43]
	v_cmp_ne_u32_e64 s[42:43], 0, v5
	s_bcnt1_i32_b64 s8, s[6:7]
	v_cmp_ne_u32_e64 s[6:7], 0, v2
	s_bcnt1_i32_b64 s42, s[42:43]
	s_bcnt1_i32_b64 s6, s[6:7]
	s_add_u32 s7, s90, s88
	s_addc_u32 s9, 0, s89
	s_add_u32 s7, s7, s42
	s_addc_u32 s9, s9, 0
	;; [unrolled: 2-line block ×4, first 2 shown]
	s_and_b64 s[6:7], s[10:11], s[28:29]
	v_cmp_eq_u32_e64 s[38:39], 1, v6
	v_cndmask_b32_e64 v2, 0, 1, s[6:7]
	s_and_b64 s[6:7], s[12:13], s[34:35]
	v_cmp_eq_u32_e64 s[40:41], 2, v6
	v_cmp_eq_u32_e64 s[20:21], 3, v6
	v_cndmask_b32_e64 v6, 0, 1, s[6:7]
	s_and_b64 s[6:7], s[18:19], s[38:39]
	v_cndmask_b32_e64 v7, 0, 1, s[6:7]
	s_and_b64 s[6:7], s[22:23], s[46:47]
	v_cndmask_b32_e64 v8, 0, 1, s[6:7]
	v_cmp_ne_u32_e64 s[6:7], 0, v2
	v_cmp_ne_u32_e64 s[28:29], 0, v6
	;; [unrolled: 1-line block ×4, first 2 shown]
	s_bcnt1_i32_b64 s6, s[6:7]
	s_bcnt1_i32_b64 s7, s[28:29]
	;; [unrolled: 1-line block ×4, first 2 shown]
	s_add_u32 s6, s6, s66
	s_addc_u32 s28, 0, s67
	s_add_u32 s6, s6, s7
	s_addc_u32 s7, s28, 0
	;; [unrolled: 2-line block ×4, first 2 shown]
	s_and_b64 s[6:7], s[10:11], s[30:31]
	v_cndmask_b32_e64 v2, 0, 1, s[6:7]
	s_and_b64 s[6:7], s[12:13], s[36:37]
	v_cndmask_b32_e64 v8, 0, 1, s[6:7]
	;; [unrolled: 2-line block ×4, first 2 shown]
	v_cmp_ne_u32_e64 s[6:7], 0, v2
	v_cmp_ne_u32_e64 s[28:29], 0, v8
	;; [unrolled: 1-line block ×4, first 2 shown]
	s_bcnt1_i32_b64 s6, s[6:7]
	s_bcnt1_i32_b64 s7, s[28:29]
	;; [unrolled: 1-line block ×4, first 2 shown]
	s_add_u32 s6, s6, s76
	s_addc_u32 s28, 0, s77
	s_add_u32 s6, s6, s7
	s_addc_u32 s7, s28, 0
	;; [unrolled: 2-line block ×4, first 2 shown]
	s_and_b64 s[6:7], s[10:11], s[14:15]
	v_cndmask_b32_e64 v2, 0, 1, s[6:7]
	s_and_b64 s[6:7], s[12:13], s[16:17]
	v_cndmask_b32_e64 v10, 0, 1, s[6:7]
	;; [unrolled: 2-line block ×4, first 2 shown]
	v_cmp_ne_u32_e64 s[6:7], 0, v2
	v_cmp_ne_u32_e64 s[10:11], 0, v10
	;; [unrolled: 1-line block ×4, first 2 shown]
	s_bcnt1_i32_b64 s6, s[6:7]
	s_bcnt1_i32_b64 s7, s[10:11]
	;; [unrolled: 1-line block ×4, first 2 shown]
	s_add_u32 s6, s6, s62
	s_addc_u32 s10, 0, s63
	s_add_u32 s6, s6, s7
	s_addc_u32 s7, s10, 0
	;; [unrolled: 2-line block ×4, first 2 shown]
	v_pk_mov_b32 v[4:5], s[88:89], s[88:89] op_sel:[0,1]
	v_pk_mov_b32 v[6:7], s[66:67], s[66:67] op_sel:[0,1]
	;; [unrolled: 1-line block ×3, first 2 shown]
	s_or_b64 s[60:61], vcc, s[60:61]
	v_pk_mov_b32 v[10:11], s[62:63], s[62:63] op_sel:[0,1]
	s_andn2_b64 exec, exec, s[60:61]
	s_cbranch_execnz .LBB94_58
; %bb.59:                               ;   in Loop: Header=BB94_22 Depth=1
	s_or_b64 exec, exec, s[60:61]
.LBB94_60:                              ;   in Loop: Header=BB94_22 Depth=1
	s_or_b64 exec, exec, s[50:51]
	v_add_co_u32_e32 v22, vcc, v22, v0
	v_addc_co_u32_e32 v23, vcc, 0, v23, vcc
	v_cmp_gt_u64_e32 vcc, s[52:53], v[22:23]
	v_mov_b32_e32 v2, 0
	s_and_saveexec_b64 s[8:9], vcc
	s_cbranch_execz .LBB94_62
; %bb.61:                               ;   in Loop: Header=BB94_22 Depth=1
	v_mul_lo_u32 v2, v23, s80
	v_mul_lo_u32 v20, v22, s81
	v_mad_u64_u32 v[24:25], s[6:7], v22, s80, 0
	v_add3_u32 v25, v25, v20, v2
	v_lshlrev_b64 v[24:25], 2, v[24:25]
	v_mov_b32_e32 v2, s84
	v_add_co_u32_e64 v24, s[6:7], s33, v24
	v_addc_co_u32_e64 v25, s[6:7], v2, v25, s[6:7]
	global_load_dword v2, v[24:25], off
.LBB94_62:                              ;   in Loop: Header=BB94_22 Depth=1
	s_or_b64 exec, exec, s[8:9]
	s_and_saveexec_b64 s[8:9], vcc
	s_cbranch_execz .LBB94_69
; %bb.63:                               ;   in Loop: Header=BB94_22 Depth=1
	s_and_b32 s14, s2, 0xfe
	s_mov_b64 s[10:11], 0
	s_branch .LBB94_65
.LBB94_64:                              ;   in Loop: Header=BB94_65 Depth=2
	s_or_b64 exec, exec, s[12:13]
	s_waitcnt vmcnt(0)
	v_xor_b32_e32 v2, 0x80000000, v2
	s_and_b64 s[6:7], exec, vcc
	v_and_b32_e32 v24, s26, v2
	v_bfe_u32 v2, v2, s14, 2
	s_or_b64 s[10:11], s[6:7], s[10:11]
	v_cmp_eq_u32_e32 vcc, s27, v24
	v_cmp_eq_u32_e64 s[6:7], 0, v2
	s_and_b64 s[6:7], vcc, s[6:7]
	v_cndmask_b32_e64 v24, 0, 1, s[6:7]
	v_cmp_ne_u32_e64 s[6:7], 0, v24
	s_bcnt1_i32_b64 s6, s[6:7]
	v_add_co_u32_e64 v4, s[6:7], s6, v4
	v_addc_co_u32_e64 v5, s[6:7], 0, v5, s[6:7]
	v_cmp_eq_u32_e64 s[6:7], 1, v2
	s_and_b64 s[6:7], vcc, s[6:7]
	v_cndmask_b32_e64 v24, 0, 1, s[6:7]
	v_cmp_ne_u32_e64 s[6:7], 0, v24
	s_bcnt1_i32_b64 s6, s[6:7]
	v_add_co_u32_e64 v6, s[6:7], s6, v6
	v_addc_co_u32_e64 v7, s[6:7], 0, v7, s[6:7]
	;; [unrolled: 7-line block ×3, first 2 shown]
	v_cmp_eq_u32_e64 s[6:7], 3, v2
	s_and_b64 s[6:7], vcc, s[6:7]
	v_cndmask_b32_e64 v2, 0, 1, s[6:7]
	v_cmp_ne_u32_e32 vcc, 0, v2
	s_bcnt1_i32_b64 s6, vcc
	v_add_co_u32_e32 v10, vcc, s6, v10
	v_addc_co_u32_e32 v11, vcc, 0, v11, vcc
	v_mov_b32_e32 v2, v20
	s_andn2_b64 exec, exec, s[10:11]
	s_cbranch_execz .LBB94_68
.LBB94_65:                              ;   Parent Loop BB94_22 Depth=1
                                        ; =>  This Inner Loop Header: Depth=2
	v_add_co_u32_sdwa v22, vcc, v22, v19 dst_sel:DWORD dst_unused:UNUSED_PAD src0_sel:DWORD src1_sel:WORD_0
	v_addc_co_u32_e32 v23, vcc, 0, v23, vcc
	v_cmp_gt_u64_e64 s[6:7], s[52:53], v[22:23]
	v_cmp_le_u64_e32 vcc, s[52:53], v[22:23]
	v_mov_b32_e32 v20, 0
	s_and_saveexec_b64 s[12:13], s[6:7]
	s_cbranch_execz .LBB94_64
; %bb.66:                               ;   in Loop: Header=BB94_65 Depth=2
	v_mul_lo_u32 v20, v23, s80
	v_mul_lo_u32 v34, v22, s81
	v_mad_u64_u32 v[24:25], s[6:7], v22, s80, 0
	v_add3_u32 v25, v25, v34, v20
	v_lshlrev_b64 v[24:25], 2, v[24:25]
	v_mov_b32_e32 v20, s84
	v_add_co_u32_e64 v24, s[6:7], s33, v24
	v_addc_co_u32_e64 v25, s[6:7], v20, v25, s[6:7]
	global_load_dword v20, v[24:25], off
	s_branch .LBB94_64
.LBB94_67:                              ;   in Loop: Header=BB94_22 Depth=1
                                        ; implicit-def: $vgpr10_vgpr11
                                        ; implicit-def: $vgpr6_vgpr7
	s_cbranch_execnz .LBB94_70
	s_branch .LBB94_79
.LBB94_68:                              ;   in Loop: Header=BB94_22 Depth=1
	s_or_b64 exec, exec, s[10:11]
.LBB94_69:                              ;   in Loop: Header=BB94_22 Depth=1
	s_or_b64 exec, exec, s[8:9]
	s_branch .LBB94_79
.LBB94_70:                              ;   in Loop: Header=BB94_22 Depth=1
	global_load_ushort v2, v3, s[64:65]
	s_mov_b64 s[60:61], 0
	s_waitcnt vmcnt(0)
	v_readfirstlane_b32 s6, v2
	s_and_b32 s6, 0xffff, s6
	s_lshl_b32 s73, s6, 2
	v_cvt_f32_u32_e32 v4, s73
	s_sub_i32 s6, 0, s73
	v_and_b32_e32 v19, 0xffff, v2
	v_rcp_iflag_f32_e32 v8, v4
	v_pk_mov_b32 v[4:5], 0, 0
	v_pk_mov_b32 v[6:7], v[4:5], v[4:5] op_sel:[0,1]
	v_mul_f32_e32 v8, 0x4f7ffffe, v8
	v_cvt_u32_f32_e32 v10, v8
	v_pk_mov_b32 v[8:9], v[4:5], v[4:5] op_sel:[0,1]
	v_readfirstlane_b32 s7, v10
	s_mul_i32 s6, s6, s7
	s_mul_hi_u32 s6, s7, s6
	s_add_i32 s7, s7, s6
	s_mul_hi_u32 s6, s72, s7
	s_mul_i32 s6, s6, s73
	s_sub_i32 s6, s72, s6
	s_sub_i32 s7, s6, s73
	s_cmp_ge_u32 s6, s73
	s_cselect_b32 s6, s7, s6
	s_sub_i32 s7, s6, s73
	s_cmp_ge_u32 s6, s73
	s_cselect_b32 s6, s7, s6
	s_sub_i32 s90, s72, s6
	v_cmp_gt_u32_e32 vcc, s90, v12
	v_pk_mov_b32 v[10:11], v[4:5], v[4:5] op_sel:[0,1]
	s_and_saveexec_b64 s[62:63], vcc
	s_cbranch_execz .LBB94_74
; %bb.71:                               ;   in Loop: Header=BB94_22 Depth=1
	s_and_b32 s82, s2, 0xfe
	v_lshlrev_b32_e32 v2, 4, v19
	v_mov_b32_e32 v20, v31
	s_mov_b64 s[66:67], 0
	s_mov_b64 s[76:77], 0
	;; [unrolled: 1-line block ×4, first 2 shown]
	v_pk_mov_b32 v[22:23], v[12:13], v[12:13] op_sel:[0,1]
.LBB94_72:                              ;   Parent Loop BB94_22 Depth=1
                                        ; =>  This Inner Loop Header: Depth=2
	ds_read_b128 v[4:7], v20
	v_add_co_u32_e32 v22, vcc, s73, v22
	v_addc_co_u32_e32 v23, vcc, 0, v23, vcc
	s_waitcnt lgkmcnt(0)
	v_xor_b32_e32 v4, 0x80000000, v4
	v_xor_b32_e32 v5, 0x80000000, v5
	v_and_b32_e32 v8, s26, v4
	v_bfe_u32 v4, v4, s82, 2
	v_xor_b32_e32 v6, 0x80000000, v6
	v_and_b32_e32 v9, s26, v5
	v_bfe_u32 v5, v5, s82, 2
	v_cmp_eq_u32_e64 s[16:17], s27, v8
	v_cmp_eq_u32_e64 s[6:7], 0, v4
	v_xor_b32_e32 v7, 0x80000000, v7
	v_and_b32_e32 v10, s26, v6
	v_bfe_u32 v6, v6, s82, 2
	v_cmp_eq_u32_e64 s[14:15], s27, v9
	v_cmp_eq_u32_e64 s[28:29], 0, v5
	s_and_b64 s[6:7], s[16:17], s[6:7]
	v_and_b32_e32 v11, s26, v7
	v_bfe_u32 v7, v7, s82, 2
	v_cmp_eq_u32_e64 s[12:13], s27, v10
	v_cmp_eq_u32_e64 s[30:31], 0, v6
	;; [unrolled: 1-line block ×5, first 2 shown]
	v_cndmask_b32_e64 v4, 0, 1, s[6:7]
	s_and_b64 s[6:7], s[14:15], s[28:29]
	v_cmp_eq_u32_e64 s[10:11], s27, v11
	v_cmp_eq_u32_e64 s[34:35], 0, v7
	;; [unrolled: 1-line block ×5, first 2 shown]
	v_cndmask_b32_e64 v5, 0, 1, s[6:7]
	s_and_b64 s[6:7], s[12:13], s[30:31]
	v_cmp_eq_u32_e64 s[40:41], 1, v6
	v_cmp_eq_u32_e64 s[48:49], 2, v6
	;; [unrolled: 1-line block ×3, first 2 shown]
	v_cndmask_b32_e64 v6, 0, 1, s[6:7]
	s_and_b64 s[6:7], s[10:11], s[34:35]
	v_cmp_eq_u32_e64 s[42:43], 1, v7
	v_cmp_eq_u32_e64 s[50:51], 2, v7
	;; [unrolled: 1-line block ×3, first 2 shown]
	v_cndmask_b32_e64 v7, 0, 1, s[6:7]
	v_cmp_ne_u32_e64 s[6:7], 0, v4
	v_cmp_ne_u32_e64 s[28:29], 0, v5
	v_cmp_ne_u32_e64 s[30:31], 0, v6
	v_cmp_ne_u32_e64 s[34:35], 0, v7
	s_bcnt1_i32_b64 s6, s[6:7]
	s_bcnt1_i32_b64 s7, s[28:29]
	s_bcnt1_i32_b64 s28, s[30:31]
	s_bcnt1_i32_b64 s29, s[34:35]
	s_add_u32 s6, s6, s8
	s_addc_u32 s8, 0, s9
	s_add_u32 s6, s6, s7
	s_addc_u32 s7, s8, 0
	s_add_u32 s6, s6, s28
	s_addc_u32 s7, s7, 0
	s_add_u32 s8, s6, s29
	s_addc_u32 s9, s7, 0
	s_and_b64 s[6:7], s[16:17], s[36:37]
	v_cndmask_b32_e64 v6, 0, 1, s[6:7]
	s_and_b64 s[6:7], s[14:15], s[38:39]
	v_cndmask_b32_e64 v7, 0, 1, s[6:7]
	s_and_b64 s[6:7], s[12:13], s[40:41]
	v_cndmask_b32_e64 v8, 0, 1, s[6:7]
	s_and_b64 s[6:7], s[10:11], s[42:43]
	v_cndmask_b32_e64 v9, 0, 1, s[6:7]
	v_cmp_ne_u32_e64 s[6:7], 0, v6
	v_cmp_ne_u32_e64 s[28:29], 0, v7
	v_cmp_ne_u32_e64 s[30:31], 0, v8
	v_cmp_ne_u32_e64 s[34:35], 0, v9
	s_bcnt1_i32_b64 s6, s[6:7]
	s_bcnt1_i32_b64 s7, s[28:29]
	s_bcnt1_i32_b64 s28, s[30:31]
	s_bcnt1_i32_b64 s29, s[34:35]
	s_add_u32 s6, s6, s88
	s_addc_u32 s30, 0, s89
	s_add_u32 s6, s6, s7
	s_addc_u32 s7, s30, 0
	s_add_u32 s6, s6, s28
	s_addc_u32 s7, s7, 0
	s_add_u32 s88, s6, s29
	s_addc_u32 s89, s7, 0
	s_and_b64 s[6:7], s[16:17], s[44:45]
	v_cndmask_b32_e64 v8, 0, 1, s[6:7]
	s_and_b64 s[6:7], s[14:15], s[46:47]
	v_cndmask_b32_e64 v9, 0, 1, s[6:7]
	s_and_b64 s[6:7], s[12:13], s[48:49]
	v_cndmask_b32_e64 v10, 0, 1, s[6:7]
	s_and_b64 s[6:7], s[10:11], s[50:51]
	;; [unrolled: 24-line block ×3, first 2 shown]
	v_cndmask_b32_e64 v25, 0, 1, s[6:7]
	v_cmp_ne_u32_e64 s[6:7], 0, v10
	v_cmp_ne_u32_e64 s[10:11], 0, v11
	;; [unrolled: 1-line block ×4, first 2 shown]
	s_bcnt1_i32_b64 s6, s[6:7]
	s_bcnt1_i32_b64 s7, s[10:11]
	;; [unrolled: 1-line block ×4, first 2 shown]
	s_add_u32 s6, s6, s66
	s_addc_u32 s12, 0, s67
	s_add_u32 s6, s6, s7
	s_addc_u32 s7, s12, 0
	;; [unrolled: 2-line block ×3, first 2 shown]
	s_add_u32 s66, s6, s11
	v_cmp_le_u64_e32 vcc, s[90:91], v[22:23]
	s_addc_u32 s67, s7, 0
	v_add_u32_e32 v20, v20, v2
	v_pk_mov_b32 v[4:5], s[8:9], s[8:9] op_sel:[0,1]
	v_pk_mov_b32 v[6:7], s[88:89], s[88:89] op_sel:[0,1]
	;; [unrolled: 1-line block ×3, first 2 shown]
	s_or_b64 s[60:61], vcc, s[60:61]
	v_pk_mov_b32 v[10:11], s[66:67], s[66:67] op_sel:[0,1]
	s_andn2_b64 exec, exec, s[60:61]
	s_cbranch_execnz .LBB94_72
; %bb.73:                               ;   in Loop: Header=BB94_22 Depth=1
	s_or_b64 exec, exec, s[60:61]
.LBB94_74:                              ;   in Loop: Header=BB94_22 Depth=1
	s_or_b64 exec, exec, s[62:63]
	v_add_u32_e32 v2, s90, v0
	v_cmp_gt_u32_e32 vcc, s72, v2
	s_and_saveexec_b64 s[8:9], vcc
	s_cbranch_execz .LBB94_78
; %bb.75:                               ;   in Loop: Header=BB94_22 Depth=1
	s_and_b32 s90, s72, 0x7fffffff
	s_and_b32 s20, s2, 0xfe
	v_lshlrev_b32_e32 v20, 2, v2
	s_mov_b64 s[18:19], 0
	v_pk_mov_b32 v[22:23], v[2:3], v[2:3] op_sel:[0,1]
.LBB94_76:                              ;   Parent Loop BB94_22 Depth=1
                                        ; =>  This Inner Loop Header: Depth=2
	ds_read_b32 v2, v20
	v_add_co_u32_e32 v22, vcc, v22, v19
	v_addc_co_u32_e32 v23, vcc, 0, v23, vcc
	s_waitcnt lgkmcnt(0)
	v_xor_b32_e32 v2, 0x80000000, v2
	v_and_b32_e32 v24, s26, v2
	v_bfe_u32 v2, v2, s20, 2
	v_cmp_eq_u32_e64 s[6:7], s27, v24
	v_cmp_eq_u32_e64 s[10:11], 0, v2
	;; [unrolled: 1-line block ×3, first 2 shown]
	s_and_b64 s[10:11], s[6:7], s[10:11]
	v_cmp_eq_u32_e64 s[14:15], 2, v2
	v_cmp_eq_u32_e64 s[16:17], 3, v2
	v_cndmask_b32_e64 v2, 0, 1, s[10:11]
	s_and_b64 s[10:11], s[6:7], s[12:13]
	v_cndmask_b32_e64 v24, 0, 1, s[10:11]
	s_and_b64 s[10:11], s[6:7], s[14:15]
	s_and_b64 s[6:7], s[6:7], s[16:17]
	v_cndmask_b32_e64 v25, 0, 1, s[10:11]
	v_cndmask_b32_e64 v34, 0, 1, s[6:7]
	v_cmp_ne_u32_e64 s[6:7], 0, v2
	v_cmp_ne_u32_e64 s[10:11], 0, v24
	;; [unrolled: 1-line block ×4, first 2 shown]
	v_cmp_le_u64_e32 vcc, s[90:91], v[22:23]
	s_bcnt1_i32_b64 s6, s[6:7]
	s_bcnt1_i32_b64 s7, s[10:11]
	;; [unrolled: 1-line block ×4, first 2 shown]
	s_or_b64 s[18:19], vcc, s[18:19]
	v_add_co_u32_e32 v4, vcc, s6, v4
	v_addc_co_u32_e32 v5, vcc, 0, v5, vcc
	v_add_co_u32_e32 v6, vcc, s7, v6
	v_addc_co_u32_e32 v7, vcc, 0, v7, vcc
	;; [unrolled: 2-line block ×3, first 2 shown]
	v_add_co_u32_e32 v10, vcc, s11, v10
	v_add_u32_e32 v20, s73, v20
	v_addc_co_u32_e32 v11, vcc, 0, v11, vcc
	s_andn2_b64 exec, exec, s[18:19]
	s_cbranch_execnz .LBB94_76
; %bb.77:                               ;   in Loop: Header=BB94_22 Depth=1
	s_or_b64 exec, exec, s[18:19]
.LBB94_78:                              ;   in Loop: Header=BB94_22 Depth=1
	s_or_b64 exec, exec, s[8:9]
.LBB94_79:                              ;   in Loop: Header=BB94_22 Depth=1
	s_lshl_b32 s8, s3, 6
	s_and_saveexec_b64 s[6:7], s[4:5]
	s_cbranch_execz .LBB94_81
; %bb.80:                               ;   in Loop: Header=BB94_22 Depth=1
	s_waitcnt vmcnt(0)
	v_or_b32_e32 v2, s8, v29
	v_lshlrev_b32_e32 v2, 3, v2
	ds_write_b128 v2, v[4:7] offset:3072
	ds_write_b128 v2, v[8:11] offset:3088
.LBB94_81:                              ;   in Loop: Header=BB94_22 Depth=1
	s_or_b64 exec, exec, s[6:7]
	s_waitcnt lgkmcnt(0)
	s_barrier
	s_and_saveexec_b64 s[6:7], s[94:95]
	s_cbranch_execz .LBB94_93
; %bb.82:                               ;   in Loop: Header=BB94_22 Depth=1
	v_readlane_b32 s10, v42, 42
	v_readlane_b32 s11, v42, 43
	s_andn2_b64 vcc, exec, s[10:11]
	v_pk_mov_b32 v[4:5], 0, 0
	s_cbranch_vccnz .LBB94_92
; %bb.83:                               ;   in Loop: Header=BB94_22 Depth=1
	v_readlane_b32 s10, v42, 46
	v_readlane_b32 s11, v42, 47
	s_andn2_b64 vcc, exec, s[10:11]
	s_cbranch_vccnz .LBB94_88
; %bb.84:                               ;   in Loop: Header=BB94_22 Depth=1
	s_waitcnt vmcnt(0)
	v_lshl_add_u32 v2, s3, 9, v32
	s_mov_b32 s9, 0
	v_pk_mov_b32 v[4:5], 0, 0
.LBB94_85:                              ;   Parent Loop BB94_22 Depth=1
                                        ; =>  This Inner Loop Header: Depth=2
	ds_read2_b64 v[6:9], v2 offset1:4
	ds_read2_b64 v[22:25], v2 offset0:8 offset1:12
	ds_read2_b64 v[34:37], v2 offset0:16 offset1:20
	ds_read2_b64 v[38:41], v2 offset0:24 offset1:28
	s_add_i32 s9, s9, 8
	s_waitcnt lgkmcnt(3)
	v_add_co_u32_e32 v4, vcc, v6, v4
	v_addc_co_u32_e32 v5, vcc, v7, v5, vcc
	v_add_co_u32_e32 v4, vcc, v8, v4
	v_addc_co_u32_e32 v5, vcc, v9, v5, vcc
	s_waitcnt lgkmcnt(2)
	v_add_co_u32_e32 v4, vcc, v22, v4
	v_addc_co_u32_e32 v5, vcc, v23, v5, vcc
	v_add_co_u32_e32 v4, vcc, v24, v4
	v_addc_co_u32_e32 v5, vcc, v25, v5, vcc
	;; [unrolled: 5-line block ×3, first 2 shown]
	s_waitcnt lgkmcnt(0)
	v_add_co_u32_e32 v4, vcc, v38, v4
	v_addc_co_u32_e32 v5, vcc, v39, v5, vcc
	v_add_co_u32_e32 v4, vcc, v40, v4
	v_add_u32_e32 v2, 0x100, v2
	s_cmp_eq_u32 s0, s9
	v_addc_co_u32_e32 v5, vcc, v41, v5, vcc
	s_cbranch_scc0 .LBB94_85
; %bb.86:                               ;   in Loop: Header=BB94_22 Depth=1
	s_mov_b32 s9, s0
	s_branch .LBB94_89
.LBB94_87:                              ;   in Loop: Header=BB94_22 Depth=1
                                        ; implicit-def: $vgpr4_vgpr5
	s_branch .LBB94_55
.LBB94_88:                              ;   in Loop: Header=BB94_22 Depth=1
	s_mov_b32 s9, 0
	v_pk_mov_b32 v[4:5], 0, 0
.LBB94_89:                              ;   in Loop: Header=BB94_22 Depth=1
	v_readlane_b32 s10, v42, 49
	v_readlane_b32 s11, v42, 50
	s_andn2_b64 vcc, exec, s[10:11]
	s_cbranch_vccnz .LBB94_92
; %bb.90:                               ;   in Loop: Header=BB94_22 Depth=1
	s_lshl_b32 s10, s3, 9
	s_lshl_b32 s9, s9, 5
	s_add_i32 s10, s10, s9
	s_waitcnt vmcnt(0)
	v_add_u32_e32 v2, s10, v32
	v_readlane_b32 s9, v42, 48
.LBB94_91:                              ;   Parent Loop BB94_22 Depth=1
                                        ; =>  This Inner Loop Header: Depth=2
	ds_read_b64 v[6:7], v2
	s_add_i32 s9, s9, -1
	v_add_u32_e32 v2, 32, v2
	s_cmp_lg_u32 s9, 0
	s_waitcnt lgkmcnt(0)
	v_add_co_u32_e32 v4, vcc, v6, v4
	v_addc_co_u32_e32 v5, vcc, v7, v5, vcc
	s_cbranch_scc1 .LBB94_91
.LBB94_92:                              ;   in Loop: Header=BB94_22 Depth=1
	s_waitcnt vmcnt(0)
	v_add_lshl_u32 v2, s8, v26, 3
	ds_write_b64 v2, v[4:5] offset:3072
.LBB94_93:                              ;   in Loop: Header=BB94_22 Depth=1
	s_or_b64 exec, exec, s[6:7]
	s_lshl_b32 s6, s8, 3
	s_waitcnt vmcnt(0)
	v_mov_b32_e32 v2, s6
	s_waitcnt lgkmcnt(0)
	s_barrier
	ds_read_b128 v[4:7], v2 offset:3072
	ds_read_b128 v[8:11], v2 offset:3088
	s_and_b32 s40, s2, 0xfe
	s_lshl_b32 s48, 3, s40
	s_not_b32 s41, s48
	s_waitcnt lgkmcnt(1)
	v_readfirstlane_b32 s15, v5
	v_readfirstlane_b32 s14, v4
	s_cmp_eq_u64 s[14:15], 1
	s_cselect_b64 s[6:7], -1, 0
	s_cmp_eq_u64 s[92:93], 1
	s_cselect_b64 s[8:9], -1, 0
	s_and_b64 s[20:21], s[6:7], s[8:9]
	v_readfirstlane_b32 s28, v6
	v_readfirstlane_b32 s29, v7
	s_waitcnt lgkmcnt(0)
	v_readfirstlane_b32 s16, v8
	v_readfirstlane_b32 s17, v9
	v_readfirstlane_b32 s10, v10
	v_readfirstlane_b32 s11, v11
	s_mov_b64 s[18:19], -1
	s_and_b64 vcc, exec, s[20:21]
	s_cbranch_vccz .LBB94_108
; %bb.94:                               ;   in Loop: Header=BB94_22 Depth=1
	ds_read_b64 v[4:5], v3 offset:5120
	s_waitcnt lgkmcnt(0)
	s_barrier
	v_readfirstlane_b32 s6, v4
	v_readfirstlane_b32 s7, v5
	s_mov_b64 s[8:9], exec
	v_readlane_b32 s12, v42, 38
	v_readlane_b32 s13, v42, 39
	s_and_b64 s[12:13], s[8:9], s[12:13]
	s_mov_b64 exec, s[12:13]
	s_cbranch_execz .LBB94_96
; %bb.95:                               ;   in Loop: Header=BB94_22 Depth=1
	ds_write_b32 v27, v3
.LBB94_96:                              ;   in Loop: Header=BB94_22 Depth=1
	s_or_b64 exec, exec, s[8:9]
	s_and_b32 s27, s27, s41
	s_or_b32 s26, s26, s48
	s_cmp_eq_u64 s[6:7], 0
	s_waitcnt lgkmcnt(0)
	s_barrier
	s_cbranch_scc1 .LBB94_109
; %bb.97:                               ;   in Loop: Header=BB94_22 Depth=1
	v_readlane_b32 s8, v42, 44
	s_add_u32 s22, s8, s6
	v_readlane_b32 s8, v42, 45
	s_addc_u32 s9, s8, s7
	s_mov_b32 s8, s91
	s_cmp_lg_u64 s[8:9], 0
	s_cbranch_scc0 .LBB94_154
; %bb.98:                               ;   in Loop: Header=BB94_22 Depth=1
	v_cvt_f32_u32_e32 v2, s55
	s_sub_u32 s8, 0, s55
	s_subb_u32 s12, 0, 0
	v_mac_f32_e32 v2, 0, v33
	v_rcp_f32_e32 v2, v2
	v_mul_f32_e32 v2, 0x5f7ffffc, v2
	v_mul_f32_e32 v4, 0x2f800000, v2
	v_trunc_f32_e32 v4, v4
	v_mac_f32_e32 v2, 0xcf800000, v4
	v_cvt_u32_f32_e32 v4, v4
	v_cvt_u32_f32_e32 v2, v2
	v_readfirstlane_b32 s13, v4
	v_readfirstlane_b32 s23, v2
	s_mul_i32 s24, s8, s13
	s_mul_hi_u32 s30, s8, s23
	s_mul_i32 s25, s12, s23
	s_add_i32 s24, s30, s24
	s_mul_i32 s31, s8, s23
	s_add_i32 s24, s24, s25
	s_mul_hi_u32 s30, s23, s31
	s_mul_hi_u32 s25, s23, s24
	s_mul_i32 s23, s23, s24
	s_add_u32 s23, s30, s23
	s_addc_u32 s25, 0, s25
	s_mul_hi_u32 s34, s13, s31
	s_mul_i32 s31, s13, s31
	s_add_u32 s23, s23, s31
	s_mul_hi_u32 s30, s13, s24
	s_addc_u32 s23, s25, s34
	s_addc_u32 s25, s30, 0
	s_mul_i32 s24, s13, s24
	s_add_u32 s23, s23, s24
	s_addc_u32 s24, 0, s25
	v_add_co_u32_e32 v2, vcc, s23, v2
	s_cmp_lg_u64 vcc, 0
	s_addc_u32 s13, s13, s24
	v_readfirstlane_b32 s24, v2
	s_mul_i32 s23, s8, s13
	s_mul_hi_u32 s25, s8, s24
	s_add_i32 s23, s25, s23
	s_mul_i32 s12, s12, s24
	s_add_i32 s23, s23, s12
	s_mul_i32 s8, s8, s24
	s_mul_hi_u32 s25, s13, s8
	s_mul_i32 s30, s13, s8
	s_mul_i32 s34, s24, s23
	s_mul_hi_u32 s8, s24, s8
	s_mul_hi_u32 s31, s24, s23
	s_add_u32 s8, s8, s34
	s_addc_u32 s24, 0, s31
	s_add_u32 s8, s8, s30
	s_mul_hi_u32 s12, s13, s23
	s_addc_u32 s8, s24, s25
	s_addc_u32 s12, s12, 0
	s_mul_i32 s23, s13, s23
	s_add_u32 s8, s8, s23
	s_addc_u32 s12, 0, s12
	v_add_co_u32_e32 v2, vcc, s8, v2
	s_cmp_lg_u64 vcc, 0
	s_addc_u32 s8, s13, s12
	v_readfirstlane_b32 s23, v2
	s_mul_i32 s13, s22, s8
	s_mul_hi_u32 s24, s22, s23
	s_mul_hi_u32 s12, s22, s8
	s_add_u32 s13, s24, s13
	s_addc_u32 s12, 0, s12
	s_mul_hi_u32 s25, s9, s23
	s_mul_i32 s23, s9, s23
	s_add_u32 s13, s13, s23
	s_mul_hi_u32 s24, s9, s8
	s_addc_u32 s12, s12, s25
	s_addc_u32 s13, s24, 0
	s_mul_i32 s8, s9, s8
	s_add_u32 s8, s12, s8
	s_addc_u32 s12, 0, s13
	s_mul_hi_u32 s13, s55, s8
	s_mul_i32 s8, s55, s8
	s_mul_i32 s12, s55, s12
	v_mov_b32_e32 v2, s8
	s_add_i32 s13, s13, s12
	v_sub_co_u32_e32 v2, vcc, s22, v2
	s_cmp_lg_u64 vcc, 0
	s_subb_u32 s8, s9, s13
	v_subrev_co_u32_e32 v4, vcc, s55, v2
	s_cmp_lg_u64 vcc, 0
	s_subb_u32 s12, s8, 0
	v_subrev_co_u32_e32 v5, vcc, s55, v4
	s_cmp_lg_u64 vcc, 0
	s_subb_u32 s13, s12, 0
	v_cmp_le_u32_e32 vcc, s55, v4
	s_cmp_eq_u32 s12, 0
	v_cndmask_b32_e64 v6, 0, -1, vcc
	s_cselect_b64 vcc, -1, 0
	v_cndmask_b32_e32 v6, -1, v6, vcc
	v_mov_b32_e32 v7, s12
	v_mov_b32_e32 v8, s13
	v_cmp_ne_u32_e32 vcc, 0, v6
	v_cndmask_b32_e32 v6, v7, v8, vcc
	v_cndmask_b32_e32 v4, v4, v5, vcc
	v_cmp_le_u32_e32 vcc, s55, v2
	s_cmp_eq_u32 s8, 0
	v_cndmask_b32_e64 v5, 0, -1, vcc
	s_cselect_b64 vcc, -1, 0
	v_cndmask_b32_e32 v5, -1, v5, vcc
	v_mov_b32_e32 v7, s8
	v_cmp_ne_u32_e32 vcc, 0, v5
	v_cndmask_b32_e32 v5, v7, v6, vcc
	v_cndmask_b32_e32 v4, v2, v4, vcc
	s_cbranch_execnz .LBB94_100
.LBB94_99:                              ;   in Loop: Header=BB94_22 Depth=1
	v_cvt_f32_u32_e32 v2, s55
	s_sub_i32 s8, 0, s55
	v_rcp_iflag_f32_e32 v2, v2
	v_mul_f32_e32 v2, 0x4f7ffffe, v2
	v_cvt_u32_f32_e32 v2, v2
	v_mul_lo_u32 v4, s8, v2
	v_mul_hi_u32 v4, v2, v4
	v_add_u32_e32 v2, v2, v4
	v_mul_hi_u32 v2, s22, v2
	v_mul_lo_u32 v2, v2, s55
	v_sub_u32_e32 v2, s22, v2
	v_subrev_u32_e32 v4, s55, v2
	v_cmp_le_u32_e32 vcc, s55, v2
	v_cndmask_b32_e32 v2, v2, v4, vcc
	v_subrev_u32_e32 v4, s55, v2
	v_cmp_le_u32_e32 vcc, s55, v2
	v_cndmask_b32_e32 v2, v2, v4, vcc
	v_pk_mov_b32 v[4:5], v[2:3], v[2:3] op_sel:[0,1]
.LBB94_100:                             ;   in Loop: Header=BB94_22 Depth=1
	v_mov_b32_e32 v2, s9
	v_sub_co_u32_e32 v4, vcc, s22, v4
	v_subb_co_u32_e32 v5, vcc, v2, v5, vcc
	v_cmp_gt_u64_e32 vcc, v[4:5], v[0:1]
	s_mov_b64 s[8:9], 0
                                        ; implicit-def: $vgpr21
	s_and_saveexec_b64 s[12:13], vcc
	s_cbranch_execz .LBB94_111
; %bb.101:                              ;   in Loop: Header=BB94_22 Depth=1
	v_mov_b32_e32 v2, v12
	v_pk_mov_b32 v[6:7], v[0:1], v[0:1] op_sel:[0,1]
                                        ; implicit-def: $sgpr22_sgpr23
	s_branch .LBB94_103
.LBB94_102:                             ;   in Loop: Header=BB94_103 Depth=2
	s_or_b64 exec, exec, s[24:25]
	s_waitcnt lgkmcnt(0)
	s_barrier
	ds_read_b64 v[20:21], v3 offset:3072
	v_mov_b32_e32 v8, s54
	v_add_co_u32_e32 v6, vcc, s55, v6
	v_addc_co_u32_e32 v7, vcc, v7, v8, vcc
	s_waitcnt lgkmcnt(0)
	v_readfirstlane_b32 s24, v20
	s_cmp_lg_u32 s24, 0
	s_cselect_b64 s[24:25], -1, 0
	v_cmp_ge_u64_e32 vcc, v[6:7], v[4:5]
	s_or_b64 s[30:31], vcc, s[24:25]
	s_and_b64 s[30:31], exec, s[30:31]
	s_or_b64 s[8:9], s[30:31], s[8:9]
	s_andn2_b64 s[22:23], s[22:23], exec
	s_and_b64 s[24:25], s[24:25], exec
	v_add_u32_e32 v2, s1, v2
	s_or_b64 s[22:23], s[22:23], s[24:25]
	s_barrier
	s_andn2_b64 exec, exec, s[8:9]
	s_cbranch_execz .LBB94_110
.LBB94_103:                             ;   Parent Loop BB94_22 Depth=1
                                        ; =>  This Inner Loop Header: Depth=2
	v_cmp_gt_u64_e32 vcc, s[6:7], v[6:7]
	v_mov_b32_e32 v19, 0
	s_and_saveexec_b64 s[24:25], vcc
	s_cbranch_execz .LBB94_105
; %bb.104:                              ;   in Loop: Header=BB94_103 Depth=2
	ds_read_b32 v19, v2
.LBB94_105:                             ;   in Loop: Header=BB94_103 Depth=2
	s_or_b64 exec, exec, s[24:25]
	s_and_saveexec_b64 s[24:25], vcc
	s_cbranch_execz .LBB94_102
; %bb.106:                              ;   in Loop: Header=BB94_103 Depth=2
	s_waitcnt lgkmcnt(0)
	v_xor_b32_e32 v8, 0x80000000, v19
	v_and_b32_e32 v8, s26, v8
	v_cmp_eq_u32_e32 vcc, s27, v8
	s_and_b64 exec, exec, vcc
	s_cbranch_execz .LBB94_102
; %bb.107:                              ;   in Loop: Header=BB94_103 Depth=2
	ds_write_b64 v3, v[18:19] offset:3072
	s_branch .LBB94_102
.LBB94_108:                             ;   in Loop: Header=BB94_22 Depth=1
	s_mov_b64 s[8:9], -1
                                        ; implicit-def: $sgpr6_sgpr7
                                        ; implicit-def: $sgpr22_sgpr23
                                        ; implicit-def: $sgpr12_sgpr13
	s_branch .LBB94_125
.LBB94_109:                             ;   in Loop: Header=BB94_22 Depth=1
	s_mov_b64 s[6:7], -1
	s_mov_b64 s[8:9], 0
                                        ; implicit-def: $sgpr12_sgpr13
                                        ; implicit-def: $vgpr21
	s_mov_b64 s[22:23], s[6:7]
	s_cbranch_execnz .LBB94_112
	s_branch .LBB94_125
.LBB94_110:                             ;   in Loop: Header=BB94_22 Depth=1
	s_or_b64 exec, exec, s[8:9]
	s_and_b64 s[8:9], s[22:23], exec
.LBB94_111:                             ;   in Loop: Header=BB94_22 Depth=1
	s_or_b64 exec, exec, s[12:13]
	s_mov_b64 s[12:13], -1
	s_mov_b64 s[6:7], 0
	s_mov_b64 s[22:23], s[6:7]
	s_branch .LBB94_125
.LBB94_112:                             ;   in Loop: Header=BB94_22 Depth=1
	s_mov_b32 s82, s91
	s_cmp_lg_u64 s[82:83], 0
	s_cbranch_scc0 .LBB94_158
; %bb.113:                              ;   in Loop: Header=BB94_22 Depth=1
	v_cvt_f32_u32_e32 v2, s55
	s_sub_u32 s6, 0, s55
	s_subb_u32 s7, 0, 0
	v_mac_f32_e32 v2, 0, v33
	v_rcp_f32_e32 v2, v2
	v_mul_f32_e32 v2, 0x5f7ffffc, v2
	v_mul_f32_e32 v4, 0x2f800000, v2
	v_trunc_f32_e32 v4, v4
	v_mac_f32_e32 v2, 0xcf800000, v4
	v_cvt_u32_f32_e32 v4, v4
	v_cvt_u32_f32_e32 v2, v2
	v_readfirstlane_b32 s8, v4
	v_readfirstlane_b32 s9, v2
	s_mul_i32 s12, s6, s8
	s_mul_hi_u32 s22, s6, s9
	s_mul_i32 s13, s7, s9
	s_add_i32 s12, s22, s12
	s_mul_i32 s23, s6, s9
	s_add_i32 s12, s12, s13
	s_mul_hi_u32 s22, s9, s23
	s_mul_hi_u32 s13, s9, s12
	s_mul_i32 s9, s9, s12
	s_add_u32 s9, s22, s9
	s_addc_u32 s13, 0, s13
	s_mul_hi_u32 s24, s8, s23
	s_mul_i32 s23, s8, s23
	s_add_u32 s9, s9, s23
	s_mul_hi_u32 s22, s8, s12
	s_addc_u32 s9, s13, s24
	s_addc_u32 s13, s22, 0
	s_mul_i32 s12, s8, s12
	s_add_u32 s9, s9, s12
	s_addc_u32 s12, 0, s13
	v_add_co_u32_e32 v2, vcc, s9, v2
	s_cmp_lg_u64 vcc, 0
	s_addc_u32 s8, s8, s12
	v_readfirstlane_b32 s12, v2
	s_mul_i32 s9, s6, s8
	s_mul_hi_u32 s13, s6, s12
	s_add_i32 s9, s13, s9
	s_mul_i32 s7, s7, s12
	s_add_i32 s9, s9, s7
	s_mul_i32 s6, s6, s12
	s_mul_hi_u32 s13, s8, s6
	s_mul_i32 s22, s8, s6
	s_mul_i32 s24, s12, s9
	s_mul_hi_u32 s6, s12, s6
	s_mul_hi_u32 s23, s12, s9
	s_add_u32 s6, s6, s24
	s_addc_u32 s12, 0, s23
	s_add_u32 s6, s6, s22
	s_mul_hi_u32 s7, s8, s9
	s_addc_u32 s6, s12, s13
	s_addc_u32 s7, s7, 0
	s_mul_i32 s9, s8, s9
	s_add_u32 s6, s6, s9
	s_addc_u32 s7, 0, s7
	v_add_co_u32_e32 v2, vcc, s6, v2
	s_cmp_lg_u64 vcc, 0
	s_addc_u32 s6, s8, s7
	v_readfirstlane_b32 s9, v2
	s_mul_i32 s8, s85, s6
	s_mul_hi_u32 s12, s85, s9
	s_mul_hi_u32 s7, s85, s6
	s_add_u32 s8, s12, s8
	s_addc_u32 s7, 0, s7
	s_mul_hi_u32 s13, s83, s9
	s_mul_i32 s9, s83, s9
	s_add_u32 s8, s8, s9
	s_mul_hi_u32 s12, s83, s6
	s_addc_u32 s7, s7, s13
	s_addc_u32 s8, s12, 0
	s_mul_i32 s6, s83, s6
	s_add_u32 s6, s7, s6
	s_addc_u32 s7, 0, s8
	s_mul_hi_u32 s8, s55, s6
	s_mul_i32 s6, s55, s6
	s_mul_i32 s7, s55, s7
	v_mov_b32_e32 v2, s6
	s_add_i32 s8, s8, s7
	v_sub_co_u32_e32 v2, vcc, s85, v2
	s_cmp_lg_u64 vcc, 0
	s_subb_u32 s6, s83, s8
	v_subrev_co_u32_e32 v4, vcc, s55, v2
	s_cmp_lg_u64 vcc, 0
	s_subb_u32 s7, s6, 0
	v_subrev_co_u32_e32 v5, vcc, s55, v4
	s_cmp_lg_u64 vcc, 0
	s_subb_u32 s8, s7, 0
	v_cmp_le_u32_e32 vcc, s55, v4
	s_cmp_eq_u32 s7, 0
	v_cndmask_b32_e64 v6, 0, -1, vcc
	s_cselect_b64 vcc, -1, 0
	v_cndmask_b32_e32 v6, -1, v6, vcc
	v_mov_b32_e32 v7, s7
	v_mov_b32_e32 v8, s8
	v_cmp_ne_u32_e32 vcc, 0, v6
	v_cndmask_b32_e32 v6, v7, v8, vcc
	v_cndmask_b32_e32 v4, v4, v5, vcc
	v_cmp_le_u32_e32 vcc, s55, v2
	s_cmp_eq_u32 s6, 0
	v_cndmask_b32_e64 v5, 0, -1, vcc
	s_cselect_b64 vcc, -1, 0
	v_cndmask_b32_e32 v5, -1, v5, vcc
	v_mov_b32_e32 v7, s6
	v_cmp_ne_u32_e32 vcc, 0, v5
	v_cndmask_b32_e32 v5, v7, v6, vcc
	v_cndmask_b32_e32 v4, v2, v4, vcc
	s_cbranch_execnz .LBB94_115
.LBB94_114:                             ;   in Loop: Header=BB94_22 Depth=1
	v_cvt_f32_u32_e32 v2, s55
	s_sub_i32 s6, 0, s55
	v_rcp_iflag_f32_e32 v2, v2
	v_mul_f32_e32 v2, 0x4f7ffffe, v2
	v_cvt_u32_f32_e32 v2, v2
	v_mul_lo_u32 v4, s6, v2
	v_mul_hi_u32 v4, v2, v4
	v_add_u32_e32 v2, v2, v4
	v_mul_hi_u32 v2, s85, v2
	v_mul_lo_u32 v2, v2, s55
	v_sub_u32_e32 v2, s85, v2
	v_subrev_u32_e32 v4, s55, v2
	v_cmp_le_u32_e32 vcc, s55, v2
	v_cndmask_b32_e32 v2, v2, v4, vcc
	v_subrev_u32_e32 v4, s55, v2
	v_cmp_le_u32_e32 vcc, s55, v2
	v_cndmask_b32_e32 v2, v2, v4, vcc
	v_pk_mov_b32 v[4:5], v[2:3], v[2:3] op_sel:[0,1]
.LBB94_115:                             ;   in Loop: Header=BB94_22 Depth=1
	v_mov_b32_e32 v2, s83
	v_sub_co_u32_e32 v4, vcc, s85, v4
	v_subb_co_u32_e32 v5, vcc, v2, v5, vcc
	v_cmp_gt_u64_e32 vcc, v[4:5], v[0:1]
	s_mov_b64 s[8:9], 0
                                        ; implicit-def: $vgpr21
	s_and_saveexec_b64 s[12:13], vcc
	s_cbranch_execz .LBB94_124
; %bb.116:                              ;   in Loop: Header=BB94_22 Depth=1
	v_pk_mov_b32 v[6:7], v[0:1], v[0:1] op_sel:[0,1]
                                        ; implicit-def: $sgpr22_sgpr23
	s_branch .LBB94_118
.LBB94_117:                             ;   in Loop: Header=BB94_118 Depth=2
	s_or_b64 exec, exec, s[6:7]
	s_waitcnt lgkmcnt(0)
	s_barrier
	ds_read_b64 v[20:21], v3 offset:3072
	v_mov_b32_e32 v2, s54
	v_add_co_u32_e32 v6, vcc, s55, v6
	v_addc_co_u32_e32 v7, vcc, v7, v2, vcc
	s_waitcnt lgkmcnt(0)
	v_readfirstlane_b32 s6, v20
	s_cmp_lg_u32 s6, 0
	s_cselect_b64 s[6:7], -1, 0
	v_cmp_ge_u64_e32 vcc, v[6:7], v[4:5]
	s_or_b64 s[24:25], vcc, s[6:7]
	s_and_b64 s[24:25], exec, s[24:25]
	s_or_b64 s[8:9], s[24:25], s[8:9]
	s_andn2_b64 s[22:23], s[22:23], exec
	s_and_b64 s[6:7], s[6:7], exec
	s_or_b64 s[22:23], s[22:23], s[6:7]
	s_barrier
	s_andn2_b64 exec, exec, s[8:9]
	s_cbranch_execz .LBB94_123
.LBB94_118:                             ;   Parent Loop BB94_22 Depth=1
                                        ; =>  This Inner Loop Header: Depth=2
	v_cmp_gt_u64_e32 vcc, s[52:53], v[6:7]
	s_waitcnt vmcnt(0)
	v_mov_b32_e32 v19, 0
	s_and_saveexec_b64 s[24:25], vcc
	s_cbranch_execz .LBB94_120
; %bb.119:                              ;   in Loop: Header=BB94_118 Depth=2
	v_mul_lo_u32 v2, v7, s80
	v_mul_lo_u32 v10, v6, s81
	v_mad_u64_u32 v[8:9], s[6:7], v6, s80, 0
	v_add3_u32 v9, v9, v10, v2
	v_lshlrev_b64 v[8:9], 2, v[8:9]
	v_mov_b32_e32 v2, s84
	v_add_co_u32_e64 v8, s[6:7], s33, v8
	v_addc_co_u32_e64 v9, s[6:7], v2, v9, s[6:7]
	global_load_dword v19, v[8:9], off
.LBB94_120:                             ;   in Loop: Header=BB94_118 Depth=2
	s_or_b64 exec, exec, s[24:25]
	s_and_saveexec_b64 s[6:7], vcc
	s_cbranch_execz .LBB94_117
; %bb.121:                              ;   in Loop: Header=BB94_118 Depth=2
	s_waitcnt vmcnt(0)
	v_xor_b32_e32 v2, 0x80000000, v19
	v_and_b32_e32 v2, s26, v2
	v_cmp_eq_u32_e32 vcc, s27, v2
	s_and_b64 exec, exec, vcc
	s_cbranch_execz .LBB94_117
; %bb.122:                              ;   in Loop: Header=BB94_118 Depth=2
	ds_write_b64 v3, v[18:19] offset:3072
	s_branch .LBB94_117
.LBB94_123:                             ;   in Loop: Header=BB94_22 Depth=1
	s_or_b64 exec, exec, s[8:9]
	s_and_b64 s[8:9], s[22:23], exec
.LBB94_124:                             ;   in Loop: Header=BB94_22 Depth=1
	s_or_b64 exec, exec, s[12:13]
	s_mov_b64 s[22:23], -1
	s_mov_b64 s[6:7], 0
	s_mov_b64 s[12:13], 0
.LBB94_125:                             ;   in Loop: Header=BB94_22 Depth=1
	s_andn2_b64 s[24:25], s[58:59], exec
	s_and_b64 s[6:7], s[6:7], exec
	s_or_b64 s[58:59], s[24:25], s[6:7]
	s_andn2_b64 s[6:7], s[56:57], exec
	s_and_b64 s[22:23], s[22:23], exec
	s_or_b64 s[56:57], s[6:7], s[22:23]
	;; [unrolled: 3-line block ×3, first 2 shown]
	s_and_saveexec_b64 s[12:13], s[8:9]
	s_cbranch_execz .LBB94_21
; %bb.126:                              ;   in Loop: Header=BB94_22 Depth=1
	s_xor_b64 s[6:7], s[20:21], -1
	s_andn2_b64 vcc, exec, s[6:7]
	s_mov_b32 s49, 1
	s_cbranch_vccnz .LBB94_137
; %bb.127:                              ;   in Loop: Header=BB94_22 Depth=1
	v_pk_mov_b32 v[4:5], s[14:15], s[14:15] op_sel:[0,1]
	v_cmp_gt_u64_e32 vcc, s[92:93], v[4:5]
	s_mov_b64 s[6:7], -1
                                        ; implicit-def: $sgpr49
                                        ; implicit-def: $sgpr8
                                        ; implicit-def: $sgpr9
	s_cbranch_vccnz .LBB94_133
; %bb.128:                              ;   in Loop: Header=BB94_22 Depth=1
	ds_read_b64 v[4:5], v3 offset:5120
	s_waitcnt lgkmcnt(0)
	v_cmp_ne_u64_e32 vcc, 0, v[4:5]
	s_cbranch_vccnz .LBB94_132
; %bb.129:                              ;   in Loop: Header=BB94_22 Depth=1
	s_mov_b64 s[6:7], exec
	v_readlane_b32 s8, v42, 28
	v_readlane_b32 s9, v42, 29
	s_and_b64 s[8:9], s[6:7], s[8:9]
	s_mov_b64 exec, s[8:9]
	s_cbranch_execz .LBB94_131
; %bb.130:                              ;   in Loop: Header=BB94_22 Depth=1
	v_pk_mov_b32 v[4:5], s[14:15], s[14:15] op_sel:[0,1]
	ds_write_b64 v3, v[4:5] offset:5128
.LBB94_131:                             ;   in Loop: Header=BB94_22 Depth=1
	s_or_b64 exec, exec, s[6:7]
	s_waitcnt lgkmcnt(0)
	s_barrier
.LBB94_132:                             ;   in Loop: Header=BB94_22 Depth=1
	s_and_b32 s8, s27, s41
	s_or_b32 s9, s26, s48
	s_mov_b64 s[6:7], 0
	s_mov_b32 s49, 8
.LBB94_133:                             ;   in Loop: Header=BB94_22 Depth=1
	s_andn2_b64 vcc, exec, s[6:7]
	s_cbranch_vccnz .LBB94_135
; %bb.134:                              ;   in Loop: Header=BB94_22 Depth=1
	s_sub_u32 s92, s92, s14
	s_subb_u32 s93, s93, s15
	s_mov_b64 s[6:7], -1
	s_mov_b32 s49, 0
	s_mov_b32 s8, s27
	s_mov_b32 s9, s26
.LBB94_135:                             ;   in Loop: Header=BB94_22 Depth=1
	s_mov_b32 s26, s9
	s_mov_b32 s27, s8
	s_mov_b64 s[14:15], -1
	s_and_b64 vcc, exec, s[6:7]
	s_cbranch_vccnz .LBB94_138
.LBB94_136:                             ;   in Loop: Header=BB94_22 Depth=1
	s_mov_b64 s[6:7], -1
                                        ; implicit-def: $sgpr18_sgpr19
                                        ; implicit-def: $sgpr22_sgpr23
                                        ; implicit-def: $sgpr20_sgpr21
	s_and_saveexec_b64 s[8:9], s[6:7]
	s_xor_b64 s[6:7], exec, s[8:9]
	s_cbranch_execz .LBB94_20
	s_branch .LBB94_287
.LBB94_137:                             ;   in Loop: Header=BB94_22 Depth=1
	s_mov_b64 s[92:93], 1
	s_mov_b64 s[14:15], -1
	s_branch .LBB94_136
.LBB94_138:                             ;   in Loop: Header=BB94_22 Depth=1
	s_cmp_eq_u64 s[28:29], 1
	s_cselect_b64 s[6:7], -1, 0
	s_cmp_eq_u64 s[92:93], 1
	s_cselect_b64 s[8:9], -1, 0
	s_and_b64 s[30:31], s[6:7], s[8:9]
	s_mov_b64 s[8:9], -1
	s_and_b64 vcc, exec, s[30:31]
	s_cbranch_vccz .LBB94_153
; %bb.139:                              ;   in Loop: Header=BB94_22 Depth=1
	ds_read_b64 v[4:5], v3 offset:5120
	s_waitcnt lgkmcnt(0)
	s_barrier
	v_readfirstlane_b32 s6, v4
	v_readfirstlane_b32 s7, v5
	s_mov_b64 s[8:9], exec
	v_readlane_b32 s18, v42, 38
	v_readlane_b32 s19, v42, 39
	s_and_b64 s[18:19], s[8:9], s[18:19]
	s_mov_b64 exec, s[18:19]
	s_cbranch_execz .LBB94_141
; %bb.140:                              ;   in Loop: Header=BB94_22 Depth=1
	ds_write_b32 v27, v3
.LBB94_141:                             ;   in Loop: Header=BB94_22 Depth=1
	s_or_b64 exec, exec, s[8:9]
	s_lshl_b32 s8, 1, s40
	s_and_b32 s9, s27, s41
	s_or_b32 s27, s9, s8
	s_or_b32 s26, s26, s48
	s_cmp_eq_u64 s[6:7], 0
	s_waitcnt lgkmcnt(0)
	s_barrier
	s_cbranch_scc1 .LBB94_159
; %bb.142:                              ;   in Loop: Header=BB94_22 Depth=1
	v_readlane_b32 s8, v42, 44
	s_add_u32 s20, s8, s6
	v_readlane_b32 s8, v42, 45
	s_addc_u32 s9, s8, s7
	s_mov_b32 s8, s91
	s_cmp_lg_u64 s[8:9], 0
	s_cbranch_scc0 .LBB94_204
; %bb.143:                              ;   in Loop: Header=BB94_22 Depth=1
	v_cvt_f32_u32_e32 v2, s55
	s_sub_u32 s8, 0, s55
	s_subb_u32 s18, 0, 0
	v_mac_f32_e32 v2, 0, v33
	v_rcp_f32_e32 v2, v2
	v_mul_f32_e32 v2, 0x5f7ffffc, v2
	v_mul_f32_e32 v4, 0x2f800000, v2
	v_trunc_f32_e32 v4, v4
	v_mac_f32_e32 v2, 0xcf800000, v4
	v_cvt_u32_f32_e32 v4, v4
	v_cvt_u32_f32_e32 v2, v2
	v_readfirstlane_b32 s19, v4
	v_readfirstlane_b32 s21, v2
	s_mul_i32 s22, s8, s19
	s_mul_hi_u32 s24, s8, s21
	s_mul_i32 s23, s18, s21
	s_add_i32 s22, s24, s22
	s_mul_i32 s25, s8, s21
	s_add_i32 s22, s22, s23
	s_mul_hi_u32 s24, s21, s25
	s_mul_hi_u32 s23, s21, s22
	s_mul_i32 s21, s21, s22
	s_add_u32 s21, s24, s21
	s_addc_u32 s23, 0, s23
	s_mul_hi_u32 s34, s19, s25
	s_mul_i32 s25, s19, s25
	s_add_u32 s21, s21, s25
	s_mul_hi_u32 s24, s19, s22
	s_addc_u32 s21, s23, s34
	s_addc_u32 s23, s24, 0
	s_mul_i32 s22, s19, s22
	s_add_u32 s21, s21, s22
	s_addc_u32 s22, 0, s23
	v_add_co_u32_e32 v2, vcc, s21, v2
	s_cmp_lg_u64 vcc, 0
	s_addc_u32 s19, s19, s22
	v_readfirstlane_b32 s22, v2
	s_mul_i32 s21, s8, s19
	s_mul_hi_u32 s23, s8, s22
	s_add_i32 s21, s23, s21
	s_mul_i32 s18, s18, s22
	s_add_i32 s21, s21, s18
	s_mul_i32 s8, s8, s22
	s_mul_hi_u32 s23, s19, s8
	s_mul_i32 s24, s19, s8
	s_mul_i32 s34, s22, s21
	s_mul_hi_u32 s8, s22, s8
	s_mul_hi_u32 s25, s22, s21
	s_add_u32 s8, s8, s34
	s_addc_u32 s22, 0, s25
	s_add_u32 s8, s8, s24
	s_mul_hi_u32 s18, s19, s21
	s_addc_u32 s8, s22, s23
	s_addc_u32 s18, s18, 0
	s_mul_i32 s21, s19, s21
	s_add_u32 s8, s8, s21
	s_addc_u32 s18, 0, s18
	v_add_co_u32_e32 v2, vcc, s8, v2
	s_cmp_lg_u64 vcc, 0
	s_addc_u32 s8, s19, s18
	v_readfirstlane_b32 s21, v2
	s_mul_i32 s19, s20, s8
	s_mul_hi_u32 s22, s20, s21
	s_mul_hi_u32 s18, s20, s8
	s_add_u32 s19, s22, s19
	s_addc_u32 s18, 0, s18
	s_mul_hi_u32 s23, s9, s21
	s_mul_i32 s21, s9, s21
	s_add_u32 s19, s19, s21
	s_mul_hi_u32 s22, s9, s8
	s_addc_u32 s18, s18, s23
	s_addc_u32 s19, s22, 0
	s_mul_i32 s8, s9, s8
	s_add_u32 s8, s18, s8
	s_addc_u32 s18, 0, s19
	s_mul_hi_u32 s19, s55, s8
	s_mul_i32 s8, s55, s8
	s_mul_i32 s18, s55, s18
	v_mov_b32_e32 v2, s8
	s_add_i32 s19, s19, s18
	v_sub_co_u32_e32 v2, vcc, s20, v2
	s_cmp_lg_u64 vcc, 0
	s_subb_u32 s8, s9, s19
	v_subrev_co_u32_e32 v4, vcc, s55, v2
	s_cmp_lg_u64 vcc, 0
	s_subb_u32 s18, s8, 0
	v_subrev_co_u32_e32 v5, vcc, s55, v4
	s_cmp_lg_u64 vcc, 0
	s_subb_u32 s19, s18, 0
	v_cmp_le_u32_e32 vcc, s55, v4
	s_cmp_eq_u32 s18, 0
	v_cndmask_b32_e64 v6, 0, -1, vcc
	s_cselect_b64 vcc, -1, 0
	v_cndmask_b32_e32 v6, -1, v6, vcc
	v_mov_b32_e32 v7, s18
	v_mov_b32_e32 v8, s19
	v_cmp_ne_u32_e32 vcc, 0, v6
	v_cndmask_b32_e32 v6, v7, v8, vcc
	v_cndmask_b32_e32 v4, v4, v5, vcc
	v_cmp_le_u32_e32 vcc, s55, v2
	s_cmp_eq_u32 s8, 0
	v_cndmask_b32_e64 v5, 0, -1, vcc
	s_cselect_b64 vcc, -1, 0
	v_cndmask_b32_e32 v5, -1, v5, vcc
	v_mov_b32_e32 v7, s8
	v_cmp_ne_u32_e32 vcc, 0, v5
	v_cndmask_b32_e32 v5, v7, v6, vcc
	v_cndmask_b32_e32 v4, v2, v4, vcc
	s_cbranch_execnz .LBB94_145
.LBB94_144:                             ;   in Loop: Header=BB94_22 Depth=1
	v_cvt_f32_u32_e32 v2, s55
	s_sub_i32 s8, 0, s55
	v_rcp_iflag_f32_e32 v2, v2
	v_mul_f32_e32 v2, 0x4f7ffffe, v2
	v_cvt_u32_f32_e32 v2, v2
	v_mul_lo_u32 v4, s8, v2
	v_mul_hi_u32 v4, v2, v4
	v_add_u32_e32 v2, v2, v4
	v_mul_hi_u32 v2, s20, v2
	v_mul_lo_u32 v2, v2, s55
	v_sub_u32_e32 v2, s20, v2
	v_subrev_u32_e32 v4, s55, v2
	v_cmp_le_u32_e32 vcc, s55, v2
	v_cndmask_b32_e32 v2, v2, v4, vcc
	v_subrev_u32_e32 v4, s55, v2
	v_cmp_le_u32_e32 vcc, s55, v2
	v_cndmask_b32_e32 v2, v2, v4, vcc
	v_pk_mov_b32 v[4:5], v[2:3], v[2:3] op_sel:[0,1]
.LBB94_145:                             ;   in Loop: Header=BB94_22 Depth=1
	v_mov_b32_e32 v2, s9
	v_sub_co_u32_e32 v4, vcc, s20, v4
	v_subb_co_u32_e32 v5, vcc, v2, v5, vcc
	v_cmp_gt_u64_e32 vcc, v[4:5], v[0:1]
	s_mov_b64 s[8:9], 0
                                        ; implicit-def: $vgpr21
	s_and_saveexec_b64 s[18:19], vcc
	s_cbranch_execz .LBB94_161
; %bb.146:                              ;   in Loop: Header=BB94_22 Depth=1
	v_mov_b32_e32 v2, v12
	v_pk_mov_b32 v[6:7], v[0:1], v[0:1] op_sel:[0,1]
                                        ; implicit-def: $sgpr20_sgpr21
	s_branch .LBB94_148
.LBB94_147:                             ;   in Loop: Header=BB94_148 Depth=2
	s_or_b64 exec, exec, s[22:23]
	s_waitcnt lgkmcnt(0)
	s_barrier
	ds_read_b64 v[20:21], v3 offset:3072
	v_mov_b32_e32 v8, s54
	v_add_co_u32_e32 v6, vcc, s55, v6
	v_addc_co_u32_e32 v7, vcc, v7, v8, vcc
	s_waitcnt lgkmcnt(0)
	v_readfirstlane_b32 s22, v20
	s_cmp_lg_u32 s22, 0
	s_cselect_b64 s[22:23], -1, 0
	v_cmp_ge_u64_e32 vcc, v[6:7], v[4:5]
	s_or_b64 s[24:25], vcc, s[22:23]
	s_and_b64 s[24:25], exec, s[24:25]
	s_or_b64 s[8:9], s[24:25], s[8:9]
	s_andn2_b64 s[20:21], s[20:21], exec
	s_and_b64 s[22:23], s[22:23], exec
	v_add_u32_e32 v2, s1, v2
	s_or_b64 s[20:21], s[20:21], s[22:23]
	s_barrier
	s_andn2_b64 exec, exec, s[8:9]
	s_cbranch_execz .LBB94_160
.LBB94_148:                             ;   Parent Loop BB94_22 Depth=1
                                        ; =>  This Inner Loop Header: Depth=2
	v_cmp_gt_u64_e32 vcc, s[6:7], v[6:7]
	s_waitcnt vmcnt(0)
	v_mov_b32_e32 v19, 0
	s_and_saveexec_b64 s[22:23], vcc
	s_cbranch_execz .LBB94_150
; %bb.149:                              ;   in Loop: Header=BB94_148 Depth=2
	ds_read_b32 v19, v2
.LBB94_150:                             ;   in Loop: Header=BB94_148 Depth=2
	s_or_b64 exec, exec, s[22:23]
	s_and_saveexec_b64 s[22:23], vcc
	s_cbranch_execz .LBB94_147
; %bb.151:                              ;   in Loop: Header=BB94_148 Depth=2
	s_waitcnt lgkmcnt(0)
	v_xor_b32_e32 v8, 0x80000000, v19
	v_and_b32_e32 v8, s26, v8
	v_cmp_eq_u32_e32 vcc, s27, v8
	s_and_b64 exec, exec, vcc
	s_cbranch_execz .LBB94_147
; %bb.152:                              ;   in Loop: Header=BB94_148 Depth=2
	ds_write_b64 v3, v[18:19] offset:3072
	s_branch .LBB94_147
.LBB94_153:                             ;   in Loop: Header=BB94_22 Depth=1
                                        ; implicit-def: $sgpr20_sgpr21
                                        ; implicit-def: $sgpr22_sgpr23
                                        ; implicit-def: $sgpr18_sgpr19
	s_branch .LBB94_175
.LBB94_154:                             ;   in Loop: Header=BB94_22 Depth=1
                                        ; implicit-def: $vgpr4_vgpr5
	s_branch .LBB94_99
.LBB94_155:                             ;   in Loop: Header=BB94_22 Depth=1
	s_or_b64 exec, exec, s[8:9]
	s_waitcnt lgkmcnt(0)
	s_barrier
	s_mov_b64 s[6:7], exec
	v_readlane_b32 s8, v42, 28
	v_readlane_b32 s9, v42, 29
	s_and_b64 s[8:9], s[6:7], s[8:9]
	s_mov_b64 exec, s[8:9]
	s_cbranch_execz .LBB94_157
; %bb.156:                              ;   in Loop: Header=BB94_22 Depth=1
	ds_read_b32 v4, v3 offset:5144
	s_waitcnt lgkmcnt(0)
	v_ashrrev_i32_e32 v5, 31, v4
	ds_write_b64 v3, v[4:5] offset:5120
.LBB94_157:                             ;   in Loop: Header=BB94_22 Depth=1
	s_or_b64 exec, exec, s[6:7]
	s_waitcnt lgkmcnt(0)
	s_barrier
	s_mov_b64 s[6:7], -1
	s_and_b64 vcc, exec, s[72:73]
	s_cbranch_vccnz .LBB94_40
	s_branch .LBB94_50
.LBB94_158:                             ;   in Loop: Header=BB94_22 Depth=1
                                        ; implicit-def: $vgpr4_vgpr5
	s_branch .LBB94_114
.LBB94_159:                             ;   in Loop: Header=BB94_22 Depth=1
	s_mov_b64 s[20:21], -1
	s_mov_b64 s[8:9], 0
                                        ; implicit-def: $sgpr18_sgpr19
                                        ; implicit-def: $vgpr21
	s_mov_b64 s[22:23], s[20:21]
	s_cbranch_execnz .LBB94_162
	s_branch .LBB94_175
.LBB94_160:                             ;   in Loop: Header=BB94_22 Depth=1
	s_or_b64 exec, exec, s[8:9]
	s_and_b64 s[8:9], s[20:21], exec
.LBB94_161:                             ;   in Loop: Header=BB94_22 Depth=1
	s_or_b64 exec, exec, s[18:19]
	s_mov_b64 s[18:19], -1
	s_mov_b64 s[20:21], 0
	s_mov_b64 s[22:23], s[20:21]
	s_branch .LBB94_175
.LBB94_162:                             ;   in Loop: Header=BB94_22 Depth=1
	s_mov_b32 s82, s91
	s_cmp_lg_u64 s[82:83], 0
	s_cbranch_scc0 .LBB94_205
; %bb.163:                              ;   in Loop: Header=BB94_22 Depth=1
	v_cvt_f32_u32_e32 v2, s55
	s_sub_u32 s6, 0, s55
	s_subb_u32 s7, 0, 0
	v_mac_f32_e32 v2, 0, v33
	v_rcp_f32_e32 v2, v2
	v_mul_f32_e32 v2, 0x5f7ffffc, v2
	v_mul_f32_e32 v4, 0x2f800000, v2
	v_trunc_f32_e32 v4, v4
	v_mac_f32_e32 v2, 0xcf800000, v4
	v_cvt_u32_f32_e32 v4, v4
	v_cvt_u32_f32_e32 v2, v2
	v_readfirstlane_b32 s8, v4
	v_readfirstlane_b32 s9, v2
	s_mul_i32 s18, s6, s8
	s_mul_hi_u32 s20, s6, s9
	s_mul_i32 s19, s7, s9
	s_add_i32 s18, s20, s18
	s_mul_i32 s21, s6, s9
	s_add_i32 s18, s18, s19
	s_mul_hi_u32 s20, s9, s21
	s_mul_hi_u32 s19, s9, s18
	s_mul_i32 s9, s9, s18
	s_add_u32 s9, s20, s9
	s_addc_u32 s19, 0, s19
	s_mul_hi_u32 s22, s8, s21
	s_mul_i32 s21, s8, s21
	s_add_u32 s9, s9, s21
	s_mul_hi_u32 s20, s8, s18
	s_addc_u32 s9, s19, s22
	s_addc_u32 s19, s20, 0
	s_mul_i32 s18, s8, s18
	s_add_u32 s9, s9, s18
	s_addc_u32 s18, 0, s19
	v_add_co_u32_e32 v2, vcc, s9, v2
	s_cmp_lg_u64 vcc, 0
	s_addc_u32 s8, s8, s18
	v_readfirstlane_b32 s18, v2
	s_mul_i32 s9, s6, s8
	s_mul_hi_u32 s19, s6, s18
	s_add_i32 s9, s19, s9
	s_mul_i32 s7, s7, s18
	s_add_i32 s9, s9, s7
	s_mul_i32 s6, s6, s18
	s_mul_hi_u32 s19, s8, s6
	s_mul_i32 s20, s8, s6
	s_mul_i32 s22, s18, s9
	s_mul_hi_u32 s6, s18, s6
	s_mul_hi_u32 s21, s18, s9
	s_add_u32 s6, s6, s22
	s_addc_u32 s18, 0, s21
	s_add_u32 s6, s6, s20
	s_mul_hi_u32 s7, s8, s9
	s_addc_u32 s6, s18, s19
	s_addc_u32 s7, s7, 0
	s_mul_i32 s9, s8, s9
	s_add_u32 s6, s6, s9
	s_addc_u32 s7, 0, s7
	v_add_co_u32_e32 v2, vcc, s6, v2
	s_cmp_lg_u64 vcc, 0
	s_addc_u32 s6, s8, s7
	v_readfirstlane_b32 s9, v2
	s_mul_i32 s8, s85, s6
	s_mul_hi_u32 s18, s85, s9
	s_mul_hi_u32 s7, s85, s6
	s_add_u32 s8, s18, s8
	s_addc_u32 s7, 0, s7
	s_mul_hi_u32 s19, s83, s9
	s_mul_i32 s9, s83, s9
	s_add_u32 s8, s8, s9
	s_mul_hi_u32 s18, s83, s6
	s_addc_u32 s7, s7, s19
	s_addc_u32 s8, s18, 0
	s_mul_i32 s6, s83, s6
	s_add_u32 s6, s7, s6
	s_addc_u32 s7, 0, s8
	s_mul_hi_u32 s8, s55, s6
	s_mul_i32 s6, s55, s6
	s_mul_i32 s7, s55, s7
	v_mov_b32_e32 v2, s6
	s_add_i32 s8, s8, s7
	v_sub_co_u32_e32 v2, vcc, s85, v2
	s_cmp_lg_u64 vcc, 0
	s_subb_u32 s6, s83, s8
	v_subrev_co_u32_e32 v4, vcc, s55, v2
	s_cmp_lg_u64 vcc, 0
	s_subb_u32 s7, s6, 0
	v_subrev_co_u32_e32 v5, vcc, s55, v4
	s_cmp_lg_u64 vcc, 0
	s_subb_u32 s8, s7, 0
	v_cmp_le_u32_e32 vcc, s55, v4
	s_cmp_eq_u32 s7, 0
	v_cndmask_b32_e64 v6, 0, -1, vcc
	s_cselect_b64 vcc, -1, 0
	v_cndmask_b32_e32 v6, -1, v6, vcc
	v_mov_b32_e32 v7, s7
	v_mov_b32_e32 v8, s8
	v_cmp_ne_u32_e32 vcc, 0, v6
	v_cndmask_b32_e32 v6, v7, v8, vcc
	v_cndmask_b32_e32 v4, v4, v5, vcc
	v_cmp_le_u32_e32 vcc, s55, v2
	s_cmp_eq_u32 s6, 0
	v_cndmask_b32_e64 v5, 0, -1, vcc
	s_cselect_b64 vcc, -1, 0
	v_cndmask_b32_e32 v5, -1, v5, vcc
	v_mov_b32_e32 v7, s6
	v_cmp_ne_u32_e32 vcc, 0, v5
	v_cndmask_b32_e32 v5, v7, v6, vcc
	v_cndmask_b32_e32 v4, v2, v4, vcc
	s_cbranch_execnz .LBB94_165
.LBB94_164:                             ;   in Loop: Header=BB94_22 Depth=1
	v_cvt_f32_u32_e32 v2, s55
	s_sub_i32 s6, 0, s55
	v_rcp_iflag_f32_e32 v2, v2
	v_mul_f32_e32 v2, 0x4f7ffffe, v2
	v_cvt_u32_f32_e32 v2, v2
	v_mul_lo_u32 v4, s6, v2
	v_mul_hi_u32 v4, v2, v4
	v_add_u32_e32 v2, v2, v4
	v_mul_hi_u32 v2, s85, v2
	v_mul_lo_u32 v2, v2, s55
	v_sub_u32_e32 v2, s85, v2
	v_subrev_u32_e32 v4, s55, v2
	v_cmp_le_u32_e32 vcc, s55, v2
	v_cndmask_b32_e32 v2, v2, v4, vcc
	v_subrev_u32_e32 v4, s55, v2
	v_cmp_le_u32_e32 vcc, s55, v2
	v_cndmask_b32_e32 v2, v2, v4, vcc
	v_pk_mov_b32 v[4:5], v[2:3], v[2:3] op_sel:[0,1]
.LBB94_165:                             ;   in Loop: Header=BB94_22 Depth=1
	v_mov_b32_e32 v2, s83
	v_sub_co_u32_e32 v4, vcc, s85, v4
	v_subb_co_u32_e32 v5, vcc, v2, v5, vcc
	v_cmp_gt_u64_e32 vcc, v[4:5], v[0:1]
	s_mov_b64 s[8:9], 0
                                        ; implicit-def: $vgpr21
	s_and_saveexec_b64 s[18:19], vcc
	s_cbranch_execz .LBB94_174
; %bb.166:                              ;   in Loop: Header=BB94_22 Depth=1
	v_pk_mov_b32 v[6:7], v[0:1], v[0:1] op_sel:[0,1]
                                        ; implicit-def: $sgpr20_sgpr21
	s_branch .LBB94_168
.LBB94_167:                             ;   in Loop: Header=BB94_168 Depth=2
	s_or_b64 exec, exec, s[6:7]
	s_waitcnt lgkmcnt(0)
	s_barrier
	ds_read_b64 v[20:21], v3 offset:3072
	v_mov_b32_e32 v2, s54
	v_add_co_u32_e32 v6, vcc, s55, v6
	v_addc_co_u32_e32 v7, vcc, v7, v2, vcc
	s_waitcnt lgkmcnt(0)
	v_readfirstlane_b32 s6, v20
	s_cmp_lg_u32 s6, 0
	s_cselect_b64 s[6:7], -1, 0
	v_cmp_ge_u64_e32 vcc, v[6:7], v[4:5]
	s_or_b64 s[22:23], vcc, s[6:7]
	s_and_b64 s[22:23], exec, s[22:23]
	s_or_b64 s[8:9], s[22:23], s[8:9]
	s_andn2_b64 s[20:21], s[20:21], exec
	s_and_b64 s[6:7], s[6:7], exec
	s_or_b64 s[20:21], s[20:21], s[6:7]
	s_barrier
	s_andn2_b64 exec, exec, s[8:9]
	s_cbranch_execz .LBB94_173
.LBB94_168:                             ;   Parent Loop BB94_22 Depth=1
                                        ; =>  This Inner Loop Header: Depth=2
	v_cmp_gt_u64_e32 vcc, s[52:53], v[6:7]
	s_waitcnt vmcnt(0)
	v_mov_b32_e32 v19, 0
	s_and_saveexec_b64 s[22:23], vcc
	s_cbranch_execz .LBB94_170
; %bb.169:                              ;   in Loop: Header=BB94_168 Depth=2
	v_mul_lo_u32 v2, v7, s80
	v_mul_lo_u32 v10, v6, s81
	v_mad_u64_u32 v[8:9], s[6:7], v6, s80, 0
	v_add3_u32 v9, v9, v10, v2
	v_lshlrev_b64 v[8:9], 2, v[8:9]
	v_mov_b32_e32 v2, s84
	v_add_co_u32_e64 v8, s[6:7], s33, v8
	v_addc_co_u32_e64 v9, s[6:7], v2, v9, s[6:7]
	global_load_dword v19, v[8:9], off
.LBB94_170:                             ;   in Loop: Header=BB94_168 Depth=2
	s_or_b64 exec, exec, s[22:23]
	s_and_saveexec_b64 s[6:7], vcc
	s_cbranch_execz .LBB94_167
; %bb.171:                              ;   in Loop: Header=BB94_168 Depth=2
	s_waitcnt vmcnt(0)
	v_xor_b32_e32 v2, 0x80000000, v19
	v_and_b32_e32 v2, s26, v2
	v_cmp_eq_u32_e32 vcc, s27, v2
	s_and_b64 exec, exec, vcc
	s_cbranch_execz .LBB94_167
; %bb.172:                              ;   in Loop: Header=BB94_168 Depth=2
	ds_write_b64 v3, v[18:19] offset:3072
	s_branch .LBB94_167
.LBB94_173:                             ;   in Loop: Header=BB94_22 Depth=1
	s_or_b64 exec, exec, s[8:9]
	s_and_b64 s[8:9], s[20:21], exec
.LBB94_174:                             ;   in Loop: Header=BB94_22 Depth=1
	s_or_b64 exec, exec, s[18:19]
	s_mov_b64 s[22:23], -1
	s_mov_b64 s[20:21], 0
	s_mov_b64 s[18:19], 0
.LBB94_175:                             ;   in Loop: Header=BB94_22 Depth=1
	s_mov_b64 s[6:7], 0
                                        ; implicit-def: $sgpr49
	s_and_saveexec_b64 s[24:25], s[8:9]
	s_cbranch_execz .LBB94_286
; %bb.176:                              ;   in Loop: Header=BB94_22 Depth=1
	s_xor_b64 s[6:7], s[30:31], -1
	s_andn2_b64 vcc, exec, s[6:7]
	s_mov_b32 s49, 1
	s_cbranch_vccnz .LBB94_187
; %bb.177:                              ;   in Loop: Header=BB94_22 Depth=1
	v_pk_mov_b32 v[4:5], s[28:29], s[28:29] op_sel:[0,1]
	v_cmp_gt_u64_e32 vcc, s[92:93], v[4:5]
	s_mov_b64 s[6:7], -1
                                        ; implicit-def: $sgpr49
                                        ; implicit-def: $sgpr8
                                        ; implicit-def: $sgpr9
	s_cbranch_vccnz .LBB94_183
; %bb.178:                              ;   in Loop: Header=BB94_22 Depth=1
	ds_read_b64 v[4:5], v3 offset:5120
	s_waitcnt lgkmcnt(0)
	v_cmp_ne_u64_e32 vcc, 0, v[4:5]
	s_cbranch_vccnz .LBB94_182
; %bb.179:                              ;   in Loop: Header=BB94_22 Depth=1
	s_mov_b64 s[6:7], exec
	v_readlane_b32 s8, v42, 28
	v_readlane_b32 s9, v42, 29
	s_and_b64 s[8:9], s[6:7], s[8:9]
	s_mov_b64 exec, s[8:9]
	s_cbranch_execz .LBB94_181
; %bb.180:                              ;   in Loop: Header=BB94_22 Depth=1
	v_pk_mov_b32 v[4:5], s[28:29], s[28:29] op_sel:[0,1]
	ds_write_b64 v3, v[4:5] offset:5128
.LBB94_181:                             ;   in Loop: Header=BB94_22 Depth=1
	s_or_b64 exec, exec, s[6:7]
	s_waitcnt lgkmcnt(0)
	s_barrier
.LBB94_182:                             ;   in Loop: Header=BB94_22 Depth=1
	s_lshl_b32 s6, 1, s40
	s_and_b32 s7, s27, s41
	s_or_b32 s8, s7, s6
	s_or_b32 s9, s26, s48
	s_mov_b64 s[6:7], 0
	s_mov_b32 s49, 8
.LBB94_183:                             ;   in Loop: Header=BB94_22 Depth=1
	s_andn2_b64 vcc, exec, s[6:7]
	s_cbranch_vccnz .LBB94_185
; %bb.184:                              ;   in Loop: Header=BB94_22 Depth=1
	s_sub_u32 s92, s92, s28
	s_subb_u32 s93, s93, s29
	s_mov_b64 s[6:7], -1
	s_mov_b32 s49, 0
	s_mov_b32 s8, s27
	;; [unrolled: 1-line block ×3, first 2 shown]
.LBB94_185:                             ;   in Loop: Header=BB94_22 Depth=1
	s_mov_b32 s26, s9
	s_mov_b32 s27, s8
	s_andn2_b64 vcc, exec, s[6:7]
	s_mov_b64 s[6:7], -1
	s_cbranch_vccz .LBB94_188
.LBB94_186:                             ;   in Loop: Header=BB94_22 Depth=1
                                        ; implicit-def: $sgpr30_sgpr31
                                        ; implicit-def: $sgpr34_sgpr35
                                        ; implicit-def: $sgpr28_sgpr29
	s_branch .LBB94_285
.LBB94_187:                             ;   in Loop: Header=BB94_22 Depth=1
	s_mov_b64 s[92:93], 1
	s_mov_b64 s[6:7], -1
	s_cbranch_execnz .LBB94_186
.LBB94_188:                             ;   in Loop: Header=BB94_22 Depth=1
	s_cmp_eq_u64 s[16:17], 1
	s_cselect_b64 s[6:7], -1, 0
	s_cmp_eq_u64 s[92:93], 1
	s_cselect_b64 s[8:9], -1, 0
	s_and_b64 s[38:39], s[6:7], s[8:9]
	s_mov_b64 s[8:9], -1
	s_and_b64 vcc, exec, s[38:39]
	s_cbranch_vccz .LBB94_203
; %bb.189:                              ;   in Loop: Header=BB94_22 Depth=1
	ds_read_b64 v[4:5], v3 offset:5120
	s_waitcnt lgkmcnt(0)
	s_barrier
	v_readfirstlane_b32 s6, v4
	v_readfirstlane_b32 s7, v5
	s_mov_b64 s[8:9], exec
	v_readlane_b32 s28, v42, 38
	v_readlane_b32 s29, v42, 39
	s_and_b64 s[28:29], s[8:9], s[28:29]
	s_mov_b64 exec, s[28:29]
	s_cbranch_execz .LBB94_191
; %bb.190:                              ;   in Loop: Header=BB94_22 Depth=1
	ds_write_b32 v27, v3
.LBB94_191:                             ;   in Loop: Header=BB94_22 Depth=1
	s_or_b64 exec, exec, s[8:9]
	s_lshl_b32 s8, 2, s40
	s_and_b32 s9, s27, s41
	s_or_b32 s27, s9, s8
	s_or_b32 s26, s26, s48
	s_cmp_eq_u64 s[6:7], 0
	s_waitcnt lgkmcnt(0)
	s_barrier
	s_cbranch_scc1 .LBB94_206
; %bb.192:                              ;   in Loop: Header=BB94_22 Depth=1
	v_readlane_b32 s8, v42, 44
	s_add_u32 s30, s8, s6
	v_readlane_b32 s8, v42, 45
	s_addc_u32 s9, s8, s7
	s_mov_b32 s8, s91
	s_cmp_lg_u64 s[8:9], 0
	s_cbranch_scc0 .LBB94_251
; %bb.193:                              ;   in Loop: Header=BB94_22 Depth=1
	v_cvt_f32_u32_e32 v2, s55
	s_sub_u32 s8, 0, s55
	s_subb_u32 s28, 0, 0
	v_mac_f32_e32 v2, 0, v33
	v_rcp_f32_e32 v2, v2
	v_mul_f32_e32 v2, 0x5f7ffffc, v2
	v_mul_f32_e32 v4, 0x2f800000, v2
	v_trunc_f32_e32 v4, v4
	v_mac_f32_e32 v2, 0xcf800000, v4
	v_cvt_u32_f32_e32 v4, v4
	v_cvt_u32_f32_e32 v2, v2
	v_readfirstlane_b32 s29, v4
	v_readfirstlane_b32 s31, v2
	s_mul_i32 s34, s8, s29
	s_mul_hi_u32 s36, s8, s31
	s_mul_i32 s35, s28, s31
	s_add_i32 s34, s36, s34
	s_mul_i32 s37, s8, s31
	s_add_i32 s34, s34, s35
	s_mul_hi_u32 s36, s31, s37
	s_mul_hi_u32 s35, s31, s34
	s_mul_i32 s31, s31, s34
	s_add_u32 s31, s36, s31
	s_addc_u32 s35, 0, s35
	s_mul_hi_u32 s42, s29, s37
	s_mul_i32 s37, s29, s37
	s_add_u32 s31, s31, s37
	s_mul_hi_u32 s36, s29, s34
	s_addc_u32 s31, s35, s42
	s_addc_u32 s35, s36, 0
	s_mul_i32 s34, s29, s34
	s_add_u32 s31, s31, s34
	s_addc_u32 s34, 0, s35
	v_add_co_u32_e32 v2, vcc, s31, v2
	s_cmp_lg_u64 vcc, 0
	s_addc_u32 s29, s29, s34
	v_readfirstlane_b32 s34, v2
	s_mul_i32 s31, s8, s29
	s_mul_hi_u32 s35, s8, s34
	s_add_i32 s31, s35, s31
	s_mul_i32 s28, s28, s34
	s_add_i32 s31, s31, s28
	s_mul_i32 s8, s8, s34
	s_mul_hi_u32 s35, s29, s8
	s_mul_i32 s36, s29, s8
	s_mul_i32 s42, s34, s31
	s_mul_hi_u32 s8, s34, s8
	s_mul_hi_u32 s37, s34, s31
	s_add_u32 s8, s8, s42
	s_addc_u32 s34, 0, s37
	s_add_u32 s8, s8, s36
	s_mul_hi_u32 s28, s29, s31
	s_addc_u32 s8, s34, s35
	s_addc_u32 s28, s28, 0
	s_mul_i32 s31, s29, s31
	s_add_u32 s8, s8, s31
	s_addc_u32 s28, 0, s28
	v_add_co_u32_e32 v2, vcc, s8, v2
	s_cmp_lg_u64 vcc, 0
	s_addc_u32 s8, s29, s28
	v_readfirstlane_b32 s31, v2
	s_mul_i32 s29, s30, s8
	s_mul_hi_u32 s34, s30, s31
	s_mul_hi_u32 s28, s30, s8
	s_add_u32 s29, s34, s29
	s_addc_u32 s28, 0, s28
	s_mul_hi_u32 s35, s9, s31
	s_mul_i32 s31, s9, s31
	s_add_u32 s29, s29, s31
	s_mul_hi_u32 s34, s9, s8
	s_addc_u32 s28, s28, s35
	s_addc_u32 s29, s34, 0
	s_mul_i32 s8, s9, s8
	s_add_u32 s8, s28, s8
	s_addc_u32 s28, 0, s29
	s_mul_hi_u32 s29, s55, s8
	s_mul_i32 s8, s55, s8
	s_mul_i32 s28, s55, s28
	v_mov_b32_e32 v2, s8
	s_add_i32 s29, s29, s28
	v_sub_co_u32_e32 v2, vcc, s30, v2
	s_cmp_lg_u64 vcc, 0
	s_subb_u32 s8, s9, s29
	v_subrev_co_u32_e32 v4, vcc, s55, v2
	s_cmp_lg_u64 vcc, 0
	s_subb_u32 s28, s8, 0
	v_subrev_co_u32_e32 v5, vcc, s55, v4
	s_cmp_lg_u64 vcc, 0
	s_subb_u32 s29, s28, 0
	v_cmp_le_u32_e32 vcc, s55, v4
	s_cmp_eq_u32 s28, 0
	v_cndmask_b32_e64 v6, 0, -1, vcc
	s_cselect_b64 vcc, -1, 0
	v_cndmask_b32_e32 v6, -1, v6, vcc
	v_mov_b32_e32 v7, s28
	v_mov_b32_e32 v8, s29
	v_cmp_ne_u32_e32 vcc, 0, v6
	v_cndmask_b32_e32 v6, v7, v8, vcc
	v_cndmask_b32_e32 v4, v4, v5, vcc
	v_cmp_le_u32_e32 vcc, s55, v2
	s_cmp_eq_u32 s8, 0
	v_cndmask_b32_e64 v5, 0, -1, vcc
	s_cselect_b64 vcc, -1, 0
	v_cndmask_b32_e32 v5, -1, v5, vcc
	v_mov_b32_e32 v7, s8
	v_cmp_ne_u32_e32 vcc, 0, v5
	v_cndmask_b32_e32 v5, v7, v6, vcc
	v_cndmask_b32_e32 v4, v2, v4, vcc
	s_cbranch_execnz .LBB94_195
.LBB94_194:                             ;   in Loop: Header=BB94_22 Depth=1
	v_cvt_f32_u32_e32 v2, s55
	s_sub_i32 s8, 0, s55
	v_rcp_iflag_f32_e32 v2, v2
	v_mul_f32_e32 v2, 0x4f7ffffe, v2
	v_cvt_u32_f32_e32 v2, v2
	v_mul_lo_u32 v4, s8, v2
	v_mul_hi_u32 v4, v2, v4
	v_add_u32_e32 v2, v2, v4
	v_mul_hi_u32 v2, s30, v2
	v_mul_lo_u32 v2, v2, s55
	v_sub_u32_e32 v2, s30, v2
	v_subrev_u32_e32 v4, s55, v2
	v_cmp_le_u32_e32 vcc, s55, v2
	v_cndmask_b32_e32 v2, v2, v4, vcc
	v_subrev_u32_e32 v4, s55, v2
	v_cmp_le_u32_e32 vcc, s55, v2
	v_cndmask_b32_e32 v2, v2, v4, vcc
	v_pk_mov_b32 v[4:5], v[2:3], v[2:3] op_sel:[0,1]
.LBB94_195:                             ;   in Loop: Header=BB94_22 Depth=1
	v_mov_b32_e32 v2, s9
	v_sub_co_u32_e32 v4, vcc, s30, v4
	v_subb_co_u32_e32 v5, vcc, v2, v5, vcc
	v_cmp_gt_u64_e32 vcc, v[4:5], v[0:1]
	s_mov_b64 s[8:9], 0
                                        ; implicit-def: $vgpr21
	s_and_saveexec_b64 s[28:29], vcc
	s_cbranch_execz .LBB94_208
; %bb.196:                              ;   in Loop: Header=BB94_22 Depth=1
	v_mov_b32_e32 v2, v12
	v_pk_mov_b32 v[6:7], v[0:1], v[0:1] op_sel:[0,1]
                                        ; implicit-def: $sgpr30_sgpr31
	s_branch .LBB94_198
.LBB94_197:                             ;   in Loop: Header=BB94_198 Depth=2
	s_or_b64 exec, exec, s[34:35]
	s_waitcnt lgkmcnt(0)
	s_barrier
	ds_read_b64 v[20:21], v3 offset:3072
	v_mov_b32_e32 v8, s54
	v_add_co_u32_e32 v6, vcc, s55, v6
	v_addc_co_u32_e32 v7, vcc, v7, v8, vcc
	s_waitcnt lgkmcnt(0)
	v_readfirstlane_b32 s34, v20
	s_cmp_lg_u32 s34, 0
	s_cselect_b64 s[34:35], -1, 0
	v_cmp_ge_u64_e32 vcc, v[6:7], v[4:5]
	s_or_b64 s[36:37], vcc, s[34:35]
	s_and_b64 s[36:37], exec, s[36:37]
	s_or_b64 s[8:9], s[36:37], s[8:9]
	s_andn2_b64 s[30:31], s[30:31], exec
	s_and_b64 s[34:35], s[34:35], exec
	v_add_u32_e32 v2, s1, v2
	s_or_b64 s[30:31], s[30:31], s[34:35]
	s_barrier
	s_andn2_b64 exec, exec, s[8:9]
	s_cbranch_execz .LBB94_207
.LBB94_198:                             ;   Parent Loop BB94_22 Depth=1
                                        ; =>  This Inner Loop Header: Depth=2
	v_cmp_gt_u64_e32 vcc, s[6:7], v[6:7]
	s_waitcnt vmcnt(0)
	v_mov_b32_e32 v19, 0
	s_and_saveexec_b64 s[34:35], vcc
	s_cbranch_execz .LBB94_200
; %bb.199:                              ;   in Loop: Header=BB94_198 Depth=2
	ds_read_b32 v19, v2
.LBB94_200:                             ;   in Loop: Header=BB94_198 Depth=2
	s_or_b64 exec, exec, s[34:35]
	s_and_saveexec_b64 s[34:35], vcc
	s_cbranch_execz .LBB94_197
; %bb.201:                              ;   in Loop: Header=BB94_198 Depth=2
	s_waitcnt lgkmcnt(0)
	v_xor_b32_e32 v8, 0x80000000, v19
	v_and_b32_e32 v8, s26, v8
	v_cmp_eq_u32_e32 vcc, s27, v8
	s_and_b64 exec, exec, vcc
	s_cbranch_execz .LBB94_197
; %bb.202:                              ;   in Loop: Header=BB94_198 Depth=2
	ds_write_b64 v3, v[18:19] offset:3072
	s_branch .LBB94_197
.LBB94_203:                             ;   in Loop: Header=BB94_22 Depth=1
                                        ; implicit-def: $sgpr28_sgpr29
                                        ; implicit-def: $sgpr34_sgpr35
                                        ; implicit-def: $sgpr30_sgpr31
	s_branch .LBB94_222
.LBB94_204:                             ;   in Loop: Header=BB94_22 Depth=1
                                        ; implicit-def: $vgpr4_vgpr5
	s_branch .LBB94_144
.LBB94_205:                             ;   in Loop: Header=BB94_22 Depth=1
                                        ; implicit-def: $vgpr4_vgpr5
	s_branch .LBB94_164
.LBB94_206:                             ;   in Loop: Header=BB94_22 Depth=1
	s_mov_b64 s[28:29], -1
	s_mov_b64 s[8:9], 0
                                        ; implicit-def: $sgpr30_sgpr31
                                        ; implicit-def: $vgpr21
	s_mov_b64 s[34:35], s[28:29]
	s_cbranch_execnz .LBB94_209
	s_branch .LBB94_222
.LBB94_207:                             ;   in Loop: Header=BB94_22 Depth=1
	s_or_b64 exec, exec, s[8:9]
	s_and_b64 s[8:9], s[30:31], exec
.LBB94_208:                             ;   in Loop: Header=BB94_22 Depth=1
	s_or_b64 exec, exec, s[28:29]
	s_mov_b64 s[30:31], -1
	s_mov_b64 s[28:29], 0
	s_mov_b64 s[34:35], s[28:29]
	s_branch .LBB94_222
.LBB94_209:                             ;   in Loop: Header=BB94_22 Depth=1
	s_mov_b32 s82, s91
	s_cmp_lg_u64 s[82:83], 0
	s_cbranch_scc0 .LBB94_252
; %bb.210:                              ;   in Loop: Header=BB94_22 Depth=1
	v_cvt_f32_u32_e32 v2, s55
	s_sub_u32 s6, 0, s55
	s_subb_u32 s7, 0, 0
	v_mac_f32_e32 v2, 0, v33
	v_rcp_f32_e32 v2, v2
	v_mul_f32_e32 v2, 0x5f7ffffc, v2
	v_mul_f32_e32 v4, 0x2f800000, v2
	v_trunc_f32_e32 v4, v4
	v_mac_f32_e32 v2, 0xcf800000, v4
	v_cvt_u32_f32_e32 v4, v4
	v_cvt_u32_f32_e32 v2, v2
	v_readfirstlane_b32 s8, v4
	v_readfirstlane_b32 s9, v2
	s_mul_i32 s28, s6, s8
	s_mul_hi_u32 s30, s6, s9
	s_mul_i32 s29, s7, s9
	s_add_i32 s28, s30, s28
	s_mul_i32 s31, s6, s9
	s_add_i32 s28, s28, s29
	s_mul_hi_u32 s30, s9, s31
	s_mul_hi_u32 s29, s9, s28
	s_mul_i32 s9, s9, s28
	s_add_u32 s9, s30, s9
	s_addc_u32 s29, 0, s29
	s_mul_hi_u32 s34, s8, s31
	s_mul_i32 s31, s8, s31
	s_add_u32 s9, s9, s31
	s_mul_hi_u32 s30, s8, s28
	s_addc_u32 s9, s29, s34
	s_addc_u32 s29, s30, 0
	s_mul_i32 s28, s8, s28
	s_add_u32 s9, s9, s28
	s_addc_u32 s28, 0, s29
	v_add_co_u32_e32 v2, vcc, s9, v2
	s_cmp_lg_u64 vcc, 0
	s_addc_u32 s8, s8, s28
	v_readfirstlane_b32 s28, v2
	s_mul_i32 s9, s6, s8
	s_mul_hi_u32 s29, s6, s28
	s_add_i32 s9, s29, s9
	s_mul_i32 s7, s7, s28
	s_add_i32 s9, s9, s7
	s_mul_i32 s6, s6, s28
	s_mul_hi_u32 s29, s8, s6
	s_mul_i32 s30, s8, s6
	s_mul_i32 s34, s28, s9
	s_mul_hi_u32 s6, s28, s6
	s_mul_hi_u32 s31, s28, s9
	s_add_u32 s6, s6, s34
	s_addc_u32 s28, 0, s31
	s_add_u32 s6, s6, s30
	s_mul_hi_u32 s7, s8, s9
	s_addc_u32 s6, s28, s29
	s_addc_u32 s7, s7, 0
	s_mul_i32 s9, s8, s9
	s_add_u32 s6, s6, s9
	s_addc_u32 s7, 0, s7
	v_add_co_u32_e32 v2, vcc, s6, v2
	s_cmp_lg_u64 vcc, 0
	s_addc_u32 s6, s8, s7
	v_readfirstlane_b32 s9, v2
	s_mul_i32 s8, s85, s6
	s_mul_hi_u32 s28, s85, s9
	s_mul_hi_u32 s7, s85, s6
	s_add_u32 s8, s28, s8
	s_addc_u32 s7, 0, s7
	s_mul_hi_u32 s29, s83, s9
	s_mul_i32 s9, s83, s9
	s_add_u32 s8, s8, s9
	s_mul_hi_u32 s28, s83, s6
	s_addc_u32 s7, s7, s29
	s_addc_u32 s8, s28, 0
	s_mul_i32 s6, s83, s6
	s_add_u32 s6, s7, s6
	s_addc_u32 s7, 0, s8
	s_mul_hi_u32 s8, s55, s6
	s_mul_i32 s6, s55, s6
	s_mul_i32 s7, s55, s7
	v_mov_b32_e32 v2, s6
	s_add_i32 s8, s8, s7
	v_sub_co_u32_e32 v2, vcc, s85, v2
	s_cmp_lg_u64 vcc, 0
	s_subb_u32 s6, s83, s8
	v_subrev_co_u32_e32 v4, vcc, s55, v2
	s_cmp_lg_u64 vcc, 0
	s_subb_u32 s7, s6, 0
	v_subrev_co_u32_e32 v5, vcc, s55, v4
	s_cmp_lg_u64 vcc, 0
	s_subb_u32 s8, s7, 0
	v_cmp_le_u32_e32 vcc, s55, v4
	s_cmp_eq_u32 s7, 0
	v_cndmask_b32_e64 v6, 0, -1, vcc
	s_cselect_b64 vcc, -1, 0
	v_cndmask_b32_e32 v6, -1, v6, vcc
	v_mov_b32_e32 v7, s7
	v_mov_b32_e32 v8, s8
	v_cmp_ne_u32_e32 vcc, 0, v6
	v_cndmask_b32_e32 v6, v7, v8, vcc
	v_cndmask_b32_e32 v4, v4, v5, vcc
	v_cmp_le_u32_e32 vcc, s55, v2
	s_cmp_eq_u32 s6, 0
	v_cndmask_b32_e64 v5, 0, -1, vcc
	s_cselect_b64 vcc, -1, 0
	v_cndmask_b32_e32 v5, -1, v5, vcc
	v_mov_b32_e32 v7, s6
	v_cmp_ne_u32_e32 vcc, 0, v5
	v_cndmask_b32_e32 v5, v7, v6, vcc
	v_cndmask_b32_e32 v4, v2, v4, vcc
	s_cbranch_execnz .LBB94_212
.LBB94_211:                             ;   in Loop: Header=BB94_22 Depth=1
	v_cvt_f32_u32_e32 v2, s55
	s_sub_i32 s6, 0, s55
	v_rcp_iflag_f32_e32 v2, v2
	v_mul_f32_e32 v2, 0x4f7ffffe, v2
	v_cvt_u32_f32_e32 v2, v2
	v_mul_lo_u32 v4, s6, v2
	v_mul_hi_u32 v4, v2, v4
	v_add_u32_e32 v2, v2, v4
	v_mul_hi_u32 v2, s85, v2
	v_mul_lo_u32 v2, v2, s55
	v_sub_u32_e32 v2, s85, v2
	v_subrev_u32_e32 v4, s55, v2
	v_cmp_le_u32_e32 vcc, s55, v2
	v_cndmask_b32_e32 v2, v2, v4, vcc
	v_subrev_u32_e32 v4, s55, v2
	v_cmp_le_u32_e32 vcc, s55, v2
	v_cndmask_b32_e32 v2, v2, v4, vcc
	v_pk_mov_b32 v[4:5], v[2:3], v[2:3] op_sel:[0,1]
.LBB94_212:                             ;   in Loop: Header=BB94_22 Depth=1
	v_mov_b32_e32 v2, s83
	v_sub_co_u32_e32 v4, vcc, s85, v4
	v_subb_co_u32_e32 v5, vcc, v2, v5, vcc
	v_cmp_gt_u64_e32 vcc, v[4:5], v[0:1]
	s_mov_b64 s[8:9], 0
                                        ; implicit-def: $vgpr21
	s_and_saveexec_b64 s[28:29], vcc
	s_cbranch_execz .LBB94_221
; %bb.213:                              ;   in Loop: Header=BB94_22 Depth=1
	v_pk_mov_b32 v[6:7], v[0:1], v[0:1] op_sel:[0,1]
                                        ; implicit-def: $sgpr30_sgpr31
	s_branch .LBB94_215
.LBB94_214:                             ;   in Loop: Header=BB94_215 Depth=2
	s_or_b64 exec, exec, s[6:7]
	s_waitcnt lgkmcnt(0)
	s_barrier
	ds_read_b64 v[20:21], v3 offset:3072
	v_mov_b32_e32 v2, s54
	v_add_co_u32_e32 v6, vcc, s55, v6
	v_addc_co_u32_e32 v7, vcc, v7, v2, vcc
	s_waitcnt lgkmcnt(0)
	v_readfirstlane_b32 s6, v20
	s_cmp_lg_u32 s6, 0
	s_cselect_b64 s[6:7], -1, 0
	v_cmp_ge_u64_e32 vcc, v[6:7], v[4:5]
	s_or_b64 s[34:35], vcc, s[6:7]
	s_and_b64 s[34:35], exec, s[34:35]
	s_or_b64 s[8:9], s[34:35], s[8:9]
	s_andn2_b64 s[30:31], s[30:31], exec
	s_and_b64 s[6:7], s[6:7], exec
	s_or_b64 s[30:31], s[30:31], s[6:7]
	s_barrier
	s_andn2_b64 exec, exec, s[8:9]
	s_cbranch_execz .LBB94_220
.LBB94_215:                             ;   Parent Loop BB94_22 Depth=1
                                        ; =>  This Inner Loop Header: Depth=2
	v_cmp_gt_u64_e32 vcc, s[52:53], v[6:7]
	s_waitcnt vmcnt(0)
	v_mov_b32_e32 v19, 0
	s_and_saveexec_b64 s[34:35], vcc
	s_cbranch_execz .LBB94_217
; %bb.216:                              ;   in Loop: Header=BB94_215 Depth=2
	v_mul_lo_u32 v2, v7, s80
	v_mul_lo_u32 v10, v6, s81
	v_mad_u64_u32 v[8:9], s[6:7], v6, s80, 0
	v_add3_u32 v9, v9, v10, v2
	v_lshlrev_b64 v[8:9], 2, v[8:9]
	v_mov_b32_e32 v2, s84
	v_add_co_u32_e64 v8, s[6:7], s33, v8
	v_addc_co_u32_e64 v9, s[6:7], v2, v9, s[6:7]
	global_load_dword v19, v[8:9], off
.LBB94_217:                             ;   in Loop: Header=BB94_215 Depth=2
	s_or_b64 exec, exec, s[34:35]
	s_and_saveexec_b64 s[6:7], vcc
	s_cbranch_execz .LBB94_214
; %bb.218:                              ;   in Loop: Header=BB94_215 Depth=2
	s_waitcnt vmcnt(0)
	v_xor_b32_e32 v2, 0x80000000, v19
	v_and_b32_e32 v2, s26, v2
	v_cmp_eq_u32_e32 vcc, s27, v2
	s_and_b64 exec, exec, vcc
	s_cbranch_execz .LBB94_214
; %bb.219:                              ;   in Loop: Header=BB94_215 Depth=2
	ds_write_b64 v3, v[18:19] offset:3072
	s_branch .LBB94_214
.LBB94_220:                             ;   in Loop: Header=BB94_22 Depth=1
	s_or_b64 exec, exec, s[8:9]
	s_and_b64 s[8:9], s[30:31], exec
.LBB94_221:                             ;   in Loop: Header=BB94_22 Depth=1
	s_or_b64 exec, exec, s[28:29]
	s_mov_b64 s[34:35], -1
	s_mov_b64 s[28:29], 0
	s_mov_b64 s[30:31], 0
.LBB94_222:                             ;   in Loop: Header=BB94_22 Depth=1
	s_mov_b64 s[6:7], 0
                                        ; implicit-def: $sgpr49
	s_and_saveexec_b64 s[36:37], s[8:9]
	s_cbranch_execz .LBB94_284
; %bb.223:                              ;   in Loop: Header=BB94_22 Depth=1
	s_xor_b64 s[6:7], s[38:39], -1
	s_andn2_b64 vcc, exec, s[6:7]
	s_mov_b32 s49, 1
	s_cbranch_vccnz .LBB94_234
; %bb.224:                              ;   in Loop: Header=BB94_22 Depth=1
	v_pk_mov_b32 v[4:5], s[16:17], s[16:17] op_sel:[0,1]
	v_cmp_gt_u64_e32 vcc, s[92:93], v[4:5]
	s_mov_b64 s[6:7], -1
                                        ; implicit-def: $sgpr49
                                        ; implicit-def: $sgpr8
                                        ; implicit-def: $sgpr9
	s_cbranch_vccnz .LBB94_230
; %bb.225:                              ;   in Loop: Header=BB94_22 Depth=1
	ds_read_b64 v[4:5], v3 offset:5120
	s_waitcnt lgkmcnt(0)
	v_cmp_ne_u64_e32 vcc, 0, v[4:5]
	s_cbranch_vccnz .LBB94_229
; %bb.226:                              ;   in Loop: Header=BB94_22 Depth=1
	s_mov_b64 s[6:7], exec
	v_readlane_b32 s8, v42, 28
	v_readlane_b32 s9, v42, 29
	s_and_b64 s[8:9], s[6:7], s[8:9]
	s_mov_b64 exec, s[8:9]
	s_cbranch_execz .LBB94_228
; %bb.227:                              ;   in Loop: Header=BB94_22 Depth=1
	v_pk_mov_b32 v[4:5], s[16:17], s[16:17] op_sel:[0,1]
	ds_write_b64 v3, v[4:5] offset:5128
.LBB94_228:                             ;   in Loop: Header=BB94_22 Depth=1
	s_or_b64 exec, exec, s[6:7]
	s_waitcnt lgkmcnt(0)
	s_barrier
.LBB94_229:                             ;   in Loop: Header=BB94_22 Depth=1
	s_lshl_b32 s6, 2, s40
	s_and_b32 s7, s27, s41
	s_or_b32 s8, s7, s6
	s_or_b32 s9, s26, s48
	s_mov_b64 s[6:7], 0
	s_mov_b32 s49, 8
.LBB94_230:                             ;   in Loop: Header=BB94_22 Depth=1
	s_andn2_b64 vcc, exec, s[6:7]
	s_cbranch_vccnz .LBB94_232
; %bb.231:                              ;   in Loop: Header=BB94_22 Depth=1
	s_sub_u32 s92, s92, s16
	s_subb_u32 s93, s93, s17
	s_mov_b64 s[6:7], -1
	s_mov_b32 s49, 0
	s_mov_b32 s8, s27
	s_mov_b32 s9, s26
.LBB94_232:                             ;   in Loop: Header=BB94_22 Depth=1
	s_mov_b32 s26, s9
	s_mov_b32 s27, s8
	s_andn2_b64 vcc, exec, s[6:7]
	s_mov_b64 s[44:45], -1
	s_cbranch_vccz .LBB94_235
.LBB94_233:                             ;   in Loop: Header=BB94_22 Depth=1
                                        ; implicit-def: $sgpr6_sgpr7
                                        ; implicit-def: $sgpr38_sgpr39
                                        ; implicit-def: $sgpr8_sgpr9
	s_branch .LBB94_283
.LBB94_234:                             ;   in Loop: Header=BB94_22 Depth=1
	s_mov_b64 s[92:93], 1
	s_mov_b64 s[44:45], -1
	s_cbranch_execnz .LBB94_233
.LBB94_235:                             ;   in Loop: Header=BB94_22 Depth=1
	s_cmp_eq_u64 s[10:11], 1
	s_cselect_b64 s[6:7], -1, 0
	s_cmp_eq_u64 s[92:93], 1
	s_cselect_b64 s[8:9], -1, 0
	s_and_b64 s[16:17], s[6:7], s[8:9]
	s_mov_b64 s[40:41], -1
	s_and_b64 vcc, exec, s[16:17]
	s_cbranch_vccz .LBB94_250
; %bb.236:                              ;   in Loop: Header=BB94_22 Depth=1
	ds_read_b64 v[4:5], v3 offset:5120
	s_waitcnt lgkmcnt(0)
	s_barrier
	v_readfirstlane_b32 s6, v4
	v_readfirstlane_b32 s7, v5
	s_mov_b64 s[8:9], exec
	v_readlane_b32 s38, v42, 38
	v_readlane_b32 s39, v42, 39
	s_and_b64 s[38:39], s[8:9], s[38:39]
	s_mov_b64 exec, s[38:39]
	s_cbranch_execz .LBB94_238
; %bb.237:                              ;   in Loop: Header=BB94_22 Depth=1
	ds_write_b32 v27, v3
.LBB94_238:                             ;   in Loop: Header=BB94_22 Depth=1
	s_or_b64 exec, exec, s[8:9]
	s_or_b32 s27, s27, s48
	s_or_b32 s26, s26, s48
	s_cmp_eq_u64 s[6:7], 0
	s_waitcnt lgkmcnt(0)
	s_barrier
	s_cbranch_scc1 .LBB94_253
; %bb.239:                              ;   in Loop: Header=BB94_22 Depth=1
	v_readlane_b32 s8, v42, 44
	s_add_u32 s40, s8, s6
	v_readlane_b32 s8, v42, 45
	s_addc_u32 s9, s8, s7
	s_mov_b32 s8, s91
	s_cmp_lg_u64 s[8:9], 0
	s_cbranch_scc0 .LBB94_289
; %bb.240:                              ;   in Loop: Header=BB94_22 Depth=1
	v_cvt_f32_u32_e32 v2, s55
	s_sub_u32 s8, 0, s55
	s_subb_u32 s38, 0, 0
	v_mac_f32_e32 v2, 0, v33
	v_rcp_f32_e32 v2, v2
	v_mul_f32_e32 v2, 0x5f7ffffc, v2
	v_mul_f32_e32 v4, 0x2f800000, v2
	v_trunc_f32_e32 v4, v4
	v_mac_f32_e32 v2, 0xcf800000, v4
	v_cvt_u32_f32_e32 v4, v4
	v_cvt_u32_f32_e32 v2, v2
	v_readfirstlane_b32 s39, v4
	v_readfirstlane_b32 s41, v2
	s_mul_i32 s42, s8, s39
	s_mul_hi_u32 s44, s8, s41
	s_mul_i32 s43, s38, s41
	s_add_i32 s42, s44, s42
	s_mul_i32 s45, s8, s41
	s_add_i32 s42, s42, s43
	s_mul_hi_u32 s44, s41, s45
	s_mul_hi_u32 s43, s41, s42
	s_mul_i32 s41, s41, s42
	s_add_u32 s41, s44, s41
	s_addc_u32 s43, 0, s43
	s_mul_hi_u32 s46, s39, s45
	s_mul_i32 s45, s39, s45
	s_add_u32 s41, s41, s45
	s_mul_hi_u32 s44, s39, s42
	s_addc_u32 s41, s43, s46
	s_addc_u32 s43, s44, 0
	s_mul_i32 s42, s39, s42
	s_add_u32 s41, s41, s42
	s_addc_u32 s42, 0, s43
	v_add_co_u32_e32 v2, vcc, s41, v2
	s_cmp_lg_u64 vcc, 0
	s_addc_u32 s39, s39, s42
	v_readfirstlane_b32 s42, v2
	s_mul_i32 s41, s8, s39
	s_mul_hi_u32 s43, s8, s42
	s_add_i32 s41, s43, s41
	s_mul_i32 s38, s38, s42
	s_add_i32 s41, s41, s38
	s_mul_i32 s8, s8, s42
	s_mul_hi_u32 s43, s39, s8
	s_mul_i32 s44, s39, s8
	s_mul_i32 s46, s42, s41
	s_mul_hi_u32 s8, s42, s8
	s_mul_hi_u32 s45, s42, s41
	s_add_u32 s8, s8, s46
	s_addc_u32 s42, 0, s45
	s_add_u32 s8, s8, s44
	s_mul_hi_u32 s38, s39, s41
	s_addc_u32 s8, s42, s43
	s_addc_u32 s38, s38, 0
	s_mul_i32 s41, s39, s41
	s_add_u32 s8, s8, s41
	s_addc_u32 s38, 0, s38
	v_add_co_u32_e32 v2, vcc, s8, v2
	s_cmp_lg_u64 vcc, 0
	s_addc_u32 s8, s39, s38
	v_readfirstlane_b32 s41, v2
	s_mul_i32 s39, s40, s8
	s_mul_hi_u32 s42, s40, s41
	s_mul_hi_u32 s38, s40, s8
	s_add_u32 s39, s42, s39
	s_addc_u32 s38, 0, s38
	s_mul_hi_u32 s43, s9, s41
	s_mul_i32 s41, s9, s41
	s_add_u32 s39, s39, s41
	s_mul_hi_u32 s42, s9, s8
	s_addc_u32 s38, s38, s43
	s_addc_u32 s39, s42, 0
	s_mul_i32 s8, s9, s8
	s_add_u32 s8, s38, s8
	s_addc_u32 s38, 0, s39
	s_mul_hi_u32 s39, s55, s8
	s_mul_i32 s8, s55, s8
	s_mul_i32 s38, s55, s38
	v_mov_b32_e32 v2, s8
	s_add_i32 s39, s39, s38
	v_sub_co_u32_e32 v2, vcc, s40, v2
	s_cmp_lg_u64 vcc, 0
	s_subb_u32 s8, s9, s39
	v_subrev_co_u32_e32 v4, vcc, s55, v2
	s_cmp_lg_u64 vcc, 0
	s_subb_u32 s38, s8, 0
	v_subrev_co_u32_e32 v5, vcc, s55, v4
	s_cmp_lg_u64 vcc, 0
	s_subb_u32 s39, s38, 0
	v_cmp_le_u32_e32 vcc, s55, v4
	s_cmp_eq_u32 s38, 0
	v_cndmask_b32_e64 v6, 0, -1, vcc
	s_cselect_b64 vcc, -1, 0
	v_cndmask_b32_e32 v6, -1, v6, vcc
	v_mov_b32_e32 v7, s38
	v_mov_b32_e32 v8, s39
	v_cmp_ne_u32_e32 vcc, 0, v6
	v_cndmask_b32_e32 v6, v7, v8, vcc
	v_cndmask_b32_e32 v4, v4, v5, vcc
	v_cmp_le_u32_e32 vcc, s55, v2
	s_cmp_eq_u32 s8, 0
	v_cndmask_b32_e64 v5, 0, -1, vcc
	s_cselect_b64 vcc, -1, 0
	v_cndmask_b32_e32 v5, -1, v5, vcc
	v_mov_b32_e32 v7, s8
	v_cmp_ne_u32_e32 vcc, 0, v5
	v_cndmask_b32_e32 v5, v7, v6, vcc
	v_cndmask_b32_e32 v4, v2, v4, vcc
	s_cbranch_execnz .LBB94_242
.LBB94_241:                             ;   in Loop: Header=BB94_22 Depth=1
	v_cvt_f32_u32_e32 v2, s55
	s_sub_i32 s8, 0, s55
	v_rcp_iflag_f32_e32 v2, v2
	v_mul_f32_e32 v2, 0x4f7ffffe, v2
	v_cvt_u32_f32_e32 v2, v2
	v_mul_lo_u32 v4, s8, v2
	v_mul_hi_u32 v4, v2, v4
	v_add_u32_e32 v2, v2, v4
	v_mul_hi_u32 v2, s40, v2
	v_mul_lo_u32 v2, v2, s55
	v_sub_u32_e32 v2, s40, v2
	v_subrev_u32_e32 v4, s55, v2
	v_cmp_le_u32_e32 vcc, s55, v2
	v_cndmask_b32_e32 v2, v2, v4, vcc
	v_subrev_u32_e32 v4, s55, v2
	v_cmp_le_u32_e32 vcc, s55, v2
	v_cndmask_b32_e32 v2, v2, v4, vcc
	v_pk_mov_b32 v[4:5], v[2:3], v[2:3] op_sel:[0,1]
.LBB94_242:                             ;   in Loop: Header=BB94_22 Depth=1
	v_mov_b32_e32 v2, s9
	v_sub_co_u32_e32 v4, vcc, s40, v4
	v_subb_co_u32_e32 v5, vcc, v2, v5, vcc
	v_cmp_gt_u64_e32 vcc, v[4:5], v[0:1]
	s_mov_b64 s[40:41], 0
                                        ; implicit-def: $vgpr21
	s_and_saveexec_b64 s[8:9], vcc
	s_cbranch_execz .LBB94_255
; %bb.243:                              ;   in Loop: Header=BB94_22 Depth=1
	s_mov_b64 s[38:39], 0
	v_mov_b32_e32 v2, v12
	v_pk_mov_b32 v[6:7], v[0:1], v[0:1] op_sel:[0,1]
                                        ; implicit-def: $sgpr40_sgpr41
	s_branch .LBB94_245
.LBB94_244:                             ;   in Loop: Header=BB94_245 Depth=2
	s_or_b64 exec, exec, s[42:43]
	s_waitcnt lgkmcnt(0)
	s_barrier
	ds_read_b64 v[20:21], v3 offset:3072
	v_mov_b32_e32 v8, s54
	v_add_co_u32_e32 v6, vcc, s55, v6
	v_addc_co_u32_e32 v7, vcc, v7, v8, vcc
	s_waitcnt lgkmcnt(0)
	v_readfirstlane_b32 s42, v20
	s_cmp_lg_u32 s42, 0
	s_cselect_b64 s[42:43], -1, 0
	v_cmp_ge_u64_e32 vcc, v[6:7], v[4:5]
	s_or_b64 s[44:45], vcc, s[42:43]
	s_and_b64 s[44:45], exec, s[44:45]
	s_or_b64 s[38:39], s[44:45], s[38:39]
	s_andn2_b64 s[40:41], s[40:41], exec
	s_and_b64 s[42:43], s[42:43], exec
	v_add_u32_e32 v2, s1, v2
	s_or_b64 s[40:41], s[40:41], s[42:43]
	s_barrier
	s_andn2_b64 exec, exec, s[38:39]
	s_cbranch_execz .LBB94_254
.LBB94_245:                             ;   Parent Loop BB94_22 Depth=1
                                        ; =>  This Inner Loop Header: Depth=2
	v_cmp_gt_u64_e32 vcc, s[6:7], v[6:7]
	s_waitcnt vmcnt(0)
	v_mov_b32_e32 v19, 0
	s_and_saveexec_b64 s[42:43], vcc
	s_cbranch_execz .LBB94_247
; %bb.246:                              ;   in Loop: Header=BB94_245 Depth=2
	ds_read_b32 v19, v2
.LBB94_247:                             ;   in Loop: Header=BB94_245 Depth=2
	s_or_b64 exec, exec, s[42:43]
	s_and_saveexec_b64 s[42:43], vcc
	s_cbranch_execz .LBB94_244
; %bb.248:                              ;   in Loop: Header=BB94_245 Depth=2
	s_waitcnt lgkmcnt(0)
	v_xor_b32_e32 v8, 0x80000000, v19
	v_and_b32_e32 v8, s26, v8
	v_cmp_eq_u32_e32 vcc, s27, v8
	s_and_b64 exec, exec, vcc
	s_cbranch_execz .LBB94_244
; %bb.249:                              ;   in Loop: Header=BB94_245 Depth=2
	ds_write_b64 v3, v[18:19] offset:3072
	s_branch .LBB94_244
.LBB94_250:                             ;   in Loop: Header=BB94_22 Depth=1
                                        ; implicit-def: $sgpr6_sgpr7
                                        ; implicit-def: $sgpr38_sgpr39
                                        ; implicit-def: $sgpr8_sgpr9
	s_branch .LBB94_269
.LBB94_251:                             ;   in Loop: Header=BB94_22 Depth=1
                                        ; implicit-def: $vgpr4_vgpr5
	s_branch .LBB94_194
.LBB94_252:                             ;   in Loop: Header=BB94_22 Depth=1
                                        ; implicit-def: $vgpr4_vgpr5
	s_branch .LBB94_211
.LBB94_253:                             ;   in Loop: Header=BB94_22 Depth=1
	s_mov_b64 s[6:7], -1
	s_mov_b64 s[40:41], 0
                                        ; implicit-def: $sgpr8_sgpr9
                                        ; implicit-def: $vgpr21
	s_mov_b64 s[38:39], s[6:7]
	s_cbranch_execnz .LBB94_256
	s_branch .LBB94_269
.LBB94_254:                             ;   in Loop: Header=BB94_22 Depth=1
	s_or_b64 exec, exec, s[38:39]
	s_and_b64 s[40:41], s[40:41], exec
.LBB94_255:                             ;   in Loop: Header=BB94_22 Depth=1
	s_or_b64 exec, exec, s[8:9]
	s_mov_b64 s[8:9], -1
	s_mov_b64 s[6:7], 0
	s_mov_b64 s[38:39], s[6:7]
	s_branch .LBB94_269
.LBB94_256:                             ;   in Loop: Header=BB94_22 Depth=1
	s_mov_b32 s82, s91
	s_cmp_lg_u64 s[82:83], 0
	s_cbranch_scc0 .LBB94_290
; %bb.257:                              ;   in Loop: Header=BB94_22 Depth=1
	v_cvt_f32_u32_e32 v2, s55
	s_sub_u32 s6, 0, s55
	s_subb_u32 s7, 0, 0
	v_mac_f32_e32 v2, 0, v33
	v_rcp_f32_e32 v2, v2
	v_mul_f32_e32 v2, 0x5f7ffffc, v2
	v_mul_f32_e32 v4, 0x2f800000, v2
	v_trunc_f32_e32 v4, v4
	v_mac_f32_e32 v2, 0xcf800000, v4
	v_cvt_u32_f32_e32 v4, v4
	v_cvt_u32_f32_e32 v2, v2
	v_readfirstlane_b32 s8, v4
	v_readfirstlane_b32 s9, v2
	s_mul_i32 s38, s6, s8
	s_mul_hi_u32 s40, s6, s9
	s_mul_i32 s39, s7, s9
	s_add_i32 s38, s40, s38
	s_mul_i32 s41, s6, s9
	s_add_i32 s38, s38, s39
	s_mul_hi_u32 s40, s9, s41
	s_mul_hi_u32 s39, s9, s38
	s_mul_i32 s9, s9, s38
	s_add_u32 s9, s40, s9
	s_addc_u32 s39, 0, s39
	s_mul_hi_u32 s42, s8, s41
	s_mul_i32 s41, s8, s41
	s_add_u32 s9, s9, s41
	s_mul_hi_u32 s40, s8, s38
	s_addc_u32 s9, s39, s42
	s_addc_u32 s39, s40, 0
	s_mul_i32 s38, s8, s38
	s_add_u32 s9, s9, s38
	s_addc_u32 s38, 0, s39
	v_add_co_u32_e32 v2, vcc, s9, v2
	s_cmp_lg_u64 vcc, 0
	s_addc_u32 s8, s8, s38
	v_readfirstlane_b32 s38, v2
	s_mul_i32 s9, s6, s8
	s_mul_hi_u32 s39, s6, s38
	s_add_i32 s9, s39, s9
	s_mul_i32 s7, s7, s38
	s_add_i32 s9, s9, s7
	s_mul_i32 s6, s6, s38
	s_mul_hi_u32 s39, s8, s6
	s_mul_i32 s40, s8, s6
	s_mul_i32 s42, s38, s9
	s_mul_hi_u32 s6, s38, s6
	s_mul_hi_u32 s41, s38, s9
	s_add_u32 s6, s6, s42
	s_addc_u32 s38, 0, s41
	s_add_u32 s6, s6, s40
	s_mul_hi_u32 s7, s8, s9
	s_addc_u32 s6, s38, s39
	s_addc_u32 s7, s7, 0
	s_mul_i32 s9, s8, s9
	s_add_u32 s6, s6, s9
	s_addc_u32 s7, 0, s7
	v_add_co_u32_e32 v2, vcc, s6, v2
	s_cmp_lg_u64 vcc, 0
	s_addc_u32 s6, s8, s7
	v_readfirstlane_b32 s9, v2
	s_mul_i32 s8, s85, s6
	s_mul_hi_u32 s38, s85, s9
	s_mul_hi_u32 s7, s85, s6
	s_add_u32 s8, s38, s8
	s_addc_u32 s7, 0, s7
	s_mul_hi_u32 s39, s83, s9
	s_mul_i32 s9, s83, s9
	s_add_u32 s8, s8, s9
	s_mul_hi_u32 s38, s83, s6
	s_addc_u32 s7, s7, s39
	s_addc_u32 s8, s38, 0
	s_mul_i32 s6, s83, s6
	s_add_u32 s6, s7, s6
	s_addc_u32 s7, 0, s8
	s_mul_hi_u32 s8, s55, s6
	s_mul_i32 s6, s55, s6
	s_mul_i32 s7, s55, s7
	v_mov_b32_e32 v2, s6
	s_add_i32 s8, s8, s7
	v_sub_co_u32_e32 v2, vcc, s85, v2
	s_cmp_lg_u64 vcc, 0
	s_subb_u32 s6, s83, s8
	v_subrev_co_u32_e32 v4, vcc, s55, v2
	s_cmp_lg_u64 vcc, 0
	s_subb_u32 s7, s6, 0
	v_subrev_co_u32_e32 v5, vcc, s55, v4
	s_cmp_lg_u64 vcc, 0
	s_subb_u32 s8, s7, 0
	v_cmp_le_u32_e32 vcc, s55, v4
	s_cmp_eq_u32 s7, 0
	v_cndmask_b32_e64 v6, 0, -1, vcc
	s_cselect_b64 vcc, -1, 0
	v_cndmask_b32_e32 v6, -1, v6, vcc
	v_mov_b32_e32 v7, s7
	v_mov_b32_e32 v8, s8
	v_cmp_ne_u32_e32 vcc, 0, v6
	v_cndmask_b32_e32 v6, v7, v8, vcc
	v_cndmask_b32_e32 v4, v4, v5, vcc
	v_cmp_le_u32_e32 vcc, s55, v2
	s_cmp_eq_u32 s6, 0
	v_cndmask_b32_e64 v5, 0, -1, vcc
	s_cselect_b64 vcc, -1, 0
	v_cndmask_b32_e32 v5, -1, v5, vcc
	v_mov_b32_e32 v7, s6
	v_cmp_ne_u32_e32 vcc, 0, v5
	v_cndmask_b32_e32 v5, v7, v6, vcc
	v_cndmask_b32_e32 v4, v2, v4, vcc
	s_cbranch_execnz .LBB94_259
.LBB94_258:                             ;   in Loop: Header=BB94_22 Depth=1
	v_cvt_f32_u32_e32 v2, s55
	s_sub_i32 s6, 0, s55
	v_rcp_iflag_f32_e32 v2, v2
	v_mul_f32_e32 v2, 0x4f7ffffe, v2
	v_cvt_u32_f32_e32 v2, v2
	v_mul_lo_u32 v4, s6, v2
	v_mul_hi_u32 v4, v2, v4
	v_add_u32_e32 v2, v2, v4
	v_mul_hi_u32 v2, s85, v2
	v_mul_lo_u32 v2, v2, s55
	v_sub_u32_e32 v2, s85, v2
	v_subrev_u32_e32 v4, s55, v2
	v_cmp_le_u32_e32 vcc, s55, v2
	v_cndmask_b32_e32 v2, v2, v4, vcc
	v_subrev_u32_e32 v4, s55, v2
	v_cmp_le_u32_e32 vcc, s55, v2
	v_cndmask_b32_e32 v2, v2, v4, vcc
	v_pk_mov_b32 v[4:5], v[2:3], v[2:3] op_sel:[0,1]
.LBB94_259:                             ;   in Loop: Header=BB94_22 Depth=1
	v_mov_b32_e32 v2, s83
	v_sub_co_u32_e32 v4, vcc, s85, v4
	v_subb_co_u32_e32 v5, vcc, v2, v5, vcc
	v_cmp_gt_u64_e32 vcc, v[4:5], v[0:1]
	s_mov_b64 s[40:41], 0
                                        ; implicit-def: $vgpr21
	s_and_saveexec_b64 s[8:9], vcc
	s_cbranch_execz .LBB94_268
; %bb.260:                              ;   in Loop: Header=BB94_22 Depth=1
	s_mov_b64 s[38:39], 0
	v_pk_mov_b32 v[6:7], v[0:1], v[0:1] op_sel:[0,1]
                                        ; implicit-def: $sgpr40_sgpr41
	s_branch .LBB94_262
.LBB94_261:                             ;   in Loop: Header=BB94_262 Depth=2
	s_or_b64 exec, exec, s[6:7]
	s_waitcnt lgkmcnt(0)
	s_barrier
	ds_read_b64 v[20:21], v3 offset:3072
	v_mov_b32_e32 v2, s54
	v_add_co_u32_e32 v6, vcc, s55, v6
	v_addc_co_u32_e32 v7, vcc, v7, v2, vcc
	s_waitcnt lgkmcnt(0)
	v_readfirstlane_b32 s6, v20
	s_cmp_lg_u32 s6, 0
	s_cselect_b64 s[6:7], -1, 0
	v_cmp_ge_u64_e32 vcc, v[6:7], v[4:5]
	s_or_b64 s[42:43], vcc, s[6:7]
	s_and_b64 s[42:43], exec, s[42:43]
	s_or_b64 s[38:39], s[42:43], s[38:39]
	s_andn2_b64 s[40:41], s[40:41], exec
	s_and_b64 s[6:7], s[6:7], exec
	s_or_b64 s[40:41], s[40:41], s[6:7]
	s_barrier
	s_andn2_b64 exec, exec, s[38:39]
	s_cbranch_execz .LBB94_267
.LBB94_262:                             ;   Parent Loop BB94_22 Depth=1
                                        ; =>  This Inner Loop Header: Depth=2
	v_cmp_gt_u64_e32 vcc, s[52:53], v[6:7]
	s_waitcnt vmcnt(0)
	v_mov_b32_e32 v19, 0
	s_and_saveexec_b64 s[42:43], vcc
	s_cbranch_execz .LBB94_264
; %bb.263:                              ;   in Loop: Header=BB94_262 Depth=2
	v_mul_lo_u32 v2, v7, s80
	v_mul_lo_u32 v10, v6, s81
	v_mad_u64_u32 v[8:9], s[6:7], v6, s80, 0
	v_add3_u32 v9, v9, v10, v2
	v_lshlrev_b64 v[8:9], 2, v[8:9]
	v_mov_b32_e32 v2, s84
	v_add_co_u32_e64 v8, s[6:7], s33, v8
	v_addc_co_u32_e64 v9, s[6:7], v2, v9, s[6:7]
	global_load_dword v19, v[8:9], off
.LBB94_264:                             ;   in Loop: Header=BB94_262 Depth=2
	s_or_b64 exec, exec, s[42:43]
	s_and_saveexec_b64 s[6:7], vcc
	s_cbranch_execz .LBB94_261
; %bb.265:                              ;   in Loop: Header=BB94_262 Depth=2
	s_waitcnt vmcnt(0)
	v_xor_b32_e32 v2, 0x80000000, v19
	v_and_b32_e32 v2, s26, v2
	v_cmp_eq_u32_e32 vcc, s27, v2
	s_and_b64 exec, exec, vcc
	s_cbranch_execz .LBB94_261
; %bb.266:                              ;   in Loop: Header=BB94_262 Depth=2
	ds_write_b64 v3, v[18:19] offset:3072
	s_branch .LBB94_261
.LBB94_267:                             ;   in Loop: Header=BB94_22 Depth=1
	s_or_b64 exec, exec, s[38:39]
	s_and_b64 s[40:41], s[40:41], exec
.LBB94_268:                             ;   in Loop: Header=BB94_22 Depth=1
	s_or_b64 exec, exec, s[8:9]
	s_mov_b64 s[38:39], -1
	s_mov_b64 s[6:7], 0
	s_mov_b64 s[8:9], 0
.LBB94_269:                             ;   in Loop: Header=BB94_22 Depth=1
	s_mov_b64 s[44:45], 0
                                        ; implicit-def: $sgpr49
                                        ; implicit-def: $sgpr46_sgpr47
	s_and_saveexec_b64 s[42:43], s[40:41]
	s_cbranch_execz .LBB94_282
; %bb.270:                              ;   in Loop: Header=BB94_22 Depth=1
	s_xor_b64 s[16:17], s[16:17], -1
	s_mov_b64 s[46:47], 1
	s_andn2_b64 vcc, exec, s[16:17]
	s_mov_b32 s49, 1
	s_cbranch_vccnz .LBB94_281
; %bb.271:                              ;   in Loop: Header=BB94_22 Depth=1
	v_pk_mov_b32 v[4:5], s[10:11], s[10:11] op_sel:[0,1]
	v_cmp_gt_u64_e32 vcc, s[92:93], v[4:5]
	s_cbranch_vccnz .LBB94_277
; %bb.272:                              ;   in Loop: Header=BB94_22 Depth=1
	ds_read_b64 v[4:5], v3 offset:5120
	s_waitcnt lgkmcnt(0)
	v_cmp_ne_u64_e32 vcc, 0, v[4:5]
	s_cbranch_vccnz .LBB94_276
; %bb.273:                              ;   in Loop: Header=BB94_22 Depth=1
	s_mov_b64 s[16:17], exec
	v_readlane_b32 s40, v42, 28
	v_readlane_b32 s41, v42, 29
	s_and_b64 s[40:41], s[16:17], s[40:41]
	s_mov_b64 exec, s[40:41]
	s_cbranch_execz .LBB94_275
; %bb.274:                              ;   in Loop: Header=BB94_22 Depth=1
	v_pk_mov_b32 v[4:5], s[10:11], s[10:11] op_sel:[0,1]
	ds_write_b64 v3, v[4:5] offset:5128
.LBB94_275:                             ;   in Loop: Header=BB94_22 Depth=1
	s_or_b64 exec, exec, s[16:17]
	s_waitcnt lgkmcnt(0)
	s_barrier
.LBB94_276:                             ;   in Loop: Header=BB94_22 Depth=1
	s_or_b32 s40, s27, s48
	s_or_b32 s41, s26, s48
	s_mov_b64 s[16:17], 0
	s_mov_b32 s49, 8
	s_branch .LBB94_278
.LBB94_277:                             ;   in Loop: Header=BB94_22 Depth=1
	s_mov_b64 s[16:17], -1
                                        ; implicit-def: $sgpr49
                                        ; implicit-def: $sgpr40
                                        ; implicit-def: $sgpr41
.LBB94_278:                             ;   in Loop: Header=BB94_22 Depth=1
	s_andn2_b64 vcc, exec, s[16:17]
	s_cbranch_vccnz .LBB94_280
; %bb.279:                              ;   in Loop: Header=BB94_22 Depth=1
	s_sub_u32 s92, s92, s10
	s_subb_u32 s93, s93, s11
	s_mov_b32 s49, 8
	s_mov_b32 s40, s27
	;; [unrolled: 1-line block ×3, first 2 shown]
.LBB94_280:                             ;   in Loop: Header=BB94_22 Depth=1
	s_mov_b64 s[46:47], s[92:93]
	s_mov_b32 s27, s40
	s_mov_b32 s26, s41
.LBB94_281:                             ;   in Loop: Header=BB94_22 Depth=1
	s_mov_b64 s[44:45], exec
.LBB94_282:                             ;   in Loop: Header=BB94_22 Depth=1
	s_or_b64 exec, exec, s[42:43]
	s_mov_b64 s[92:93], s[46:47]
.LBB94_283:                             ;   in Loop: Header=BB94_22 Depth=1
	s_andn2_b64 s[10:11], s[28:29], exec
	s_and_b64 s[6:7], s[6:7], exec
	s_or_b64 s[28:29], s[10:11], s[6:7]
	s_andn2_b64 s[6:7], s[34:35], exec
	s_and_b64 s[10:11], s[38:39], exec
	s_or_b64 s[34:35], s[6:7], s[10:11]
	;; [unrolled: 3-line block ×3, first 2 shown]
	s_and_b64 s[6:7], s[44:45], exec
.LBB94_284:                             ;   in Loop: Header=BB94_22 Depth=1
	s_or_b64 exec, exec, s[36:37]
.LBB94_285:                             ;   in Loop: Header=BB94_22 Depth=1
	s_andn2_b64 s[8:9], s[20:21], exec
	s_and_b64 s[10:11], s[28:29], exec
	s_or_b64 s[20:21], s[8:9], s[10:11]
	s_andn2_b64 s[8:9], s[22:23], exec
	s_and_b64 s[10:11], s[34:35], exec
	s_or_b64 s[22:23], s[8:9], s[10:11]
	;; [unrolled: 3-line block ×3, first 2 shown]
	s_and_b64 s[6:7], s[6:7], exec
.LBB94_286:                             ;   in Loop: Header=BB94_22 Depth=1
	s_or_b64 exec, exec, s[24:25]
	s_and_saveexec_b64 s[8:9], s[6:7]
	s_xor_b64 s[6:7], exec, s[8:9]
	s_cbranch_execz .LBB94_20
.LBB94_287:                             ;   in Loop: Header=BB94_22 Depth=1
	s_and_b32 s8, s49, -9
	s_cmp_eq_u32 s8, 0
	s_cbranch_scc1 .LBB94_18
; %bb.288:                              ;   in Loop: Header=BB94_22 Depth=1
	s_mov_b64 s[8:9], -1
                                        ; implicit-def: $sgpr26
                                        ; implicit-def: $sgpr92_sgpr93
                                        ; implicit-def: $sgpr2
                                        ; implicit-def: $sgpr3
	s_mov_b64 s[10:11], -1
	s_branch .LBB94_19
.LBB94_289:                             ;   in Loop: Header=BB94_22 Depth=1
                                        ; implicit-def: $vgpr4_vgpr5
	s_branch .LBB94_241
.LBB94_290:                             ;   in Loop: Header=BB94_22 Depth=1
                                        ; implicit-def: $vgpr4_vgpr5
	s_branch .LBB94_258
.LBB94_291:
	s_or_b64 exec, exec, s[86:87]
	s_xor_b64 s[8:9], s[78:79], -1
	s_xor_b64 s[0:1], s[70:71], -1
	;; [unrolled: 1-line block ×3, first 2 shown]
	s_mov_b64 s[4:5], 0
	s_and_saveexec_b64 s[2:3], s[0:1]
	s_xor_b64 s[0:1], exec, s[2:3]
	s_cbranch_execnz .LBB94_296
; %bb.292:
	s_andn2_saveexec_b64 s[0:1], s[0:1]
	s_cbranch_execnz .LBB94_309
.LBB94_293:
	s_or_b64 exec, exec, s[0:1]
	s_and_saveexec_b64 s[0:1], s[4:5]
.LBB94_294:
	; divergent unreachable
.LBB94_295:
	s_endpgm
.LBB94_296:
	s_and_saveexec_b64 s[2:3], s[8:9]
	s_xor_b64 s[4:5], exec, s[2:3]
	s_cbranch_execz .LBB94_307
; %bb.297:
	s_and_saveexec_b64 s[2:3], s[6:7]
	s_xor_b64 s[6:7], exec, s[2:3]
; %bb.298:
	v_xor_b32_e32 v21, 0x80000000, v2
; %bb.299:
	s_or_b64 exec, exec, s[6:7]
	v_readlane_b32 s8, v42, 8
	v_readlane_b32 s2, v42, 0
	;; [unrolled: 1-line block ×4, first 2 shown]
	s_mov_b32 s14, s2
	s_mul_i32 s2, s2, s9
	s_mul_hi_u32 s3, s14, s8
	s_add_i32 s3, s3, s2
	s_mul_i32 s2, s14, s8
	v_readlane_b32 s12, v42, 2
	v_readlane_b32 s16, v42, 24
	v_readlane_b32 s13, v42, 3
	s_sub_u32 s2, s12, s2
	v_readlane_b32 s18, v42, 26
	v_readlane_b32 s19, v42, 27
	s_subb_u32 s3, s13, s3
	s_mul_i32 s6, s2, s19
	s_mul_hi_u32 s7, s2, s18
	v_readlane_b32 s10, v42, 10
	v_readlane_b32 s11, v42, 11
	;; [unrolled: 1-line block ×3, first 2 shown]
	s_add_i32 s6, s7, s6
	s_mul_i32 s3, s3, s18
	s_add_i32 s3, s6, s3
	s_mul_i32 s6, s14, s17
	s_mul_hi_u32 s7, s14, s16
	s_mul_i32 s8, s12, s11
	s_mul_hi_u32 s9, s12, s10
	s_mul_i32 s2, s2, s18
	s_add_i32 s7, s7, s6
	s_add_i32 s9, s9, s8
	s_mul_i32 s8, s12, s10
	v_readlane_b32 s18, v42, 34
	v_readlane_b32 s12, v42, 22
	s_sub_u32 s8, s18, s8
	v_readlane_b32 s13, v42, 23
	s_subb_u32 s9, 0, s9
	s_mul_i32 s10, s8, s13
	s_mul_hi_u32 s11, s8, s12
	s_mul_i32 s6, s14, s16
	s_add_i32 s10, s11, s10
	s_mul_i32 s9, s9, s12
	s_add_i32 s9, s10, s9
	s_lshl_b64 s[6:7], s[6:7], 2
	v_readlane_b32 s10, v42, 32
	v_readlane_b32 s11, v42, 33
	s_add_u32 s6, s10, s6
	s_addc_u32 s7, s11, s7
	s_lshl_b64 s[2:3], s[2:3], 2
	s_mul_i32 s8, s8, s12
	s_add_u32 s6, s6, s2
	s_addc_u32 s7, s7, s3
	s_lshl_b64 s[2:3], s[8:9], 2
	s_add_u32 s2, s6, s2
	s_addc_u32 s3, s7, s3
	v_mov_b32_e32 v2, 0
	v_readlane_b32 s19, v42, 35
	global_store_dword v2, v21, s[2:3]
	s_mov_b64 s[6:7], exec
	v_readlane_b32 s2, v42, 36
	v_readlane_b32 s3, v42, 37
	s_and_b64 s[2:3], s[6:7], s[2:3]
	s_mov_b64 exec, s[2:3]
	s_cbranch_execz .LBB94_306
; %bb.300:
	s_mov_b64 s[2:3], 0
	v_mov_b32_e32 v4, s84
                                        ; implicit-def: $sgpr8_sgpr9
                                        ; implicit-def: $sgpr12_sgpr13
                                        ; implicit-def: $sgpr10_sgpr11
	s_branch .LBB94_302
.LBB94_301:                             ;   in Loop: Header=BB94_302 Depth=1
	s_or_b64 exec, exec, s[14:15]
	s_and_b64 s[14:15], exec, s[12:13]
	s_or_b64 s[2:3], s[14:15], s[2:3]
	s_andn2_b64 s[8:9], s[8:9], exec
	s_and_b64 s[14:15], s[10:11], exec
	s_or_b64 s[8:9], s[8:9], s[14:15]
	s_andn2_b64 exec, exec, s[2:3]
	s_cbranch_execz .LBB94_304
.LBB94_302:                             ; =>This Inner Loop Header: Depth=1
	v_pk_mov_b32 v[2:3], v[0:1], v[0:1] op_sel:[0,1]
	v_mul_lo_u32 v5, v3, s80
	v_mul_lo_u32 v6, v2, s81
	v_mad_u64_u32 v[0:1], s[14:15], v2, s80, 0
	v_add3_u32 v1, v1, v6, v5
	v_lshlrev_b64 v[0:1], 2, v[0:1]
	v_add_co_u32_e32 v0, vcc, s33, v0
	v_addc_co_u32_e32 v1, vcc, v4, v1, vcc
	global_load_dword v0, v[0:1], off
	s_or_b64 s[10:11], s[10:11], exec
	s_or_b64 s[12:13], s[12:13], exec
	s_waitcnt vmcnt(0)
	v_cmp_ne_u32_e32 vcc, v0, v21
                                        ; implicit-def: $vgpr0_vgpr1
	s_and_saveexec_b64 s[14:15], vcc
	s_cbranch_execz .LBB94_301
; %bb.303:                              ;   in Loop: Header=BB94_302 Depth=1
	v_mov_b32_e32 v1, s54
	v_add_co_u32_e32 v0, vcc, s55, v2
	v_addc_co_u32_e32 v1, vcc, v3, v1, vcc
	v_cmp_le_u64_e32 vcc, s[52:53], v[0:1]
	s_andn2_b64 s[12:13], s[12:13], exec
	s_and_b64 s[16:17], vcc, exec
	s_andn2_b64 s[10:11], s[10:11], exec
	s_or_b64 s[12:13], s[12:13], s[16:17]
	s_branch .LBB94_301
.LBB94_304:
	s_or_b64 exec, exec, s[2:3]
	s_and_saveexec_b64 s[2:3], s[8:9]
	s_xor_b64 s[2:3], exec, s[2:3]
	s_cbranch_execz .LBB94_306
; %bb.305:
	v_readlane_b32 s12, v42, 4
	v_readlane_b32 s2, v42, 14
	;; [unrolled: 1-line block ×4, first 2 shown]
	s_mov_b32 s10, s2
	s_mul_i32 s2, s2, s13
	s_mul_hi_u32 s3, s10, s12
	s_add_i32 s3, s3, s2
	s_mul_i32 s2, s10, s12
	v_readlane_b32 s12, v42, 12
	v_readlane_b32 s20, v42, 18
	;; [unrolled: 1-line block ×3, first 2 shown]
	s_sub_u32 s2, s12, s2
	v_readlane_b32 s22, v42, 20
	v_readlane_b32 s23, v42, 21
	s_subb_u32 s3, s13, s3
	s_mul_i32 s8, s2, s23
	s_mul_hi_u32 s9, s2, s22
	v_readlane_b32 s21, v42, 19
	s_add_i32 s8, s9, s8
	s_mul_i32 s3, s3, s22
	v_readlane_b32 s14, v42, 6
	v_readlane_b32 s15, v42, 7
	s_add_i32 s3, s8, s3
	s_mul_i32 s8, s10, s21
	s_mul_hi_u32 s9, s10, s20
	s_add_i32 s9, s9, s8
	s_mul_i32 s8, s10, s20
	s_mul_i32 s10, s12, s15
	s_mul_hi_u32 s11, s12, s14
	s_add_i32 s11, s11, s10
	s_mul_i32 s10, s12, s14
	v_readlane_b32 s14, v42, 16
	s_sub_u32 s10, s18, s10
	v_readlane_b32 s15, v42, 17
	s_subb_u32 s11, 0, s11
	s_mul_i32 s12, s10, s15
	s_mul_hi_u32 s13, s10, s14
	s_add_i32 s12, s13, s12
	s_mul_i32 s11, s11, s14
	s_add_i32 s11, s12, s11
	s_lshl_b64 s[8:9], s[8:9], 3
	v_readlane_b32 s12, v42, 30
	s_mul_i32 s2, s2, s22
	v_readlane_b32 s13, v42, 31
	s_add_u32 s8, s12, s8
	s_addc_u32 s9, s13, s9
	s_lshl_b64 s[2:3], s[2:3], 3
	s_mul_i32 s10, s10, s14
	s_add_u32 s8, s8, s2
	s_addc_u32 s9, s9, s3
	s_lshl_b64 s[2:3], s[10:11], 3
	s_add_u32 s2, s8, s2
	s_addc_u32 s3, s9, s3
	v_mov_b32_e32 v0, 0
	global_store_dwordx2 v0, v[2:3], s[2:3]
.LBB94_306:
	s_or_b64 exec, exec, s[6:7]
.LBB94_307:
	s_or_saveexec_b64 s[2:3], s[4:5]
	s_mov_b64 s[4:5], 0
	s_xor_b64 exec, exec, s[2:3]
	s_cbranch_execnz .LBB94_310
.LBB94_308:
	s_or_b64 exec, exec, s[2:3]
	s_and_b64 s[4:5], s[4:5], exec
	s_andn2_saveexec_b64 s[0:1], s[0:1]
	s_cbranch_execz .LBB94_293
.LBB94_309:
	s_or_b64 s[4:5], s[4:5], exec
	s_trap 2
	s_or_b64 exec, exec, s[0:1]
	s_and_saveexec_b64 s[0:1], s[4:5]
	s_cbranch_execnz .LBB94_294
	s_branch .LBB94_295
.LBB94_310:
	s_mov_b64 s[4:5], exec
	s_trap 2
	s_branch .LBB94_308
	.section	.rodata,"a",@progbits
	.p2align	6, 0x0
	.amdhsa_kernel _ZN2at6native12_GLOBAL__N_112gatherMedianIimLi3EEEvNS_4cuda6detail10TensorInfoIT_T0_EENS5_IlS7_EENS5_IKS6_S7_EES7_S7_S7_b
		.amdhsa_group_segment_fixed_size 5152
		.amdhsa_private_segment_fixed_size 0
		.amdhsa_kernarg_size 1536
		.amdhsa_user_sgpr_count 6
		.amdhsa_user_sgpr_private_segment_buffer 1
		.amdhsa_user_sgpr_dispatch_ptr 0
		.amdhsa_user_sgpr_queue_ptr 0
		.amdhsa_user_sgpr_kernarg_segment_ptr 1
		.amdhsa_user_sgpr_dispatch_id 0
		.amdhsa_user_sgpr_flat_scratch_init 0
		.amdhsa_user_sgpr_kernarg_preload_length 0
		.amdhsa_user_sgpr_kernarg_preload_offset 0
		.amdhsa_user_sgpr_private_segment_size 0
		.amdhsa_uses_dynamic_stack 0
		.amdhsa_system_sgpr_private_segment_wavefront_offset 0
		.amdhsa_system_sgpr_workgroup_id_x 1
		.amdhsa_system_sgpr_workgroup_id_y 1
		.amdhsa_system_sgpr_workgroup_id_z 1
		.amdhsa_system_sgpr_workgroup_info 0
		.amdhsa_system_vgpr_workitem_id 0
		.amdhsa_next_free_vgpr 43
		.amdhsa_next_free_sgpr 96
		.amdhsa_accum_offset 44
		.amdhsa_reserve_vcc 1
		.amdhsa_reserve_flat_scratch 0
		.amdhsa_float_round_mode_32 0
		.amdhsa_float_round_mode_16_64 0
		.amdhsa_float_denorm_mode_32 3
		.amdhsa_float_denorm_mode_16_64 3
		.amdhsa_dx10_clamp 1
		.amdhsa_ieee_mode 1
		.amdhsa_fp16_overflow 0
		.amdhsa_tg_split 0
		.amdhsa_exception_fp_ieee_invalid_op 0
		.amdhsa_exception_fp_denorm_src 0
		.amdhsa_exception_fp_ieee_div_zero 0
		.amdhsa_exception_fp_ieee_overflow 0
		.amdhsa_exception_fp_ieee_underflow 0
		.amdhsa_exception_fp_ieee_inexact 0
		.amdhsa_exception_int_div_zero 0
	.end_amdhsa_kernel
	.section	.text._ZN2at6native12_GLOBAL__N_112gatherMedianIimLi3EEEvNS_4cuda6detail10TensorInfoIT_T0_EENS5_IlS7_EENS5_IKS6_S7_EES7_S7_S7_b,"axG",@progbits,_ZN2at6native12_GLOBAL__N_112gatherMedianIimLi3EEEvNS_4cuda6detail10TensorInfoIT_T0_EENS5_IlS7_EENS5_IKS6_S7_EES7_S7_S7_b,comdat
.Lfunc_end94:
	.size	_ZN2at6native12_GLOBAL__N_112gatherMedianIimLi3EEEvNS_4cuda6detail10TensorInfoIT_T0_EENS5_IlS7_EENS5_IKS6_S7_EES7_S7_S7_b, .Lfunc_end94-_ZN2at6native12_GLOBAL__N_112gatherMedianIimLi3EEEvNS_4cuda6detail10TensorInfoIT_T0_EENS5_IlS7_EENS5_IKS6_S7_EES7_S7_S7_b
                                        ; -- End function
	.section	.AMDGPU.csdata,"",@progbits
; Kernel info:
; codeLenInByte = 16632
; NumSgprs: 100
; NumVgprs: 43
; NumAgprs: 0
; TotalNumVgprs: 43
; ScratchSize: 0
; MemoryBound: 0
; FloatMode: 240
; IeeeMode: 1
; LDSByteSize: 5152 bytes/workgroup (compile time only)
; SGPRBlocks: 12
; VGPRBlocks: 5
; NumSGPRsForWavesPerEU: 100
; NumVGPRsForWavesPerEU: 43
; AccumOffset: 44
; Occupancy: 8
; WaveLimiterHint : 1
; COMPUTE_PGM_RSRC2:SCRATCH_EN: 0
; COMPUTE_PGM_RSRC2:USER_SGPR: 6
; COMPUTE_PGM_RSRC2:TRAP_HANDLER: 0
; COMPUTE_PGM_RSRC2:TGID_X_EN: 1
; COMPUTE_PGM_RSRC2:TGID_Y_EN: 1
; COMPUTE_PGM_RSRC2:TGID_Z_EN: 1
; COMPUTE_PGM_RSRC2:TIDIG_COMP_CNT: 0
; COMPUTE_PGM_RSRC3_GFX90A:ACCUM_OFFSET: 10
; COMPUTE_PGM_RSRC3_GFX90A:TG_SPLIT: 0
	.section	.text._ZN2at6native12_GLOBAL__N_112gatherMedianIimLin1EEEvNS_4cuda6detail10TensorInfoIT_T0_EENS5_IlS7_EENS5_IKS6_S7_EES7_S7_S7_b,"axG",@progbits,_ZN2at6native12_GLOBAL__N_112gatherMedianIimLin1EEEvNS_4cuda6detail10TensorInfoIT_T0_EENS5_IlS7_EENS5_IKS6_S7_EES7_S7_S7_b,comdat
	.globl	_ZN2at6native12_GLOBAL__N_112gatherMedianIimLin1EEEvNS_4cuda6detail10TensorInfoIT_T0_EENS5_IlS7_EENS5_IKS6_S7_EES7_S7_S7_b ; -- Begin function _ZN2at6native12_GLOBAL__N_112gatherMedianIimLin1EEEvNS_4cuda6detail10TensorInfoIT_T0_EENS5_IlS7_EENS5_IKS6_S7_EES7_S7_S7_b
	.p2align	8
	.type	_ZN2at6native12_GLOBAL__N_112gatherMedianIimLin1EEEvNS_4cuda6detail10TensorInfoIT_T0_EENS5_IlS7_EENS5_IKS6_S7_EES7_S7_S7_b,@function
_ZN2at6native12_GLOBAL__N_112gatherMedianIimLin1EEEvNS_4cuda6detail10TensorInfoIT_T0_EENS5_IlS7_EENS5_IKS6_S7_EES7_S7_S7_b: ; @_ZN2at6native12_GLOBAL__N_112gatherMedianIimLin1EEEvNS_4cuda6detail10TensorInfoIT_T0_EENS5_IlS7_EENS5_IKS6_S7_EES7_S7_S7_b
; %bb.0:
	s_load_dwordx4 s[52:55], s[4:5], 0x4e0
	s_load_dwordx2 s[10:11], s[4:5], 0x500
	s_add_u32 s12, s4, 0x500
	s_addc_u32 s13, s5, 0
	s_mov_b32 s3, 0
	s_waitcnt lgkmcnt(0)
	v_mov_b32_e32 v2, s54
	s_mul_i32 s0, s11, s8
	s_add_i32 s0, s0, s7
	s_mul_i32 s0, s0, s10
	v_mov_b32_e32 v3, s55
	s_add_i32 s2, s0, s6
	v_cmp_ge_u64_e32 vcc, s[2:3], v[2:3]
	s_cbranch_vccnz .LBB95_308
; %bb.1:
	s_load_dword s0, s[4:5], 0x198
	s_load_dwordx2 s[56:57], s[4:5], 0x4f0
	s_mov_b64 s[54:55], 0
	s_mov_b64 s[20:21], s[2:3]
	s_waitcnt lgkmcnt(0)
	s_cmp_lt_i32 s0, 2
	s_cbranch_scc1 .LBB95_9
; %bb.2:
	s_mov_b32 s8, 0
	s_add_i32 s7, s0, 1
	s_add_i32 s0, s0, -1
	s_mov_b32 s1, s8
	s_lshl_b64 s[0:1], s[0:1], 3
	s_add_u32 s0, s0, s4
	s_addc_u32 s1, s1, s5
	s_add_u32 s14, s0, 8
	s_addc_u32 s15, s1, 0
	s_mov_b64 s[16:17], s[2:3]
.LBB95_3:                               ; =>This Inner Loop Header: Depth=1
	s_load_dwordx2 s[18:19], s[14:15], 0x0
	s_waitcnt lgkmcnt(0)
	s_or_b64 s[0:1], s[16:17], s[18:19]
	s_mov_b32 s9, s1
	s_cmp_lg_u64 s[8:9], 0
	s_cbranch_scc0 .LBB95_8
; %bb.4:                                ;   in Loop: Header=BB95_3 Depth=1
	v_cvt_f32_u32_e32 v1, s18
	v_cvt_f32_u32_e32 v2, s19
	s_sub_u32 s0, 0, s18
	s_subb_u32 s1, 0, s19
	v_mac_f32_e32 v1, 0x4f800000, v2
	v_rcp_f32_e32 v1, v1
	v_mul_f32_e32 v1, 0x5f7ffffc, v1
	v_mul_f32_e32 v2, 0x2f800000, v1
	v_trunc_f32_e32 v2, v2
	v_mac_f32_e32 v1, 0xcf800000, v2
	v_cvt_u32_f32_e32 v2, v2
	v_cvt_u32_f32_e32 v1, v1
	v_readfirstlane_b32 s9, v2
	v_readfirstlane_b32 s11, v1
	s_mul_i32 s20, s0, s9
	s_mul_hi_u32 s22, s0, s11
	s_mul_i32 s21, s1, s11
	s_add_i32 s20, s22, s20
	s_mul_i32 s23, s0, s11
	s_add_i32 s20, s20, s21
	s_mul_hi_u32 s21, s11, s20
	s_mul_i32 s22, s11, s20
	s_mul_hi_u32 s11, s11, s23
	s_add_u32 s11, s11, s22
	s_addc_u32 s21, 0, s21
	s_mul_hi_u32 s24, s9, s23
	s_mul_i32 s23, s9, s23
	s_add_u32 s11, s11, s23
	s_mul_hi_u32 s22, s9, s20
	s_addc_u32 s11, s21, s24
	s_addc_u32 s21, s22, 0
	s_mul_i32 s20, s9, s20
	s_add_u32 s11, s11, s20
	s_addc_u32 s20, 0, s21
	v_add_co_u32_e32 v1, vcc, s11, v1
	s_cmp_lg_u64 vcc, 0
	s_addc_u32 s9, s9, s20
	v_readfirstlane_b32 s20, v1
	s_mul_i32 s11, s0, s9
	s_mul_hi_u32 s21, s0, s20
	s_add_i32 s11, s21, s11
	s_mul_i32 s1, s1, s20
	s_add_i32 s11, s11, s1
	s_mul_i32 s0, s0, s20
	s_mul_hi_u32 s21, s9, s0
	s_mul_i32 s22, s9, s0
	s_mul_i32 s24, s20, s11
	s_mul_hi_u32 s0, s20, s0
	s_mul_hi_u32 s23, s20, s11
	s_add_u32 s0, s0, s24
	s_addc_u32 s20, 0, s23
	s_add_u32 s0, s0, s22
	s_mul_hi_u32 s1, s9, s11
	s_addc_u32 s0, s20, s21
	s_addc_u32 s1, s1, 0
	s_mul_i32 s11, s9, s11
	s_add_u32 s0, s0, s11
	s_addc_u32 s1, 0, s1
	v_add_co_u32_e32 v1, vcc, s0, v1
	s_cmp_lg_u64 vcc, 0
	s_addc_u32 s0, s9, s1
	v_readfirstlane_b32 s11, v1
	s_mul_i32 s9, s16, s0
	s_mul_hi_u32 s20, s16, s11
	s_mul_hi_u32 s1, s16, s0
	s_add_u32 s9, s20, s9
	s_addc_u32 s1, 0, s1
	s_mul_hi_u32 s21, s17, s11
	s_mul_i32 s11, s17, s11
	s_add_u32 s9, s9, s11
	s_mul_hi_u32 s20, s17, s0
	s_addc_u32 s1, s1, s21
	s_addc_u32 s9, s20, 0
	s_mul_i32 s0, s17, s0
	s_add_u32 s11, s1, s0
	s_addc_u32 s9, 0, s9
	s_mul_i32 s0, s18, s9
	s_mul_hi_u32 s1, s18, s11
	s_add_i32 s0, s1, s0
	s_mul_i32 s1, s19, s11
	s_add_i32 s20, s0, s1
	s_mul_i32 s1, s18, s11
	v_mov_b32_e32 v1, s1
	s_sub_i32 s0, s17, s20
	v_sub_co_u32_e32 v1, vcc, s16, v1
	s_cmp_lg_u64 vcc, 0
	s_subb_u32 s21, s0, s19
	v_subrev_co_u32_e64 v2, s[0:1], s18, v1
	s_cmp_lg_u64 s[0:1], 0
	s_subb_u32 s0, s21, 0
	s_cmp_ge_u32 s0, s19
	v_readfirstlane_b32 s21, v2
	s_cselect_b32 s1, -1, 0
	s_cmp_ge_u32 s21, s18
	s_cselect_b32 s21, -1, 0
	s_cmp_eq_u32 s0, s19
	s_cselect_b32 s0, s21, s1
	s_add_u32 s1, s11, 1
	s_addc_u32 s21, s9, 0
	s_add_u32 s22, s11, 2
	s_addc_u32 s23, s9, 0
	s_cmp_lg_u32 s0, 0
	s_cselect_b32 s0, s22, s1
	s_cselect_b32 s1, s23, s21
	s_cmp_lg_u64 vcc, 0
	s_subb_u32 s20, s17, s20
	s_cmp_ge_u32 s20, s19
	v_readfirstlane_b32 s22, v1
	s_cselect_b32 s21, -1, 0
	s_cmp_ge_u32 s22, s18
	s_cselect_b32 s22, -1, 0
	s_cmp_eq_u32 s20, s19
	s_cselect_b32 s20, s22, s21
	s_cmp_lg_u32 s20, 0
	s_cselect_b32 s21, s1, s9
	s_cselect_b32 s20, s0, s11
	s_cbranch_execnz .LBB95_6
.LBB95_5:                               ;   in Loop: Header=BB95_3 Depth=1
	v_cvt_f32_u32_e32 v1, s18
	s_sub_i32 s0, 0, s18
	s_mov_b32 s21, s8
	v_rcp_iflag_f32_e32 v1, v1
	v_mul_f32_e32 v1, 0x4f7ffffe, v1
	v_cvt_u32_f32_e32 v1, v1
	v_readfirstlane_b32 s1, v1
	s_mul_i32 s0, s0, s1
	s_mul_hi_u32 s0, s1, s0
	s_add_i32 s1, s1, s0
	s_mul_hi_u32 s0, s16, s1
	s_mul_i32 s9, s0, s18
	s_sub_i32 s9, s16, s9
	s_add_i32 s1, s0, 1
	s_sub_i32 s11, s9, s18
	s_cmp_ge_u32 s9, s18
	s_cselect_b32 s0, s1, s0
	s_cselect_b32 s9, s11, s9
	s_add_i32 s1, s0, 1
	s_cmp_ge_u32 s9, s18
	s_cselect_b32 s20, s1, s0
.LBB95_6:                               ;   in Loop: Header=BB95_3 Depth=1
	s_mul_i32 s0, s20, s19
	s_mul_hi_u32 s1, s20, s18
	s_add_i32 s9, s1, s0
	s_load_dwordx2 s[0:1], s[14:15], 0xc8
	s_mul_i32 s11, s21, s18
	s_add_i32 s9, s9, s11
	s_mul_i32 s11, s20, s18
	s_sub_u32 s11, s16, s11
	s_subb_u32 s9, s17, s9
	s_waitcnt lgkmcnt(0)
	s_mul_i32 s9, s0, s9
	s_mul_hi_u32 s16, s0, s11
	s_add_i32 s9, s16, s9
	s_mul_i32 s1, s1, s11
	s_add_i32 s9, s9, s1
	s_mul_i32 s0, s0, s11
	s_add_u32 s54, s0, s54
	s_addc_u32 s55, s9, s55
	s_add_i32 s7, s7, -1
	s_add_u32 s14, s14, -8
	s_addc_u32 s15, s15, -1
	s_cmp_gt_u32 s7, 2
	s_cbranch_scc0 .LBB95_9
; %bb.7:                                ;   in Loop: Header=BB95_3 Depth=1
	s_mov_b64 s[16:17], s[20:21]
	s_branch .LBB95_3
.LBB95_8:                               ;   in Loop: Header=BB95_3 Depth=1
                                        ; implicit-def: $sgpr20_sgpr21
	s_branch .LBB95_5
.LBB95_9:
	s_load_dword s0, s[4:5], 0x338
	s_load_dwordx2 s[8:9], s[4:5], 0xd0
                                        ; implicit-def: $vgpr51 : SGPR spill to VGPR lane
	s_mov_b64 s[58:59], 0
	v_writelane_b32 v51, s20, 0
	v_writelane_b32 v51, s21, 1
	s_mov_b64 s[46:47], s[2:3]
	s_waitcnt lgkmcnt(0)
	v_writelane_b32 v51, s8, 2
	v_writelane_b32 v51, s9, 3
	s_add_u32 s8, s4, 0x1a0
	s_addc_u32 s9, s5, 0
	s_cmp_lt_i32 s0, 2
	s_cbranch_scc1 .LBB95_17
; %bb.10:
	s_mov_b32 s14, 0
	s_add_i32 s7, s0, 1
	s_add_i32 s0, s0, -1
	s_mov_b32 s1, s14
	s_lshl_b64 s[0:1], s[0:1], 3
	s_add_u32 s0, s0, s8
	s_addc_u32 s1, s1, s9
	s_add_u32 s16, s0, 8
	s_addc_u32 s17, s1, 0
	s_mov_b64 s[18:19], s[2:3]
.LBB95_11:                              ; =>This Inner Loop Header: Depth=1
	s_load_dwordx2 s[20:21], s[16:17], 0x0
	s_waitcnt lgkmcnt(0)
	s_or_b64 s[0:1], s[18:19], s[20:21]
	s_mov_b32 s15, s1
	s_cmp_lg_u64 s[14:15], 0
	s_cbranch_scc0 .LBB95_16
; %bb.12:                               ;   in Loop: Header=BB95_11 Depth=1
	v_cvt_f32_u32_e32 v1, s20
	v_cvt_f32_u32_e32 v2, s21
	s_sub_u32 s0, 0, s20
	s_subb_u32 s1, 0, s21
	v_mac_f32_e32 v1, 0x4f800000, v2
	v_rcp_f32_e32 v1, v1
	v_mul_f32_e32 v1, 0x5f7ffffc, v1
	v_mul_f32_e32 v2, 0x2f800000, v1
	v_trunc_f32_e32 v2, v2
	v_mac_f32_e32 v1, 0xcf800000, v2
	v_cvt_u32_f32_e32 v2, v2
	v_cvt_u32_f32_e32 v1, v1
	v_readfirstlane_b32 s11, v2
	v_readfirstlane_b32 s15, v1
	s_mul_i32 s22, s0, s11
	s_mul_hi_u32 s24, s0, s15
	s_mul_i32 s23, s1, s15
	s_add_i32 s22, s24, s22
	s_mul_i32 s25, s0, s15
	s_add_i32 s22, s22, s23
	s_mul_hi_u32 s23, s15, s22
	s_mul_i32 s24, s15, s22
	s_mul_hi_u32 s15, s15, s25
	s_add_u32 s15, s15, s24
	s_addc_u32 s23, 0, s23
	s_mul_hi_u32 s26, s11, s25
	s_mul_i32 s25, s11, s25
	s_add_u32 s15, s15, s25
	s_mul_hi_u32 s24, s11, s22
	s_addc_u32 s15, s23, s26
	s_addc_u32 s23, s24, 0
	s_mul_i32 s22, s11, s22
	s_add_u32 s15, s15, s22
	s_addc_u32 s22, 0, s23
	v_add_co_u32_e32 v1, vcc, s15, v1
	s_cmp_lg_u64 vcc, 0
	s_addc_u32 s11, s11, s22
	v_readfirstlane_b32 s22, v1
	s_mul_i32 s15, s0, s11
	s_mul_hi_u32 s23, s0, s22
	s_add_i32 s15, s23, s15
	s_mul_i32 s1, s1, s22
	s_add_i32 s15, s15, s1
	s_mul_i32 s0, s0, s22
	s_mul_hi_u32 s23, s11, s0
	s_mul_i32 s24, s11, s0
	s_mul_i32 s26, s22, s15
	s_mul_hi_u32 s0, s22, s0
	s_mul_hi_u32 s25, s22, s15
	s_add_u32 s0, s0, s26
	s_addc_u32 s22, 0, s25
	s_add_u32 s0, s0, s24
	s_mul_hi_u32 s1, s11, s15
	s_addc_u32 s0, s22, s23
	s_addc_u32 s1, s1, 0
	s_mul_i32 s15, s11, s15
	s_add_u32 s0, s0, s15
	s_addc_u32 s1, 0, s1
	v_add_co_u32_e32 v1, vcc, s0, v1
	s_cmp_lg_u64 vcc, 0
	s_addc_u32 s0, s11, s1
	v_readfirstlane_b32 s15, v1
	s_mul_i32 s11, s18, s0
	s_mul_hi_u32 s22, s18, s15
	s_mul_hi_u32 s1, s18, s0
	s_add_u32 s11, s22, s11
	s_addc_u32 s1, 0, s1
	s_mul_hi_u32 s23, s19, s15
	s_mul_i32 s15, s19, s15
	s_add_u32 s11, s11, s15
	s_mul_hi_u32 s22, s19, s0
	s_addc_u32 s1, s1, s23
	s_addc_u32 s11, s22, 0
	s_mul_i32 s0, s19, s0
	s_add_u32 s15, s1, s0
	s_addc_u32 s11, 0, s11
	s_mul_i32 s0, s20, s11
	s_mul_hi_u32 s1, s20, s15
	s_add_i32 s0, s1, s0
	s_mul_i32 s1, s21, s15
	s_add_i32 s22, s0, s1
	s_mul_i32 s1, s20, s15
	v_mov_b32_e32 v1, s1
	s_sub_i32 s0, s19, s22
	v_sub_co_u32_e32 v1, vcc, s18, v1
	s_cmp_lg_u64 vcc, 0
	s_subb_u32 s23, s0, s21
	v_subrev_co_u32_e64 v2, s[0:1], s20, v1
	s_cmp_lg_u64 s[0:1], 0
	s_subb_u32 s0, s23, 0
	s_cmp_ge_u32 s0, s21
	v_readfirstlane_b32 s23, v2
	s_cselect_b32 s1, -1, 0
	s_cmp_ge_u32 s23, s20
	s_cselect_b32 s23, -1, 0
	s_cmp_eq_u32 s0, s21
	s_cselect_b32 s0, s23, s1
	s_add_u32 s1, s15, 1
	s_addc_u32 s23, s11, 0
	s_add_u32 s24, s15, 2
	s_addc_u32 s25, s11, 0
	s_cmp_lg_u32 s0, 0
	s_cselect_b32 s0, s24, s1
	s_cselect_b32 s1, s25, s23
	s_cmp_lg_u64 vcc, 0
	s_subb_u32 s22, s19, s22
	s_cmp_ge_u32 s22, s21
	v_readfirstlane_b32 s24, v1
	s_cselect_b32 s23, -1, 0
	s_cmp_ge_u32 s24, s20
	s_cselect_b32 s24, -1, 0
	s_cmp_eq_u32 s22, s21
	s_cselect_b32 s22, s24, s23
	s_cmp_lg_u32 s22, 0
	s_cselect_b32 s47, s1, s11
	s_cselect_b32 s46, s0, s15
	s_cbranch_execnz .LBB95_14
.LBB95_13:                              ;   in Loop: Header=BB95_11 Depth=1
	v_cvt_f32_u32_e32 v1, s20
	s_sub_i32 s0, 0, s20
	s_mov_b32 s47, s14
	v_rcp_iflag_f32_e32 v1, v1
	v_mul_f32_e32 v1, 0x4f7ffffe, v1
	v_cvt_u32_f32_e32 v1, v1
	v_readfirstlane_b32 s1, v1
	s_mul_i32 s0, s0, s1
	s_mul_hi_u32 s0, s1, s0
	s_add_i32 s1, s1, s0
	s_mul_hi_u32 s0, s18, s1
	s_mul_i32 s11, s0, s20
	s_sub_i32 s11, s18, s11
	s_add_i32 s1, s0, 1
	s_sub_i32 s15, s11, s20
	s_cmp_ge_u32 s11, s20
	s_cselect_b32 s0, s1, s0
	s_cselect_b32 s11, s15, s11
	s_add_i32 s1, s0, 1
	s_cmp_ge_u32 s11, s20
	s_cselect_b32 s46, s1, s0
.LBB95_14:                              ;   in Loop: Header=BB95_11 Depth=1
	s_mul_i32 s0, s46, s21
	s_mul_hi_u32 s1, s46, s20
	s_add_i32 s11, s1, s0
	s_load_dwordx2 s[0:1], s[16:17], 0xc8
	s_mul_i32 s15, s47, s20
	s_add_i32 s11, s11, s15
	s_mul_i32 s15, s46, s20
	s_sub_u32 s15, s18, s15
	s_subb_u32 s11, s19, s11
	s_waitcnt lgkmcnt(0)
	s_mul_i32 s11, s0, s11
	s_mul_hi_u32 s18, s0, s15
	s_add_i32 s11, s18, s11
	s_mul_i32 s1, s1, s15
	s_add_i32 s11, s11, s1
	s_mul_i32 s0, s0, s15
	s_add_u32 s58, s0, s58
	s_addc_u32 s59, s11, s59
	s_add_i32 s7, s7, -1
	s_add_u32 s16, s16, -8
	s_addc_u32 s17, s17, -1
	s_cmp_gt_u32 s7, 2
	s_cbranch_scc0 .LBB95_17
; %bb.15:                               ;   in Loop: Header=BB95_11 Depth=1
	s_mov_b64 s[18:19], s[46:47]
	s_branch .LBB95_11
.LBB95_16:                              ;   in Loop: Header=BB95_11 Depth=1
                                        ; implicit-def: $sgpr46_sgpr47
	s_branch .LBB95_13
.LBB95_17:
	s_load_dword s11, s[4:5], 0x4d8
	s_load_dwordx2 s[0:1], s[8:9], 0xd0
                                        ; kill: killed $sgpr8 killed $sgpr9
	s_mov_b64 s[8:9], 0
	s_waitcnt lgkmcnt(0)
	v_writelane_b32 v51, s0, 4
	v_writelane_b32 v51, s1, 5
	s_add_u32 s0, s4, 0x340
	s_addc_u32 s1, s5, 0
	s_cmp_lt_i32 s11, 2
	s_cbranch_scc1 .LBB95_25
; %bb.18:
	s_mov_b32 s14, 0
	s_add_i32 s8, s11, -1
	s_mov_b32 s9, s14
	s_add_i32 s7, s11, 1
	s_lshl_b64 s[8:9], s[8:9], 3
	s_add_u32 s0, s8, s0
	s_addc_u32 s1, s9, s1
	s_add_u32 s16, s0, 8
	s_addc_u32 s17, s1, 0
	s_mov_b64 s[8:9], 0
.LBB95_19:                              ; =>This Inner Loop Header: Depth=1
	s_load_dwordx2 s[18:19], s[16:17], 0x0
	s_waitcnt lgkmcnt(0)
	s_or_b64 s[0:1], s[2:3], s[18:19]
	s_mov_b32 s15, s1
	s_cmp_lg_u64 s[14:15], 0
	s_cbranch_scc0 .LBB95_24
; %bb.20:                               ;   in Loop: Header=BB95_19 Depth=1
	v_cvt_f32_u32_e32 v1, s18
	v_cvt_f32_u32_e32 v2, s19
	s_sub_u32 s0, 0, s18
	s_subb_u32 s1, 0, s19
	v_mac_f32_e32 v1, 0x4f800000, v2
	v_rcp_f32_e32 v1, v1
	v_mul_f32_e32 v1, 0x5f7ffffc, v1
	v_mul_f32_e32 v2, 0x2f800000, v1
	v_trunc_f32_e32 v2, v2
	v_mac_f32_e32 v1, 0xcf800000, v2
	v_cvt_u32_f32_e32 v2, v2
	v_cvt_u32_f32_e32 v1, v1
	v_readfirstlane_b32 s11, v2
	v_readfirstlane_b32 s15, v1
	s_mul_i32 s20, s0, s11
	s_mul_hi_u32 s22, s0, s15
	s_mul_i32 s21, s1, s15
	s_add_i32 s20, s22, s20
	s_mul_i32 s23, s0, s15
	s_add_i32 s20, s20, s21
	s_mul_hi_u32 s21, s15, s20
	s_mul_i32 s22, s15, s20
	s_mul_hi_u32 s15, s15, s23
	s_add_u32 s15, s15, s22
	s_addc_u32 s21, 0, s21
	s_mul_hi_u32 s24, s11, s23
	s_mul_i32 s23, s11, s23
	s_add_u32 s15, s15, s23
	s_mul_hi_u32 s22, s11, s20
	s_addc_u32 s15, s21, s24
	s_addc_u32 s21, s22, 0
	s_mul_i32 s20, s11, s20
	s_add_u32 s15, s15, s20
	s_addc_u32 s20, 0, s21
	v_add_co_u32_e32 v1, vcc, s15, v1
	s_cmp_lg_u64 vcc, 0
	s_addc_u32 s11, s11, s20
	v_readfirstlane_b32 s20, v1
	s_mul_i32 s15, s0, s11
	s_mul_hi_u32 s21, s0, s20
	s_add_i32 s15, s21, s15
	s_mul_i32 s1, s1, s20
	s_add_i32 s15, s15, s1
	s_mul_i32 s0, s0, s20
	s_mul_hi_u32 s21, s11, s0
	s_mul_i32 s22, s11, s0
	s_mul_i32 s24, s20, s15
	s_mul_hi_u32 s0, s20, s0
	s_mul_hi_u32 s23, s20, s15
	s_add_u32 s0, s0, s24
	s_addc_u32 s20, 0, s23
	s_add_u32 s0, s0, s22
	s_mul_hi_u32 s1, s11, s15
	s_addc_u32 s0, s20, s21
	s_addc_u32 s1, s1, 0
	s_mul_i32 s15, s11, s15
	s_add_u32 s0, s0, s15
	s_addc_u32 s1, 0, s1
	v_add_co_u32_e32 v1, vcc, s0, v1
	s_cmp_lg_u64 vcc, 0
	s_addc_u32 s0, s11, s1
	v_readfirstlane_b32 s15, v1
	s_mul_i32 s11, s2, s0
	s_mul_hi_u32 s20, s2, s15
	s_mul_hi_u32 s1, s2, s0
	s_add_u32 s11, s20, s11
	s_addc_u32 s1, 0, s1
	s_mul_hi_u32 s21, s3, s15
	s_mul_i32 s15, s3, s15
	s_add_u32 s11, s11, s15
	s_mul_hi_u32 s20, s3, s0
	s_addc_u32 s1, s1, s21
	s_addc_u32 s11, s20, 0
	s_mul_i32 s0, s3, s0
	s_add_u32 s15, s1, s0
	s_addc_u32 s11, 0, s11
	s_mul_i32 s0, s18, s11
	s_mul_hi_u32 s1, s18, s15
	s_add_i32 s0, s1, s0
	s_mul_i32 s1, s19, s15
	s_add_i32 s20, s0, s1
	s_mul_i32 s1, s18, s15
	v_mov_b32_e32 v1, s1
	s_sub_i32 s0, s3, s20
	v_sub_co_u32_e32 v1, vcc, s2, v1
	s_cmp_lg_u64 vcc, 0
	s_subb_u32 s21, s0, s19
	v_subrev_co_u32_e64 v2, s[0:1], s18, v1
	s_cmp_lg_u64 s[0:1], 0
	s_subb_u32 s0, s21, 0
	s_cmp_ge_u32 s0, s19
	v_readfirstlane_b32 s21, v2
	s_cselect_b32 s1, -1, 0
	s_cmp_ge_u32 s21, s18
	s_cselect_b32 s21, -1, 0
	s_cmp_eq_u32 s0, s19
	s_cselect_b32 s0, s21, s1
	s_add_u32 s1, s15, 1
	s_addc_u32 s21, s11, 0
	s_add_u32 s22, s15, 2
	s_addc_u32 s23, s11, 0
	s_cmp_lg_u32 s0, 0
	s_cselect_b32 s0, s22, s1
	s_cselect_b32 s1, s23, s21
	s_cmp_lg_u64 vcc, 0
	s_subb_u32 s20, s3, s20
	s_cmp_ge_u32 s20, s19
	v_readfirstlane_b32 s22, v1
	s_cselect_b32 s21, -1, 0
	s_cmp_ge_u32 s22, s18
	s_cselect_b32 s22, -1, 0
	s_cmp_eq_u32 s20, s19
	s_cselect_b32 s20, s22, s21
	s_cmp_lg_u32 s20, 0
	s_cselect_b32 s21, s1, s11
	s_cselect_b32 s20, s0, s15
	s_cbranch_execnz .LBB95_22
.LBB95_21:                              ;   in Loop: Header=BB95_19 Depth=1
	v_cvt_f32_u32_e32 v1, s18
	s_sub_i32 s0, 0, s18
	s_mov_b32 s21, s14
	v_rcp_iflag_f32_e32 v1, v1
	v_mul_f32_e32 v1, 0x4f7ffffe, v1
	v_cvt_u32_f32_e32 v1, v1
	v_readfirstlane_b32 s1, v1
	s_mul_i32 s0, s0, s1
	s_mul_hi_u32 s0, s1, s0
	s_add_i32 s1, s1, s0
	s_mul_hi_u32 s0, s2, s1
	s_mul_i32 s11, s0, s18
	s_sub_i32 s11, s2, s11
	s_add_i32 s1, s0, 1
	s_sub_i32 s15, s11, s18
	s_cmp_ge_u32 s11, s18
	s_cselect_b32 s0, s1, s0
	s_cselect_b32 s11, s15, s11
	s_add_i32 s1, s0, 1
	s_cmp_ge_u32 s11, s18
	s_cselect_b32 s20, s1, s0
.LBB95_22:                              ;   in Loop: Header=BB95_19 Depth=1
	s_mul_i32 s0, s20, s19
	s_mul_hi_u32 s1, s20, s18
	s_add_i32 s11, s1, s0
	s_load_dwordx2 s[0:1], s[16:17], 0xc8
	s_mul_i32 s15, s21, s18
	s_add_i32 s11, s11, s15
	s_mul_i32 s15, s20, s18
	s_sub_u32 s2, s2, s15
	s_subb_u32 s3, s3, s11
	s_waitcnt lgkmcnt(0)
	s_mul_i32 s3, s0, s3
	s_mul_hi_u32 s11, s0, s2
	s_add_i32 s3, s11, s3
	s_mul_i32 s1, s1, s2
	s_add_i32 s3, s3, s1
	s_mul_i32 s0, s0, s2
	s_add_u32 s8, s0, s8
	s_addc_u32 s9, s3, s9
	s_add_i32 s7, s7, -1
	s_add_u32 s16, s16, -8
	s_addc_u32 s17, s17, -1
	s_cmp_gt_u32 s7, 2
	s_cbranch_scc0 .LBB95_26
; %bb.23:                               ;   in Loop: Header=BB95_19 Depth=1
	s_mov_b64 s[2:3], s[20:21]
	s_branch .LBB95_19
.LBB95_24:                              ;   in Loop: Header=BB95_19 Depth=1
                                        ; implicit-def: $sgpr20_sgpr21
	s_branch .LBB95_21
.LBB95_25:
	s_mov_b64 s[20:21], s[2:3]
.LBB95_26:
	s_load_dwordx2 s[2:3], s[4:5], 0x410
	s_load_dwordx2 s[0:1], s[4:5], 0x340
	v_cmp_eq_u32_e64 s[16:17], 0, v0
	s_mov_b64 s[14:15], exec
	v_writelane_b32 v51, s16, 6
	v_writelane_b32 v51, s17, 7
	s_and_b64 s[16:17], s[14:15], s[16:17]
	s_mov_b64 exec, s[16:17]
	s_cbranch_execz .LBB95_28
; %bb.27:
	v_mov_b32_e32 v2, 0
	v_mov_b32_e32 v3, v2
	ds_write_b64 v2, v[2:3] offset:5136
.LBB95_28:
	s_or_b64 exec, exec, s[14:15]
	s_load_dwordx2 s[14:15], s[4:5], 0x0
	v_mov_b32_e32 v3, 0
	s_waitcnt lgkmcnt(0)
	s_barrier
	v_writelane_b32 v51, s14, 8
	v_writelane_b32 v51, s15, 9
	s_load_dwordx2 s[14:15], s[4:5], 0x1a0
	s_waitcnt lgkmcnt(0)
	s_barrier
	ds_read_b64 v[4:5], v3 offset:5136
	v_writelane_b32 v51, s14, 10
	v_writelane_b32 v51, s15, 11
	s_waitcnt lgkmcnt(0)
	v_readfirstlane_b32 s14, v4
	v_readfirstlane_b32 s15, v5
	s_mov_b64 s[16:17], exec
	v_readlane_b32 s18, v51, 6
	v_readlane_b32 s19, v51, 7
	s_and_b64 s[18:19], s[16:17], s[18:19]
	s_mov_b64 exec, s[18:19]
	s_cbranch_execz .LBB95_30
; %bb.29:
	v_mov_b32_e32 v4, s52
	v_mov_b32_e32 v5, s53
	;; [unrolled: 1-line block ×3, first 2 shown]
	ds_write_b32 v3, v3 offset:5144
	ds_write_b128 v3, v[2:5] offset:5120
.LBB95_30:
	s_or_b64 exec, exec, s[16:17]
	s_load_dword s7, s[4:5], 0x4f8
	v_cmp_lt_i64_e64 s[4:5], s[14:15], 1
	s_mul_i32 s11, s2, s21
	s_mul_i32 s3, s3, s20
	v_mov_b32_e32 v4, 0x300
	s_waitcnt lgkmcnt(0)
	s_bitcmp1_b32 s7, 0
	s_cselect_b64 s[16:17], -1, 0
	s_not_b64 s[14:15], s[14:15]
	s_or_b64 s[4:5], s[16:17], s[4:5]
	s_add_u32 s14, s14, s52
	s_addc_u32 s15, s15, s53
	s_lshr_b64 s[14:15], s[14:15], 1
	s_add_u32 s7, s14, 1
	s_addc_u32 s14, s15, 0
	s_and_b64 s[4:5], s[4:5], exec
	s_mul_hi_u32 s4, s2, s20
	s_cselect_b32 s65, s14, s53
	s_cselect_b32 s64, s7, s52
	s_add_i32 s4, s4, s11
	s_add_i32 s3, s4, s3
	v_cmp_gt_u32_e64 s[4:5], 2, v0
	v_writelane_b32 v51, s4, 12
	v_mov_b32_e32 v5, 0
	v_writelane_b32 v51, s5, 13
	v_cmp_gt_u64_e64 s[4:5], s[52:53], v[4:5]
	v_writelane_b32 v51, s4, 14
	v_mbcnt_lo_u32_b32 v2, -1, 0
	v_writelane_b32 v51, s5, 15
	v_mad_u64_u32 v[4:5], s[4:5], v0, s56, 0
	v_mbcnt_hi_u32_b32 v44, -1, v2
	v_mov_b32_e32 v2, v5
	v_mad_u64_u32 v[6:7], s[4:5], v0, s57, v[2:3]
	s_mul_i32 s2, s2, s20
	s_barrier
	s_load_dword s4, s[12:13], 0xc
	s_lshl_b64 s[2:3], s[2:3], 2
	s_lshl_b64 s[72:73], s[8:9], 2
	s_add_u32 s14, s0, s2
	s_addc_u32 s15, s1, s3
	s_add_u32 s87, s14, s72
	v_cmp_gt_u32_e32 vcc, 64, v0
	v_cmp_gt_i32_e64 s[8:9], 4, v44
	s_addc_u32 s84, s15, s73
	s_and_b64 s[50:51], vcc, s[8:9]
	s_waitcnt lgkmcnt(0)
	s_and_b32 s33, s4, 0xffff
	s_bfe_u32 s5, s4, 0xa0006
	v_cmp_gt_u16_e64 s[8:9], s4, 63
	v_writelane_b32 v51, s8, 16
	s_add_u32 s4, s33, -1
	v_writelane_b32 v51, s9, 17
	s_addc_u32 s7, 0, -1
	v_writelane_b32 v51, s4, 18
	s_add_u32 s4, s4, s52
	s_addc_u32 s69, s7, s53
	s_cmp_lt_u32 s6, s10
	v_writelane_b32 v51, s4, 19
	s_cselect_b32 s4, 12, 18
	s_add_u32 s78, s12, s4
	s_addc_u32 s79, s13, 0
	s_add_i32 s4, s5, -1
	s_bfe_u32 s8, s33, 0x30006
	s_cmp_gt_u32 s4, 6
	v_writelane_b32 v51, s7, 20
	s_cselect_b64 s[6:7], -1, 0
	v_writelane_b32 v51, s6, 21
	s_and_b32 s85, s5, 0x3f8
	v_writelane_b32 v51, s7, 22
	s_cmp_lg_u32 s8, 0
	v_writelane_b32 v51, s8, 23
	s_cselect_b64 s[4:5], -1, 0
	v_writelane_b32 v51, s4, 24
	v_writelane_b32 v51, s5, 25
	s_add_u32 s4, s2, s72
	s_addc_u32 s5, s3, s73
	s_add_u32 s4, s0, s4
	v_mov_b32_e32 v5, v6
	s_addc_u32 s5, s1, s5
	v_lshlrev_b64 v[6:7], 2, v[4:5]
	v_writelane_b32 v51, s4, 26
	v_mov_b32_e32 v2, s84
	v_add_co_u32_e32 v16, vcc, s87, v6
	v_lshlrev_b64 v[8:9], v44, -1
	v_writelane_b32 v51, s5, 27
	s_lshl_b64 s[4:5], s[56:57], 2
	v_lshlrev_b32_e32 v48, 4, v0
	v_addc_co_u32_e32 v17, vcc, v2, v7, vcc
	v_lshrrev_b32_e32 v2, 4, v0
	v_not_b32_e32 v19, v9
	v_not_b32_e32 v18, v8
	v_writelane_b32 v51, s4, 28
	v_or_b32_e32 v10, 12, v48
	v_pk_mov_b32 v[8:9], s[14:15], s[14:15] op_sel:[0,1]
	v_and_b32_e32 v46, 60, v2
	v_lshlrev_b32_e32 v2, 2, v44
	v_writelane_b32 v51, s5, 29
	v_mad_u64_u32 v[20:21], s[4:5], s56, v10, v[8:9]
	v_and_b32_e32 v47, 0x100, v2
	v_mov_b32_e32 v2, v21
	v_mad_u64_u32 v[10:11], s[4:5], s57, v10, v[2:3]
	s_lshl_b64 s[4:5], s[56:57], 4
	v_mov_b32_e32 v21, v10
	v_writelane_b32 v51, s4, 30
	v_or_b32_e32 v10, 8, v48
	v_writelane_b32 v51, s5, 31
	v_mad_u64_u32 v[22:23], s[4:5], s56, v10, v[8:9]
	v_mov_b32_e32 v2, v23
	v_mad_u64_u32 v[10:11], s[4:5], s57, v10, v[2:3]
	v_mov_b32_e32 v23, v10
	v_or_b32_e32 v10, 4, v48
	v_mad_u64_u32 v[24:25], s[4:5], s56, v10, v[8:9]
	v_mov_b32_e32 v2, v25
	v_mad_u64_u32 v[8:9], s[4:5], s57, v10, v[2:3]
	s_lshl_b32 s4, s33, 2
	v_writelane_b32 v51, s46, 32
	v_cmp_eq_u32_e64 s[48:49], 0, v44
	s_add_u32 s0, s0, s72
	v_writelane_b32 v51, s47, 33
	v_lshlrev_b64 v[4:5], 4, v[4:5]
	s_addc_u32 s1, s1, s73
	v_writelane_b32 v51, s48, 34
	v_mov_b32_e32 v2, s15
	v_add_co_u32_e32 v26, vcc, s14, v4
	s_add_u32 s0, s0, s2
	v_writelane_b32 v51, s49, 35
	v_addc_co_u32_e32 v27, vcc, v2, v5, vcc
	v_mov_b32_e32 v2, 0xc00
	s_addc_u32 s1, s1, s3
	v_writelane_b32 v51, s50, 36
	v_lshl_or_b32 v49, v44, 3, v2
	v_mov_b32_e32 v2, s1
	v_add_co_u32_e32 v12, vcc, s0, v6
	s_mul_i32 s0, s57, s33
	s_mul_hi_u32 s1, s56, s33
	v_writelane_b32 v51, s51, 37
	s_mov_b32 s77, 0
	v_mov_b32_e32 v1, v3
	v_lshlrev_b32_e32 v14, 2, v0
	s_add_i32 s1, s1, s0
	s_mul_i32 s0, s56, s33
	v_writelane_b32 v51, s78, 38
	v_cmp_gt_u64_e64 s[60:61], s[52:53], v[0:1]
	v_add_u32_e32 v45, 0xc00, v14
	v_mov_b32_e32 v15, v3
	s_mov_b32 s86, s77
	v_mov_b32_e32 v25, v8
	v_addc_co_u32_e32 v13, vcc, v2, v7, vcc
	s_lshl_b64 s[74:75], s[0:1], 2
	s_mov_b32 s94, 30
	s_mov_b64 s[66:67], 0
	v_mov_b32_e32 v28, 1
	v_mov_b32_e32 v50, 0x4f800000
                                        ; implicit-def: $sgpr0_sgpr1
	v_mov_b32_e32 v31, 0
	s_mov_b32 s88, 0
	s_mov_b32 s80, 0
	s_mov_b32 s5, 0
	v_writelane_b32 v51, s79, 39
                                        ; implicit-def: $sgpr34_sgpr35
                                        ; kill: killed $sgpr0_sgpr1
                                        ; implicit-def: $sgpr0_sgpr1
                                        ; kill: killed $sgpr0_sgpr1
                                        ; implicit-def: $sgpr40_sgpr41
                                        ; implicit-def: $sgpr30_sgpr31
                                        ; implicit-def: $sgpr92_sgpr93
	v_writelane_b32 v51, s85, 40
	s_branch .LBB95_35
.LBB95_31:                              ;   in Loop: Header=BB95_35 Depth=1
	s_xor_b32 s88, s88, 1
	s_add_i32 s12, s94, -2
	s_cmp_eq_u32 s94, 0
	s_mov_b64 s[2:3], 0
	s_cselect_b64 s[6:7], -1, 0
	s_mov_b32 s94, s12
.LBB95_32:                              ;   in Loop: Header=BB95_35 Depth=1
	s_andn2_b64 s[12:13], s[18:19], exec
	s_and_b64 s[2:3], s[2:3], exec
	s_or_b64 s[18:19], s[12:13], s[2:3]
	s_andn2_b64 s[20:21], s[20:21], exec
	s_andn2_b64 s[16:17], s[16:17], exec
	s_orn2_b64 s[12:13], s[6:7], exec
.LBB95_33:                              ;   in Loop: Header=BB95_35 Depth=1
	s_or_b64 exec, exec, s[0:1]
	s_andn2_b64 s[0:1], s[92:93], exec
	s_and_b64 s[2:3], s[18:19], exec
	s_or_b64 s[92:93], s[0:1], s[2:3]
	s_andn2_b64 s[0:1], s[30:31], exec
	s_and_b64 s[2:3], s[20:21], exec
	s_or_b64 s[30:31], s[0:1], s[2:3]
	;; [unrolled: 3-line block ×3, first 2 shown]
	s_orn2_b64 s[12:13], s[12:13], exec
.LBB95_34:                              ;   in Loop: Header=BB95_35 Depth=1
	s_or_b64 exec, exec, s[10:11]
	s_and_b64 s[0:1], exec, s[12:13]
	s_or_b64 s[66:67], s[0:1], s[66:67]
	v_readlane_b32 s0, v51, 41
	v_readlane_b32 s1, v51, 42
	s_andn2_b64 s[0:1], s[0:1], exec
	s_and_b64 s[2:3], s[92:93], exec
	s_or_b64 s[0:1], s[0:1], s[2:3]
	v_writelane_b32 v51, s0, 41
	v_writelane_b32 v51, s1, 42
	v_readlane_b32 s0, v51, 43
	v_readlane_b32 s1, v51, 44
	s_andn2_b64 s[0:1], s[0:1], exec
	s_and_b64 s[2:3], s[30:31], exec
	s_or_b64 s[0:1], s[0:1], s[2:3]
	v_writelane_b32 v51, s0, 43
	v_writelane_b32 v51, s1, 44
	s_andn2_b64 s[0:1], s[34:35], exec
	s_and_b64 s[2:3], s[40:41], exec
	v_mov_b32_e32 v2, s80
	s_or_b64 s[34:35], s[0:1], s[2:3]
	s_andn2_b64 exec, exec, s[66:67]
	s_cbranch_execz .LBB95_304
.LBB95_35:                              ; =>This Loop Header: Depth=1
                                        ;     Child Loop BB95_43 Depth 2
                                        ;     Child Loop BB95_58 Depth 2
	;; [unrolled: 1-line block ×16, first 2 shown]
	ds_read_b128 v[4:7], v3 offset:5120
	s_waitcnt lgkmcnt(0)
	v_readfirstlane_b32 s1, v5
	v_readfirstlane_b32 s0, v4
	s_cmp_lg_u64 s[0:1], 0
	s_cbranch_scc1 .LBB95_65
; %bb.36:                               ;   in Loop: Header=BB95_35 Depth=1
	v_readlane_b32 s0, v51, 14
	v_readlane_b32 s1, v51, 15
	s_and_b64 vcc, exec, s[0:1]
	s_cbranch_vccz .LBB95_51
; %bb.37:                               ;   in Loop: Header=BB95_35 Depth=1
	s_mov_b64 s[0:1], 0x301
	v_cmp_gt_u64_e32 vcc, s[0:1], v[6:7]
	s_mov_b64 s[0:1], 0
	s_mov_b64 s[2:3], 0
	s_cbranch_vccz .LBB95_52
; %bb.38:                               ;   in Loop: Header=BB95_35 Depth=1
	v_mov_b32_e32 v2, 0
	s_and_saveexec_b64 s[2:3], s[60:61]
	s_cbranch_execz .LBB95_40
; %bb.39:                               ;   in Loop: Header=BB95_35 Depth=1
	global_load_dword v2, v[16:17], off
.LBB95_40:                              ;   in Loop: Header=BB95_35 Depth=1
	s_or_b64 exec, exec, s[2:3]
	s_and_saveexec_b64 s[2:3], s[60:61]
	s_cbranch_execz .LBB95_168
; %bb.41:                               ;   in Loop: Header=BB95_35 Depth=1
	global_load_ushort v8, v3, s[78:79]
	v_readlane_b32 s6, v51, 26
	v_readlane_b32 s7, v51, 27
	v_pk_mov_b32 v[4:5], s[6:7], s[6:7] op_sel:[0,1]
	v_readlane_b32 s14, v51, 28
	v_readlane_b32 s15, v51, 29
	s_mov_b64 s[12:13], 0
	s_waitcnt vmcnt(0)
	v_readfirstlane_b32 s6, v8
	s_and_b32 s6, 0xffff, s6
	v_add_u32_e32 v7, s6, v0
	s_mul_i32 s10, s15, s6
	s_mul_hi_u32 s11, s14, s6
	s_mul_i32 s20, s14, s6
	v_mad_u64_u32 v[4:5], s[6:7], s14, v7, v[4:5]
	v_mov_b32_e32 v6, v5
	v_mad_u64_u32 v[6:7], s[6:7], s15, v7, v[6:7]
	s_add_i32 s21, s11, s10
	v_mov_b32_e32 v5, v6
	v_pk_mov_b32 v[6:7], v[0:1], v[0:1] op_sel:[0,1]
	s_branch .LBB95_43
.LBB95_42:                              ;   in Loop: Header=BB95_43 Depth=2
	s_or_b64 exec, exec, s[6:7]
	v_mov_b32_e32 v2, s21
	v_add_co_u32_e32 v4, vcc, s20, v4
	v_addc_co_u32_e32 v5, vcc, v5, v2, vcc
	s_waitcnt vmcnt(0)
	v_mov_b32_e32 v2, v9
	s_andn2_b64 exec, exec, s[12:13]
	s_cbranch_execz .LBB95_168
.LBB95_43:                              ;   Parent Loop BB95_35 Depth=1
                                        ; =>  This Inner Loop Header: Depth=2
	v_add_co_u32_sdwa v6, vcc, v6, v8 dst_sel:DWORD dst_unused:UNUSED_PAD src0_sel:DWORD src1_sel:WORD_0
	v_addc_co_u32_e32 v7, vcc, 0, v7, vcc
	v_cmp_gt_u64_e64 s[6:7], s[52:53], v[6:7]
	v_cmp_le_u64_e32 vcc, s[52:53], v[6:7]
	s_waitcnt lgkmcnt(0)
	v_mov_b32_e32 v10, 0
	v_mov_b32_e32 v9, 0
	s_and_saveexec_b64 s[10:11], s[6:7]
	s_cbranch_execz .LBB95_45
; %bb.44:                               ;   in Loop: Header=BB95_43 Depth=2
	global_load_dword v9, v[4:5], off
.LBB95_45:                              ;   in Loop: Header=BB95_43 Depth=2
	s_or_b64 exec, exec, s[10:11]
	v_xor_b32_e32 v11, 0x80000000, v2
	v_and_b32_e32 v11, s5, v11
	v_cmp_eq_u32_e64 s[10:11], s80, v11
	s_cmp_lg_u64 s[10:11], 0
	s_cselect_b64 s[6:7], -1, 0
	s_and_b64 s[6:7], s[48:49], s[6:7]
	s_and_saveexec_b64 s[14:15], s[6:7]
	s_cbranch_execz .LBB95_49
; %bb.46:                               ;   in Loop: Header=BB95_43 Depth=2
	s_mov_b64 s[18:19], exec
	v_mbcnt_lo_u32_b32 v10, s18, 0
	v_mbcnt_hi_u32_b32 v10, s19, v10
	s_bcnt1_i32_b64 s22, s[10:11]
	v_cmp_eq_u32_e64 s[6:7], 0, v10
                                        ; implicit-def: $vgpr11
	s_and_saveexec_b64 s[16:17], s[6:7]
	s_cbranch_execz .LBB95_48
; %bb.47:                               ;   in Loop: Header=BB95_43 Depth=2
	s_bcnt1_i32_b64 s6, s[18:19]
	s_mul_i32 s6, s22, s6
	v_mov_b32_e32 v11, s6
	ds_add_rtn_u32 v11, v3, v11 offset:5144
.LBB95_48:                              ;   in Loop: Header=BB95_43 Depth=2
	s_or_b64 exec, exec, s[16:17]
	s_waitcnt lgkmcnt(0)
	v_readfirstlane_b32 s6, v11
	v_mov_b32_e32 v11, s6
	v_mad_u32_u24 v10, s22, v10, v11
.LBB95_49:                              ;   in Loop: Header=BB95_43 Depth=2
	s_or_b64 exec, exec, s[14:15]
	ds_bpermute_b32 v10, v47, v10
	s_and_b64 s[6:7], exec, vcc
	s_or_b64 s[12:13], s[6:7], s[12:13]
	s_and_saveexec_b64 s[6:7], s[10:11]
	s_cbranch_execz .LBB95_42
; %bb.50:                               ;   in Loop: Header=BB95_43 Depth=2
	v_and_b32_e32 v29, s10, v18
	v_and_b32_e32 v11, s11, v19
	v_bcnt_u32_b32 v29, v29, 0
	v_bcnt_u32_b32 v11, v11, v29
	v_lshlrev_b32_e32 v11, 2, v11
	s_waitcnt lgkmcnt(0)
	v_lshl_add_u32 v10, v10, 2, v11
	ds_write_b32 v10, v2
	s_branch .LBB95_42
.LBB95_51:                              ;   in Loop: Header=BB95_35 Depth=1
	s_mov_b64 s[0:1], -1
	s_mov_b64 s[2:3], 0
.LBB95_52:                              ;   in Loop: Header=BB95_35 Depth=1
	s_and_b64 vcc, exec, s[0:1]
	s_cbranch_vccz .LBB95_63
.LBB95_53:                              ;   in Loop: Header=BB95_35 Depth=1
	s_waitcnt vmcnt(0)
	v_mov_b32_e32 v2, 0
	s_and_saveexec_b64 s[0:1], s[60:61]
	s_cbranch_execz .LBB95_55
; %bb.54:                               ;   in Loop: Header=BB95_35 Depth=1
	global_load_dword v2, v[16:17], off
.LBB95_55:                              ;   in Loop: Header=BB95_35 Depth=1
	s_or_b64 exec, exec, s[0:1]
	s_and_saveexec_b64 s[0:1], s[60:61]
	s_cbranch_execz .LBB95_60
; %bb.56:                               ;   in Loop: Header=BB95_35 Depth=1
	global_load_ushort v8, v3, s[78:79]
	v_readlane_b32 s2, v51, 26
	v_readlane_b32 s3, v51, 27
	;; [unrolled: 1-line block ×3, first 2 shown]
	v_pk_mov_b32 v[4:5], s[2:3], s[2:3] op_sel:[0,1]
	v_readlane_b32 s15, v51, 29
	s_mov_b64 s[2:3], 0
	v_mov_b32_e32 v9, v14
	s_waitcnt vmcnt(0)
	v_readfirstlane_b32 s6, v8
	s_and_b32 s6, 0xffff, s6
	v_add_u32_e32 v7, s6, v0
	s_lshl_b32 s12, s6, 2
	s_mul_i32 s10, s15, s6
	s_mul_hi_u32 s11, s14, s6
	s_mul_i32 s13, s14, s6
	v_mad_u64_u32 v[4:5], s[6:7], s14, v7, v[4:5]
	v_mov_b32_e32 v6, v5
	v_mad_u64_u32 v[6:7], s[6:7], s15, v7, v[6:7]
	s_add_i32 s14, s11, s10
	v_mov_b32_e32 v5, v6
	v_pk_mov_b32 v[6:7], v[0:1], v[0:1] op_sel:[0,1]
	s_branch .LBB95_58
.LBB95_57:                              ;   in Loop: Header=BB95_58 Depth=2
	s_or_b64 exec, exec, s[10:11]
	s_and_b64 s[6:7], exec, vcc
	ds_write_b32 v9, v2
	v_mov_b32_e32 v2, s14
	v_add_co_u32_e32 v4, vcc, s13, v4
	s_or_b64 s[2:3], s[6:7], s[2:3]
	v_add_u32_e32 v9, s12, v9
	v_addc_co_u32_e32 v5, vcc, v5, v2, vcc
	s_waitcnt vmcnt(0)
	v_mov_b32_e32 v2, v10
	s_andn2_b64 exec, exec, s[2:3]
	s_cbranch_execz .LBB95_60
.LBB95_58:                              ;   Parent Loop BB95_35 Depth=1
                                        ; =>  This Inner Loop Header: Depth=2
	v_add_co_u32_sdwa v6, vcc, v6, v8 dst_sel:DWORD dst_unused:UNUSED_PAD src0_sel:DWORD src1_sel:WORD_0
	v_addc_co_u32_e32 v7, vcc, 0, v7, vcc
	v_cmp_gt_u64_e64 s[6:7], s[52:53], v[6:7]
	v_cmp_le_u64_e32 vcc, s[52:53], v[6:7]
	v_mov_b32_e32 v10, 0
	s_and_saveexec_b64 s[10:11], s[6:7]
	s_cbranch_execz .LBB95_57
; %bb.59:                               ;   in Loop: Header=BB95_58 Depth=2
	global_load_dword v10, v[4:5], off
	s_branch .LBB95_57
.LBB95_60:                              ;   in Loop: Header=BB95_35 Depth=1
	s_or_b64 exec, exec, s[0:1]
	s_waitcnt lgkmcnt(0)
	s_barrier
	s_mov_b64 s[0:1], exec
	v_readlane_b32 s2, v51, 6
	v_readlane_b32 s3, v51, 7
	s_and_b64 s[2:3], s[0:1], s[2:3]
	s_mov_b64 exec, s[2:3]
	s_cbranch_execz .LBB95_62
; %bb.61:                               ;   in Loop: Header=BB95_35 Depth=1
	v_pk_mov_b32 v[4:5], s[52:53], s[52:53] op_sel:[0,1]
	ds_write_b64 v3, v[4:5] offset:5120
.LBB95_62:                              ;   in Loop: Header=BB95_35 Depth=1
	s_or_b64 exec, exec, s[0:1]
	s_mov_b64 s[2:3], -1
	s_waitcnt lgkmcnt(0)
	s_barrier
                                        ; implicit-def: $sgpr0_sgpr1
.LBB95_63:                              ;   in Loop: Header=BB95_35 Depth=1
	s_and_b64 vcc, exec, s[2:3]
	s_cbranch_vccz .LBB95_65
; %bb.64:                               ;   in Loop: Header=BB95_35 Depth=1
	ds_read_b64 v[4:5], v3 offset:5120
	s_waitcnt lgkmcnt(0)
	v_readfirstlane_b32 s0, v4
.LBB95_65:                              ;   in Loop: Header=BB95_35 Depth=1
	s_cmp_lt_i32 s0, 1
	s_cbranch_scc0 .LBB95_80
; %bb.66:                               ;   in Loop: Header=BB95_35 Depth=1
	global_load_ushort v2, v3, s[78:79]
	s_mov_b32 s2, s77
	s_mov_b32 s3, s53
	s_waitcnt vmcnt(0)
	v_readfirstlane_b32 s1, v2
	s_and_b32 s1, s1, 0xffff
	s_lshl_b32 s76, s1, 2
	s_cmp_lg_u64 s[2:3], 0
	s_cbranch_scc0 .LBB95_100
; %bb.67:                               ;   in Loop: Header=BB95_35 Depth=1
	v_cvt_f32_u32_e32 v2, s76
	s_sub_u32 s2, 0, s76
	s_subb_u32 s3, 0, 0
	v_mac_f32_e32 v2, 0, v50
	v_rcp_f32_e32 v2, v2
	v_mul_f32_e32 v2, 0x5f7ffffc, v2
	v_mul_f32_e32 v4, 0x2f800000, v2
	v_trunc_f32_e32 v4, v4
	v_mac_f32_e32 v2, 0xcf800000, v4
	v_cvt_u32_f32_e32 v4, v4
	v_cvt_u32_f32_e32 v2, v2
	v_readfirstlane_b32 s6, v4
	v_readfirstlane_b32 s7, v2
	s_mul_i32 s10, s2, s6
	s_mul_hi_u32 s12, s2, s7
	s_mul_i32 s11, s3, s7
	s_add_i32 s10, s12, s10
	s_mul_i32 s13, s2, s7
	s_add_i32 s10, s10, s11
	s_mul_hi_u32 s12, s7, s13
	s_mul_hi_u32 s11, s7, s10
	s_mul_i32 s7, s7, s10
	s_add_u32 s7, s12, s7
	s_addc_u32 s11, 0, s11
	s_mul_hi_u32 s14, s6, s13
	s_mul_i32 s13, s6, s13
	s_add_u32 s7, s7, s13
	s_mul_hi_u32 s12, s6, s10
	s_addc_u32 s7, s11, s14
	s_addc_u32 s11, s12, 0
	s_mul_i32 s10, s6, s10
	s_add_u32 s7, s7, s10
	s_addc_u32 s10, 0, s11
	v_add_co_u32_e32 v2, vcc, s7, v2
	s_cmp_lg_u64 vcc, 0
	s_addc_u32 s6, s6, s10
	v_readfirstlane_b32 s10, v2
	s_mul_i32 s7, s2, s6
	s_mul_hi_u32 s11, s2, s10
	s_add_i32 s7, s11, s7
	s_mul_i32 s3, s3, s10
	s_add_i32 s7, s7, s3
	s_mul_i32 s2, s2, s10
	s_mul_hi_u32 s11, s6, s2
	s_mul_i32 s12, s6, s2
	s_mul_i32 s14, s10, s7
	s_mul_hi_u32 s2, s10, s2
	s_mul_hi_u32 s13, s10, s7
	s_add_u32 s2, s2, s14
	s_addc_u32 s10, 0, s13
	s_add_u32 s2, s2, s12
	s_mul_hi_u32 s3, s6, s7
	s_addc_u32 s2, s10, s11
	s_addc_u32 s3, s3, 0
	s_mul_i32 s7, s6, s7
	s_add_u32 s2, s2, s7
	s_addc_u32 s3, 0, s3
	v_add_co_u32_e32 v2, vcc, s2, v2
	s_cmp_lg_u64 vcc, 0
	s_addc_u32 s2, s6, s3
	v_readfirstlane_b32 s7, v2
	s_mul_i32 s6, s52, s2
	s_mul_hi_u32 s10, s52, s7
	s_mul_hi_u32 s3, s52, s2
	s_add_u32 s6, s10, s6
	s_addc_u32 s3, 0, s3
	s_mul_hi_u32 s11, s53, s7
	s_mul_i32 s7, s53, s7
	s_add_u32 s6, s6, s7
	s_mul_hi_u32 s10, s53, s2
	s_addc_u32 s3, s3, s11
	s_addc_u32 s6, s10, 0
	s_mul_i32 s2, s53, s2
	s_add_u32 s2, s3, s2
	s_addc_u32 s3, 0, s6
	s_mul_hi_u32 s6, s76, s2
	s_mul_i32 s2, s76, s2
	s_mul_i32 s3, s76, s3
	v_mov_b32_e32 v2, s2
	s_add_i32 s6, s6, s3
	v_sub_co_u32_e32 v2, vcc, s52, v2
	s_cmp_lg_u64 vcc, 0
	s_subb_u32 s2, s53, s6
	v_subrev_co_u32_e32 v4, vcc, s76, v2
	s_cmp_lg_u64 vcc, 0
	s_subb_u32 s3, s2, 0
	v_subrev_co_u32_e32 v5, vcc, s76, v4
	s_cmp_lg_u64 vcc, 0
	s_subb_u32 s6, s3, 0
	v_cmp_le_u32_e32 vcc, s76, v4
	s_cmp_eq_u32 s3, 0
	v_cndmask_b32_e64 v6, 0, -1, vcc
	s_cselect_b64 vcc, -1, 0
	v_cndmask_b32_e32 v6, -1, v6, vcc
	v_mov_b32_e32 v7, s3
	v_mov_b32_e32 v8, s6
	v_cmp_ne_u32_e32 vcc, 0, v6
	v_cndmask_b32_e32 v6, v7, v8, vcc
	v_cndmask_b32_e32 v4, v4, v5, vcc
	v_cmp_le_u32_e32 vcc, s76, v2
	s_cmp_eq_u32 s2, 0
	v_cndmask_b32_e64 v5, 0, -1, vcc
	s_cselect_b64 vcc, -1, 0
	v_cndmask_b32_e32 v5, -1, v5, vcc
	v_mov_b32_e32 v7, s2
	v_cmp_ne_u32_e32 vcc, 0, v5
	v_cndmask_b32_e32 v5, v7, v6, vcc
	v_cndmask_b32_e32 v4, v2, v4, vcc
	s_cbranch_execnz .LBB95_69
.LBB95_68:                              ;   in Loop: Header=BB95_35 Depth=1
	v_cvt_f32_u32_e32 v2, s76
	s_sub_i32 s2, 0, s76
	v_rcp_iflag_f32_e32 v2, v2
	v_mul_f32_e32 v2, 0x4f7ffffe, v2
	v_cvt_u32_f32_e32 v2, v2
	v_mul_lo_u32 v4, s2, v2
	v_mul_hi_u32 v4, v2, v4
	v_add_u32_e32 v2, v2, v4
	v_mul_hi_u32 v2, s52, v2
	v_mul_lo_u32 v2, v2, s76
	v_sub_u32_e32 v2, s52, v2
	v_subrev_u32_e32 v4, s76, v2
	v_cmp_le_u32_e32 vcc, s76, v2
	v_cndmask_b32_e32 v2, v2, v4, vcc
	v_subrev_u32_e32 v4, s76, v2
	v_cmp_le_u32_e32 vcc, s76, v2
	v_cndmask_b32_e32 v2, v2, v4, vcc
	v_pk_mov_b32 v[4:5], v[2:3], v[2:3] op_sel:[0,1]
.LBB95_69:                              ;   in Loop: Header=BB95_35 Depth=1
	v_mov_b32_e32 v2, s53
	v_sub_co_u32_e32 v32, vcc, s52, v4
	v_subb_co_u32_e32 v33, vcc, v2, v5, vcc
	v_pk_mov_b32 v[4:5], 0, 0
	v_cmp_gt_u64_e32 vcc, v[32:33], v[14:15]
	s_mov_b64 s[2:3], 0
	v_pk_mov_b32 v[6:7], v[4:5], v[4:5] op_sel:[0,1]
	v_pk_mov_b32 v[8:9], v[4:5], v[4:5] op_sel:[0,1]
	;; [unrolled: 1-line block ×3, first 2 shown]
	s_and_saveexec_b64 s[82:83], vcc
	s_cbranch_execz .LBB95_73
; %bb.70:                               ;   in Loop: Header=BB95_35 Depth=1
	v_readlane_b32 s10, v51, 30
	v_readlane_b32 s11, v51, 31
	s_mul_i32 s6, s11, s1
	s_mul_hi_u32 s7, s10, s1
	s_mov_b32 s85, s88
	s_mov_b64 s[70:71], s[34:35]
	s_mov_b64 s[62:63], s[30:31]
	;; [unrolled: 1-line block ×3, first 2 shown]
	s_mov_b32 s91, s69
	s_mov_b64 s[88:89], s[64:65]
	s_mov_b64 s[64:65], s[60:61]
	s_mov_b32 s90, s94
	s_and_b32 s81, s94, 0xfe
	s_add_i32 s60, s7, s6
	s_mul_i32 s61, s10, s1
	v_pk_mov_b32 v[34:35], v[26:27], v[26:27] op_sel:[0,1]
	v_pk_mov_b32 v[36:37], v[24:25], v[24:25] op_sel:[0,1]
	;; [unrolled: 1-line block ×4, first 2 shown]
	s_mov_b64 s[26:27], 0
	s_mov_b64 s[94:95], 0
	s_mov_b64 s[68:69], 0
	s_mov_b64 s[78:79], 0
	v_pk_mov_b32 v[42:43], v[14:15], v[14:15] op_sel:[0,1]
.LBB95_71:                              ;   Parent Loop BB95_35 Depth=1
                                        ; =>  This Inner Loop Header: Depth=2
	v_mov_b32_e32 v2, s73
	v_add_co_u32_e32 v4, vcc, s72, v36
	v_add_co_u32_e64 v10, s[18:19], s72, v34
	v_add_co_u32_e64 v6, s[10:11], s72, v38
	;; [unrolled: 1-line block ×3, first 2 shown]
	v_addc_co_u32_e64 v11, s[18:19], v35, v2, s[18:19]
	v_addc_co_u32_e32 v5, vcc, v37, v2, vcc
	v_addc_co_u32_e64 v7, vcc, v39, v2, s[10:11]
	v_addc_co_u32_e64 v9, vcc, v41, v2, s[12:13]
	global_load_dword v2, v[10:11], off
	s_nop 0
	global_load_dword v4, v[4:5], off
	s_nop 0
	;; [unrolled: 2-line block ×3, first 2 shown]
	global_load_dword v6, v[8:9], off
	v_mov_b32_e32 v29, s60
	v_add_co_u32_e64 v40, s[6:7], s61, v40
	v_add_co_u32_e64 v36, s[16:17], s61, v36
	v_add_co_u32_e64 v38, s[14:15], s61, v38
	v_addc_co_u32_e64 v41, vcc, v41, v29, s[6:7]
	v_addc_co_u32_e64 v37, vcc, v37, v29, s[16:17]
	v_add_co_u32_e64 v42, s[22:23], s76, v42
	v_addc_co_u32_e64 v39, vcc, v39, v29, s[14:15]
	v_addc_co_u32_e64 v43, s[22:23], 0, v43, s[22:23]
	v_add_co_u32_e64 v34, s[20:21], s61, v34
	v_addc_co_u32_e64 v35, vcc, v35, v29, s[20:21]
	v_cmp_ge_u64_e32 vcc, v[42:43], v[32:33]
	s_waitcnt vmcnt(3)
	v_xor_b32_e32 v2, 0x80000000, v2
	s_waitcnt vmcnt(2)
	v_xor_b32_e32 v4, 0x80000000, v4
	v_and_b32_e32 v7, s5, v2
	v_bfe_u32 v2, v2, s81, 2
	s_waitcnt vmcnt(1)
	v_xor_b32_e32 v5, 0x80000000, v5
	v_and_b32_e32 v8, s5, v4
	v_bfe_u32 v4, v4, s81, 2
	v_cmp_eq_u32_e64 s[16:17], s80, v7
	v_cmp_eq_u32_e64 s[6:7], 0, v2
	s_waitcnt vmcnt(0)
	v_xor_b32_e32 v6, 0x80000000, v6
	v_and_b32_e32 v9, s5, v5
	v_bfe_u32 v5, v5, s81, 2
	v_cmp_eq_u32_e64 s[14:15], s80, v8
	v_cmp_eq_u32_e64 s[28:29], 0, v4
	s_and_b64 s[6:7], s[16:17], s[6:7]
	v_and_b32_e32 v10, s5, v6
	v_bfe_u32 v6, v6, s81, 2
	v_cmp_eq_u32_e64 s[12:13], s80, v9
	v_cmp_eq_u32_e64 s[30:31], 0, v5
	;; [unrolled: 1-line block ×5, first 2 shown]
	v_cndmask_b32_e64 v2, 0, 1, s[6:7]
	s_and_b64 s[6:7], s[14:15], s[28:29]
	v_cmp_eq_u32_e64 s[10:11], s80, v10
	v_cmp_eq_u32_e64 s[34:35], 0, v6
	;; [unrolled: 1-line block ×5, first 2 shown]
	v_cndmask_b32_e64 v4, 0, 1, s[6:7]
	s_and_b64 s[6:7], s[12:13], s[30:31]
	v_cmp_eq_u32_e64 s[40:41], 1, v5
	v_cmp_eq_u32_e64 s[48:49], 2, v5
	;; [unrolled: 1-line block ×3, first 2 shown]
	v_cndmask_b32_e64 v5, 0, 1, s[6:7]
	s_and_b64 s[6:7], s[10:11], s[34:35]
	v_cmp_eq_u32_e64 s[42:43], 1, v6
	v_cmp_eq_u32_e64 s[50:51], 2, v6
	;; [unrolled: 1-line block ×3, first 2 shown]
	v_cndmask_b32_e64 v6, 0, 1, s[6:7]
	v_cmp_ne_u32_e64 s[6:7], 0, v2
	v_cmp_ne_u32_e64 s[28:29], 0, v4
	v_cmp_ne_u32_e64 s[30:31], 0, v5
	v_cmp_ne_u32_e64 s[34:35], 0, v6
	s_bcnt1_i32_b64 s6, s[6:7]
	s_bcnt1_i32_b64 s7, s[28:29]
	s_bcnt1_i32_b64 s28, s[30:31]
	s_bcnt1_i32_b64 s29, s[34:35]
	s_add_u32 s6, s6, s78
	s_addc_u32 s30, 0, s79
	s_add_u32 s6, s6, s7
	s_addc_u32 s7, s30, 0
	s_add_u32 s6, s6, s28
	s_addc_u32 s7, s7, 0
	s_add_u32 s78, s6, s29
	s_addc_u32 s79, s7, 0
	s_and_b64 s[6:7], s[16:17], s[36:37]
	v_cndmask_b32_e64 v2, 0, 1, s[6:7]
	s_and_b64 s[6:7], s[14:15], s[38:39]
	v_cndmask_b32_e64 v6, 0, 1, s[6:7]
	s_and_b64 s[6:7], s[12:13], s[40:41]
	v_cndmask_b32_e64 v7, 0, 1, s[6:7]
	s_and_b64 s[6:7], s[10:11], s[42:43]
	v_cndmask_b32_e64 v8, 0, 1, s[6:7]
	v_cmp_ne_u32_e64 s[6:7], 0, v2
	v_cmp_ne_u32_e64 s[28:29], 0, v6
	v_cmp_ne_u32_e64 s[30:31], 0, v7
	v_cmp_ne_u32_e64 s[34:35], 0, v8
	s_bcnt1_i32_b64 s6, s[6:7]
	s_bcnt1_i32_b64 s7, s[28:29]
	s_bcnt1_i32_b64 s28, s[30:31]
	s_bcnt1_i32_b64 s29, s[34:35]
	s_add_u32 s6, s6, s68
	s_addc_u32 s30, 0, s69
	s_add_u32 s6, s6, s7
	s_addc_u32 s7, s30, 0
	s_add_u32 s6, s6, s28
	s_addc_u32 s7, s7, 0
	s_add_u32 s68, s6, s29
	s_addc_u32 s69, s7, 0
	s_and_b64 s[6:7], s[16:17], s[44:45]
	v_cndmask_b32_e64 v2, 0, 1, s[6:7]
	s_and_b64 s[6:7], s[14:15], s[46:47]
	v_cndmask_b32_e64 v8, 0, 1, s[6:7]
	s_and_b64 s[6:7], s[12:13], s[48:49]
	v_cndmask_b32_e64 v9, 0, 1, s[6:7]
	s_and_b64 s[6:7], s[10:11], s[50:51]
	;; [unrolled: 24-line block ×3, first 2 shown]
	v_cndmask_b32_e64 v29, 0, 1, s[6:7]
	v_cmp_ne_u32_e64 s[6:7], 0, v2
	v_cmp_ne_u32_e64 s[10:11], 0, v10
	;; [unrolled: 1-line block ×4, first 2 shown]
	s_bcnt1_i32_b64 s6, s[6:7]
	s_bcnt1_i32_b64 s7, s[10:11]
	s_bcnt1_i32_b64 s10, s[12:13]
	s_bcnt1_i32_b64 s11, s[14:15]
	s_add_u32 s6, s6, s26
	s_addc_u32 s12, 0, s27
	s_add_u32 s6, s6, s7
	s_addc_u32 s7, s12, 0
	;; [unrolled: 2-line block ×4, first 2 shown]
	v_pk_mov_b32 v[4:5], s[78:79], s[78:79] op_sel:[0,1]
	v_pk_mov_b32 v[6:7], s[68:69], s[68:69] op_sel:[0,1]
	;; [unrolled: 1-line block ×3, first 2 shown]
	s_or_b64 s[2:3], vcc, s[2:3]
	v_pk_mov_b32 v[10:11], s[26:27], s[26:27] op_sel:[0,1]
	s_andn2_b64 exec, exec, s[2:3]
	s_cbranch_execnz .LBB95_71
; %bb.72:                               ;   in Loop: Header=BB95_35 Depth=1
	s_or_b64 exec, exec, s[2:3]
	v_readlane_b32 s46, v51, 32
	v_readlane_b32 s48, v51, 34
	;; [unrolled: 1-line block ×4, first 2 shown]
	s_mov_b64 s[60:61], s[64:65]
	v_readlane_b32 s47, v51, 33
	v_readlane_b32 s49, v51, 35
	v_readlane_b32 s51, v51, 37
	s_mov_b64 s[64:65], s[88:89]
	s_mov_b32 s69, s91
	v_readlane_b32 s79, v51, 39
	s_mov_b32 s94, s90
	s_mov_b64 s[40:41], s[8:9]
	s_mov_b64 s[30:31], s[62:63]
	;; [unrolled: 1-line block ×3, first 2 shown]
	s_mov_b32 s88, s85
	v_readlane_b32 s85, v51, 40
.LBB95_73:                              ;   in Loop: Header=BB95_35 Depth=1
	s_or_b64 exec, exec, s[82:83]
	v_add_co_u32_e32 v32, vcc, v32, v0
	v_addc_co_u32_e32 v33, vcc, 0, v33, vcc
	v_cmp_gt_u64_e32 vcc, s[52:53], v[32:33]
	v_mov_b32_e32 v2, 0
	s_and_saveexec_b64 s[2:3], vcc
	s_cbranch_execz .LBB95_75
; %bb.74:                               ;   in Loop: Header=BB95_35 Depth=1
	v_mul_lo_u32 v2, v33, s56
	v_mul_lo_u32 v29, v32, s57
	v_mad_u64_u32 v[34:35], s[6:7], v32, s56, 0
	v_add3_u32 v35, v35, v29, v2
	v_lshlrev_b64 v[34:35], 2, v[34:35]
	v_mov_b32_e32 v2, s84
	v_add_co_u32_e64 v34, s[6:7], s87, v34
	v_addc_co_u32_e64 v35, s[6:7], v2, v35, s[6:7]
	global_load_dword v2, v[34:35], off
.LBB95_75:                              ;   in Loop: Header=BB95_35 Depth=1
	s_or_b64 exec, exec, s[2:3]
	s_and_saveexec_b64 s[2:3], vcc
	s_cbranch_execz .LBB95_82
; %bb.76:                               ;   in Loop: Header=BB95_35 Depth=1
	s_and_b32 s14, s94, 0xfe
	s_mov_b64 s[10:11], 0
	s_branch .LBB95_78
.LBB95_77:                              ;   in Loop: Header=BB95_78 Depth=2
	s_or_b64 exec, exec, s[12:13]
	s_waitcnt vmcnt(0)
	v_xor_b32_e32 v2, 0x80000000, v2
	s_and_b64 s[6:7], exec, vcc
	v_and_b32_e32 v30, s5, v2
	v_bfe_u32 v2, v2, s14, 2
	s_or_b64 s[10:11], s[6:7], s[10:11]
	v_cmp_eq_u32_e32 vcc, s80, v30
	v_cmp_eq_u32_e64 s[6:7], 0, v2
	s_and_b64 s[6:7], vcc, s[6:7]
	v_cndmask_b32_e64 v30, 0, 1, s[6:7]
	v_cmp_ne_u32_e64 s[6:7], 0, v30
	s_bcnt1_i32_b64 s6, s[6:7]
	v_add_co_u32_e64 v4, s[6:7], s6, v4
	v_addc_co_u32_e64 v5, s[6:7], 0, v5, s[6:7]
	v_cmp_eq_u32_e64 s[6:7], 1, v2
	s_and_b64 s[6:7], vcc, s[6:7]
	v_cndmask_b32_e64 v30, 0, 1, s[6:7]
	v_cmp_ne_u32_e64 s[6:7], 0, v30
	s_bcnt1_i32_b64 s6, s[6:7]
	v_add_co_u32_e64 v6, s[6:7], s6, v6
	v_addc_co_u32_e64 v7, s[6:7], 0, v7, s[6:7]
	;; [unrolled: 7-line block ×3, first 2 shown]
	v_cmp_eq_u32_e64 s[6:7], 3, v2
	s_and_b64 s[6:7], vcc, s[6:7]
	v_cndmask_b32_e64 v2, 0, 1, s[6:7]
	v_cmp_ne_u32_e32 vcc, 0, v2
	s_bcnt1_i32_b64 s6, vcc
	v_add_co_u32_e32 v10, vcc, s6, v10
	v_addc_co_u32_e32 v11, vcc, 0, v11, vcc
	v_mov_b32_e32 v2, v29
	s_andn2_b64 exec, exec, s[10:11]
	s_cbranch_execz .LBB95_81
.LBB95_78:                              ;   Parent Loop BB95_35 Depth=1
                                        ; =>  This Inner Loop Header: Depth=2
	v_mov_b32_e32 v29, s77
	v_add_co_u32_e32 v32, vcc, s1, v32
	v_addc_co_u32_e32 v33, vcc, v33, v29, vcc
	v_cmp_gt_u64_e64 s[6:7], s[52:53], v[32:33]
	v_cmp_le_u64_e32 vcc, s[52:53], v[32:33]
	v_mov_b32_e32 v29, 0
	s_and_saveexec_b64 s[12:13], s[6:7]
	s_cbranch_execz .LBB95_77
; %bb.79:                               ;   in Loop: Header=BB95_78 Depth=2
	v_mul_lo_u32 v29, v33, s56
	v_mul_lo_u32 v30, v32, s57
	v_mad_u64_u32 v[34:35], s[6:7], v32, s56, 0
	v_add3_u32 v35, v35, v30, v29
	v_lshlrev_b64 v[34:35], 2, v[34:35]
	v_mov_b32_e32 v29, s84
	v_add_co_u32_e64 v34, s[6:7], s87, v34
	v_addc_co_u32_e64 v35, s[6:7], v29, v35, s[6:7]
	global_load_dword v29, v[34:35], off
	s_branch .LBB95_77
.LBB95_80:                              ;   in Loop: Header=BB95_35 Depth=1
                                        ; implicit-def: $vgpr10_vgpr11
                                        ; implicit-def: $vgpr6_vgpr7
	s_cbranch_execnz .LBB95_83
	s_branch .LBB95_92
.LBB95_81:                              ;   in Loop: Header=BB95_35 Depth=1
	s_or_b64 exec, exec, s[10:11]
.LBB95_82:                              ;   in Loop: Header=BB95_35 Depth=1
	s_or_b64 exec, exec, s[2:3]
	s_branch .LBB95_92
.LBB95_83:                              ;   in Loop: Header=BB95_35 Depth=1
	global_load_ushort v2, v3, s[78:79]
	s_mov_b64 s[2:3], 0
	s_waitcnt vmcnt(0)
	v_readfirstlane_b32 s1, v2
	s_and_b32 s1, 0xffff, s1
	s_lshl_b32 s81, s1, 2
	v_cvt_f32_u32_e32 v4, s81
	s_sub_i32 s1, 0, s81
	v_and_b32_e32 v29, 0xffff, v2
	v_rcp_iflag_f32_e32 v8, v4
	v_pk_mov_b32 v[4:5], 0, 0
	v_pk_mov_b32 v[6:7], v[4:5], v[4:5] op_sel:[0,1]
	v_mul_f32_e32 v8, 0x4f7ffffe, v8
	v_cvt_u32_f32_e32 v10, v8
	v_pk_mov_b32 v[8:9], v[4:5], v[4:5] op_sel:[0,1]
	v_readfirstlane_b32 s6, v10
	s_mul_i32 s1, s1, s6
	s_mul_hi_u32 s1, s6, s1
	s_add_i32 s6, s6, s1
	s_mul_hi_u32 s1, s0, s6
	s_mul_i32 s1, s1, s81
	s_sub_i32 s1, s0, s1
	s_sub_i32 s6, s1, s81
	s_cmp_ge_u32 s1, s81
	s_cselect_b32 s1, s6, s1
	s_sub_i32 s6, s1, s81
	s_cmp_ge_u32 s1, s81
	s_cselect_b32 s1, s6, s1
	s_sub_i32 s76, s0, s1
	v_cmp_gt_u32_e32 vcc, s76, v14
	v_pk_mov_b32 v[10:11], v[4:5], v[4:5] op_sel:[0,1]
	s_and_saveexec_b64 s[26:27], vcc
	s_cbranch_execz .LBB95_87
; %bb.84:                               ;   in Loop: Header=BB95_35 Depth=1
	s_mov_b32 s85, s88
	s_mov_b64 s[70:71], s[34:35]
	s_mov_b64 s[62:63], s[30:31]
	;; [unrolled: 1-line block ×3, first 2 shown]
	s_mov_b32 s89, s69
	s_mov_b32 s88, s94
	s_and_b32 s1, s94, 0xfe
	v_lshlrev_b32_e32 v2, 4, v29
	v_mov_b32_e32 v30, v48
	s_mov_b64 s[68:69], 0
	s_mov_b64 s[78:79], 0
	;; [unrolled: 1-line block ×4, first 2 shown]
	v_pk_mov_b32 v[32:33], v[14:15], v[14:15] op_sel:[0,1]
.LBB95_85:                              ;   Parent Loop BB95_35 Depth=1
                                        ; =>  This Inner Loop Header: Depth=2
	ds_read_b128 v[4:7], v30
	v_add_co_u32_e32 v32, vcc, s81, v32
	v_addc_co_u32_e32 v33, vcc, 0, v33, vcc
	s_waitcnt lgkmcnt(0)
	v_xor_b32_e32 v4, 0x80000000, v4
	v_xor_b32_e32 v5, 0x80000000, v5
	v_and_b32_e32 v8, s5, v4
	v_bfe_u32 v4, v4, s1, 2
	v_xor_b32_e32 v6, 0x80000000, v6
	v_and_b32_e32 v9, s5, v5
	v_bfe_u32 v5, v5, s1, 2
	v_cmp_eq_u32_e64 s[16:17], s80, v8
	v_cmp_eq_u32_e64 s[6:7], 0, v4
	v_xor_b32_e32 v7, 0x80000000, v7
	v_and_b32_e32 v10, s5, v6
	v_bfe_u32 v6, v6, s1, 2
	v_cmp_eq_u32_e64 s[14:15], s80, v9
	v_cmp_eq_u32_e64 s[28:29], 0, v5
	s_and_b64 s[6:7], s[16:17], s[6:7]
	v_and_b32_e32 v11, s5, v7
	v_bfe_u32 v7, v7, s1, 2
	v_cmp_eq_u32_e64 s[12:13], s80, v10
	v_cmp_eq_u32_e64 s[30:31], 0, v6
	;; [unrolled: 1-line block ×5, first 2 shown]
	v_cndmask_b32_e64 v4, 0, 1, s[6:7]
	s_and_b64 s[6:7], s[14:15], s[28:29]
	v_cmp_eq_u32_e64 s[10:11], s80, v11
	v_cmp_eq_u32_e64 s[34:35], 0, v7
	v_cmp_eq_u32_e64 s[38:39], 1, v5
	v_cmp_eq_u32_e64 s[46:47], 2, v5
	v_cmp_eq_u32_e64 s[22:23], 3, v5
	v_cndmask_b32_e64 v5, 0, 1, s[6:7]
	s_and_b64 s[6:7], s[12:13], s[30:31]
	v_cmp_eq_u32_e64 s[40:41], 1, v6
	v_cmp_eq_u32_e64 s[48:49], 2, v6
	;; [unrolled: 1-line block ×3, first 2 shown]
	v_cndmask_b32_e64 v6, 0, 1, s[6:7]
	s_and_b64 s[6:7], s[10:11], s[34:35]
	v_cmp_eq_u32_e64 s[42:43], 1, v7
	v_cmp_eq_u32_e64 s[50:51], 2, v7
	;; [unrolled: 1-line block ×3, first 2 shown]
	v_cndmask_b32_e64 v7, 0, 1, s[6:7]
	v_cmp_ne_u32_e64 s[6:7], 0, v4
	v_cmp_ne_u32_e64 s[28:29], 0, v5
	v_cmp_ne_u32_e64 s[30:31], 0, v6
	v_cmp_ne_u32_e64 s[34:35], 0, v7
	s_bcnt1_i32_b64 s6, s[6:7]
	s_bcnt1_i32_b64 s7, s[28:29]
	s_bcnt1_i32_b64 s28, s[30:31]
	s_bcnt1_i32_b64 s29, s[34:35]
	s_add_u32 s6, s6, s94
	s_addc_u32 s30, 0, s95
	s_add_u32 s6, s6, s7
	s_addc_u32 s7, s30, 0
	s_add_u32 s6, s6, s28
	s_addc_u32 s7, s7, 0
	s_add_u32 s94, s6, s29
	s_addc_u32 s95, s7, 0
	s_and_b64 s[6:7], s[16:17], s[36:37]
	v_cndmask_b32_e64 v6, 0, 1, s[6:7]
	s_and_b64 s[6:7], s[14:15], s[38:39]
	v_cndmask_b32_e64 v7, 0, 1, s[6:7]
	s_and_b64 s[6:7], s[12:13], s[40:41]
	v_cndmask_b32_e64 v8, 0, 1, s[6:7]
	s_and_b64 s[6:7], s[10:11], s[42:43]
	v_cndmask_b32_e64 v9, 0, 1, s[6:7]
	v_cmp_ne_u32_e64 s[6:7], 0, v6
	v_cmp_ne_u32_e64 s[28:29], 0, v7
	v_cmp_ne_u32_e64 s[30:31], 0, v8
	v_cmp_ne_u32_e64 s[34:35], 0, v9
	s_bcnt1_i32_b64 s6, s[6:7]
	s_bcnt1_i32_b64 s7, s[28:29]
	s_bcnt1_i32_b64 s28, s[30:31]
	s_bcnt1_i32_b64 s29, s[34:35]
	s_add_u32 s6, s6, s82
	s_addc_u32 s30, 0, s83
	s_add_u32 s6, s6, s7
	s_addc_u32 s7, s30, 0
	s_add_u32 s6, s6, s28
	s_addc_u32 s7, s7, 0
	s_add_u32 s82, s6, s29
	s_addc_u32 s83, s7, 0
	s_and_b64 s[6:7], s[16:17], s[44:45]
	v_cndmask_b32_e64 v8, 0, 1, s[6:7]
	s_and_b64 s[6:7], s[14:15], s[46:47]
	v_cndmask_b32_e64 v9, 0, 1, s[6:7]
	s_and_b64 s[6:7], s[12:13], s[48:49]
	v_cndmask_b32_e64 v10, 0, 1, s[6:7]
	s_and_b64 s[6:7], s[10:11], s[50:51]
	;; [unrolled: 24-line block ×3, first 2 shown]
	v_cndmask_b32_e64 v35, 0, 1, s[6:7]
	v_cmp_ne_u32_e64 s[6:7], 0, v10
	v_cmp_ne_u32_e64 s[10:11], 0, v11
	;; [unrolled: 1-line block ×4, first 2 shown]
	s_bcnt1_i32_b64 s6, s[6:7]
	s_bcnt1_i32_b64 s7, s[10:11]
	;; [unrolled: 1-line block ×4, first 2 shown]
	s_add_u32 s6, s6, s68
	s_addc_u32 s12, 0, s69
	s_add_u32 s6, s6, s7
	s_addc_u32 s7, s12, 0
	;; [unrolled: 2-line block ×3, first 2 shown]
	s_add_u32 s68, s6, s11
	v_cmp_le_u64_e32 vcc, s[76:77], v[32:33]
	s_addc_u32 s69, s7, 0
	v_add_u32_e32 v30, v30, v2
	v_pk_mov_b32 v[4:5], s[94:95], s[94:95] op_sel:[0,1]
	v_pk_mov_b32 v[6:7], s[82:83], s[82:83] op_sel:[0,1]
	;; [unrolled: 1-line block ×3, first 2 shown]
	s_or_b64 s[2:3], vcc, s[2:3]
	v_pk_mov_b32 v[10:11], s[68:69], s[68:69] op_sel:[0,1]
	s_andn2_b64 exec, exec, s[2:3]
	s_cbranch_execnz .LBB95_85
; %bb.86:                               ;   in Loop: Header=BB95_35 Depth=1
	s_or_b64 exec, exec, s[2:3]
	v_readlane_b32 s46, v51, 32
	v_readlane_b32 s48, v51, 34
	;; [unrolled: 1-line block ×7, first 2 shown]
	s_mov_b32 s69, s89
	v_readlane_b32 s79, v51, 39
	s_mov_b32 s94, s88
	s_mov_b64 s[40:41], s[8:9]
	s_mov_b64 s[30:31], s[62:63]
	;; [unrolled: 1-line block ×3, first 2 shown]
	s_mov_b32 s88, s85
	v_readlane_b32 s85, v51, 40
.LBB95_87:                              ;   in Loop: Header=BB95_35 Depth=1
	s_or_b64 exec, exec, s[26:27]
	v_add_u32_e32 v2, s76, v0
	v_cmp_gt_u32_e32 vcc, s0, v2
	s_and_saveexec_b64 s[2:3], vcc
	s_cbranch_execz .LBB95_91
; %bb.88:                               ;   in Loop: Header=BB95_35 Depth=1
	s_and_b32 s76, s0, 0x7fffffff
	s_and_b32 s18, s94, 0xfe
	v_lshlrev_b32_e32 v30, 2, v2
	s_mov_b64 s[0:1], 0
	v_pk_mov_b32 v[32:33], v[2:3], v[2:3] op_sel:[0,1]
.LBB95_89:                              ;   Parent Loop BB95_35 Depth=1
                                        ; =>  This Inner Loop Header: Depth=2
	ds_read_b32 v2, v30
	v_add_co_u32_e32 v32, vcc, v32, v29
	v_addc_co_u32_e32 v33, vcc, 0, v33, vcc
	s_waitcnt lgkmcnt(0)
	v_xor_b32_e32 v2, 0x80000000, v2
	v_and_b32_e32 v34, s5, v2
	v_bfe_u32 v2, v2, s18, 2
	v_cmp_eq_u32_e64 s[6:7], s80, v34
	v_cmp_eq_u32_e64 s[10:11], 0, v2
	;; [unrolled: 1-line block ×3, first 2 shown]
	s_and_b64 s[10:11], s[6:7], s[10:11]
	v_cmp_eq_u32_e64 s[14:15], 2, v2
	v_cmp_eq_u32_e64 s[16:17], 3, v2
	v_cndmask_b32_e64 v2, 0, 1, s[10:11]
	s_and_b64 s[10:11], s[6:7], s[12:13]
	v_cndmask_b32_e64 v34, 0, 1, s[10:11]
	s_and_b64 s[10:11], s[6:7], s[14:15]
	s_and_b64 s[6:7], s[6:7], s[16:17]
	v_cndmask_b32_e64 v35, 0, 1, s[10:11]
	v_cndmask_b32_e64 v36, 0, 1, s[6:7]
	v_cmp_ne_u32_e64 s[6:7], 0, v2
	v_cmp_ne_u32_e64 s[10:11], 0, v34
	;; [unrolled: 1-line block ×4, first 2 shown]
	v_cmp_le_u64_e32 vcc, s[76:77], v[32:33]
	s_bcnt1_i32_b64 s6, s[6:7]
	s_bcnt1_i32_b64 s7, s[10:11]
	;; [unrolled: 1-line block ×4, first 2 shown]
	s_or_b64 s[0:1], vcc, s[0:1]
	v_add_co_u32_e32 v4, vcc, s6, v4
	v_addc_co_u32_e32 v5, vcc, 0, v5, vcc
	v_add_co_u32_e32 v6, vcc, s7, v6
	v_addc_co_u32_e32 v7, vcc, 0, v7, vcc
	;; [unrolled: 2-line block ×3, first 2 shown]
	v_add_co_u32_e32 v10, vcc, s11, v10
	v_add_u32_e32 v30, s81, v30
	v_addc_co_u32_e32 v11, vcc, 0, v11, vcc
	s_andn2_b64 exec, exec, s[0:1]
	s_cbranch_execnz .LBB95_89
; %bb.90:                               ;   in Loop: Header=BB95_35 Depth=1
	s_or_b64 exec, exec, s[0:1]
.LBB95_91:                              ;   in Loop: Header=BB95_35 Depth=1
	s_or_b64 exec, exec, s[2:3]
.LBB95_92:                              ;   in Loop: Header=BB95_35 Depth=1
	s_lshl_b32 s2, s88, 6
	s_and_saveexec_b64 s[0:1], s[48:49]
	s_cbranch_execz .LBB95_94
; %bb.93:                               ;   in Loop: Header=BB95_35 Depth=1
	s_waitcnt vmcnt(0)
	v_or_b32_e32 v2, s2, v46
	v_lshlrev_b32_e32 v2, 3, v2
	ds_write_b128 v2, v[4:7] offset:3072
	ds_write_b128 v2, v[8:11] offset:3088
.LBB95_94:                              ;   in Loop: Header=BB95_35 Depth=1
	s_or_b64 exec, exec, s[0:1]
	s_waitcnt lgkmcnt(0)
	s_barrier
	s_and_saveexec_b64 s[0:1], s[50:51]
	s_cbranch_execz .LBB95_106
; %bb.95:                               ;   in Loop: Header=BB95_35 Depth=1
	v_readlane_b32 s6, v51, 16
	v_readlane_b32 s7, v51, 17
	s_andn2_b64 vcc, exec, s[6:7]
	v_pk_mov_b32 v[4:5], 0, 0
	s_cbranch_vccnz .LBB95_105
; %bb.96:                               ;   in Loop: Header=BB95_35 Depth=1
	v_readlane_b32 s6, v51, 21
	v_readlane_b32 s7, v51, 22
	s_andn2_b64 vcc, exec, s[6:7]
	s_cbranch_vccnz .LBB95_101
; %bb.97:                               ;   in Loop: Header=BB95_35 Depth=1
	s_waitcnt vmcnt(0)
	v_lshl_add_u32 v2, s88, 9, v49
	s_mov_b32 s3, 0
	v_pk_mov_b32 v[4:5], 0, 0
.LBB95_98:                              ;   Parent Loop BB95_35 Depth=1
                                        ; =>  This Inner Loop Header: Depth=2
	ds_read2_b64 v[6:9], v2 offset1:4
	ds_read2_b64 v[32:35], v2 offset0:8 offset1:12
	ds_read2_b64 v[36:39], v2 offset0:16 offset1:20
	ds_read2_b64 v[40:43], v2 offset0:24 offset1:28
	s_add_i32 s3, s3, 8
	s_waitcnt lgkmcnt(3)
	v_add_co_u32_e32 v4, vcc, v6, v4
	v_addc_co_u32_e32 v5, vcc, v7, v5, vcc
	v_add_co_u32_e32 v4, vcc, v8, v4
	v_addc_co_u32_e32 v5, vcc, v9, v5, vcc
	s_waitcnt lgkmcnt(2)
	v_add_co_u32_e32 v4, vcc, v32, v4
	v_addc_co_u32_e32 v5, vcc, v33, v5, vcc
	v_add_co_u32_e32 v4, vcc, v34, v4
	v_addc_co_u32_e32 v5, vcc, v35, v5, vcc
	s_waitcnt lgkmcnt(1)
	v_add_co_u32_e32 v4, vcc, v36, v4
	v_addc_co_u32_e32 v5, vcc, v37, v5, vcc
	v_add_co_u32_e32 v4, vcc, v38, v4
	v_addc_co_u32_e32 v5, vcc, v39, v5, vcc
	s_waitcnt lgkmcnt(0)
	v_add_co_u32_e32 v4, vcc, v40, v4
	v_addc_co_u32_e32 v5, vcc, v41, v5, vcc
	v_add_co_u32_e32 v4, vcc, v42, v4
	v_add_u32_e32 v2, 0x100, v2
	s_cmp_eq_u32 s85, s3
	v_addc_co_u32_e32 v5, vcc, v43, v5, vcc
	s_cbranch_scc0 .LBB95_98
; %bb.99:                               ;   in Loop: Header=BB95_35 Depth=1
	s_mov_b32 s3, s85
	s_branch .LBB95_102
.LBB95_100:                             ;   in Loop: Header=BB95_35 Depth=1
                                        ; implicit-def: $vgpr4_vgpr5
	s_branch .LBB95_68
.LBB95_101:                             ;   in Loop: Header=BB95_35 Depth=1
	s_mov_b32 s3, 0
	v_pk_mov_b32 v[4:5], 0, 0
.LBB95_102:                             ;   in Loop: Header=BB95_35 Depth=1
	v_readlane_b32 s6, v51, 24
	v_readlane_b32 s7, v51, 25
	s_andn2_b64 vcc, exec, s[6:7]
	s_cbranch_vccnz .LBB95_105
; %bb.103:                              ;   in Loop: Header=BB95_35 Depth=1
	s_lshl_b32 s6, s88, 9
	s_lshl_b32 s3, s3, 5
	s_add_i32 s6, s6, s3
	s_waitcnt vmcnt(0)
	v_add_u32_e32 v2, s6, v49
	v_readlane_b32 s3, v51, 23
.LBB95_104:                             ;   Parent Loop BB95_35 Depth=1
                                        ; =>  This Inner Loop Header: Depth=2
	ds_read_b64 v[6:7], v2
	s_add_i32 s3, s3, -1
	v_add_u32_e32 v2, 32, v2
	s_cmp_lg_u32 s3, 0
	s_waitcnt lgkmcnt(0)
	v_add_co_u32_e32 v4, vcc, v6, v4
	v_addc_co_u32_e32 v5, vcc, v7, v5, vcc
	s_cbranch_scc1 .LBB95_104
.LBB95_105:                             ;   in Loop: Header=BB95_35 Depth=1
	s_waitcnt vmcnt(0)
	v_add_lshl_u32 v2, s2, v44, 3
	ds_write_b64 v2, v[4:5] offset:3072
.LBB95_106:                             ;   in Loop: Header=BB95_35 Depth=1
	s_or_b64 exec, exec, s[0:1]
	s_lshl_b32 s0, s2, 3
	s_waitcnt vmcnt(0)
	v_mov_b32_e32 v2, s0
	s_waitcnt lgkmcnt(0)
	s_barrier
	ds_read_b128 v[4:7], v2 offset:3072
	ds_read_b128 v[8:11], v2 offset:3088
	s_and_b32 s36, s94, 0xfe
	s_lshl_b32 s44, 3, s36
	s_not_b32 s37, s44
	s_waitcnt lgkmcnt(1)
	v_readfirstlane_b32 s1, v5
	v_readfirstlane_b32 s0, v4
	s_cmp_eq_u64 s[0:1], 1
	s_cselect_b64 s[2:3], -1, 0
	s_cmp_eq_u64 s[64:65], 1
	s_cselect_b64 s[10:11], -1, 0
	s_and_b64 s[16:17], s[2:3], s[10:11]
	v_readfirstlane_b32 s24, v6
	v_readfirstlane_b32 s25, v7
	s_waitcnt lgkmcnt(0)
	v_readfirstlane_b32 s14, v8
	v_readfirstlane_b32 s15, v9
	v_readfirstlane_b32 s6, v10
	v_readfirstlane_b32 s7, v11
	s_mov_b64 s[12:13], -1
	s_and_b64 vcc, exec, s[16:17]
	s_cbranch_vccz .LBB95_121
; %bb.107:                              ;   in Loop: Header=BB95_35 Depth=1
	ds_read_b64 v[4:5], v3 offset:5120
	s_waitcnt lgkmcnt(0)
	s_barrier
	v_readfirstlane_b32 s2, v4
	v_readfirstlane_b32 s3, v5
	s_mov_b64 s[10:11], exec
	v_readlane_b32 s18, v51, 12
	v_readlane_b32 s19, v51, 13
	s_and_b64 s[18:19], s[10:11], s[18:19]
	s_mov_b64 exec, s[18:19]
	s_cbranch_execz .LBB95_109
; %bb.108:                              ;   in Loop: Header=BB95_35 Depth=1
	ds_write_b32 v45, v3
.LBB95_109:                             ;   in Loop: Header=BB95_35 Depth=1
	s_or_b64 exec, exec, s[10:11]
	s_and_b32 s80, s80, s37
	s_or_b32 s5, s5, s44
	s_cmp_eq_u64 s[2:3], 0
	s_waitcnt lgkmcnt(0)
	s_barrier
	s_cbranch_scc1 .LBB95_122
; %bb.110:                              ;   in Loop: Header=BB95_35 Depth=1
	v_readlane_b32 s10, v51, 18
	s_add_u32 s20, s10, s2
	v_readlane_b32 s10, v51, 20
	s_addc_u32 s11, s10, s3
	s_mov_b32 s10, s77
	s_cmp_lg_u64 s[10:11], 0
	s_cbranch_scc0 .LBB95_167
; %bb.111:                              ;   in Loop: Header=BB95_35 Depth=1
	v_cvt_f32_u32_e32 v2, s33
	s_sub_u32 s10, 0, s33
	s_subb_u32 s18, 0, 0
	v_mac_f32_e32 v2, 0, v50
	v_rcp_f32_e32 v2, v2
	v_mul_f32_e32 v2, 0x5f7ffffc, v2
	v_mul_f32_e32 v4, 0x2f800000, v2
	v_trunc_f32_e32 v4, v4
	v_mac_f32_e32 v2, 0xcf800000, v4
	v_cvt_u32_f32_e32 v4, v4
	v_cvt_u32_f32_e32 v2, v2
	v_readfirstlane_b32 s19, v4
	v_readfirstlane_b32 s21, v2
	s_mul_i32 s22, s10, s19
	s_mul_hi_u32 s26, s10, s21
	s_mul_i32 s23, s18, s21
	s_add_i32 s22, s26, s22
	s_mul_i32 s27, s10, s21
	s_add_i32 s22, s22, s23
	s_mul_hi_u32 s26, s21, s27
	s_mul_hi_u32 s23, s21, s22
	s_mul_i32 s21, s21, s22
	s_add_u32 s21, s26, s21
	s_addc_u32 s23, 0, s23
	s_mul_hi_u32 s28, s19, s27
	s_mul_i32 s27, s19, s27
	s_add_u32 s21, s21, s27
	s_mul_hi_u32 s26, s19, s22
	s_addc_u32 s21, s23, s28
	s_addc_u32 s23, s26, 0
	s_mul_i32 s22, s19, s22
	s_add_u32 s21, s21, s22
	s_addc_u32 s22, 0, s23
	v_add_co_u32_e32 v2, vcc, s21, v2
	s_cmp_lg_u64 vcc, 0
	s_addc_u32 s19, s19, s22
	v_readfirstlane_b32 s22, v2
	s_mul_i32 s21, s10, s19
	s_mul_hi_u32 s23, s10, s22
	s_add_i32 s21, s23, s21
	s_mul_i32 s18, s18, s22
	s_add_i32 s21, s21, s18
	s_mul_i32 s10, s10, s22
	s_mul_hi_u32 s23, s19, s10
	s_mul_i32 s26, s19, s10
	s_mul_i32 s28, s22, s21
	s_mul_hi_u32 s10, s22, s10
	s_mul_hi_u32 s27, s22, s21
	s_add_u32 s10, s10, s28
	s_addc_u32 s22, 0, s27
	s_add_u32 s10, s10, s26
	s_mul_hi_u32 s18, s19, s21
	s_addc_u32 s10, s22, s23
	s_addc_u32 s18, s18, 0
	s_mul_i32 s21, s19, s21
	s_add_u32 s10, s10, s21
	s_addc_u32 s18, 0, s18
	v_add_co_u32_e32 v2, vcc, s10, v2
	s_cmp_lg_u64 vcc, 0
	s_addc_u32 s10, s19, s18
	v_readfirstlane_b32 s21, v2
	s_mul_i32 s19, s20, s10
	s_mul_hi_u32 s22, s20, s21
	s_mul_hi_u32 s18, s20, s10
	s_add_u32 s19, s22, s19
	s_addc_u32 s18, 0, s18
	s_mul_hi_u32 s23, s11, s21
	s_mul_i32 s21, s11, s21
	s_add_u32 s19, s19, s21
	s_mul_hi_u32 s22, s11, s10
	s_addc_u32 s18, s18, s23
	s_addc_u32 s19, s22, 0
	s_mul_i32 s10, s11, s10
	s_add_u32 s10, s18, s10
	s_addc_u32 s18, 0, s19
	s_mul_hi_u32 s19, s33, s10
	s_mul_i32 s10, s33, s10
	s_mul_i32 s18, s33, s18
	v_mov_b32_e32 v2, s10
	s_add_i32 s19, s19, s18
	v_sub_co_u32_e32 v2, vcc, s20, v2
	s_cmp_lg_u64 vcc, 0
	s_subb_u32 s10, s11, s19
	v_subrev_co_u32_e32 v4, vcc, s33, v2
	s_cmp_lg_u64 vcc, 0
	s_subb_u32 s18, s10, 0
	v_subrev_co_u32_e32 v5, vcc, s33, v4
	s_cmp_lg_u64 vcc, 0
	s_subb_u32 s19, s18, 0
	v_cmp_le_u32_e32 vcc, s33, v4
	s_cmp_eq_u32 s18, 0
	v_cndmask_b32_e64 v6, 0, -1, vcc
	s_cselect_b64 vcc, -1, 0
	v_cndmask_b32_e32 v6, -1, v6, vcc
	v_mov_b32_e32 v7, s18
	v_mov_b32_e32 v8, s19
	v_cmp_ne_u32_e32 vcc, 0, v6
	v_cndmask_b32_e32 v6, v7, v8, vcc
	v_cndmask_b32_e32 v4, v4, v5, vcc
	v_cmp_le_u32_e32 vcc, s33, v2
	s_cmp_eq_u32 s10, 0
	v_cndmask_b32_e64 v5, 0, -1, vcc
	s_cselect_b64 vcc, -1, 0
	v_cndmask_b32_e32 v5, -1, v5, vcc
	v_mov_b32_e32 v7, s10
	v_cmp_ne_u32_e32 vcc, 0, v5
	v_cndmask_b32_e32 v5, v7, v6, vcc
	v_cndmask_b32_e32 v4, v2, v4, vcc
	s_cbranch_execnz .LBB95_113
.LBB95_112:                             ;   in Loop: Header=BB95_35 Depth=1
	v_cvt_f32_u32_e32 v2, s33
	s_sub_i32 s10, 0, s33
	v_rcp_iflag_f32_e32 v2, v2
	v_mul_f32_e32 v2, 0x4f7ffffe, v2
	v_cvt_u32_f32_e32 v2, v2
	v_mul_lo_u32 v4, s10, v2
	v_mul_hi_u32 v4, v2, v4
	v_add_u32_e32 v2, v2, v4
	v_mul_hi_u32 v2, s20, v2
	v_mul_lo_u32 v2, v2, s33
	v_sub_u32_e32 v2, s20, v2
	v_subrev_u32_e32 v4, s33, v2
	v_cmp_le_u32_e32 vcc, s33, v2
	v_cndmask_b32_e32 v2, v2, v4, vcc
	v_subrev_u32_e32 v4, s33, v2
	v_cmp_le_u32_e32 vcc, s33, v2
	v_cndmask_b32_e32 v2, v2, v4, vcc
	v_pk_mov_b32 v[4:5], v[2:3], v[2:3] op_sel:[0,1]
.LBB95_113:                             ;   in Loop: Header=BB95_35 Depth=1
	v_mov_b32_e32 v2, s11
	v_sub_co_u32_e32 v4, vcc, s20, v4
	v_subb_co_u32_e32 v5, vcc, v2, v5, vcc
	v_cmp_gt_u64_e32 vcc, v[4:5], v[0:1]
	s_mov_b64 s[18:19], 0
                                        ; implicit-def: $vgpr31
	s_and_saveexec_b64 s[10:11], vcc
	s_cbranch_execz .LBB95_124
; %bb.114:                              ;   in Loop: Header=BB95_35 Depth=1
	v_mov_b32_e32 v2, v14
	v_pk_mov_b32 v[6:7], v[0:1], v[0:1] op_sel:[0,1]
                                        ; implicit-def: $sgpr20_sgpr21
	s_branch .LBB95_116
.LBB95_115:                             ;   in Loop: Header=BB95_116 Depth=2
	s_or_b64 exec, exec, s[22:23]
	s_waitcnt lgkmcnt(0)
	s_barrier
	ds_read_b64 v[30:31], v3 offset:3072
	v_mov_b32_e32 v8, s86
	v_add_co_u32_e32 v6, vcc, s33, v6
	v_addc_co_u32_e32 v7, vcc, v7, v8, vcc
	s_waitcnt lgkmcnt(0)
	v_readfirstlane_b32 s22, v30
	s_cmp_lg_u32 s22, 0
	s_cselect_b64 s[22:23], -1, 0
	v_cmp_ge_u64_e32 vcc, v[6:7], v[4:5]
	s_or_b64 s[26:27], vcc, s[22:23]
	s_and_b64 s[26:27], exec, s[26:27]
	s_or_b64 s[18:19], s[26:27], s[18:19]
	s_andn2_b64 s[20:21], s[20:21], exec
	s_and_b64 s[22:23], s[22:23], exec
	v_add_u32_e32 v2, s4, v2
	s_or_b64 s[20:21], s[20:21], s[22:23]
	s_barrier
	s_andn2_b64 exec, exec, s[18:19]
	s_cbranch_execz .LBB95_123
.LBB95_116:                             ;   Parent Loop BB95_35 Depth=1
                                        ; =>  This Inner Loop Header: Depth=2
	v_cmp_gt_u64_e32 vcc, s[2:3], v[6:7]
	v_mov_b32_e32 v29, 0
	s_and_saveexec_b64 s[22:23], vcc
	s_cbranch_execz .LBB95_118
; %bb.117:                              ;   in Loop: Header=BB95_116 Depth=2
	ds_read_b32 v29, v2
.LBB95_118:                             ;   in Loop: Header=BB95_116 Depth=2
	s_or_b64 exec, exec, s[22:23]
	s_and_saveexec_b64 s[22:23], vcc
	s_cbranch_execz .LBB95_115
; %bb.119:                              ;   in Loop: Header=BB95_116 Depth=2
	s_waitcnt lgkmcnt(0)
	v_xor_b32_e32 v8, 0x80000000, v29
	v_and_b32_e32 v8, s5, v8
	v_cmp_eq_u32_e32 vcc, s80, v8
	s_and_b64 exec, exec, vcc
	s_cbranch_execz .LBB95_115
; %bb.120:                              ;   in Loop: Header=BB95_116 Depth=2
	ds_write_b64 v3, v[28:29] offset:3072
	s_branch .LBB95_115
.LBB95_121:                             ;   in Loop: Header=BB95_35 Depth=1
	s_mov_b64 s[18:19], -1
                                        ; implicit-def: $sgpr2_sgpr3
                                        ; implicit-def: $sgpr20_sgpr21
                                        ; implicit-def: $sgpr10_sgpr11
	s_branch .LBB95_138
.LBB95_122:                             ;   in Loop: Header=BB95_35 Depth=1
	s_mov_b64 s[2:3], -1
	s_mov_b64 s[18:19], 0
                                        ; implicit-def: $sgpr10_sgpr11
                                        ; implicit-def: $vgpr31
	s_mov_b64 s[20:21], s[2:3]
	s_cbranch_execnz .LBB95_125
	s_branch .LBB95_138
.LBB95_123:                             ;   in Loop: Header=BB95_35 Depth=1
	s_or_b64 exec, exec, s[18:19]
	s_and_b64 s[18:19], s[20:21], exec
.LBB95_124:                             ;   in Loop: Header=BB95_35 Depth=1
	s_or_b64 exec, exec, s[10:11]
	s_mov_b64 s[10:11], -1
	s_mov_b64 s[2:3], 0
	s_mov_b64 s[20:21], s[2:3]
	s_branch .LBB95_138
.LBB95_125:                             ;   in Loop: Header=BB95_35 Depth=1
	s_mov_b32 s68, s77
	s_cmp_lg_u64 s[68:69], 0
	s_cbranch_scc0 .LBB95_171
; %bb.126:                              ;   in Loop: Header=BB95_35 Depth=1
	v_cvt_f32_u32_e32 v2, s33
	s_sub_u32 s2, 0, s33
	s_subb_u32 s3, 0, 0
	v_mac_f32_e32 v2, 0, v50
	v_rcp_f32_e32 v2, v2
	v_mul_f32_e32 v2, 0x5f7ffffc, v2
	v_mul_f32_e32 v4, 0x2f800000, v2
	v_trunc_f32_e32 v4, v4
	v_mac_f32_e32 v2, 0xcf800000, v4
	v_cvt_u32_f32_e32 v4, v4
	v_cvt_u32_f32_e32 v2, v2
	v_readfirstlane_b32 s10, v4
	v_readfirstlane_b32 s11, v2
	s_mul_i32 s18, s2, s10
	s_mul_hi_u32 s20, s2, s11
	s_mul_i32 s19, s3, s11
	s_add_i32 s18, s20, s18
	s_mul_i32 s21, s2, s11
	s_add_i32 s18, s18, s19
	s_mul_hi_u32 s20, s11, s21
	s_mul_hi_u32 s19, s11, s18
	s_mul_i32 s11, s11, s18
	s_add_u32 s11, s20, s11
	s_addc_u32 s19, 0, s19
	s_mul_hi_u32 s22, s10, s21
	s_mul_i32 s21, s10, s21
	s_add_u32 s11, s11, s21
	s_mul_hi_u32 s20, s10, s18
	s_addc_u32 s11, s19, s22
	s_addc_u32 s19, s20, 0
	s_mul_i32 s18, s10, s18
	s_add_u32 s11, s11, s18
	s_addc_u32 s18, 0, s19
	v_add_co_u32_e32 v2, vcc, s11, v2
	s_cmp_lg_u64 vcc, 0
	s_addc_u32 s10, s10, s18
	v_readfirstlane_b32 s18, v2
	s_mul_i32 s11, s2, s10
	s_mul_hi_u32 s19, s2, s18
	s_add_i32 s11, s19, s11
	s_mul_i32 s3, s3, s18
	s_add_i32 s11, s11, s3
	s_mul_i32 s2, s2, s18
	s_mul_hi_u32 s19, s10, s2
	s_mul_i32 s20, s10, s2
	s_mul_i32 s22, s18, s11
	s_mul_hi_u32 s2, s18, s2
	s_mul_hi_u32 s21, s18, s11
	s_add_u32 s2, s2, s22
	s_addc_u32 s18, 0, s21
	s_add_u32 s2, s2, s20
	s_mul_hi_u32 s3, s10, s11
	s_addc_u32 s2, s18, s19
	s_addc_u32 s3, s3, 0
	s_mul_i32 s11, s10, s11
	s_add_u32 s2, s2, s11
	s_addc_u32 s3, 0, s3
	v_add_co_u32_e32 v2, vcc, s2, v2
	s_cmp_lg_u64 vcc, 0
	s_addc_u32 s2, s10, s3
	v_readlane_b32 s20, v51, 19
	v_readfirstlane_b32 s11, v2
	s_mul_i32 s10, s20, s2
	s_mul_hi_u32 s18, s20, s11
	s_mul_hi_u32 s3, s20, s2
	s_add_u32 s10, s18, s10
	s_addc_u32 s3, 0, s3
	s_mul_hi_u32 s19, s69, s11
	s_mul_i32 s11, s69, s11
	s_add_u32 s10, s10, s11
	s_mul_hi_u32 s18, s69, s2
	s_addc_u32 s3, s3, s19
	s_addc_u32 s10, s18, 0
	s_mul_i32 s2, s69, s2
	s_add_u32 s2, s3, s2
	s_addc_u32 s3, 0, s10
	s_mul_hi_u32 s10, s33, s2
	s_mul_i32 s2, s33, s2
	s_mul_i32 s3, s33, s3
	v_mov_b32_e32 v2, s2
	s_add_i32 s10, s10, s3
	v_sub_co_u32_e32 v2, vcc, s20, v2
	s_cmp_lg_u64 vcc, 0
	s_subb_u32 s2, s69, s10
	v_subrev_co_u32_e32 v4, vcc, s33, v2
	s_cmp_lg_u64 vcc, 0
	s_subb_u32 s3, s2, 0
	v_subrev_co_u32_e32 v5, vcc, s33, v4
	s_cmp_lg_u64 vcc, 0
	s_subb_u32 s10, s3, 0
	v_cmp_le_u32_e32 vcc, s33, v4
	s_cmp_eq_u32 s3, 0
	v_cndmask_b32_e64 v6, 0, -1, vcc
	s_cselect_b64 vcc, -1, 0
	v_cndmask_b32_e32 v6, -1, v6, vcc
	v_mov_b32_e32 v7, s3
	v_mov_b32_e32 v8, s10
	v_cmp_ne_u32_e32 vcc, 0, v6
	v_cndmask_b32_e32 v6, v7, v8, vcc
	v_cndmask_b32_e32 v4, v4, v5, vcc
	v_cmp_le_u32_e32 vcc, s33, v2
	s_cmp_eq_u32 s2, 0
	v_cndmask_b32_e64 v5, 0, -1, vcc
	s_cselect_b64 vcc, -1, 0
	v_cndmask_b32_e32 v5, -1, v5, vcc
	v_mov_b32_e32 v7, s2
	v_cmp_ne_u32_e32 vcc, 0, v5
	v_cndmask_b32_e32 v5, v7, v6, vcc
	v_cndmask_b32_e32 v4, v2, v4, vcc
	s_cbranch_execnz .LBB95_128
.LBB95_127:                             ;   in Loop: Header=BB95_35 Depth=1
	v_cvt_f32_u32_e32 v2, s33
	s_sub_i32 s2, 0, s33
	v_rcp_iflag_f32_e32 v2, v2
	v_mul_f32_e32 v2, 0x4f7ffffe, v2
	v_cvt_u32_f32_e32 v2, v2
	v_mul_lo_u32 v4, s2, v2
	v_mul_hi_u32 v4, v2, v4
	v_add_u32_e32 v2, v2, v4
	v_readlane_b32 s2, v51, 19
	v_mul_hi_u32 v2, s2, v2
	v_mul_lo_u32 v2, v2, s33
	v_sub_u32_e32 v2, s2, v2
	v_subrev_u32_e32 v4, s33, v2
	v_cmp_le_u32_e32 vcc, s33, v2
	v_cndmask_b32_e32 v2, v2, v4, vcc
	v_subrev_u32_e32 v4, s33, v2
	v_cmp_le_u32_e32 vcc, s33, v2
	v_cndmask_b32_e32 v2, v2, v4, vcc
	v_pk_mov_b32 v[4:5], v[2:3], v[2:3] op_sel:[0,1]
.LBB95_128:                             ;   in Loop: Header=BB95_35 Depth=1
	v_readlane_b32 s2, v51, 19
	v_mov_b32_e32 v2, s69
	v_sub_co_u32_e32 v4, vcc, s2, v4
	v_subb_co_u32_e32 v5, vcc, v2, v5, vcc
	v_cmp_gt_u64_e32 vcc, v[4:5], v[0:1]
	s_mov_b64 s[18:19], 0
                                        ; implicit-def: $vgpr31
	s_and_saveexec_b64 s[2:3], vcc
	s_cbranch_execz .LBB95_137
; %bb.129:                              ;   in Loop: Header=BB95_35 Depth=1
	s_mov_b64 s[10:11], 0
	v_pk_mov_b32 v[6:7], v[12:13], v[12:13] op_sel:[0,1]
	v_pk_mov_b32 v[8:9], v[0:1], v[0:1] op_sel:[0,1]
                                        ; implicit-def: $sgpr18_sgpr19
	s_branch .LBB95_131
.LBB95_130:                             ;   in Loop: Header=BB95_131 Depth=2
	s_or_b64 exec, exec, s[20:21]
	s_waitcnt lgkmcnt(0)
	s_barrier
	ds_read_b64 v[30:31], v3 offset:3072
	v_mov_b32_e32 v2, s86
	v_add_co_u32_e32 v8, vcc, s33, v8
	v_addc_co_u32_e32 v9, vcc, v9, v2, vcc
	s_waitcnt lgkmcnt(0)
	v_readfirstlane_b32 s20, v30
	s_cmp_lg_u32 s20, 0
	s_cselect_b64 s[20:21], -1, 0
	v_cmp_ge_u64_e32 vcc, v[8:9], v[4:5]
	s_or_b64 s[22:23], vcc, s[20:21]
	s_and_b64 s[22:23], exec, s[22:23]
	s_or_b64 s[10:11], s[22:23], s[10:11]
	v_mov_b32_e32 v2, s75
	v_add_co_u32_e32 v6, vcc, s74, v6
	s_andn2_b64 s[18:19], s[18:19], exec
	s_and_b64 s[20:21], s[20:21], exec
	v_addc_co_u32_e32 v7, vcc, v7, v2, vcc
	s_or_b64 s[18:19], s[18:19], s[20:21]
	s_barrier
	s_andn2_b64 exec, exec, s[10:11]
	s_cbranch_execz .LBB95_136
.LBB95_131:                             ;   Parent Loop BB95_35 Depth=1
                                        ; =>  This Inner Loop Header: Depth=2
	v_cmp_gt_u64_e32 vcc, s[52:53], v[8:9]
	s_waitcnt vmcnt(0)
	v_mov_b32_e32 v29, 0
	s_and_saveexec_b64 s[20:21], vcc
	s_cbranch_execz .LBB95_133
; %bb.132:                              ;   in Loop: Header=BB95_131 Depth=2
	global_load_dword v29, v[6:7], off
.LBB95_133:                             ;   in Loop: Header=BB95_131 Depth=2
	s_or_b64 exec, exec, s[20:21]
	s_and_saveexec_b64 s[20:21], vcc
	s_cbranch_execz .LBB95_130
; %bb.134:                              ;   in Loop: Header=BB95_131 Depth=2
	s_waitcnt vmcnt(0)
	v_xor_b32_e32 v2, 0x80000000, v29
	v_and_b32_e32 v2, s5, v2
	v_cmp_eq_u32_e32 vcc, s80, v2
	s_and_b64 exec, exec, vcc
	s_cbranch_execz .LBB95_130
; %bb.135:                              ;   in Loop: Header=BB95_131 Depth=2
	ds_write_b64 v3, v[28:29] offset:3072
	s_branch .LBB95_130
.LBB95_136:                             ;   in Loop: Header=BB95_35 Depth=1
	s_or_b64 exec, exec, s[10:11]
	s_and_b64 s[18:19], s[18:19], exec
.LBB95_137:                             ;   in Loop: Header=BB95_35 Depth=1
	s_or_b64 exec, exec, s[2:3]
	s_mov_b64 s[20:21], -1
	s_mov_b64 s[2:3], 0
	s_mov_b64 s[10:11], 0
.LBB95_138:                             ;   in Loop: Header=BB95_35 Depth=1
	s_andn2_b64 s[8:9], s[92:93], exec
	s_and_b64 s[2:3], s[2:3], exec
	s_or_b64 s[92:93], s[8:9], s[2:3]
	s_andn2_b64 s[2:3], s[30:31], exec
	s_and_b64 s[20:21], s[20:21], exec
	s_or_b64 s[30:31], s[2:3], s[20:21]
	;; [unrolled: 3-line block ×3, first 2 shown]
	s_and_saveexec_b64 s[10:11], s[18:19]
	s_cbranch_execz .LBB95_34
; %bb.139:                              ;   in Loop: Header=BB95_35 Depth=1
	s_xor_b64 s[2:3], s[16:17], -1
	s_andn2_b64 vcc, exec, s[2:3]
	s_mov_b32 s45, 1
	s_cbranch_vccnz .LBB95_150
; %bb.140:                              ;   in Loop: Header=BB95_35 Depth=1
	v_pk_mov_b32 v[4:5], s[0:1], s[0:1] op_sel:[0,1]
	v_cmp_gt_u64_e32 vcc, s[64:65], v[4:5]
	s_mov_b64 s[2:3], -1
                                        ; implicit-def: $sgpr45
                                        ; implicit-def: $sgpr12
                                        ; implicit-def: $sgpr13
	s_cbranch_vccnz .LBB95_146
; %bb.141:                              ;   in Loop: Header=BB95_35 Depth=1
	ds_read_b64 v[4:5], v3 offset:5120
	s_waitcnt lgkmcnt(0)
	v_cmp_ne_u64_e32 vcc, 0, v[4:5]
	s_cbranch_vccnz .LBB95_145
; %bb.142:                              ;   in Loop: Header=BB95_35 Depth=1
	s_mov_b64 s[2:3], exec
	v_readlane_b32 s12, v51, 6
	v_readlane_b32 s13, v51, 7
	s_and_b64 s[12:13], s[2:3], s[12:13]
	s_mov_b64 exec, s[12:13]
	s_cbranch_execz .LBB95_144
; %bb.143:                              ;   in Loop: Header=BB95_35 Depth=1
	v_pk_mov_b32 v[4:5], s[0:1], s[0:1] op_sel:[0,1]
	ds_write_b64 v3, v[4:5] offset:5128
.LBB95_144:                             ;   in Loop: Header=BB95_35 Depth=1
	s_or_b64 exec, exec, s[2:3]
	s_waitcnt lgkmcnt(0)
	s_barrier
.LBB95_145:                             ;   in Loop: Header=BB95_35 Depth=1
	s_and_b32 s12, s80, s37
	s_or_b32 s13, s5, s44
	s_mov_b64 s[2:3], 0
	s_mov_b32 s45, 8
.LBB95_146:                             ;   in Loop: Header=BB95_35 Depth=1
	s_andn2_b64 vcc, exec, s[2:3]
	s_cbranch_vccnz .LBB95_148
; %bb.147:                              ;   in Loop: Header=BB95_35 Depth=1
	s_sub_u32 s64, s64, s0
	s_subb_u32 s65, s65, s1
	s_mov_b64 s[2:3], -1
	s_mov_b32 s45, 0
	s_mov_b32 s12, s80
	;; [unrolled: 1-line block ×3, first 2 shown]
.LBB95_148:                             ;   in Loop: Header=BB95_35 Depth=1
	s_mov_b32 s5, s13
	s_mov_b32 s80, s12
	s_mov_b64 s[12:13], -1
	s_and_b64 vcc, exec, s[2:3]
	s_cbranch_vccnz .LBB95_151
.LBB95_149:                             ;   in Loop: Header=BB95_35 Depth=1
	s_mov_b64 s[2:3], -1
                                        ; implicit-def: $sgpr16_sgpr17
                                        ; implicit-def: $sgpr20_sgpr21
                                        ; implicit-def: $sgpr18_sgpr19
	s_and_saveexec_b64 s[0:1], s[2:3]
	s_xor_b64 s[0:1], exec, s[0:1]
	s_cbranch_execz .LBB95_33
	s_branch .LBB95_300
.LBB95_150:                             ;   in Loop: Header=BB95_35 Depth=1
	s_mov_b64 s[64:65], 1
	s_mov_b64 s[12:13], -1
	s_branch .LBB95_149
.LBB95_151:                             ;   in Loop: Header=BB95_35 Depth=1
	s_cmp_eq_u64 s[24:25], 1
	s_cselect_b64 s[0:1], -1, 0
	s_cmp_eq_u64 s[64:65], 1
	s_cselect_b64 s[2:3], -1, 0
	s_and_b64 s[0:1], s[0:1], s[2:3]
	s_mov_b64 s[26:27], -1
	s_and_b64 vcc, exec, s[0:1]
	s_cbranch_vccz .LBB95_166
; %bb.152:                              ;   in Loop: Header=BB95_35 Depth=1
	ds_read_b64 v[4:5], v3 offset:5120
	s_waitcnt lgkmcnt(0)
	s_barrier
	v_readfirstlane_b32 s2, v4
	v_readfirstlane_b32 s3, v5
	s_mov_b64 s[16:17], exec
	v_readlane_b32 s18, v51, 12
	v_readlane_b32 s19, v51, 13
	s_and_b64 s[18:19], s[16:17], s[18:19]
	s_mov_b64 exec, s[18:19]
	s_cbranch_execz .LBB95_154
; %bb.153:                              ;   in Loop: Header=BB95_35 Depth=1
	ds_write_b32 v45, v3
.LBB95_154:                             ;   in Loop: Header=BB95_35 Depth=1
	s_or_b64 exec, exec, s[16:17]
	s_lshl_b32 s16, 1, s36
	s_and_b32 s17, s80, s37
	s_or_b32 s80, s17, s16
	s_or_b32 s5, s5, s44
	s_cmp_eq_u64 s[2:3], 0
	s_waitcnt lgkmcnt(0)
	s_barrier
	s_cbranch_scc1 .LBB95_172
; %bb.155:                              ;   in Loop: Header=BB95_35 Depth=1
	v_readlane_b32 s16, v51, 18
	s_add_u32 s20, s16, s2
	v_readlane_b32 s16, v51, 20
	s_addc_u32 s17, s16, s3
	s_mov_b32 s16, s77
	s_cmp_lg_u64 s[16:17], 0
	s_cbranch_scc0 .LBB95_217
; %bb.156:                              ;   in Loop: Header=BB95_35 Depth=1
	v_cvt_f32_u32_e32 v2, s33
	s_sub_u32 s16, 0, s33
	s_subb_u32 s18, 0, 0
	v_mac_f32_e32 v2, 0, v50
	v_rcp_f32_e32 v2, v2
	v_mul_f32_e32 v2, 0x5f7ffffc, v2
	v_mul_f32_e32 v4, 0x2f800000, v2
	v_trunc_f32_e32 v4, v4
	v_mac_f32_e32 v2, 0xcf800000, v4
	v_cvt_u32_f32_e32 v4, v4
	v_cvt_u32_f32_e32 v2, v2
	v_readfirstlane_b32 s19, v4
	v_readfirstlane_b32 s21, v2
	s_mul_i32 s22, s16, s19
	s_mul_hi_u32 s26, s16, s21
	s_mul_i32 s23, s18, s21
	s_add_i32 s22, s26, s22
	s_mul_i32 s27, s16, s21
	s_add_i32 s22, s22, s23
	s_mul_hi_u32 s26, s21, s27
	s_mul_hi_u32 s23, s21, s22
	s_mul_i32 s21, s21, s22
	s_add_u32 s21, s26, s21
	s_addc_u32 s23, 0, s23
	s_mul_hi_u32 s28, s19, s27
	s_mul_i32 s27, s19, s27
	s_add_u32 s21, s21, s27
	s_mul_hi_u32 s26, s19, s22
	s_addc_u32 s21, s23, s28
	s_addc_u32 s23, s26, 0
	s_mul_i32 s22, s19, s22
	s_add_u32 s21, s21, s22
	s_addc_u32 s22, 0, s23
	v_add_co_u32_e32 v2, vcc, s21, v2
	s_cmp_lg_u64 vcc, 0
	s_addc_u32 s19, s19, s22
	v_readfirstlane_b32 s22, v2
	s_mul_i32 s21, s16, s19
	s_mul_hi_u32 s23, s16, s22
	s_add_i32 s21, s23, s21
	s_mul_i32 s18, s18, s22
	s_add_i32 s21, s21, s18
	s_mul_i32 s16, s16, s22
	s_mul_hi_u32 s23, s19, s16
	s_mul_i32 s26, s19, s16
	s_mul_i32 s28, s22, s21
	s_mul_hi_u32 s16, s22, s16
	s_mul_hi_u32 s27, s22, s21
	s_add_u32 s16, s16, s28
	s_addc_u32 s22, 0, s27
	s_add_u32 s16, s16, s26
	s_mul_hi_u32 s18, s19, s21
	s_addc_u32 s16, s22, s23
	s_addc_u32 s18, s18, 0
	s_mul_i32 s21, s19, s21
	s_add_u32 s16, s16, s21
	s_addc_u32 s18, 0, s18
	v_add_co_u32_e32 v2, vcc, s16, v2
	s_cmp_lg_u64 vcc, 0
	s_addc_u32 s16, s19, s18
	v_readfirstlane_b32 s21, v2
	s_mul_i32 s19, s20, s16
	s_mul_hi_u32 s22, s20, s21
	s_mul_hi_u32 s18, s20, s16
	s_add_u32 s19, s22, s19
	s_addc_u32 s18, 0, s18
	s_mul_hi_u32 s23, s17, s21
	s_mul_i32 s21, s17, s21
	s_add_u32 s19, s19, s21
	s_mul_hi_u32 s22, s17, s16
	s_addc_u32 s18, s18, s23
	s_addc_u32 s19, s22, 0
	s_mul_i32 s16, s17, s16
	s_add_u32 s16, s18, s16
	s_addc_u32 s18, 0, s19
	s_mul_hi_u32 s19, s33, s16
	s_mul_i32 s16, s33, s16
	s_mul_i32 s18, s33, s18
	v_mov_b32_e32 v2, s16
	s_add_i32 s19, s19, s18
	v_sub_co_u32_e32 v2, vcc, s20, v2
	s_cmp_lg_u64 vcc, 0
	s_subb_u32 s16, s17, s19
	v_subrev_co_u32_e32 v4, vcc, s33, v2
	s_cmp_lg_u64 vcc, 0
	s_subb_u32 s18, s16, 0
	v_subrev_co_u32_e32 v5, vcc, s33, v4
	s_cmp_lg_u64 vcc, 0
	s_subb_u32 s19, s18, 0
	v_cmp_le_u32_e32 vcc, s33, v4
	s_cmp_eq_u32 s18, 0
	v_cndmask_b32_e64 v6, 0, -1, vcc
	s_cselect_b64 vcc, -1, 0
	v_cndmask_b32_e32 v6, -1, v6, vcc
	v_mov_b32_e32 v7, s18
	v_mov_b32_e32 v8, s19
	v_cmp_ne_u32_e32 vcc, 0, v6
	v_cndmask_b32_e32 v6, v7, v8, vcc
	v_cndmask_b32_e32 v4, v4, v5, vcc
	v_cmp_le_u32_e32 vcc, s33, v2
	s_cmp_eq_u32 s16, 0
	v_cndmask_b32_e64 v5, 0, -1, vcc
	s_cselect_b64 vcc, -1, 0
	v_cndmask_b32_e32 v5, -1, v5, vcc
	v_mov_b32_e32 v7, s16
	v_cmp_ne_u32_e32 vcc, 0, v5
	v_cndmask_b32_e32 v5, v7, v6, vcc
	v_cndmask_b32_e32 v4, v2, v4, vcc
	s_cbranch_execnz .LBB95_158
.LBB95_157:                             ;   in Loop: Header=BB95_35 Depth=1
	v_cvt_f32_u32_e32 v2, s33
	s_sub_i32 s16, 0, s33
	v_rcp_iflag_f32_e32 v2, v2
	v_mul_f32_e32 v2, 0x4f7ffffe, v2
	v_cvt_u32_f32_e32 v2, v2
	v_mul_lo_u32 v4, s16, v2
	v_mul_hi_u32 v4, v2, v4
	v_add_u32_e32 v2, v2, v4
	v_mul_hi_u32 v2, s20, v2
	v_mul_lo_u32 v2, v2, s33
	v_sub_u32_e32 v2, s20, v2
	v_subrev_u32_e32 v4, s33, v2
	v_cmp_le_u32_e32 vcc, s33, v2
	v_cndmask_b32_e32 v2, v2, v4, vcc
	v_subrev_u32_e32 v4, s33, v2
	v_cmp_le_u32_e32 vcc, s33, v2
	v_cndmask_b32_e32 v2, v2, v4, vcc
	v_pk_mov_b32 v[4:5], v[2:3], v[2:3] op_sel:[0,1]
.LBB95_158:                             ;   in Loop: Header=BB95_35 Depth=1
	v_mov_b32_e32 v2, s17
	v_sub_co_u32_e32 v4, vcc, s20, v4
	v_subb_co_u32_e32 v5, vcc, v2, v5, vcc
	v_cmp_gt_u64_e32 vcc, v[4:5], v[0:1]
	s_mov_b64 s[26:27], 0
                                        ; implicit-def: $vgpr31
	s_and_saveexec_b64 s[16:17], vcc
	s_cbranch_execz .LBB95_174
; %bb.159:                              ;   in Loop: Header=BB95_35 Depth=1
	s_mov_b64 s[18:19], 0
	v_mov_b32_e32 v2, v14
	v_pk_mov_b32 v[6:7], v[0:1], v[0:1] op_sel:[0,1]
                                        ; implicit-def: $sgpr20_sgpr21
	s_branch .LBB95_161
.LBB95_160:                             ;   in Loop: Header=BB95_161 Depth=2
	s_or_b64 exec, exec, s[22:23]
	s_waitcnt lgkmcnt(0)
	s_barrier
	ds_read_b64 v[30:31], v3 offset:3072
	v_mov_b32_e32 v8, s86
	v_add_co_u32_e32 v6, vcc, s33, v6
	v_addc_co_u32_e32 v7, vcc, v7, v8, vcc
	s_waitcnt lgkmcnt(0)
	v_readfirstlane_b32 s22, v30
	s_cmp_lg_u32 s22, 0
	s_cselect_b64 s[22:23], -1, 0
	v_cmp_ge_u64_e32 vcc, v[6:7], v[4:5]
	s_or_b64 s[26:27], vcc, s[22:23]
	s_and_b64 s[26:27], exec, s[26:27]
	s_or_b64 s[18:19], s[26:27], s[18:19]
	s_andn2_b64 s[20:21], s[20:21], exec
	s_and_b64 s[22:23], s[22:23], exec
	v_add_u32_e32 v2, s4, v2
	s_or_b64 s[20:21], s[20:21], s[22:23]
	s_barrier
	s_andn2_b64 exec, exec, s[18:19]
	s_cbranch_execz .LBB95_173
.LBB95_161:                             ;   Parent Loop BB95_35 Depth=1
                                        ; =>  This Inner Loop Header: Depth=2
	v_cmp_gt_u64_e32 vcc, s[2:3], v[6:7]
	s_waitcnt vmcnt(0)
	v_mov_b32_e32 v29, 0
	s_and_saveexec_b64 s[22:23], vcc
	s_cbranch_execz .LBB95_163
; %bb.162:                              ;   in Loop: Header=BB95_161 Depth=2
	ds_read_b32 v29, v2
.LBB95_163:                             ;   in Loop: Header=BB95_161 Depth=2
	s_or_b64 exec, exec, s[22:23]
	s_and_saveexec_b64 s[22:23], vcc
	s_cbranch_execz .LBB95_160
; %bb.164:                              ;   in Loop: Header=BB95_161 Depth=2
	s_waitcnt lgkmcnt(0)
	v_xor_b32_e32 v8, 0x80000000, v29
	v_and_b32_e32 v8, s5, v8
	v_cmp_eq_u32_e32 vcc, s80, v8
	s_and_b64 exec, exec, vcc
	s_cbranch_execz .LBB95_160
; %bb.165:                              ;   in Loop: Header=BB95_161 Depth=2
	ds_write_b64 v3, v[28:29] offset:3072
	s_branch .LBB95_160
.LBB95_166:                             ;   in Loop: Header=BB95_35 Depth=1
                                        ; implicit-def: $sgpr18_sgpr19
                                        ; implicit-def: $sgpr20_sgpr21
                                        ; implicit-def: $sgpr16_sgpr17
	s_branch .LBB95_188
.LBB95_167:                             ;   in Loop: Header=BB95_35 Depth=1
                                        ; implicit-def: $vgpr4_vgpr5
	s_branch .LBB95_112
.LBB95_168:                             ;   in Loop: Header=BB95_35 Depth=1
	s_or_b64 exec, exec, s[2:3]
	s_waitcnt lgkmcnt(0)
	s_barrier
	s_mov_b64 s[2:3], exec
	v_readlane_b32 s6, v51, 6
	v_readlane_b32 s7, v51, 7
	s_and_b64 s[6:7], s[2:3], s[6:7]
	s_mov_b64 exec, s[6:7]
	s_cbranch_execz .LBB95_170
; %bb.169:                              ;   in Loop: Header=BB95_35 Depth=1
	ds_read_b32 v4, v3 offset:5144
	s_waitcnt lgkmcnt(0)
	v_ashrrev_i32_e32 v5, 31, v4
	ds_write_b64 v3, v[4:5] offset:5120
.LBB95_170:                             ;   in Loop: Header=BB95_35 Depth=1
	s_or_b64 exec, exec, s[2:3]
	s_waitcnt lgkmcnt(0)
	s_barrier
	s_mov_b64 s[2:3], -1
	s_and_b64 vcc, exec, s[0:1]
	s_cbranch_vccnz .LBB95_53
	s_branch .LBB95_63
.LBB95_171:                             ;   in Loop: Header=BB95_35 Depth=1
                                        ; implicit-def: $vgpr4_vgpr5
	s_branch .LBB95_127
.LBB95_172:                             ;   in Loop: Header=BB95_35 Depth=1
	s_mov_b64 s[18:19], -1
	s_mov_b64 s[26:27], 0
                                        ; implicit-def: $sgpr16_sgpr17
                                        ; implicit-def: $vgpr31
	s_mov_b64 s[20:21], s[18:19]
	s_cbranch_execnz .LBB95_175
	s_branch .LBB95_188
.LBB95_173:                             ;   in Loop: Header=BB95_35 Depth=1
	s_or_b64 exec, exec, s[18:19]
	s_and_b64 s[26:27], s[20:21], exec
.LBB95_174:                             ;   in Loop: Header=BB95_35 Depth=1
	s_or_b64 exec, exec, s[16:17]
	s_mov_b64 s[16:17], -1
	s_mov_b64 s[18:19], 0
	s_mov_b64 s[20:21], s[18:19]
	s_branch .LBB95_188
.LBB95_175:                             ;   in Loop: Header=BB95_35 Depth=1
	s_mov_b32 s68, s77
	s_cmp_lg_u64 s[68:69], 0
	s_cbranch_scc0 .LBB95_218
; %bb.176:                              ;   in Loop: Header=BB95_35 Depth=1
	v_cvt_f32_u32_e32 v2, s33
	s_sub_u32 s2, 0, s33
	s_subb_u32 s3, 0, 0
	v_mac_f32_e32 v2, 0, v50
	v_rcp_f32_e32 v2, v2
	v_mul_f32_e32 v2, 0x5f7ffffc, v2
	v_mul_f32_e32 v4, 0x2f800000, v2
	v_trunc_f32_e32 v4, v4
	v_mac_f32_e32 v2, 0xcf800000, v4
	v_cvt_u32_f32_e32 v4, v4
	v_cvt_u32_f32_e32 v2, v2
	v_readfirstlane_b32 s16, v4
	v_readfirstlane_b32 s17, v2
	s_mul_i32 s18, s2, s16
	s_mul_hi_u32 s20, s2, s17
	s_mul_i32 s19, s3, s17
	s_add_i32 s18, s20, s18
	s_mul_i32 s21, s2, s17
	s_add_i32 s18, s18, s19
	s_mul_hi_u32 s20, s17, s21
	s_mul_hi_u32 s19, s17, s18
	s_mul_i32 s17, s17, s18
	s_add_u32 s17, s20, s17
	s_addc_u32 s19, 0, s19
	s_mul_hi_u32 s22, s16, s21
	s_mul_i32 s21, s16, s21
	s_add_u32 s17, s17, s21
	s_mul_hi_u32 s20, s16, s18
	s_addc_u32 s17, s19, s22
	s_addc_u32 s19, s20, 0
	s_mul_i32 s18, s16, s18
	s_add_u32 s17, s17, s18
	s_addc_u32 s18, 0, s19
	v_add_co_u32_e32 v2, vcc, s17, v2
	s_cmp_lg_u64 vcc, 0
	s_addc_u32 s16, s16, s18
	v_readfirstlane_b32 s18, v2
	s_mul_i32 s17, s2, s16
	s_mul_hi_u32 s19, s2, s18
	s_add_i32 s17, s19, s17
	s_mul_i32 s3, s3, s18
	s_add_i32 s17, s17, s3
	s_mul_i32 s2, s2, s18
	s_mul_hi_u32 s19, s16, s2
	s_mul_i32 s20, s16, s2
	s_mul_i32 s22, s18, s17
	s_mul_hi_u32 s2, s18, s2
	s_mul_hi_u32 s21, s18, s17
	s_add_u32 s2, s2, s22
	s_addc_u32 s18, 0, s21
	s_add_u32 s2, s2, s20
	s_mul_hi_u32 s3, s16, s17
	s_addc_u32 s2, s18, s19
	s_addc_u32 s3, s3, 0
	s_mul_i32 s17, s16, s17
	s_add_u32 s2, s2, s17
	s_addc_u32 s3, 0, s3
	v_add_co_u32_e32 v2, vcc, s2, v2
	s_cmp_lg_u64 vcc, 0
	s_addc_u32 s2, s16, s3
	v_readlane_b32 s20, v51, 19
	v_readfirstlane_b32 s17, v2
	s_mul_i32 s16, s20, s2
	s_mul_hi_u32 s18, s20, s17
	s_mul_hi_u32 s3, s20, s2
	s_add_u32 s16, s18, s16
	s_addc_u32 s3, 0, s3
	s_mul_hi_u32 s19, s69, s17
	s_mul_i32 s17, s69, s17
	s_add_u32 s16, s16, s17
	s_mul_hi_u32 s18, s69, s2
	s_addc_u32 s3, s3, s19
	s_addc_u32 s16, s18, 0
	s_mul_i32 s2, s69, s2
	s_add_u32 s2, s3, s2
	s_addc_u32 s3, 0, s16
	s_mul_hi_u32 s16, s33, s2
	s_mul_i32 s2, s33, s2
	s_mul_i32 s3, s33, s3
	v_mov_b32_e32 v2, s2
	s_add_i32 s16, s16, s3
	v_sub_co_u32_e32 v2, vcc, s20, v2
	s_cmp_lg_u64 vcc, 0
	s_subb_u32 s2, s69, s16
	v_subrev_co_u32_e32 v4, vcc, s33, v2
	s_cmp_lg_u64 vcc, 0
	s_subb_u32 s3, s2, 0
	v_subrev_co_u32_e32 v5, vcc, s33, v4
	s_cmp_lg_u64 vcc, 0
	s_subb_u32 s16, s3, 0
	v_cmp_le_u32_e32 vcc, s33, v4
	s_cmp_eq_u32 s3, 0
	v_cndmask_b32_e64 v6, 0, -1, vcc
	s_cselect_b64 vcc, -1, 0
	v_cndmask_b32_e32 v6, -1, v6, vcc
	v_mov_b32_e32 v7, s3
	v_mov_b32_e32 v8, s16
	v_cmp_ne_u32_e32 vcc, 0, v6
	v_cndmask_b32_e32 v6, v7, v8, vcc
	v_cndmask_b32_e32 v4, v4, v5, vcc
	v_cmp_le_u32_e32 vcc, s33, v2
	s_cmp_eq_u32 s2, 0
	v_cndmask_b32_e64 v5, 0, -1, vcc
	s_cselect_b64 vcc, -1, 0
	v_cndmask_b32_e32 v5, -1, v5, vcc
	v_mov_b32_e32 v7, s2
	v_cmp_ne_u32_e32 vcc, 0, v5
	v_cndmask_b32_e32 v5, v7, v6, vcc
	v_cndmask_b32_e32 v4, v2, v4, vcc
	s_cbranch_execnz .LBB95_178
.LBB95_177:                             ;   in Loop: Header=BB95_35 Depth=1
	v_cvt_f32_u32_e32 v2, s33
	s_sub_i32 s2, 0, s33
	v_rcp_iflag_f32_e32 v2, v2
	v_mul_f32_e32 v2, 0x4f7ffffe, v2
	v_cvt_u32_f32_e32 v2, v2
	v_mul_lo_u32 v4, s2, v2
	v_mul_hi_u32 v4, v2, v4
	v_add_u32_e32 v2, v2, v4
	v_readlane_b32 s2, v51, 19
	v_mul_hi_u32 v2, s2, v2
	v_mul_lo_u32 v2, v2, s33
	v_sub_u32_e32 v2, s2, v2
	v_subrev_u32_e32 v4, s33, v2
	v_cmp_le_u32_e32 vcc, s33, v2
	v_cndmask_b32_e32 v2, v2, v4, vcc
	v_subrev_u32_e32 v4, s33, v2
	v_cmp_le_u32_e32 vcc, s33, v2
	v_cndmask_b32_e32 v2, v2, v4, vcc
	v_pk_mov_b32 v[4:5], v[2:3], v[2:3] op_sel:[0,1]
.LBB95_178:                             ;   in Loop: Header=BB95_35 Depth=1
	v_readlane_b32 s2, v51, 19
	v_mov_b32_e32 v2, s69
	v_sub_co_u32_e32 v4, vcc, s2, v4
	v_subb_co_u32_e32 v5, vcc, v2, v5, vcc
	v_cmp_gt_u64_e32 vcc, v[4:5], v[0:1]
	s_mov_b64 s[26:27], 0
                                        ; implicit-def: $vgpr31
	s_and_saveexec_b64 s[2:3], vcc
	s_cbranch_execz .LBB95_187
; %bb.179:                              ;   in Loop: Header=BB95_35 Depth=1
	s_mov_b64 s[16:17], 0
	v_pk_mov_b32 v[6:7], v[12:13], v[12:13] op_sel:[0,1]
	v_pk_mov_b32 v[8:9], v[0:1], v[0:1] op_sel:[0,1]
                                        ; implicit-def: $sgpr18_sgpr19
	s_branch .LBB95_181
.LBB95_180:                             ;   in Loop: Header=BB95_181 Depth=2
	s_or_b64 exec, exec, s[20:21]
	s_waitcnt lgkmcnt(0)
	s_barrier
	ds_read_b64 v[30:31], v3 offset:3072
	v_mov_b32_e32 v2, s86
	v_add_co_u32_e32 v8, vcc, s33, v8
	v_addc_co_u32_e32 v9, vcc, v9, v2, vcc
	s_waitcnt lgkmcnt(0)
	v_readfirstlane_b32 s20, v30
	s_cmp_lg_u32 s20, 0
	s_cselect_b64 s[20:21], -1, 0
	v_cmp_ge_u64_e32 vcc, v[8:9], v[4:5]
	s_or_b64 s[22:23], vcc, s[20:21]
	s_and_b64 s[22:23], exec, s[22:23]
	s_or_b64 s[16:17], s[22:23], s[16:17]
	v_mov_b32_e32 v2, s75
	v_add_co_u32_e32 v6, vcc, s74, v6
	s_andn2_b64 s[18:19], s[18:19], exec
	s_and_b64 s[20:21], s[20:21], exec
	v_addc_co_u32_e32 v7, vcc, v7, v2, vcc
	s_or_b64 s[18:19], s[18:19], s[20:21]
	s_barrier
	s_andn2_b64 exec, exec, s[16:17]
	s_cbranch_execz .LBB95_186
.LBB95_181:                             ;   Parent Loop BB95_35 Depth=1
                                        ; =>  This Inner Loop Header: Depth=2
	v_cmp_gt_u64_e32 vcc, s[52:53], v[8:9]
	s_waitcnt vmcnt(0)
	v_mov_b32_e32 v29, 0
	s_and_saveexec_b64 s[20:21], vcc
	s_cbranch_execz .LBB95_183
; %bb.182:                              ;   in Loop: Header=BB95_181 Depth=2
	global_load_dword v29, v[6:7], off
.LBB95_183:                             ;   in Loop: Header=BB95_181 Depth=2
	s_or_b64 exec, exec, s[20:21]
	s_and_saveexec_b64 s[20:21], vcc
	s_cbranch_execz .LBB95_180
; %bb.184:                              ;   in Loop: Header=BB95_181 Depth=2
	s_waitcnt vmcnt(0)
	v_xor_b32_e32 v2, 0x80000000, v29
	v_and_b32_e32 v2, s5, v2
	v_cmp_eq_u32_e32 vcc, s80, v2
	s_and_b64 exec, exec, vcc
	s_cbranch_execz .LBB95_180
; %bb.185:                              ;   in Loop: Header=BB95_181 Depth=2
	ds_write_b64 v3, v[28:29] offset:3072
	s_branch .LBB95_180
.LBB95_186:                             ;   in Loop: Header=BB95_35 Depth=1
	s_or_b64 exec, exec, s[16:17]
	s_and_b64 s[26:27], s[18:19], exec
.LBB95_187:                             ;   in Loop: Header=BB95_35 Depth=1
	s_or_b64 exec, exec, s[2:3]
	s_mov_b64 s[20:21], -1
	s_mov_b64 s[18:19], 0
	s_mov_b64 s[16:17], 0
.LBB95_188:                             ;   in Loop: Header=BB95_35 Depth=1
	s_mov_b64 s[2:3], 0
                                        ; implicit-def: $sgpr45
	s_and_saveexec_b64 s[22:23], s[26:27]
	s_cbranch_execz .LBB95_299
; %bb.189:                              ;   in Loop: Header=BB95_35 Depth=1
	s_xor_b64 s[0:1], s[0:1], -1
	s_andn2_b64 vcc, exec, s[0:1]
	s_mov_b32 s45, 1
	s_cbranch_vccnz .LBB95_200
; %bb.190:                              ;   in Loop: Header=BB95_35 Depth=1
	v_pk_mov_b32 v[4:5], s[24:25], s[24:25] op_sel:[0,1]
	v_cmp_gt_u64_e32 vcc, s[64:65], v[4:5]
	s_mov_b64 s[0:1], -1
                                        ; implicit-def: $sgpr45
                                        ; implicit-def: $sgpr2
                                        ; implicit-def: $sgpr3
	s_cbranch_vccnz .LBB95_196
; %bb.191:                              ;   in Loop: Header=BB95_35 Depth=1
	ds_read_b64 v[4:5], v3 offset:5120
	s_waitcnt lgkmcnt(0)
	v_cmp_ne_u64_e32 vcc, 0, v[4:5]
	s_cbranch_vccnz .LBB95_195
; %bb.192:                              ;   in Loop: Header=BB95_35 Depth=1
	s_mov_b64 s[0:1], exec
	v_readlane_b32 s2, v51, 6
	v_readlane_b32 s3, v51, 7
	s_and_b64 s[2:3], s[0:1], s[2:3]
	s_mov_b64 exec, s[2:3]
	s_cbranch_execz .LBB95_194
; %bb.193:                              ;   in Loop: Header=BB95_35 Depth=1
	v_pk_mov_b32 v[4:5], s[24:25], s[24:25] op_sel:[0,1]
	ds_write_b64 v3, v[4:5] offset:5128
.LBB95_194:                             ;   in Loop: Header=BB95_35 Depth=1
	s_or_b64 exec, exec, s[0:1]
	s_waitcnt lgkmcnt(0)
	s_barrier
.LBB95_195:                             ;   in Loop: Header=BB95_35 Depth=1
	s_lshl_b32 s0, 1, s36
	s_and_b32 s1, s80, s37
	s_or_b32 s2, s1, s0
	s_or_b32 s3, s5, s44
	s_mov_b64 s[0:1], 0
	s_mov_b32 s45, 8
.LBB95_196:                             ;   in Loop: Header=BB95_35 Depth=1
	s_andn2_b64 vcc, exec, s[0:1]
	s_cbranch_vccnz .LBB95_198
; %bb.197:                              ;   in Loop: Header=BB95_35 Depth=1
	s_sub_u32 s64, s64, s24
	s_subb_u32 s65, s65, s25
	s_mov_b64 s[0:1], -1
	s_mov_b32 s45, 0
	s_mov_b32 s2, s80
	;; [unrolled: 1-line block ×3, first 2 shown]
.LBB95_198:                             ;   in Loop: Header=BB95_35 Depth=1
	s_mov_b32 s5, s3
	s_mov_b32 s80, s2
	s_andn2_b64 vcc, exec, s[0:1]
	s_mov_b64 s[26:27], -1
	s_cbranch_vccz .LBB95_201
.LBB95_199:                             ;   in Loop: Header=BB95_35 Depth=1
                                        ; implicit-def: $sgpr24_sgpr25
                                        ; implicit-def: $sgpr28_sgpr29
                                        ; implicit-def: $sgpr0_sgpr1
	s_branch .LBB95_298
.LBB95_200:                             ;   in Loop: Header=BB95_35 Depth=1
	s_mov_b64 s[64:65], 1
	s_mov_b64 s[26:27], -1
	s_cbranch_execnz .LBB95_199
.LBB95_201:                             ;   in Loop: Header=BB95_35 Depth=1
	s_cmp_eq_u64 s[14:15], 1
	s_cselect_b64 s[0:1], -1, 0
	s_cmp_eq_u64 s[64:65], 1
	s_cselect_b64 s[2:3], -1, 0
	s_mov_b64 s[62:63], s[34:35]
	s_and_b64 s[34:35], s[0:1], s[2:3]
	s_mov_b64 s[8:9], s[30:31]
	s_mov_b64 s[2:3], -1
	s_and_b64 vcc, exec, s[34:35]
	s_cbranch_vccz .LBB95_216
; %bb.202:                              ;   in Loop: Header=BB95_35 Depth=1
	ds_read_b64 v[4:5], v3 offset:5120
	s_waitcnt lgkmcnt(0)
	s_barrier
	v_readfirstlane_b32 s0, v4
	v_readfirstlane_b32 s1, v5
	s_mov_b64 s[2:3], exec
	v_readlane_b32 s24, v51, 12
	v_readlane_b32 s25, v51, 13
	s_and_b64 s[24:25], s[2:3], s[24:25]
	s_mov_b64 exec, s[24:25]
	s_cbranch_execz .LBB95_204
; %bb.203:                              ;   in Loop: Header=BB95_35 Depth=1
	ds_write_b32 v45, v3
.LBB95_204:                             ;   in Loop: Header=BB95_35 Depth=1
	s_or_b64 exec, exec, s[2:3]
	s_lshl_b32 s2, 2, s36
	s_and_b32 s3, s80, s37
	s_or_b32 s80, s3, s2
	s_or_b32 s5, s5, s44
	s_cmp_eq_u64 s[0:1], 0
	s_waitcnt lgkmcnt(0)
	s_barrier
	s_cbranch_scc1 .LBB95_219
; %bb.205:                              ;   in Loop: Header=BB95_35 Depth=1
	v_readlane_b32 s2, v51, 18
	s_add_u32 s26, s2, s0
	v_readlane_b32 s2, v51, 20
	s_addc_u32 s3, s2, s1
	s_mov_b32 s2, s77
	s_cmp_lg_u64 s[2:3], 0
	s_cbranch_scc0 .LBB95_264
; %bb.206:                              ;   in Loop: Header=BB95_35 Depth=1
	v_cvt_f32_u32_e32 v2, s33
	s_sub_u32 s2, 0, s33
	s_subb_u32 s24, 0, 0
	v_mac_f32_e32 v2, 0, v50
	v_rcp_f32_e32 v2, v2
	v_mul_f32_e32 v2, 0x5f7ffffc, v2
	v_mul_f32_e32 v4, 0x2f800000, v2
	v_trunc_f32_e32 v4, v4
	v_mac_f32_e32 v2, 0xcf800000, v4
	v_cvt_u32_f32_e32 v4, v4
	v_cvt_u32_f32_e32 v2, v2
	v_readfirstlane_b32 s25, v4
	v_readfirstlane_b32 s27, v2
	s_mul_i32 s28, s2, s25
	s_mul_hi_u32 s30, s2, s27
	s_mul_i32 s29, s24, s27
	s_add_i32 s28, s30, s28
	s_mul_i32 s31, s2, s27
	s_add_i32 s28, s28, s29
	s_mul_hi_u32 s30, s27, s31
	s_mul_hi_u32 s29, s27, s28
	s_mul_i32 s27, s27, s28
	s_add_u32 s27, s30, s27
	s_addc_u32 s29, 0, s29
	s_mul_hi_u32 s38, s25, s31
	s_mul_i32 s31, s25, s31
	s_add_u32 s27, s27, s31
	s_mul_hi_u32 s30, s25, s28
	s_addc_u32 s27, s29, s38
	s_addc_u32 s29, s30, 0
	s_mul_i32 s28, s25, s28
	s_add_u32 s27, s27, s28
	s_addc_u32 s28, 0, s29
	v_add_co_u32_e32 v2, vcc, s27, v2
	s_cmp_lg_u64 vcc, 0
	s_addc_u32 s25, s25, s28
	v_readfirstlane_b32 s28, v2
	s_mul_i32 s27, s2, s25
	s_mul_hi_u32 s29, s2, s28
	s_add_i32 s27, s29, s27
	s_mul_i32 s24, s24, s28
	s_add_i32 s27, s27, s24
	s_mul_i32 s2, s2, s28
	s_mul_hi_u32 s29, s25, s2
	s_mul_i32 s30, s25, s2
	s_mul_i32 s38, s28, s27
	s_mul_hi_u32 s2, s28, s2
	s_mul_hi_u32 s31, s28, s27
	s_add_u32 s2, s2, s38
	s_addc_u32 s28, 0, s31
	s_add_u32 s2, s2, s30
	s_mul_hi_u32 s24, s25, s27
	s_addc_u32 s2, s28, s29
	s_addc_u32 s24, s24, 0
	s_mul_i32 s27, s25, s27
	s_add_u32 s2, s2, s27
	s_addc_u32 s24, 0, s24
	v_add_co_u32_e32 v2, vcc, s2, v2
	s_cmp_lg_u64 vcc, 0
	s_addc_u32 s2, s25, s24
	v_readfirstlane_b32 s27, v2
	s_mul_i32 s25, s26, s2
	s_mul_hi_u32 s28, s26, s27
	s_mul_hi_u32 s24, s26, s2
	s_add_u32 s25, s28, s25
	s_addc_u32 s24, 0, s24
	s_mul_hi_u32 s29, s3, s27
	s_mul_i32 s27, s3, s27
	s_add_u32 s25, s25, s27
	s_mul_hi_u32 s28, s3, s2
	s_addc_u32 s24, s24, s29
	s_addc_u32 s25, s28, 0
	s_mul_i32 s2, s3, s2
	s_add_u32 s2, s24, s2
	s_addc_u32 s24, 0, s25
	s_mul_hi_u32 s25, s33, s2
	s_mul_i32 s2, s33, s2
	s_mul_i32 s24, s33, s24
	v_mov_b32_e32 v2, s2
	s_add_i32 s25, s25, s24
	v_sub_co_u32_e32 v2, vcc, s26, v2
	s_cmp_lg_u64 vcc, 0
	s_subb_u32 s2, s3, s25
	v_subrev_co_u32_e32 v4, vcc, s33, v2
	s_cmp_lg_u64 vcc, 0
	s_subb_u32 s24, s2, 0
	v_subrev_co_u32_e32 v5, vcc, s33, v4
	s_cmp_lg_u64 vcc, 0
	s_subb_u32 s25, s24, 0
	v_cmp_le_u32_e32 vcc, s33, v4
	s_cmp_eq_u32 s24, 0
	v_cndmask_b32_e64 v6, 0, -1, vcc
	s_cselect_b64 vcc, -1, 0
	v_cndmask_b32_e32 v6, -1, v6, vcc
	v_mov_b32_e32 v7, s24
	v_mov_b32_e32 v8, s25
	v_cmp_ne_u32_e32 vcc, 0, v6
	v_cndmask_b32_e32 v6, v7, v8, vcc
	v_cndmask_b32_e32 v4, v4, v5, vcc
	v_cmp_le_u32_e32 vcc, s33, v2
	s_cmp_eq_u32 s2, 0
	v_cndmask_b32_e64 v5, 0, -1, vcc
	s_cselect_b64 vcc, -1, 0
	v_cndmask_b32_e32 v5, -1, v5, vcc
	v_mov_b32_e32 v7, s2
	v_cmp_ne_u32_e32 vcc, 0, v5
	v_cndmask_b32_e32 v5, v7, v6, vcc
	v_cndmask_b32_e32 v4, v2, v4, vcc
	s_cbranch_execnz .LBB95_208
.LBB95_207:                             ;   in Loop: Header=BB95_35 Depth=1
	v_cvt_f32_u32_e32 v2, s33
	s_sub_i32 s2, 0, s33
	v_rcp_iflag_f32_e32 v2, v2
	v_mul_f32_e32 v2, 0x4f7ffffe, v2
	v_cvt_u32_f32_e32 v2, v2
	v_mul_lo_u32 v4, s2, v2
	v_mul_hi_u32 v4, v2, v4
	v_add_u32_e32 v2, v2, v4
	v_mul_hi_u32 v2, s26, v2
	v_mul_lo_u32 v2, v2, s33
	v_sub_u32_e32 v2, s26, v2
	v_subrev_u32_e32 v4, s33, v2
	v_cmp_le_u32_e32 vcc, s33, v2
	v_cndmask_b32_e32 v2, v2, v4, vcc
	v_subrev_u32_e32 v4, s33, v2
	v_cmp_le_u32_e32 vcc, s33, v2
	v_cndmask_b32_e32 v2, v2, v4, vcc
	v_pk_mov_b32 v[4:5], v[2:3], v[2:3] op_sel:[0,1]
.LBB95_208:                             ;   in Loop: Header=BB95_35 Depth=1
	v_mov_b32_e32 v2, s3
	v_sub_co_u32_e32 v4, vcc, s26, v4
	v_subb_co_u32_e32 v5, vcc, v2, v5, vcc
	v_cmp_gt_u64_e32 vcc, v[4:5], v[0:1]
	s_mov_b64 s[2:3], 0
                                        ; implicit-def: $vgpr31
	s_and_saveexec_b64 s[24:25], vcc
	s_cbranch_execz .LBB95_221
; %bb.209:                              ;   in Loop: Header=BB95_35 Depth=1
	v_mov_b32_e32 v2, v14
	v_pk_mov_b32 v[6:7], v[0:1], v[0:1] op_sel:[0,1]
                                        ; implicit-def: $sgpr26_sgpr27
	s_branch .LBB95_211
.LBB95_210:                             ;   in Loop: Header=BB95_211 Depth=2
	s_or_b64 exec, exec, s[28:29]
	s_waitcnt lgkmcnt(0)
	s_barrier
	ds_read_b64 v[30:31], v3 offset:3072
	v_mov_b32_e32 v8, s86
	v_add_co_u32_e32 v6, vcc, s33, v6
	v_addc_co_u32_e32 v7, vcc, v7, v8, vcc
	s_waitcnt lgkmcnt(0)
	v_readfirstlane_b32 s28, v30
	s_cmp_lg_u32 s28, 0
	s_cselect_b64 s[28:29], -1, 0
	v_cmp_ge_u64_e32 vcc, v[6:7], v[4:5]
	s_or_b64 s[30:31], vcc, s[28:29]
	s_and_b64 s[30:31], exec, s[30:31]
	s_or_b64 s[2:3], s[30:31], s[2:3]
	s_andn2_b64 s[26:27], s[26:27], exec
	s_and_b64 s[28:29], s[28:29], exec
	v_add_u32_e32 v2, s4, v2
	s_or_b64 s[26:27], s[26:27], s[28:29]
	s_barrier
	s_andn2_b64 exec, exec, s[2:3]
	s_cbranch_execz .LBB95_220
.LBB95_211:                             ;   Parent Loop BB95_35 Depth=1
                                        ; =>  This Inner Loop Header: Depth=2
	v_cmp_gt_u64_e32 vcc, s[0:1], v[6:7]
	s_waitcnt vmcnt(0)
	v_mov_b32_e32 v29, 0
	s_and_saveexec_b64 s[28:29], vcc
	s_cbranch_execz .LBB95_213
; %bb.212:                              ;   in Loop: Header=BB95_211 Depth=2
	ds_read_b32 v29, v2
.LBB95_213:                             ;   in Loop: Header=BB95_211 Depth=2
	s_or_b64 exec, exec, s[28:29]
	s_and_saveexec_b64 s[28:29], vcc
	s_cbranch_execz .LBB95_210
; %bb.214:                              ;   in Loop: Header=BB95_211 Depth=2
	s_waitcnt lgkmcnt(0)
	v_xor_b32_e32 v8, 0x80000000, v29
	v_and_b32_e32 v8, s5, v8
	v_cmp_eq_u32_e32 vcc, s80, v8
	s_and_b64 exec, exec, vcc
	s_cbranch_execz .LBB95_210
; %bb.215:                              ;   in Loop: Header=BB95_211 Depth=2
	ds_write_b64 v3, v[28:29] offset:3072
	s_branch .LBB95_210
.LBB95_216:                             ;   in Loop: Header=BB95_35 Depth=1
                                        ; implicit-def: $sgpr0_sgpr1
                                        ; implicit-def: $sgpr28_sgpr29
                                        ; implicit-def: $sgpr24_sgpr25
	s_branch .LBB95_235
.LBB95_217:                             ;   in Loop: Header=BB95_35 Depth=1
                                        ; implicit-def: $vgpr4_vgpr5
	s_branch .LBB95_157
.LBB95_218:                             ;   in Loop: Header=BB95_35 Depth=1
                                        ; implicit-def: $vgpr4_vgpr5
	s_branch .LBB95_177
.LBB95_219:                             ;   in Loop: Header=BB95_35 Depth=1
	s_mov_b64 s[0:1], -1
	s_mov_b64 s[2:3], 0
                                        ; implicit-def: $sgpr24_sgpr25
                                        ; implicit-def: $vgpr31
	s_mov_b64 s[28:29], s[0:1]
	s_cbranch_execnz .LBB95_222
	s_branch .LBB95_235
.LBB95_220:                             ;   in Loop: Header=BB95_35 Depth=1
	s_or_b64 exec, exec, s[2:3]
	s_and_b64 s[2:3], s[26:27], exec
.LBB95_221:                             ;   in Loop: Header=BB95_35 Depth=1
	s_or_b64 exec, exec, s[24:25]
	s_mov_b64 s[24:25], -1
	s_mov_b64 s[0:1], 0
	s_mov_b64 s[28:29], s[0:1]
	s_branch .LBB95_235
.LBB95_222:                             ;   in Loop: Header=BB95_35 Depth=1
	s_mov_b32 s68, s77
	s_cmp_lg_u64 s[68:69], 0
	s_cbranch_scc0 .LBB95_265
; %bb.223:                              ;   in Loop: Header=BB95_35 Depth=1
	v_cvt_f32_u32_e32 v2, s33
	s_sub_u32 s0, 0, s33
	s_subb_u32 s1, 0, 0
	v_mac_f32_e32 v2, 0, v50
	v_rcp_f32_e32 v2, v2
	v_mul_f32_e32 v2, 0x5f7ffffc, v2
	v_mul_f32_e32 v4, 0x2f800000, v2
	v_trunc_f32_e32 v4, v4
	v_mac_f32_e32 v2, 0xcf800000, v4
	v_cvt_u32_f32_e32 v4, v4
	v_cvt_u32_f32_e32 v2, v2
	v_readfirstlane_b32 s2, v4
	v_readfirstlane_b32 s3, v2
	s_mul_i32 s24, s0, s2
	s_mul_hi_u32 s26, s0, s3
	s_mul_i32 s25, s1, s3
	s_add_i32 s24, s26, s24
	s_mul_i32 s27, s0, s3
	s_add_i32 s24, s24, s25
	s_mul_hi_u32 s26, s3, s27
	s_mul_hi_u32 s25, s3, s24
	s_mul_i32 s3, s3, s24
	s_add_u32 s3, s26, s3
	s_addc_u32 s25, 0, s25
	s_mul_hi_u32 s28, s2, s27
	s_mul_i32 s27, s2, s27
	s_add_u32 s3, s3, s27
	s_mul_hi_u32 s26, s2, s24
	s_addc_u32 s3, s25, s28
	s_addc_u32 s25, s26, 0
	s_mul_i32 s24, s2, s24
	s_add_u32 s3, s3, s24
	s_addc_u32 s24, 0, s25
	v_add_co_u32_e32 v2, vcc, s3, v2
	s_cmp_lg_u64 vcc, 0
	s_addc_u32 s2, s2, s24
	v_readfirstlane_b32 s24, v2
	s_mul_i32 s3, s0, s2
	s_mul_hi_u32 s25, s0, s24
	s_add_i32 s3, s25, s3
	s_mul_i32 s1, s1, s24
	s_add_i32 s3, s3, s1
	s_mul_i32 s0, s0, s24
	s_mul_hi_u32 s25, s2, s0
	s_mul_i32 s26, s2, s0
	s_mul_i32 s28, s24, s3
	s_mul_hi_u32 s0, s24, s0
	s_mul_hi_u32 s27, s24, s3
	s_add_u32 s0, s0, s28
	s_addc_u32 s24, 0, s27
	s_add_u32 s0, s0, s26
	s_mul_hi_u32 s1, s2, s3
	s_addc_u32 s0, s24, s25
	s_addc_u32 s1, s1, 0
	s_mul_i32 s3, s2, s3
	s_add_u32 s0, s0, s3
	s_addc_u32 s1, 0, s1
	v_add_co_u32_e32 v2, vcc, s0, v2
	s_cmp_lg_u64 vcc, 0
	s_addc_u32 s0, s2, s1
	v_readlane_b32 s26, v51, 19
	v_readfirstlane_b32 s3, v2
	s_mul_i32 s2, s26, s0
	s_mul_hi_u32 s24, s26, s3
	s_mul_hi_u32 s1, s26, s0
	s_add_u32 s2, s24, s2
	s_addc_u32 s1, 0, s1
	s_mul_hi_u32 s25, s69, s3
	s_mul_i32 s3, s69, s3
	s_add_u32 s2, s2, s3
	s_mul_hi_u32 s24, s69, s0
	s_addc_u32 s1, s1, s25
	s_addc_u32 s2, s24, 0
	s_mul_i32 s0, s69, s0
	s_add_u32 s0, s1, s0
	s_addc_u32 s1, 0, s2
	s_mul_hi_u32 s2, s33, s0
	s_mul_i32 s0, s33, s0
	s_mul_i32 s1, s33, s1
	v_mov_b32_e32 v2, s0
	s_add_i32 s2, s2, s1
	v_sub_co_u32_e32 v2, vcc, s26, v2
	s_cmp_lg_u64 vcc, 0
	s_subb_u32 s0, s69, s2
	v_subrev_co_u32_e32 v4, vcc, s33, v2
	s_cmp_lg_u64 vcc, 0
	s_subb_u32 s1, s0, 0
	v_subrev_co_u32_e32 v5, vcc, s33, v4
	s_cmp_lg_u64 vcc, 0
	s_subb_u32 s2, s1, 0
	v_cmp_le_u32_e32 vcc, s33, v4
	s_cmp_eq_u32 s1, 0
	v_cndmask_b32_e64 v6, 0, -1, vcc
	s_cselect_b64 vcc, -1, 0
	v_cndmask_b32_e32 v6, -1, v6, vcc
	v_mov_b32_e32 v7, s1
	v_mov_b32_e32 v8, s2
	v_cmp_ne_u32_e32 vcc, 0, v6
	v_cndmask_b32_e32 v6, v7, v8, vcc
	v_cndmask_b32_e32 v4, v4, v5, vcc
	v_cmp_le_u32_e32 vcc, s33, v2
	s_cmp_eq_u32 s0, 0
	v_cndmask_b32_e64 v5, 0, -1, vcc
	s_cselect_b64 vcc, -1, 0
	v_cndmask_b32_e32 v5, -1, v5, vcc
	v_mov_b32_e32 v7, s0
	v_cmp_ne_u32_e32 vcc, 0, v5
	v_cndmask_b32_e32 v5, v7, v6, vcc
	v_cndmask_b32_e32 v4, v2, v4, vcc
	s_cbranch_execnz .LBB95_225
.LBB95_224:                             ;   in Loop: Header=BB95_35 Depth=1
	v_cvt_f32_u32_e32 v2, s33
	s_sub_i32 s0, 0, s33
	v_rcp_iflag_f32_e32 v2, v2
	v_mul_f32_e32 v2, 0x4f7ffffe, v2
	v_cvt_u32_f32_e32 v2, v2
	v_mul_lo_u32 v4, s0, v2
	v_mul_hi_u32 v4, v2, v4
	v_add_u32_e32 v2, v2, v4
	v_readlane_b32 s0, v51, 19
	v_mul_hi_u32 v2, s0, v2
	v_mul_lo_u32 v2, v2, s33
	v_sub_u32_e32 v2, s0, v2
	v_subrev_u32_e32 v4, s33, v2
	v_cmp_le_u32_e32 vcc, s33, v2
	v_cndmask_b32_e32 v2, v2, v4, vcc
	v_subrev_u32_e32 v4, s33, v2
	v_cmp_le_u32_e32 vcc, s33, v2
	v_cndmask_b32_e32 v2, v2, v4, vcc
	v_pk_mov_b32 v[4:5], v[2:3], v[2:3] op_sel:[0,1]
.LBB95_225:                             ;   in Loop: Header=BB95_35 Depth=1
	v_readlane_b32 s0, v51, 19
	v_mov_b32_e32 v2, s69
	v_sub_co_u32_e32 v4, vcc, s0, v4
	v_subb_co_u32_e32 v5, vcc, v2, v5, vcc
	v_cmp_gt_u64_e32 vcc, v[4:5], v[0:1]
	s_mov_b64 s[2:3], 0
                                        ; implicit-def: $vgpr31
	s_and_saveexec_b64 s[0:1], vcc
	s_cbranch_execz .LBB95_234
; %bb.226:                              ;   in Loop: Header=BB95_35 Depth=1
	v_pk_mov_b32 v[6:7], v[12:13], v[12:13] op_sel:[0,1]
	v_pk_mov_b32 v[8:9], v[0:1], v[0:1] op_sel:[0,1]
                                        ; implicit-def: $sgpr24_sgpr25
	s_branch .LBB95_228
.LBB95_227:                             ;   in Loop: Header=BB95_228 Depth=2
	s_or_b64 exec, exec, s[26:27]
	s_waitcnt lgkmcnt(0)
	s_barrier
	ds_read_b64 v[30:31], v3 offset:3072
	v_mov_b32_e32 v2, s86
	v_add_co_u32_e32 v8, vcc, s33, v8
	v_addc_co_u32_e32 v9, vcc, v9, v2, vcc
	s_waitcnt lgkmcnt(0)
	v_readfirstlane_b32 s26, v30
	s_cmp_lg_u32 s26, 0
	s_cselect_b64 s[26:27], -1, 0
	v_cmp_ge_u64_e32 vcc, v[8:9], v[4:5]
	s_or_b64 s[28:29], vcc, s[26:27]
	s_and_b64 s[28:29], exec, s[28:29]
	s_or_b64 s[2:3], s[28:29], s[2:3]
	v_mov_b32_e32 v2, s75
	v_add_co_u32_e32 v6, vcc, s74, v6
	s_andn2_b64 s[24:25], s[24:25], exec
	s_and_b64 s[26:27], s[26:27], exec
	v_addc_co_u32_e32 v7, vcc, v7, v2, vcc
	s_or_b64 s[24:25], s[24:25], s[26:27]
	s_barrier
	s_andn2_b64 exec, exec, s[2:3]
	s_cbranch_execz .LBB95_233
.LBB95_228:                             ;   Parent Loop BB95_35 Depth=1
                                        ; =>  This Inner Loop Header: Depth=2
	v_cmp_gt_u64_e32 vcc, s[52:53], v[8:9]
	s_waitcnt vmcnt(0)
	v_mov_b32_e32 v29, 0
	s_and_saveexec_b64 s[26:27], vcc
	s_cbranch_execz .LBB95_230
; %bb.229:                              ;   in Loop: Header=BB95_228 Depth=2
	global_load_dword v29, v[6:7], off
.LBB95_230:                             ;   in Loop: Header=BB95_228 Depth=2
	s_or_b64 exec, exec, s[26:27]
	s_and_saveexec_b64 s[26:27], vcc
	s_cbranch_execz .LBB95_227
; %bb.231:                              ;   in Loop: Header=BB95_228 Depth=2
	s_waitcnt vmcnt(0)
	v_xor_b32_e32 v2, 0x80000000, v29
	v_and_b32_e32 v2, s5, v2
	v_cmp_eq_u32_e32 vcc, s80, v2
	s_and_b64 exec, exec, vcc
	s_cbranch_execz .LBB95_227
; %bb.232:                              ;   in Loop: Header=BB95_228 Depth=2
	ds_write_b64 v3, v[28:29] offset:3072
	s_branch .LBB95_227
.LBB95_233:                             ;   in Loop: Header=BB95_35 Depth=1
	s_or_b64 exec, exec, s[2:3]
	s_and_b64 s[2:3], s[24:25], exec
.LBB95_234:                             ;   in Loop: Header=BB95_35 Depth=1
	s_or_b64 exec, exec, s[0:1]
	s_mov_b64 s[28:29], -1
	s_mov_b64 s[0:1], 0
	s_mov_b64 s[24:25], 0
.LBB95_235:                             ;   in Loop: Header=BB95_35 Depth=1
	s_mov_b64 s[26:27], 0
                                        ; implicit-def: $sgpr45
	s_and_saveexec_b64 s[30:31], s[2:3]
	s_cbranch_execz .LBB95_297
; %bb.236:                              ;   in Loop: Header=BB95_35 Depth=1
	s_xor_b64 s[2:3], s[34:35], -1
	s_andn2_b64 vcc, exec, s[2:3]
	s_mov_b32 s45, 1
	s_cbranch_vccnz .LBB95_247
; %bb.237:                              ;   in Loop: Header=BB95_35 Depth=1
	v_pk_mov_b32 v[4:5], s[14:15], s[14:15] op_sel:[0,1]
	v_cmp_gt_u64_e32 vcc, s[64:65], v[4:5]
	s_mov_b64 s[2:3], -1
                                        ; implicit-def: $sgpr45
                                        ; implicit-def: $sgpr26
                                        ; implicit-def: $sgpr27
	s_cbranch_vccnz .LBB95_243
; %bb.238:                              ;   in Loop: Header=BB95_35 Depth=1
	ds_read_b64 v[4:5], v3 offset:5120
	s_waitcnt lgkmcnt(0)
	v_cmp_ne_u64_e32 vcc, 0, v[4:5]
	s_cbranch_vccnz .LBB95_242
; %bb.239:                              ;   in Loop: Header=BB95_35 Depth=1
	s_mov_b64 s[2:3], exec
	v_readlane_b32 s26, v51, 6
	v_readlane_b32 s27, v51, 7
	s_and_b64 s[26:27], s[2:3], s[26:27]
	s_mov_b64 exec, s[26:27]
	s_cbranch_execz .LBB95_241
; %bb.240:                              ;   in Loop: Header=BB95_35 Depth=1
	v_pk_mov_b32 v[4:5], s[14:15], s[14:15] op_sel:[0,1]
	ds_write_b64 v3, v[4:5] offset:5128
.LBB95_241:                             ;   in Loop: Header=BB95_35 Depth=1
	s_or_b64 exec, exec, s[2:3]
	s_waitcnt lgkmcnt(0)
	s_barrier
.LBB95_242:                             ;   in Loop: Header=BB95_35 Depth=1
	s_lshl_b32 s2, 2, s36
	s_and_b32 s3, s80, s37
	s_or_b32 s26, s3, s2
	s_or_b32 s27, s5, s44
	s_mov_b64 s[2:3], 0
	s_mov_b32 s45, 8
.LBB95_243:                             ;   in Loop: Header=BB95_35 Depth=1
	s_mov_b64 s[82:83], s[40:41]
	s_andn2_b64 vcc, exec, s[2:3]
	s_cbranch_vccnz .LBB95_245
; %bb.244:                              ;   in Loop: Header=BB95_35 Depth=1
	s_sub_u32 s64, s64, s14
	s_subb_u32 s65, s65, s15
	s_mov_b64 s[2:3], -1
	s_mov_b32 s45, 0
	s_mov_b32 s26, s80
	;; [unrolled: 1-line block ×3, first 2 shown]
.LBB95_245:                             ;   in Loop: Header=BB95_35 Depth=1
	s_mov_b32 s5, s27
	s_mov_b32 s80, s26
	s_andn2_b64 vcc, exec, s[2:3]
	s_mov_b64 s[40:41], -1
	s_cbranch_vccz .LBB95_248
.LBB95_246:                             ;   in Loop: Header=BB95_35 Depth=1
                                        ; implicit-def: $sgpr2_sgpr3
                                        ; implicit-def: $sgpr34_sgpr35
                                        ; implicit-def: $sgpr26_sgpr27
	s_branch .LBB95_296
.LBB95_247:                             ;   in Loop: Header=BB95_35 Depth=1
	s_mov_b64 s[82:83], s[40:41]
	s_mov_b64 s[64:65], 1
	s_mov_b64 s[40:41], -1
	s_cbranch_execnz .LBB95_246
.LBB95_248:                             ;   in Loop: Header=BB95_35 Depth=1
	s_cmp_eq_u64 s[6:7], 1
	s_cselect_b64 s[2:3], -1, 0
	s_cmp_eq_u64 s[64:65], 1
	s_cselect_b64 s[14:15], -1, 0
	s_and_b64 s[14:15], s[2:3], s[14:15]
	s_mov_b64 s[36:37], -1
	s_and_b64 vcc, exec, s[14:15]
	s_cbranch_vccz .LBB95_263
; %bb.249:                              ;   in Loop: Header=BB95_35 Depth=1
	ds_read_b64 v[4:5], v3 offset:5120
	s_waitcnt lgkmcnt(0)
	s_barrier
	v_readfirstlane_b32 s2, v4
	v_readfirstlane_b32 s3, v5
	s_mov_b64 s[26:27], exec
	v_readlane_b32 s34, v51, 12
	v_readlane_b32 s35, v51, 13
	s_and_b64 s[34:35], s[26:27], s[34:35]
	s_mov_b64 exec, s[34:35]
	s_cbranch_execz .LBB95_251
; %bb.250:                              ;   in Loop: Header=BB95_35 Depth=1
	ds_write_b32 v45, v3
.LBB95_251:                             ;   in Loop: Header=BB95_35 Depth=1
	s_or_b64 exec, exec, s[26:27]
	s_or_b32 s80, s80, s44
	s_or_b32 s5, s5, s44
	s_cmp_eq_u64 s[2:3], 0
	s_waitcnt lgkmcnt(0)
	s_barrier
	s_cbranch_scc1 .LBB95_266
; %bb.252:                              ;   in Loop: Header=BB95_35 Depth=1
	v_readlane_b32 s26, v51, 18
	s_add_u32 s36, s26, s2
	v_readlane_b32 s26, v51, 20
	s_addc_u32 s27, s26, s3
	s_mov_b32 s26, s77
	s_cmp_lg_u64 s[26:27], 0
	s_cbranch_scc0 .LBB95_302
; %bb.253:                              ;   in Loop: Header=BB95_35 Depth=1
	v_cvt_f32_u32_e32 v2, s33
	s_sub_u32 s26, 0, s33
	s_subb_u32 s34, 0, 0
	v_mac_f32_e32 v2, 0, v50
	v_rcp_f32_e32 v2, v2
	v_mul_f32_e32 v2, 0x5f7ffffc, v2
	v_mul_f32_e32 v4, 0x2f800000, v2
	v_trunc_f32_e32 v4, v4
	v_mac_f32_e32 v2, 0xcf800000, v4
	v_cvt_u32_f32_e32 v4, v4
	v_cvt_u32_f32_e32 v2, v2
	v_readfirstlane_b32 s35, v4
	v_readfirstlane_b32 s37, v2
	s_mul_i32 s38, s26, s35
	s_mul_hi_u32 s40, s26, s37
	s_mul_i32 s39, s34, s37
	s_add_i32 s38, s40, s38
	s_mul_i32 s41, s26, s37
	s_add_i32 s38, s38, s39
	s_mul_hi_u32 s40, s37, s41
	s_mul_hi_u32 s39, s37, s38
	s_mul_i32 s37, s37, s38
	s_add_u32 s37, s40, s37
	s_addc_u32 s39, 0, s39
	s_mul_hi_u32 s42, s35, s41
	s_mul_i32 s41, s35, s41
	s_add_u32 s37, s37, s41
	s_mul_hi_u32 s40, s35, s38
	s_addc_u32 s37, s39, s42
	s_addc_u32 s39, s40, 0
	s_mul_i32 s38, s35, s38
	s_add_u32 s37, s37, s38
	s_addc_u32 s38, 0, s39
	v_add_co_u32_e32 v2, vcc, s37, v2
	s_cmp_lg_u64 vcc, 0
	s_addc_u32 s35, s35, s38
	v_readfirstlane_b32 s38, v2
	s_mul_i32 s37, s26, s35
	s_mul_hi_u32 s39, s26, s38
	s_add_i32 s37, s39, s37
	s_mul_i32 s34, s34, s38
	s_add_i32 s37, s37, s34
	s_mul_i32 s26, s26, s38
	s_mul_hi_u32 s39, s35, s26
	s_mul_i32 s40, s35, s26
	s_mul_i32 s42, s38, s37
	s_mul_hi_u32 s26, s38, s26
	s_mul_hi_u32 s41, s38, s37
	s_add_u32 s26, s26, s42
	s_addc_u32 s38, 0, s41
	s_add_u32 s26, s26, s40
	s_mul_hi_u32 s34, s35, s37
	s_addc_u32 s26, s38, s39
	s_addc_u32 s34, s34, 0
	s_mul_i32 s37, s35, s37
	s_add_u32 s26, s26, s37
	s_addc_u32 s34, 0, s34
	v_add_co_u32_e32 v2, vcc, s26, v2
	s_cmp_lg_u64 vcc, 0
	s_addc_u32 s26, s35, s34
	v_readfirstlane_b32 s37, v2
	s_mul_i32 s35, s36, s26
	s_mul_hi_u32 s38, s36, s37
	s_mul_hi_u32 s34, s36, s26
	s_add_u32 s35, s38, s35
	s_addc_u32 s34, 0, s34
	s_mul_hi_u32 s39, s27, s37
	s_mul_i32 s37, s27, s37
	s_add_u32 s35, s35, s37
	s_mul_hi_u32 s38, s27, s26
	s_addc_u32 s34, s34, s39
	s_addc_u32 s35, s38, 0
	s_mul_i32 s26, s27, s26
	s_add_u32 s26, s34, s26
	s_addc_u32 s34, 0, s35
	s_mul_hi_u32 s35, s33, s26
	s_mul_i32 s26, s33, s26
	s_mul_i32 s34, s33, s34
	v_mov_b32_e32 v2, s26
	s_add_i32 s35, s35, s34
	v_sub_co_u32_e32 v2, vcc, s36, v2
	s_cmp_lg_u64 vcc, 0
	s_subb_u32 s26, s27, s35
	v_subrev_co_u32_e32 v4, vcc, s33, v2
	s_cmp_lg_u64 vcc, 0
	s_subb_u32 s34, s26, 0
	v_subrev_co_u32_e32 v5, vcc, s33, v4
	s_cmp_lg_u64 vcc, 0
	s_subb_u32 s35, s34, 0
	v_cmp_le_u32_e32 vcc, s33, v4
	s_cmp_eq_u32 s34, 0
	v_cndmask_b32_e64 v6, 0, -1, vcc
	s_cselect_b64 vcc, -1, 0
	v_cndmask_b32_e32 v6, -1, v6, vcc
	v_mov_b32_e32 v7, s34
	v_mov_b32_e32 v8, s35
	v_cmp_ne_u32_e32 vcc, 0, v6
	v_cndmask_b32_e32 v6, v7, v8, vcc
	v_cndmask_b32_e32 v4, v4, v5, vcc
	v_cmp_le_u32_e32 vcc, s33, v2
	s_cmp_eq_u32 s26, 0
	v_cndmask_b32_e64 v5, 0, -1, vcc
	s_cselect_b64 vcc, -1, 0
	v_cndmask_b32_e32 v5, -1, v5, vcc
	v_mov_b32_e32 v7, s26
	v_cmp_ne_u32_e32 vcc, 0, v5
	v_cndmask_b32_e32 v5, v7, v6, vcc
	v_cndmask_b32_e32 v4, v2, v4, vcc
	s_cbranch_execnz .LBB95_255
.LBB95_254:                             ;   in Loop: Header=BB95_35 Depth=1
	v_cvt_f32_u32_e32 v2, s33
	s_sub_i32 s26, 0, s33
	v_rcp_iflag_f32_e32 v2, v2
	v_mul_f32_e32 v2, 0x4f7ffffe, v2
	v_cvt_u32_f32_e32 v2, v2
	v_mul_lo_u32 v4, s26, v2
	v_mul_hi_u32 v4, v2, v4
	v_add_u32_e32 v2, v2, v4
	v_mul_hi_u32 v2, s36, v2
	v_mul_lo_u32 v2, v2, s33
	v_sub_u32_e32 v2, s36, v2
	v_subrev_u32_e32 v4, s33, v2
	v_cmp_le_u32_e32 vcc, s33, v2
	v_cndmask_b32_e32 v2, v2, v4, vcc
	v_subrev_u32_e32 v4, s33, v2
	v_cmp_le_u32_e32 vcc, s33, v2
	v_cndmask_b32_e32 v2, v2, v4, vcc
	v_pk_mov_b32 v[4:5], v[2:3], v[2:3] op_sel:[0,1]
.LBB95_255:                             ;   in Loop: Header=BB95_35 Depth=1
	v_mov_b32_e32 v2, s27
	v_sub_co_u32_e32 v4, vcc, s36, v4
	v_subb_co_u32_e32 v5, vcc, v2, v5, vcc
	v_cmp_gt_u64_e32 vcc, v[4:5], v[0:1]
	s_mov_b64 s[36:37], 0
                                        ; implicit-def: $vgpr31
	s_and_saveexec_b64 s[26:27], vcc
	s_cbranch_execz .LBB95_268
; %bb.256:                              ;   in Loop: Header=BB95_35 Depth=1
	s_mov_b64 s[34:35], 0
	v_mov_b32_e32 v2, v14
	v_pk_mov_b32 v[6:7], v[0:1], v[0:1] op_sel:[0,1]
                                        ; implicit-def: $sgpr36_sgpr37
	s_branch .LBB95_258
.LBB95_257:                             ;   in Loop: Header=BB95_258 Depth=2
	s_or_b64 exec, exec, s[38:39]
	s_waitcnt lgkmcnt(0)
	s_barrier
	ds_read_b64 v[30:31], v3 offset:3072
	v_mov_b32_e32 v8, s86
	v_add_co_u32_e32 v6, vcc, s33, v6
	v_addc_co_u32_e32 v7, vcc, v7, v8, vcc
	s_waitcnt lgkmcnt(0)
	v_readfirstlane_b32 s38, v30
	s_cmp_lg_u32 s38, 0
	s_cselect_b64 s[38:39], -1, 0
	v_cmp_ge_u64_e32 vcc, v[6:7], v[4:5]
	s_or_b64 s[40:41], vcc, s[38:39]
	s_and_b64 s[40:41], exec, s[40:41]
	s_or_b64 s[34:35], s[40:41], s[34:35]
	s_andn2_b64 s[36:37], s[36:37], exec
	s_and_b64 s[38:39], s[38:39], exec
	v_add_u32_e32 v2, s4, v2
	s_or_b64 s[36:37], s[36:37], s[38:39]
	s_barrier
	s_andn2_b64 exec, exec, s[34:35]
	s_cbranch_execz .LBB95_267
.LBB95_258:                             ;   Parent Loop BB95_35 Depth=1
                                        ; =>  This Inner Loop Header: Depth=2
	v_cmp_gt_u64_e32 vcc, s[2:3], v[6:7]
	s_waitcnt vmcnt(0)
	v_mov_b32_e32 v29, 0
	s_and_saveexec_b64 s[38:39], vcc
	s_cbranch_execz .LBB95_260
; %bb.259:                              ;   in Loop: Header=BB95_258 Depth=2
	ds_read_b32 v29, v2
.LBB95_260:                             ;   in Loop: Header=BB95_258 Depth=2
	s_or_b64 exec, exec, s[38:39]
	s_and_saveexec_b64 s[38:39], vcc
	s_cbranch_execz .LBB95_257
; %bb.261:                              ;   in Loop: Header=BB95_258 Depth=2
	s_waitcnt lgkmcnt(0)
	v_xor_b32_e32 v8, 0x80000000, v29
	v_and_b32_e32 v8, s5, v8
	v_cmp_eq_u32_e32 vcc, s80, v8
	s_and_b64 exec, exec, vcc
	s_cbranch_execz .LBB95_257
; %bb.262:                              ;   in Loop: Header=BB95_258 Depth=2
	ds_write_b64 v3, v[28:29] offset:3072
	s_branch .LBB95_257
.LBB95_263:                             ;   in Loop: Header=BB95_35 Depth=1
                                        ; implicit-def: $sgpr2_sgpr3
                                        ; implicit-def: $sgpr34_sgpr35
                                        ; implicit-def: $sgpr26_sgpr27
	s_branch .LBB95_282
.LBB95_264:                             ;   in Loop: Header=BB95_35 Depth=1
                                        ; implicit-def: $vgpr4_vgpr5
	s_branch .LBB95_207
.LBB95_265:                             ;   in Loop: Header=BB95_35 Depth=1
                                        ; implicit-def: $vgpr4_vgpr5
	s_branch .LBB95_224
.LBB95_266:                             ;   in Loop: Header=BB95_35 Depth=1
	s_mov_b64 s[2:3], -1
	s_mov_b64 s[36:37], 0
                                        ; implicit-def: $sgpr26_sgpr27
                                        ; implicit-def: $vgpr31
	s_mov_b64 s[34:35], s[2:3]
	s_cbranch_execnz .LBB95_269
	s_branch .LBB95_282
.LBB95_267:                             ;   in Loop: Header=BB95_35 Depth=1
	s_or_b64 exec, exec, s[34:35]
	s_and_b64 s[36:37], s[36:37], exec
.LBB95_268:                             ;   in Loop: Header=BB95_35 Depth=1
	s_or_b64 exec, exec, s[26:27]
	s_mov_b64 s[26:27], -1
	s_mov_b64 s[2:3], 0
	s_mov_b64 s[34:35], s[2:3]
	s_branch .LBB95_282
.LBB95_269:                             ;   in Loop: Header=BB95_35 Depth=1
	s_mov_b32 s68, s77
	s_cmp_lg_u64 s[68:69], 0
	s_cbranch_scc0 .LBB95_303
; %bb.270:                              ;   in Loop: Header=BB95_35 Depth=1
	v_cvt_f32_u32_e32 v2, s33
	s_sub_u32 s2, 0, s33
	s_subb_u32 s3, 0, 0
	v_mac_f32_e32 v2, 0, v50
	v_rcp_f32_e32 v2, v2
	v_mul_f32_e32 v2, 0x5f7ffffc, v2
	v_mul_f32_e32 v4, 0x2f800000, v2
	v_trunc_f32_e32 v4, v4
	v_mac_f32_e32 v2, 0xcf800000, v4
	v_cvt_u32_f32_e32 v4, v4
	v_cvt_u32_f32_e32 v2, v2
	v_readfirstlane_b32 s26, v4
	v_readfirstlane_b32 s27, v2
	s_mul_i32 s34, s2, s26
	s_mul_hi_u32 s36, s2, s27
	s_mul_i32 s35, s3, s27
	s_add_i32 s34, s36, s34
	s_mul_i32 s37, s2, s27
	s_add_i32 s34, s34, s35
	s_mul_hi_u32 s36, s27, s37
	s_mul_hi_u32 s35, s27, s34
	s_mul_i32 s27, s27, s34
	s_add_u32 s27, s36, s27
	s_addc_u32 s35, 0, s35
	s_mul_hi_u32 s38, s26, s37
	s_mul_i32 s37, s26, s37
	s_add_u32 s27, s27, s37
	s_mul_hi_u32 s36, s26, s34
	s_addc_u32 s27, s35, s38
	s_addc_u32 s35, s36, 0
	s_mul_i32 s34, s26, s34
	s_add_u32 s27, s27, s34
	s_addc_u32 s34, 0, s35
	v_add_co_u32_e32 v2, vcc, s27, v2
	s_cmp_lg_u64 vcc, 0
	s_addc_u32 s26, s26, s34
	v_readfirstlane_b32 s34, v2
	s_mul_i32 s27, s2, s26
	s_mul_hi_u32 s35, s2, s34
	s_add_i32 s27, s35, s27
	s_mul_i32 s3, s3, s34
	s_add_i32 s27, s27, s3
	s_mul_i32 s2, s2, s34
	s_mul_hi_u32 s35, s26, s2
	s_mul_i32 s36, s26, s2
	s_mul_i32 s38, s34, s27
	s_mul_hi_u32 s2, s34, s2
	s_mul_hi_u32 s37, s34, s27
	s_add_u32 s2, s2, s38
	s_addc_u32 s34, 0, s37
	s_add_u32 s2, s2, s36
	s_mul_hi_u32 s3, s26, s27
	s_addc_u32 s2, s34, s35
	s_addc_u32 s3, s3, 0
	s_mul_i32 s27, s26, s27
	s_add_u32 s2, s2, s27
	s_addc_u32 s3, 0, s3
	v_add_co_u32_e32 v2, vcc, s2, v2
	s_cmp_lg_u64 vcc, 0
	s_addc_u32 s2, s26, s3
	v_readlane_b32 s36, v51, 19
	v_readfirstlane_b32 s27, v2
	s_mul_i32 s26, s36, s2
	s_mul_hi_u32 s34, s36, s27
	s_mul_hi_u32 s3, s36, s2
	s_add_u32 s26, s34, s26
	s_addc_u32 s3, 0, s3
	s_mul_hi_u32 s35, s69, s27
	s_mul_i32 s27, s69, s27
	s_add_u32 s26, s26, s27
	s_mul_hi_u32 s34, s69, s2
	s_addc_u32 s3, s3, s35
	s_addc_u32 s26, s34, 0
	s_mul_i32 s2, s69, s2
	s_add_u32 s2, s3, s2
	s_addc_u32 s3, 0, s26
	s_mul_hi_u32 s26, s33, s2
	s_mul_i32 s2, s33, s2
	s_mul_i32 s3, s33, s3
	v_mov_b32_e32 v2, s2
	s_add_i32 s26, s26, s3
	v_sub_co_u32_e32 v2, vcc, s36, v2
	s_cmp_lg_u64 vcc, 0
	s_subb_u32 s2, s69, s26
	v_subrev_co_u32_e32 v4, vcc, s33, v2
	s_cmp_lg_u64 vcc, 0
	s_subb_u32 s3, s2, 0
	v_subrev_co_u32_e32 v5, vcc, s33, v4
	s_cmp_lg_u64 vcc, 0
	s_subb_u32 s26, s3, 0
	v_cmp_le_u32_e32 vcc, s33, v4
	s_cmp_eq_u32 s3, 0
	v_cndmask_b32_e64 v6, 0, -1, vcc
	s_cselect_b64 vcc, -1, 0
	v_cndmask_b32_e32 v6, -1, v6, vcc
	v_mov_b32_e32 v7, s3
	v_mov_b32_e32 v8, s26
	v_cmp_ne_u32_e32 vcc, 0, v6
	v_cndmask_b32_e32 v6, v7, v8, vcc
	v_cndmask_b32_e32 v4, v4, v5, vcc
	v_cmp_le_u32_e32 vcc, s33, v2
	s_cmp_eq_u32 s2, 0
	v_cndmask_b32_e64 v5, 0, -1, vcc
	s_cselect_b64 vcc, -1, 0
	v_cndmask_b32_e32 v5, -1, v5, vcc
	v_mov_b32_e32 v7, s2
	v_cmp_ne_u32_e32 vcc, 0, v5
	v_cndmask_b32_e32 v5, v7, v6, vcc
	v_cndmask_b32_e32 v4, v2, v4, vcc
	s_cbranch_execnz .LBB95_272
.LBB95_271:                             ;   in Loop: Header=BB95_35 Depth=1
	v_cvt_f32_u32_e32 v2, s33
	s_sub_i32 s2, 0, s33
	v_rcp_iflag_f32_e32 v2, v2
	v_mul_f32_e32 v2, 0x4f7ffffe, v2
	v_cvt_u32_f32_e32 v2, v2
	v_mul_lo_u32 v4, s2, v2
	v_mul_hi_u32 v4, v2, v4
	v_add_u32_e32 v2, v2, v4
	v_readlane_b32 s2, v51, 19
	v_mul_hi_u32 v2, s2, v2
	v_mul_lo_u32 v2, v2, s33
	v_sub_u32_e32 v2, s2, v2
	v_subrev_u32_e32 v4, s33, v2
	v_cmp_le_u32_e32 vcc, s33, v2
	v_cndmask_b32_e32 v2, v2, v4, vcc
	v_subrev_u32_e32 v4, s33, v2
	v_cmp_le_u32_e32 vcc, s33, v2
	v_cndmask_b32_e32 v2, v2, v4, vcc
	v_pk_mov_b32 v[4:5], v[2:3], v[2:3] op_sel:[0,1]
.LBB95_272:                             ;   in Loop: Header=BB95_35 Depth=1
	v_readlane_b32 s2, v51, 19
	v_mov_b32_e32 v2, s69
	v_sub_co_u32_e32 v4, vcc, s2, v4
	v_subb_co_u32_e32 v5, vcc, v2, v5, vcc
	v_cmp_gt_u64_e32 vcc, v[4:5], v[0:1]
	s_mov_b64 s[36:37], 0
                                        ; implicit-def: $vgpr31
	s_and_saveexec_b64 s[2:3], vcc
	s_cbranch_execz .LBB95_281
; %bb.273:                              ;   in Loop: Header=BB95_35 Depth=1
	s_mov_b64 s[26:27], 0
	v_pk_mov_b32 v[6:7], v[12:13], v[12:13] op_sel:[0,1]
	v_pk_mov_b32 v[8:9], v[0:1], v[0:1] op_sel:[0,1]
                                        ; implicit-def: $sgpr34_sgpr35
	s_branch .LBB95_275
.LBB95_274:                             ;   in Loop: Header=BB95_275 Depth=2
	s_or_b64 exec, exec, s[36:37]
	s_waitcnt lgkmcnt(0)
	s_barrier
	ds_read_b64 v[30:31], v3 offset:3072
	v_mov_b32_e32 v2, s86
	v_add_co_u32_e32 v8, vcc, s33, v8
	v_addc_co_u32_e32 v9, vcc, v9, v2, vcc
	s_waitcnt lgkmcnt(0)
	v_readfirstlane_b32 s36, v30
	s_cmp_lg_u32 s36, 0
	s_cselect_b64 s[36:37], -1, 0
	v_cmp_ge_u64_e32 vcc, v[8:9], v[4:5]
	s_or_b64 s[38:39], vcc, s[36:37]
	s_and_b64 s[38:39], exec, s[38:39]
	s_or_b64 s[26:27], s[38:39], s[26:27]
	v_mov_b32_e32 v2, s75
	v_add_co_u32_e32 v6, vcc, s74, v6
	s_andn2_b64 s[34:35], s[34:35], exec
	s_and_b64 s[36:37], s[36:37], exec
	v_addc_co_u32_e32 v7, vcc, v7, v2, vcc
	s_or_b64 s[34:35], s[34:35], s[36:37]
	s_barrier
	s_andn2_b64 exec, exec, s[26:27]
	s_cbranch_execz .LBB95_280
.LBB95_275:                             ;   Parent Loop BB95_35 Depth=1
                                        ; =>  This Inner Loop Header: Depth=2
	v_cmp_gt_u64_e32 vcc, s[52:53], v[8:9]
	s_waitcnt vmcnt(0)
	v_mov_b32_e32 v29, 0
	s_and_saveexec_b64 s[36:37], vcc
	s_cbranch_execz .LBB95_277
; %bb.276:                              ;   in Loop: Header=BB95_275 Depth=2
	global_load_dword v29, v[6:7], off
.LBB95_277:                             ;   in Loop: Header=BB95_275 Depth=2
	s_or_b64 exec, exec, s[36:37]
	s_and_saveexec_b64 s[36:37], vcc
	s_cbranch_execz .LBB95_274
; %bb.278:                              ;   in Loop: Header=BB95_275 Depth=2
	s_waitcnt vmcnt(0)
	v_xor_b32_e32 v2, 0x80000000, v29
	v_and_b32_e32 v2, s5, v2
	v_cmp_eq_u32_e32 vcc, s80, v2
	s_and_b64 exec, exec, vcc
	s_cbranch_execz .LBB95_274
; %bb.279:                              ;   in Loop: Header=BB95_275 Depth=2
	ds_write_b64 v3, v[28:29] offset:3072
	s_branch .LBB95_274
.LBB95_280:                             ;   in Loop: Header=BB95_35 Depth=1
	s_or_b64 exec, exec, s[26:27]
	s_and_b64 s[36:37], s[34:35], exec
.LBB95_281:                             ;   in Loop: Header=BB95_35 Depth=1
	s_or_b64 exec, exec, s[2:3]
	s_mov_b64 s[34:35], -1
	s_mov_b64 s[2:3], 0
	s_mov_b64 s[26:27], 0
.LBB95_282:                             ;   in Loop: Header=BB95_35 Depth=1
	s_mov_b64 s[40:41], 0
                                        ; implicit-def: $sgpr45
                                        ; implicit-def: $sgpr42_sgpr43
	s_and_saveexec_b64 s[38:39], s[36:37]
	s_cbranch_execz .LBB95_295
; %bb.283:                              ;   in Loop: Header=BB95_35 Depth=1
	s_xor_b64 s[14:15], s[14:15], -1
	s_mov_b64 s[42:43], 1
	s_andn2_b64 vcc, exec, s[14:15]
	s_mov_b32 s45, 1
	s_cbranch_vccnz .LBB95_294
; %bb.284:                              ;   in Loop: Header=BB95_35 Depth=1
	v_pk_mov_b32 v[4:5], s[6:7], s[6:7] op_sel:[0,1]
	v_cmp_gt_u64_e32 vcc, s[64:65], v[4:5]
	s_cbranch_vccnz .LBB95_290
; %bb.285:                              ;   in Loop: Header=BB95_35 Depth=1
	ds_read_b64 v[4:5], v3 offset:5120
	s_waitcnt lgkmcnt(0)
	v_cmp_ne_u64_e32 vcc, 0, v[4:5]
	s_cbranch_vccnz .LBB95_289
; %bb.286:                              ;   in Loop: Header=BB95_35 Depth=1
	s_mov_b64 s[14:15], exec
	v_readlane_b32 s36, v51, 6
	v_readlane_b32 s37, v51, 7
	s_and_b64 s[36:37], s[14:15], s[36:37]
	s_mov_b64 exec, s[36:37]
	s_cbranch_execz .LBB95_288
; %bb.287:                              ;   in Loop: Header=BB95_35 Depth=1
	v_pk_mov_b32 v[4:5], s[6:7], s[6:7] op_sel:[0,1]
	ds_write_b64 v3, v[4:5] offset:5128
.LBB95_288:                             ;   in Loop: Header=BB95_35 Depth=1
	s_or_b64 exec, exec, s[14:15]
	s_waitcnt lgkmcnt(0)
	s_barrier
.LBB95_289:                             ;   in Loop: Header=BB95_35 Depth=1
	s_or_b32 s36, s80, s44
	s_or_b32 s37, s5, s44
	s_mov_b64 s[14:15], 0
	s_mov_b32 s45, 8
	s_branch .LBB95_291
.LBB95_290:                             ;   in Loop: Header=BB95_35 Depth=1
	s_mov_b64 s[14:15], -1
                                        ; implicit-def: $sgpr45
                                        ; implicit-def: $sgpr36
                                        ; implicit-def: $sgpr37
.LBB95_291:                             ;   in Loop: Header=BB95_35 Depth=1
	s_andn2_b64 vcc, exec, s[14:15]
	s_cbranch_vccnz .LBB95_293
; %bb.292:                              ;   in Loop: Header=BB95_35 Depth=1
	s_sub_u32 s64, s64, s6
	s_subb_u32 s65, s65, s7
	s_mov_b32 s45, 8
	s_mov_b32 s36, s80
	;; [unrolled: 1-line block ×3, first 2 shown]
.LBB95_293:                             ;   in Loop: Header=BB95_35 Depth=1
	s_mov_b64 s[42:43], s[64:65]
	s_mov_b32 s80, s36
	s_mov_b32 s5, s37
.LBB95_294:                             ;   in Loop: Header=BB95_35 Depth=1
	s_mov_b64 s[40:41], exec
.LBB95_295:                             ;   in Loop: Header=BB95_35 Depth=1
	s_or_b64 exec, exec, s[38:39]
	s_mov_b64 s[64:65], s[42:43]
.LBB95_296:                             ;   in Loop: Header=BB95_35 Depth=1
	s_andn2_b64 s[0:1], s[0:1], exec
	s_and_b64 s[2:3], s[2:3], exec
	s_or_b64 s[0:1], s[0:1], s[2:3]
	s_andn2_b64 s[2:3], s[28:29], exec
	s_and_b64 s[6:7], s[34:35], exec
	s_or_b64 s[28:29], s[2:3], s[6:7]
	;; [unrolled: 3-line block ×3, first 2 shown]
	s_and_b64 s[26:27], s[40:41], exec
	s_mov_b64 s[40:41], s[82:83]
.LBB95_297:                             ;   in Loop: Header=BB95_35 Depth=1
	s_or_b64 exec, exec, s[30:31]
	s_mov_b64 s[30:31], s[8:9]
	s_mov_b64 s[34:35], s[62:63]
.LBB95_298:                             ;   in Loop: Header=BB95_35 Depth=1
	s_andn2_b64 s[2:3], s[18:19], exec
	s_and_b64 s[0:1], s[0:1], exec
	s_or_b64 s[18:19], s[2:3], s[0:1]
	s_andn2_b64 s[0:1], s[20:21], exec
	s_and_b64 s[2:3], s[28:29], exec
	s_or_b64 s[20:21], s[0:1], s[2:3]
	;; [unrolled: 3-line block ×3, first 2 shown]
	s_and_b64 s[2:3], s[26:27], exec
.LBB95_299:                             ;   in Loop: Header=BB95_35 Depth=1
	s_or_b64 exec, exec, s[22:23]
	s_and_saveexec_b64 s[0:1], s[2:3]
	s_xor_b64 s[0:1], exec, s[0:1]
	s_cbranch_execz .LBB95_33
.LBB95_300:                             ;   in Loop: Header=BB95_35 Depth=1
	s_and_b32 s2, s45, -9
	s_cmp_eq_u32 s2, 0
	s_cbranch_scc1 .LBB95_31
; %bb.301:                              ;   in Loop: Header=BB95_35 Depth=1
	s_mov_b64 s[2:3], -1
                                        ; implicit-def: $sgpr5
                                        ; implicit-def: $sgpr64_sgpr65
                                        ; implicit-def: $sgpr94
                                        ; implicit-def: $sgpr88
	s_mov_b64 s[6:7], -1
	s_branch .LBB95_32
.LBB95_302:                             ;   in Loop: Header=BB95_35 Depth=1
                                        ; implicit-def: $vgpr4_vgpr5
	s_branch .LBB95_254
.LBB95_303:                             ;   in Loop: Header=BB95_35 Depth=1
                                        ; implicit-def: $vgpr4_vgpr5
	s_branch .LBB95_271
.LBB95_304:
	s_or_b64 exec, exec, s[66:67]
	v_readlane_b32 s0, v51, 43
	v_readlane_b32 s2, v51, 41
	;; [unrolled: 1-line block ×4, first 2 shown]
	s_xor_b64 s[6:7], s[0:1], -1
	s_xor_b64 s[0:1], s[34:35], -1
	;; [unrolled: 1-line block ×3, first 2 shown]
	s_mov_b64 s[2:3], 0
	s_and_saveexec_b64 s[8:9], s[0:1]
	s_xor_b64 s[0:1], exec, s[8:9]
	s_cbranch_execnz .LBB95_309
; %bb.305:
	s_andn2_saveexec_b64 s[0:1], s[0:1]
	s_cbranch_execnz .LBB95_322
.LBB95_306:
	s_or_b64 exec, exec, s[0:1]
	s_and_saveexec_b64 s[0:1], s[2:3]
.LBB95_307:
	; divergent unreachable
.LBB95_308:
	s_endpgm
.LBB95_309:
	s_and_saveexec_b64 s[2:3], s[6:7]
	s_xor_b64 s[2:3], exec, s[2:3]
	s_cbranch_execz .LBB95_320
; %bb.310:
	s_and_saveexec_b64 s[6:7], s[4:5]
	s_xor_b64 s[4:5], exec, s[6:7]
; %bb.311:
	v_xor_b32_e32 v31, 0x80000000, v2
; %bb.312:
	s_or_b64 exec, exec, s[4:5]
	v_readlane_b32 s6, v51, 0
	v_readlane_b32 s7, v51, 1
	;; [unrolled: 1-line block ×4, first 2 shown]
	s_mul_i32 s4, s8, s7
	s_mul_hi_u32 s5, s8, s6
	s_add_i32 s4, s5, s4
	s_mul_i32 s5, s9, s6
	s_add_i32 s5, s4, s5
	s_mul_i32 s4, s8, s6
	s_lshl_b64 s[4:5], s[4:5], 2
	v_readlane_b32 s6, v51, 8
	v_readlane_b32 s7, v51, 9
	s_add_u32 s6, s6, s4
	s_addc_u32 s7, s7, s5
	s_lshl_b64 s[4:5], s[54:55], 2
	s_add_u32 s4, s6, s4
	s_addc_u32 s5, s7, s5
	v_mov_b32_e32 v2, 0
	global_store_dword v2, v31, s[4:5]
	s_and_saveexec_b64 s[4:5], s[60:61]
	s_cbranch_execz .LBB95_319
; %bb.313:
	s_mov_b64 s[6:7], 0
                                        ; implicit-def: $sgpr8_sgpr9
                                        ; implicit-def: $sgpr12_sgpr13
                                        ; implicit-def: $sgpr10_sgpr11
	s_branch .LBB95_315
.LBB95_314:                             ;   in Loop: Header=BB95_315 Depth=1
	s_or_b64 exec, exec, s[14:15]
	s_and_b64 s[14:15], exec, s[12:13]
	s_or_b64 s[6:7], s[14:15], s[6:7]
	s_andn2_b64 s[8:9], s[8:9], exec
	s_and_b64 s[14:15], s[10:11], exec
	s_or_b64 s[8:9], s[8:9], s[14:15]
	s_andn2_b64 exec, exec, s[6:7]
	s_cbranch_execz .LBB95_317
.LBB95_315:                             ; =>This Inner Loop Header: Depth=1
	global_load_dword v4, v[12:13], off
	v_pk_mov_b32 v[2:3], v[0:1], v[0:1] op_sel:[0,1]
	s_or_b64 s[10:11], s[10:11], exec
	s_or_b64 s[12:13], s[12:13], exec
                                        ; implicit-def: $vgpr0_vgpr1
	s_waitcnt vmcnt(0)
	v_cmp_ne_u32_e32 vcc, v4, v31
	s_and_saveexec_b64 s[14:15], vcc
	s_cbranch_execz .LBB95_314
; %bb.316:                              ;   in Loop: Header=BB95_315 Depth=1
	v_mov_b32_e32 v1, s86
	v_add_co_u32_e32 v0, vcc, s33, v2
	v_addc_co_u32_e32 v1, vcc, v3, v1, vcc
	v_mov_b32_e32 v4, s75
	v_add_co_u32_e32 v12, vcc, s74, v12
	v_addc_co_u32_e32 v13, vcc, v13, v4, vcc
	v_cmp_le_u64_e32 vcc, s[52:53], v[0:1]
	s_andn2_b64 s[12:13], s[12:13], exec
	s_and_b64 s[16:17], vcc, exec
	s_andn2_b64 s[10:11], s[10:11], exec
	s_or_b64 s[12:13], s[12:13], s[16:17]
	s_branch .LBB95_314
.LBB95_317:
	s_or_b64 exec, exec, s[6:7]
	s_and_saveexec_b64 s[6:7], s[8:9]
	s_xor_b64 s[6:7], exec, s[6:7]
	s_cbranch_execz .LBB95_319
; %bb.318:
	v_readlane_b32 s8, v51, 4
	v_readlane_b32 s9, v51, 5
	s_mul_i32 s6, s8, s47
	s_mul_hi_u32 s7, s8, s46
	s_add_i32 s6, s7, s6
	s_mul_i32 s7, s9, s46
	s_add_i32 s7, s6, s7
	s_mul_i32 s6, s8, s46
	s_lshl_b64 s[6:7], s[6:7], 3
	v_readlane_b32 s8, v51, 10
	v_readlane_b32 s9, v51, 11
	s_add_u32 s8, s8, s6
	s_addc_u32 s9, s9, s7
	s_lshl_b64 s[6:7], s[58:59], 3
	s_add_u32 s6, s8, s6
	s_addc_u32 s7, s9, s7
	v_mov_b32_e32 v0, 0
	global_store_dwordx2 v0, v[2:3], s[6:7]
.LBB95_319:
	s_or_b64 exec, exec, s[4:5]
.LBB95_320:
	s_or_saveexec_b64 s[2:3], s[2:3]
	s_mov_b64 s[4:5], 0
	s_xor_b64 exec, exec, s[2:3]
	s_cbranch_execnz .LBB95_323
.LBB95_321:
	s_or_b64 exec, exec, s[2:3]
	s_and_b64 s[2:3], s[4:5], exec
	s_andn2_saveexec_b64 s[0:1], s[0:1]
	s_cbranch_execz .LBB95_306
.LBB95_322:
	s_or_b64 s[2:3], s[2:3], exec
	s_trap 2
	s_or_b64 exec, exec, s[0:1]
	s_and_saveexec_b64 s[0:1], s[2:3]
	s_cbranch_execnz .LBB95_307
	s_branch .LBB95_308
.LBB95_323:
	s_mov_b64 s[4:5], exec
	s_trap 2
	s_branch .LBB95_321
	.section	.rodata,"a",@progbits
	.p2align	6, 0x0
	.amdhsa_kernel _ZN2at6native12_GLOBAL__N_112gatherMedianIimLin1EEEvNS_4cuda6detail10TensorInfoIT_T0_EENS5_IlS7_EENS5_IKS6_S7_EES7_S7_S7_b
		.amdhsa_group_segment_fixed_size 5152
		.amdhsa_private_segment_fixed_size 0
		.amdhsa_kernarg_size 1536
		.amdhsa_user_sgpr_count 6
		.amdhsa_user_sgpr_private_segment_buffer 1
		.amdhsa_user_sgpr_dispatch_ptr 0
		.amdhsa_user_sgpr_queue_ptr 0
		.amdhsa_user_sgpr_kernarg_segment_ptr 1
		.amdhsa_user_sgpr_dispatch_id 0
		.amdhsa_user_sgpr_flat_scratch_init 0
		.amdhsa_user_sgpr_kernarg_preload_length 0
		.amdhsa_user_sgpr_kernarg_preload_offset 0
		.amdhsa_user_sgpr_private_segment_size 0
		.amdhsa_uses_dynamic_stack 0
		.amdhsa_system_sgpr_private_segment_wavefront_offset 0
		.amdhsa_system_sgpr_workgroup_id_x 1
		.amdhsa_system_sgpr_workgroup_id_y 1
		.amdhsa_system_sgpr_workgroup_id_z 1
		.amdhsa_system_sgpr_workgroup_info 0
		.amdhsa_system_vgpr_workitem_id 0
		.amdhsa_next_free_vgpr 52
		.amdhsa_next_free_sgpr 96
		.amdhsa_accum_offset 52
		.amdhsa_reserve_vcc 1
		.amdhsa_reserve_flat_scratch 0
		.amdhsa_float_round_mode_32 0
		.amdhsa_float_round_mode_16_64 0
		.amdhsa_float_denorm_mode_32 3
		.amdhsa_float_denorm_mode_16_64 3
		.amdhsa_dx10_clamp 1
		.amdhsa_ieee_mode 1
		.amdhsa_fp16_overflow 0
		.amdhsa_tg_split 0
		.amdhsa_exception_fp_ieee_invalid_op 0
		.amdhsa_exception_fp_denorm_src 0
		.amdhsa_exception_fp_ieee_div_zero 0
		.amdhsa_exception_fp_ieee_overflow 0
		.amdhsa_exception_fp_ieee_underflow 0
		.amdhsa_exception_fp_ieee_inexact 0
		.amdhsa_exception_int_div_zero 0
	.end_amdhsa_kernel
	.section	.text._ZN2at6native12_GLOBAL__N_112gatherMedianIimLin1EEEvNS_4cuda6detail10TensorInfoIT_T0_EENS5_IlS7_EENS5_IKS6_S7_EES7_S7_S7_b,"axG",@progbits,_ZN2at6native12_GLOBAL__N_112gatherMedianIimLin1EEEvNS_4cuda6detail10TensorInfoIT_T0_EENS5_IlS7_EENS5_IKS6_S7_EES7_S7_S7_b,comdat
.Lfunc_end95:
	.size	_ZN2at6native12_GLOBAL__N_112gatherMedianIimLin1EEEvNS_4cuda6detail10TensorInfoIT_T0_EENS5_IlS7_EENS5_IKS6_S7_EES7_S7_S7_b, .Lfunc_end95-_ZN2at6native12_GLOBAL__N_112gatherMedianIimLin1EEEvNS_4cuda6detail10TensorInfoIT_T0_EENS5_IlS7_EENS5_IKS6_S7_EES7_S7_S7_b
                                        ; -- End function
	.section	.AMDGPU.csdata,"",@progbits
; Kernel info:
; codeLenInByte = 18112
; NumSgprs: 100
; NumVgprs: 52
; NumAgprs: 0
; TotalNumVgprs: 52
; ScratchSize: 0
; MemoryBound: 0
; FloatMode: 240
; IeeeMode: 1
; LDSByteSize: 5152 bytes/workgroup (compile time only)
; SGPRBlocks: 12
; VGPRBlocks: 6
; NumSGPRsForWavesPerEU: 100
; NumVGPRsForWavesPerEU: 52
; AccumOffset: 52
; Occupancy: 8
; WaveLimiterHint : 1
; COMPUTE_PGM_RSRC2:SCRATCH_EN: 0
; COMPUTE_PGM_RSRC2:USER_SGPR: 6
; COMPUTE_PGM_RSRC2:TRAP_HANDLER: 0
; COMPUTE_PGM_RSRC2:TGID_X_EN: 1
; COMPUTE_PGM_RSRC2:TGID_Y_EN: 1
; COMPUTE_PGM_RSRC2:TGID_Z_EN: 1
; COMPUTE_PGM_RSRC2:TIDIG_COMP_CNT: 0
; COMPUTE_PGM_RSRC3_GFX90A:ACCUM_OFFSET: 12
; COMPUTE_PGM_RSRC3_GFX90A:TG_SPLIT: 0
	.section	.text._ZN2at6native12_GLOBAL__N_112gatherMedianIljLi1EEEvNS_4cuda6detail10TensorInfoIT_T0_EENS5_IlS7_EENS5_IKS6_S7_EES7_S7_S7_b,"axG",@progbits,_ZN2at6native12_GLOBAL__N_112gatherMedianIljLi1EEEvNS_4cuda6detail10TensorInfoIT_T0_EENS5_IlS7_EENS5_IKS6_S7_EES7_S7_S7_b,comdat
	.globl	_ZN2at6native12_GLOBAL__N_112gatherMedianIljLi1EEEvNS_4cuda6detail10TensorInfoIT_T0_EENS5_IlS7_EENS5_IKS6_S7_EES7_S7_S7_b ; -- Begin function _ZN2at6native12_GLOBAL__N_112gatherMedianIljLi1EEEvNS_4cuda6detail10TensorInfoIT_T0_EENS5_IlS7_EENS5_IKS6_S7_EES7_S7_S7_b
	.p2align	8
	.type	_ZN2at6native12_GLOBAL__N_112gatherMedianIljLi1EEEvNS_4cuda6detail10TensorInfoIT_T0_EENS5_IlS7_EENS5_IKS6_S7_EES7_S7_S7_b,@function
_ZN2at6native12_GLOBAL__N_112gatherMedianIljLi1EEEvNS_4cuda6detail10TensorInfoIT_T0_EENS5_IlS7_EENS5_IKS6_S7_EES7_S7_S7_b: ; @_ZN2at6native12_GLOBAL__N_112gatherMedianIljLi1EEEvNS_4cuda6detail10TensorInfoIT_T0_EENS5_IlS7_EENS5_IKS6_S7_EES7_S7_S7_b
; %bb.0:
	s_load_dwordx2 s[12:13], s[4:5], 0x298
	s_load_dwordx4 s[56:59], s[4:5], 0x288
	s_add_u32 s10, s4, 0x298
	s_addc_u32 s11, s5, 0
	s_waitcnt lgkmcnt(0)
	s_mul_i32 s0, s13, s8
	s_add_i32 s0, s0, s7
	s_mul_i32 s0, s0, s12
	s_add_i32 s7, s0, s6
	s_cmp_ge_u32 s7, s57
	s_cbranch_scc1 .LBB96_253
; %bb.1:
	v_cmp_eq_u32_e64 s[0:1], 0, v0
	s_mov_b64 s[2:3], exec
                                        ; implicit-def: $vgpr54 : SGPR spill to VGPR lane
	v_writelane_b32 v54, s0, 0
	v_writelane_b32 v54, s1, 1
	s_and_b64 s[0:1], s[2:3], s[0:1]
	s_mov_b64 exec, s[0:1]
	s_cbranch_execz .LBB96_3
; %bb.2:
	v_mov_b32_e32 v2, 0
	v_mov_b32_e32 v3, v2
	ds_write_b64 v2, v[2:3] offset:4096
.LBB96_3:
	s_or_b64 exec, exec, s[2:3]
	v_mov_b32_e32 v1, 0
	s_waitcnt lgkmcnt(0)
	s_barrier
	s_barrier
	ds_read_b64 v[2:3], v1 offset:4096
	s_load_dwordx2 s[2:3], s[4:5], 0x1b0
	s_bitcmp1_b32 s59, 0
	s_cselect_b64 s[0:1], -1, 0
	s_mov_b32 s70, s56
	s_waitcnt lgkmcnt(0)
	v_cmp_gt_i64_e32 vcc, 1, v[2:3]
	s_or_b64 s[0:1], s[0:1], vcc
	s_andn2_b64 vcc, exec, s[0:1]
	s_cbranch_vccnz .LBB96_5
; %bb.4:
	v_not_b32_e32 v1, v2
	v_not_b32_e32 v2, v3
	v_add_co_u32_e32 v1, vcc, s56, v1
	v_addc_co_u32_e32 v2, vcc, 0, v2, vcc
	v_lshrrev_b32_e32 v3, 31, v2
	v_add_co_u32_e32 v1, vcc, v1, v3
	v_addc_co_u32_e32 v2, vcc, 0, v2, vcc
	v_alignbit_b32 v1, v2, v1, 1
	v_readfirstlane_b32 s0, v1
	s_add_i32 s70, s0, 1
.LBB96_5:
	s_load_dword s0, s[4:5], 0x21c
	s_load_dwordx2 s[8:9], s[4:5], 0xd8
	s_waitcnt lgkmcnt(0)
	v_writelane_b32 v54, s8, 2
	v_writelane_b32 v54, s9, 3
	s_load_dwordx2 s[8:9], s[4:5], 0x0
	s_waitcnt lgkmcnt(0)
	v_writelane_b32 v54, s8, 4
	v_writelane_b32 v54, s9, 5
	s_mov_b64 s[8:9], exec
	v_readlane_b32 s14, v54, 0
	v_readlane_b32 s15, v54, 1
	s_and_b64 s[14:15], s[8:9], s[14:15]
	s_mov_b64 exec, s[14:15]
	s_cbranch_execz .LBB96_7
; %bb.6:
	v_mov_b32_e32 v2, 0
	v_mov_b32_e32 v3, s56
	ds_write_b32 v2, v2 offset:4112
	ds_write_b64 v2, v[2:3] offset:4104
.LBB96_7:
	s_or_b64 exec, exec, s[8:9]
	s_load_dword s1, s[4:5], 0x144
                                        ; kill: killed $sgpr4 killed $sgpr5
	s_mov_b32 s50, 0
	s_waitcnt lgkmcnt(0)
	s_barrier
	v_writelane_b32 v54, s1, 6
	s_load_dword s1, s[4:5], 0x6c
	s_mul_i32 s0, s0, s7
	s_load_dword s4, s[10:11], 0xc
	v_mbcnt_lo_u32_b32 v1, -1, 0
	v_mbcnt_hi_u32_b32 v23, -1, v1
	s_waitcnt lgkmcnt(0)
	v_writelane_b32 v54, s1, 7
	s_mov_b32 s1, s50
	s_lshl_b64 s[0:1], s[0:1], 3
	s_add_u32 s59, s2, s0
	v_writelane_b32 v54, s7, 8
	s_addc_u32 s33, s3, s1
	v_cmp_gt_u32_e64 s[0:1], s56, v0
	v_writelane_b32 v54, s0, 9
	s_and_b32 s57, s4, 0xffff
	v_writelane_b32 v54, s1, 10
	s_bfe_u32 s3, s4, 0xa0006
	v_cmp_gt_u32_e32 vcc, 64, v0
	v_cmp_gt_i32_e64 s[4:5], 4, v23
	s_add_i32 s0, s57, -1
	s_lshl_b32 s72, s57, 2
	s_and_b64 s[66:67], vcc, s[4:5]
	v_writelane_b32 v54, s0, 11
	s_add_i32 s0, s0, s56
	s_cmpk_gt_u32 s56, 0x180
	s_cselect_b64 s[4:5], -1, 0
	v_writelane_b32 v54, s4, 12
	s_cmp_gt_u32 s57, 63
	v_writelane_b32 v54, s5, 13
	s_cselect_b64 s[4:5], -1, 0
	s_cmp_lt_u32 s6, s12
	v_writelane_b32 v54, s4, 14
	s_cselect_b32 s1, 12, 18
	v_writelane_b32 v54, s5, 15
	s_add_u32 s4, s10, s1
	v_mov_b32_e32 v19, 0
	s_addc_u32 s5, s11, 0
	s_add_i32 s1, s3, -2
	s_lshr_b32 s2, s1, 1
	v_mul_lo_u32 v16, v0, s58
	v_mov_b32_e32 v17, v19
	s_add_i32 s2, s2, 1
	v_lshlrev_b64 v[2:3], 3, v[16:17]
	v_writelane_b32 v54, s4, 16
	s_cmpk_gt_u32 s57, 0x7f
	v_mov_b32_e32 v17, s33
	v_add_co_u32_e32 v20, vcc, s59, v2
	v_writelane_b32 v54, s5, 17
	s_cselect_b64 s[4:5], -1, 0
	v_addc_co_u32_e32 v21, vcc, v17, v3, vcc
	v_lshlrev_b64 v[2:3], v23, -1
	v_writelane_b32 v54, s4, 18
	v_not_b32_e32 v22, v2
	v_cvt_f32_u32_e32 v2, s72
	v_writelane_b32 v54, s5, 19
	v_cmp_gt_u32_e64 s[6:7], 2, v0
	s_and_b32 s8, s3, 0x3fe
	s_and_b32 s9, s2, 7
	v_writelane_b32 v54, s6, 20
	s_cmp_gt_u32 s1, 13
	v_writelane_b32 v54, s7, 21
	s_cselect_b64 s[10:11], -1, 0
	v_writelane_b32 v54, s10, 22
	v_rcp_iflag_f32_e32 v2, v2
	v_writelane_b32 v54, s11, 23
	s_and_b32 s1, s2, -8
	v_writelane_b32 v54, s1, 24
	s_cmp_lg_u32 s9, 0
	v_writelane_b32 v54, s9, 25
	s_cselect_b64 s[10:11], -1, 0
	v_writelane_b32 v54, s10, 26
	v_mul_f32_e32 v2, 0x4f7ffffe, v2
	v_writelane_b32 v54, s11, 27
	v_cvt_u32_f32_e32 v2, v2
	v_writelane_b32 v54, s3, 28
	s_cmp_lg_u32 s8, s3
	v_writelane_b32 v54, s8, 29
	s_cselect_b64 s[2:3], -1, 0
	v_writelane_b32 v54, s2, 30
	v_writelane_b32 v54, s3, 31
	s_sub_i32 s1, 0, s72
	v_readfirstlane_b32 s2, v2
	s_mul_i32 s1, s1, s2
	s_mul_hi_u32 s1, s2, s1
	s_add_i32 s55, s2, s1
	v_cvt_f32_u32_e32 v2, s57
	s_mul_hi_u32 s1, s56, s55
	s_mul_i32 s1, s1, s72
	s_sub_i32 s1, s56, s1
	s_sub_i32 s2, s1, s72
	v_rcp_iflag_f32_e32 v5, v2
	s_cmp_ge_u32 s1, s72
	s_cselect_b32 s1, s2, s1
	s_sub_i32 s2, s1, s72
	s_cmp_ge_u32 s1, s72
	v_mul_f32_e32 v5, 0x4f7ffffe, v5
	s_cselect_b32 s1, s2, s1
	v_cvt_u32_f32_e32 v5, v5
	v_lshlrev_b32_e32 v30, 2, v0
	s_sub_i32 s12, s56, s1
	v_cmp_gt_u32_e64 s[2:3], s12, v30
	v_writelane_b32 v54, s2, 32
	v_writelane_b32 v54, s3, 33
	s_sub_i32 s2, 0, s57
	v_readfirstlane_b32 s3, v5
	s_mul_i32 s2, s2, s3
	s_mul_hi_u32 s2, s3, s2
	s_add_i32 s2, s3, s2
	v_writelane_b32 v54, s2, 34
	s_mul_hi_u32 s2, s0, s2
	s_mul_i32 s2, s2, s57
	s_sub_i32 s2, s0, s2
	s_sub_i32 s3, s2, s57
	v_add_u32_e32 v35, s12, v0
	s_cmp_ge_u32 s2, s57
	v_lshrrev_b32_e32 v1, 4, v0
	v_mul_lo_u32 v18, v35, s58
	s_cselect_b32 s2, s3, s2
	v_and_b32_e32 v33, 60, v1
	v_not_b32_e32 v1, v3
	v_lshlrev_b64 v[2:3], 3, v[18:19]
	s_sub_i32 s3, s2, s57
	v_add_co_u32_e32 v24, vcc, s59, v2
	s_cmp_ge_u32 s2, s57
	v_mul_lo_u32 v2, s58, v30
	s_cselect_b32 s2, s3, s2
	v_add_u32_e32 v36, s58, v2
	v_or_b32_e32 v2, 2, v30
	s_sub_i32 s68, s0, s2
	v_mul_lo_u32 v37, s58, v2
	v_or_b32_e32 v2, 3, v30
	s_add_i32 s0, s57, s56
	v_mul_lo_u32 v38, s58, v2
	v_add_u32_e32 v2, s0, v0
	v_lshlrev_b32_e32 v31, 3, v0
	v_lshlrev_b32_e32 v4, 2, v23
	v_mov_b32_e32 v6, s33
	v_cmp_gt_u32_e64 s[2:3], s68, v0
	s_mul_i32 s73, s58, s57
	v_subrev_u32_e32 v2, s1, v2
	v_cmp_eq_u32_e64 s[4:5], 0, v23
	v_add_u32_e32 v32, 0xc00, v31
	v_and_b32_e32 v34, 0x100, v4
	v_cmp_gt_u32_e64 s[10:11], s56, v35
	v_addc_co_u32_e32 v25, vcc, v6, v3, vcc
	v_writelane_b32 v54, s2, 35
	s_lshl_b32 s69, s73, 2
	v_lshlrev_b32_e32 v39, 2, v16
	v_mul_lo_u32 v40, s58, v2
	v_lshlrev_b32_e32 v41, 5, v0
	s_lshl_b32 s0, s57, 5
	s_lshl_b32 s1, s57, 3
	v_or_b32_e32 v42, 0xc00, v4
	s_mov_b32 s74, 62
	s_mov_b64 s[82:83], 0
	v_pk_mov_b32 v[6:7], 0, 0
	v_mov_b32_e32 v2, 1
	v_mov_b32_e32 v43, 0xc00
	s_mov_b32 s13, 0
	s_mov_b64 s[62:63], 0
	s_mov_b64 s[60:61], 0
	v_writelane_b32 v54, s3, 36
                                        ; implicit-def: $sgpr84_sgpr85
                                        ; implicit-def: $sgpr88_sgpr89
                                        ; implicit-def: $sgpr86_sgpr87
                                        ; implicit-def: $sgpr90_sgpr91
                                        ; implicit-def: $sgpr92_sgpr93
                                        ; implicit-def: $sgpr94_sgpr95
	s_branch .LBB96_12
.LBB96_8:                               ;   in Loop: Header=BB96_12 Depth=1
	s_xor_b32 s13, s13, 1
	s_add_i32 s2, s74, -2
	s_cmp_eq_u32 s74, 0
	s_mov_b64 s[16:17], 0
	s_cselect_b64 s[20:21], -1, 0
	s_mov_b32 s74, s2
.LBB96_9:                               ;   in Loop: Header=BB96_12 Depth=1
	s_andn2_b64 s[2:3], s[24:25], exec
	s_and_b64 s[8:9], s[16:17], exec
	s_or_b64 s[24:25], s[2:3], s[8:9]
	s_andn2_b64 s[26:27], s[26:27], exec
	s_andn2_b64 s[22:23], s[22:23], exec
	s_orn2_b64 s[20:21], s[20:21], exec
	s_mov_b32 s70, s39
.LBB96_10:                              ;   in Loop: Header=BB96_12 Depth=1
	s_or_b64 exec, exec, s[14:15]
	s_andn2_b64 s[2:3], s[94:95], exec
	s_and_b64 s[8:9], s[24:25], exec
	s_or_b64 s[94:95], s[2:3], s[8:9]
	s_andn2_b64 s[2:3], s[92:93], exec
	s_and_b64 s[8:9], s[26:27], exec
	s_or_b64 s[92:93], s[2:3], s[8:9]
	;; [unrolled: 3-line block ×3, first 2 shown]
	s_orn2_b64 s[20:21], s[20:21], exec
.LBB96_11:                              ;   in Loop: Header=BB96_12 Depth=1
	s_or_b64 exec, exec, s[18:19]
	s_and_b64 s[2:3], exec, s[20:21]
	s_or_b64 s[82:83], s[2:3], s[82:83]
	s_andn2_b64 s[2:3], s[86:87], exec
	s_and_b64 s[8:9], s[94:95], exec
	s_or_b64 s[86:87], s[2:3], s[8:9]
	s_andn2_b64 s[2:3], s[88:89], exec
	s_and_b64 s[8:9], s[92:93], exec
	;; [unrolled: 3-line block ×3, first 2 shown]
	s_waitcnt vmcnt(0)
	v_pk_mov_b32 v[4:5], s[62:63], s[62:63] op_sel:[0,1]
	s_or_b64 s[84:85], s[2:3], s[8:9]
	s_andn2_b64 exec, exec, s[82:83]
	s_cbranch_execz .LBB96_249
.LBB96_12:                              ; =>This Loop Header: Depth=1
                                        ;     Child Loop BB96_20 Depth 2
                                        ;     Child Loop BB96_38 Depth 2
	;; [unrolled: 1-line block ×17, first 2 shown]
	ds_read_b64 v[4:5], v19 offset:4104
	s_waitcnt lgkmcnt(0)
	v_readfirstlane_b32 s65, v4
	s_cmp_lg_u32 s65, 0
	s_cbranch_scc1 .LBB96_45
; %bb.13:                               ;   in Loop: Header=BB96_12 Depth=1
	v_readlane_b32 s2, v54, 12
	v_readlane_b32 s3, v54, 13
	s_and_b64 vcc, exec, s[2:3]
	s_cbranch_vccz .LBB96_28
; %bb.14:                               ;   in Loop: Header=BB96_12 Depth=1
	s_movk_i32 s2, 0x181
	v_cmp_gt_u32_e32 vcc, s2, v5
	s_mov_b64 s[18:19], 0
	s_mov_b64 s[14:15], 0
	s_cbranch_vccz .LBB96_29
; %bb.15:                               ;   in Loop: Header=BB96_12 Depth=1
	v_pk_mov_b32 v[4:5], 0, 0
	s_mov_b64 s[14:15], exec
	v_readlane_b32 s2, v54, 9
	v_readlane_b32 s3, v54, 10
	s_and_b64 s[2:3], s[14:15], s[2:3]
	s_mov_b64 exec, s[2:3]
	s_cbranch_execz .LBB96_17
; %bb.16:                               ;   in Loop: Header=BB96_12 Depth=1
	global_load_dwordx2 v[4:5], v[20:21], off
.LBB96_17:                              ;   in Loop: Header=BB96_12 Depth=1
	s_or_b64 exec, exec, s[14:15]
	s_mov_b64 s[20:21], exec
	v_readlane_b32 s2, v54, 9
	v_readlane_b32 s3, v54, 10
	s_and_b64 s[2:3], s[20:21], s[2:3]
	s_mov_b64 exec, s[2:3]
	s_cbranch_execz .LBB96_30
; %bb.18:                               ;   in Loop: Header=BB96_12 Depth=1
	v_readlane_b32 s2, v54, 16
	v_readlane_b32 s3, v54, 17
	s_mov_b64 s[22:23], 0
	v_mov_b32_e32 v11, v0
	s_nop 2
	global_load_ushort v3, v19, s[2:3]
	s_waitcnt vmcnt(0)
	v_add_u32_e32 v8, v0, v3
	v_mul_lo_u32 v10, s58, v3
	v_mul_lo_u32 v18, s58, v8
	s_branch .LBB96_20
.LBB96_19:                              ;   in Loop: Header=BB96_20 Depth=2
	s_or_b64 exec, exec, s[16:17]
	v_add_u32_e32 v18, v18, v10
	s_waitcnt vmcnt(0)
	v_pk_mov_b32 v[4:5], v[8:9], v[8:9] op_sel:[0,1]
	s_andn2_b64 exec, exec, s[22:23]
	s_cbranch_execz .LBB96_30
.LBB96_20:                              ;   Parent Loop BB96_12 Depth=1
                                        ; =>  This Inner Loop Header: Depth=2
	v_add_u32_e32 v11, v11, v3
	v_cmp_gt_u32_e64 s[14:15], s56, v11
	v_cmp_le_u32_e32 vcc, s56, v11
	v_pk_mov_b32 v[8:9], 0, 0
	s_and_saveexec_b64 s[16:17], s[14:15]
	s_cbranch_execz .LBB96_22
; %bb.21:                               ;   in Loop: Header=BB96_20 Depth=2
	v_lshlrev_b64 v[8:9], 3, v[18:19]
	v_add_co_u32_e64 v8, s[14:15], s59, v8
	v_addc_co_u32_e64 v9, s[14:15], v17, v9, s[14:15]
	global_load_dwordx2 v[8:9], v[8:9], off
.LBB96_22:                              ;   in Loop: Header=BB96_20 Depth=2
	s_or_b64 exec, exec, s[16:17]
	s_waitcnt lgkmcnt(0)
	v_xor_b32_e32 v12, 0x80000000, v5
	v_and_b32_e32 v13, s61, v12
	v_and_b32_e32 v12, s60, v4
	v_cmp_eq_u64_e64 s[14:15], s[62:63], v[12:13]
	s_cmp_lg_u64 s[14:15], 0
	s_cselect_b64 s[2:3], -1, 0
	s_and_b64 s[2:3], s[4:5], s[2:3]
	v_mov_b32_e32 v12, 0
	s_and_saveexec_b64 s[24:25], s[2:3]
	s_cbranch_execz .LBB96_26
; %bb.23:                               ;   in Loop: Header=BB96_20 Depth=2
	s_mov_b64 s[28:29], exec
	v_mbcnt_lo_u32_b32 v12, s28, 0
	v_mbcnt_hi_u32_b32 v12, s29, v12
	s_bcnt1_i32_b64 s2, s[14:15]
	v_cmp_eq_u32_e64 s[16:17], 0, v12
                                        ; implicit-def: $vgpr13
	s_and_saveexec_b64 s[26:27], s[16:17]
	s_cbranch_execz .LBB96_25
; %bb.24:                               ;   in Loop: Header=BB96_20 Depth=2
	s_bcnt1_i32_b64 s3, s[28:29]
	s_mul_i32 s3, s2, s3
	v_mov_b32_e32 v13, s3
	ds_add_rtn_u32 v13, v19, v13 offset:4112
.LBB96_25:                              ;   in Loop: Header=BB96_20 Depth=2
	s_or_b64 exec, exec, s[26:27]
	s_waitcnt lgkmcnt(0)
	v_readfirstlane_b32 s3, v13
	v_mov_b32_e32 v13, s3
	v_mad_u32_u24 v12, s2, v12, v13
.LBB96_26:                              ;   in Loop: Header=BB96_20 Depth=2
	s_or_b64 exec, exec, s[24:25]
	ds_bpermute_b32 v12, v34, v12
	s_and_b64 s[2:3], exec, vcc
	s_or_b64 s[22:23], s[2:3], s[22:23]
	s_and_saveexec_b64 s[16:17], s[14:15]
	s_cbranch_execz .LBB96_19
; %bb.27:                               ;   in Loop: Header=BB96_20 Depth=2
	v_and_b32_e32 v14, s14, v22
	v_and_b32_e32 v13, s15, v1
	v_bcnt_u32_b32 v14, v14, 0
	v_bcnt_u32_b32 v13, v13, v14
	v_lshlrev_b32_e32 v13, 3, v13
	s_waitcnt lgkmcnt(0)
	v_lshl_add_u32 v12, v12, 3, v13
	ds_write_b64 v12, v[4:5]
	s_branch .LBB96_19
.LBB96_28:                              ;   in Loop: Header=BB96_12 Depth=1
	s_mov_b64 s[14:15], 0
                                        ; implicit-def: $sgpr65
	s_cbranch_execnz .LBB96_33
	s_branch .LBB96_43
.LBB96_29:                              ;   in Loop: Header=BB96_12 Depth=1
	s_mov_b32 s65, 0
	s_and_b64 vcc, exec, s[18:19]
	s_cbranch_vccnz .LBB96_33
	s_branch .LBB96_43
.LBB96_30:                              ;   in Loop: Header=BB96_12 Depth=1
	s_or_b64 exec, exec, s[20:21]
	s_waitcnt lgkmcnt(0)
	s_barrier
	s_mov_b64 s[14:15], exec
	v_readlane_b32 s2, v54, 0
	v_readlane_b32 s3, v54, 1
	s_and_b64 s[2:3], s[14:15], s[2:3]
	s_mov_b64 exec, s[2:3]
	s_cbranch_execz .LBB96_32
; %bb.31:                               ;   in Loop: Header=BB96_12 Depth=1
	ds_read_b32 v3, v19 offset:4112
	s_waitcnt lgkmcnt(0)
	ds_write_b32 v19, v3 offset:4104
.LBB96_32:                              ;   in Loop: Header=BB96_12 Depth=1
	s_or_b64 exec, exec, s[14:15]
	s_waitcnt lgkmcnt(0)
	s_barrier
	s_mov_b64 s[14:15], -1
	s_mov_b32 s65, 0
	s_and_b64 vcc, exec, s[18:19]
	s_cbranch_vccz .LBB96_43
.LBB96_33:                              ;   in Loop: Header=BB96_12 Depth=1
	s_waitcnt vmcnt(0)
	v_pk_mov_b32 v[4:5], 0, 0
	s_mov_b64 s[14:15], exec
	v_readlane_b32 s2, v54, 9
	v_readlane_b32 s3, v54, 10
	s_and_b64 s[2:3], s[14:15], s[2:3]
	s_mov_b64 exec, s[2:3]
	s_cbranch_execz .LBB96_35
; %bb.34:                               ;   in Loop: Header=BB96_12 Depth=1
	global_load_dwordx2 v[4:5], v[20:21], off
.LBB96_35:                              ;   in Loop: Header=BB96_12 Depth=1
	s_or_b64 exec, exec, s[14:15]
	s_mov_b64 s[16:17], exec
	v_readlane_b32 s2, v54, 9
	v_readlane_b32 s3, v54, 10
	s_and_b64 s[2:3], s[16:17], s[2:3]
	s_mov_b64 exec, s[2:3]
	s_cbranch_execz .LBB96_40
; %bb.36:                               ;   in Loop: Header=BB96_12 Depth=1
	v_readlane_b32 s2, v54, 16
	v_readlane_b32 s3, v54, 17
	s_mov_b64 s[18:19], 0
	v_mov_b32_e32 v10, v31
	v_mov_b32_e32 v13, v0
	s_nop 1
	global_load_ushort v3, v19, s[2:3]
	s_waitcnt vmcnt(0)
	v_add_u32_e32 v8, v0, v3
	v_lshlrev_b32_e32 v11, 3, v3
	v_mul_lo_u32 v12, s58, v3
	v_mul_lo_u32 v18, s58, v8
	s_branch .LBB96_38
.LBB96_37:                              ;   in Loop: Header=BB96_38 Depth=2
	s_or_b64 exec, exec, s[20:21]
	s_and_b64 s[2:3], exec, vcc
	s_or_b64 s[18:19], s[2:3], s[18:19]
	ds_write_b64 v10, v[4:5]
	v_add_u32_e32 v10, v10, v11
	v_add_u32_e32 v18, v18, v12
	s_waitcnt vmcnt(0)
	v_pk_mov_b32 v[4:5], v[8:9], v[8:9] op_sel:[0,1]
	s_andn2_b64 exec, exec, s[18:19]
	s_cbranch_execz .LBB96_40
.LBB96_38:                              ;   Parent Loop BB96_12 Depth=1
                                        ; =>  This Inner Loop Header: Depth=2
	v_add_u32_e32 v13, v13, v3
	v_cmp_gt_u32_e64 s[14:15], s56, v13
	v_cmp_le_u32_e32 vcc, s56, v13
	v_pk_mov_b32 v[8:9], 0, 0
	s_and_saveexec_b64 s[20:21], s[14:15]
	s_cbranch_execz .LBB96_37
; %bb.39:                               ;   in Loop: Header=BB96_38 Depth=2
	v_lshlrev_b64 v[8:9], 3, v[18:19]
	v_mov_b32_e32 v14, s33
	v_add_co_u32_e64 v8, s[14:15], s59, v8
	v_addc_co_u32_e64 v9, s[14:15], v14, v9, s[14:15]
	global_load_dwordx2 v[8:9], v[8:9], off
	s_branch .LBB96_37
.LBB96_40:                              ;   in Loop: Header=BB96_12 Depth=1
	s_or_b64 exec, exec, s[16:17]
	s_waitcnt lgkmcnt(0)
	s_barrier
	s_mov_b64 s[14:15], exec
	v_readlane_b32 s2, v54, 0
	v_readlane_b32 s3, v54, 1
	s_and_b64 s[2:3], s[14:15], s[2:3]
	s_mov_b64 exec, s[2:3]
	s_cbranch_execz .LBB96_42
; %bb.41:                               ;   in Loop: Header=BB96_12 Depth=1
	v_mov_b32_e32 v3, s56
	ds_write_b32 v19, v3 offset:4104
.LBB96_42:                              ;   in Loop: Header=BB96_12 Depth=1
	s_or_b64 exec, exec, s[14:15]
	s_mov_b64 s[14:15], -1
	s_waitcnt lgkmcnt(0)
	s_barrier
                                        ; implicit-def: $sgpr65
.LBB96_43:                              ;   in Loop: Header=BB96_12 Depth=1
	s_and_b64 vcc, exec, s[14:15]
	s_cbranch_vccz .LBB96_45
; %bb.44:                               ;   in Loop: Header=BB96_12 Depth=1
	ds_read_b32 v3, v19 offset:4104
	s_waitcnt lgkmcnt(0)
	v_readfirstlane_b32 s65, v3
.LBB96_45:                              ;   in Loop: Header=BB96_12 Depth=1
	s_cmp_lt_i32 s65, 1
	s_cbranch_scc0 .LBB96_57
; %bb.46:                               ;   in Loop: Header=BB96_12 Depth=1
	v_mov_b32_e32 v8, 0
	s_mov_b32 s48, 0
	v_mov_b32_e32 v9, 0
	v_mov_b32_e32 v10, v8
	;; [unrolled: 1-line block ×3, first 2 shown]
	s_mov_b64 s[44:45], exec
	v_readlane_b32 s2, v54, 32
	v_readlane_b32 s3, v54, 33
	s_and_b64 s[2:3], s[44:45], s[2:3]
	s_mov_b64 exec, s[2:3]
	s_cbranch_execz .LBB96_50
; %bb.47:                               ;   in Loop: Header=BB96_12 Depth=1
	s_mov_b32 s54, s50
	s_and_b32 s49, s74, 0xfe
	s_mov_b64 s[46:47], 0
	s_mov_b32 s50, 0
	s_mov_b32 s51, 0
	;; [unrolled: 1-line block ×4, first 2 shown]
	v_mov_b32_e32 v3, v30
.LBB96_48:                              ;   Parent Loop BB96_12 Depth=1
                                        ; =>  This Inner Loop Header: Depth=2
	v_add_u32_e32 v18, s48, v39
	v_lshlrev_b64 v[12:13], 3, v[18:19]
	s_waitcnt vmcnt(0)
	v_mov_b32_e32 v4, s33
	v_add_u32_e32 v18, s48, v36
	v_add_co_u32_e64 v12, s[14:15], s59, v12
	v_lshlrev_b64 v[14:15], 3, v[18:19]
	v_addc_co_u32_e64 v13, s[14:15], v4, v13, s[14:15]
	v_add_u32_e32 v18, s48, v37
	v_add_co_u32_e64 v14, s[14:15], s59, v14
	v_lshlrev_b64 v[26:27], 3, v[18:19]
	v_addc_co_u32_e64 v15, s[14:15], v4, v15, s[14:15]
	global_load_dwordx2 v[12:13], v[12:13], off
	v_add_u32_e32 v18, s48, v38
	global_load_dwordx2 v[14:15], v[14:15], off
	v_add_co_u32_e64 v26, s[14:15], s59, v26
	v_lshlrev_b64 v[28:29], 3, v[18:19]
	v_addc_co_u32_e64 v27, s[14:15], v4, v27, s[14:15]
	global_load_dwordx2 v[26:27], v[26:27], off
	v_add_co_u32_e64 v28, s[14:15], s59, v28
	v_addc_co_u32_e64 v29, s[14:15], v4, v29, s[14:15]
	global_load_dwordx2 v[28:29], v[28:29], off
	v_mov_b32_e32 v11, v19
	v_mov_b32_e32 v9, v19
	;; [unrolled: 1-line block ×3, first 2 shown]
	v_add_u32_e32 v3, s72, v3
	v_cmp_le_u32_e32 vcc, s12, v3
	s_add_i32 s48, s48, s69
	s_waitcnt vmcnt(3)
	v_xor_b32_e32 v13, 0x80000000, v13
	v_and_b32_e32 v44, s60, v12
	v_and_b32_e32 v45, s61, v13
	v_lshrrev_b64 v[12:13], s49, v[12:13]
	s_waitcnt vmcnt(2)
	v_xor_b32_e32 v15, 0x80000000, v15
	v_and_b32_e32 v18, 3, v12
	v_cmp_eq_u64_e64 s[14:15], s[62:63], v[44:45]
	v_lshrrev_b64 v[12:13], s49, v[14:15]
	v_cmp_eq_u64_e64 s[18:19], 0, v[18:19]
	s_waitcnt vmcnt(1)
	v_xor_b32_e32 v27, 0x80000000, v27
	v_and_b32_e32 v10, 3, v12
	v_cmp_eq_u64_e64 s[20:21], 1, v[18:19]
	s_and_b64 s[2:3], s[14:15], s[18:19]
	s_waitcnt vmcnt(0)
	v_xor_b32_e32 v29, 0x80000000, v29
	v_lshrrev_b64 v[12:13], s49, v[26:27]
	v_cmp_eq_u64_e64 s[22:23], 2, v[18:19]
	v_cmp_eq_u64_e64 s[28:29], 0, v[10:11]
	;; [unrolled: 1-line block ×5, first 2 shown]
	v_cndmask_b32_e64 v10, 0, 1, s[2:3]
	s_and_b64 s[2:3], s[14:15], s[20:21]
	v_and_b32_e32 v46, s60, v14
	v_and_b32_e32 v47, s61, v15
	v_cmp_eq_u64_e64 s[24:25], 3, v[18:19]
	v_and_b32_e32 v8, 3, v12
	v_lshrrev_b64 v[12:13], s49, v[28:29]
	v_cndmask_b32_e64 v11, 0, 1, s[2:3]
	s_and_b64 s[2:3], s[14:15], s[22:23]
	v_cmp_eq_u64_e64 s[16:17], s[62:63], v[46:47]
	v_cndmask_b32_e64 v13, 0, 1, s[2:3]
	s_and_b64 s[2:3], s[14:15], s[24:25]
	v_cndmask_b32_e64 v18, 0, 1, s[2:3]
	s_and_b64 s[2:3], s[16:17], s[28:29]
	v_cmp_eq_u64_e64 s[18:19], 0, v[8:9]
	v_cmp_eq_u64_e64 s[20:21], 1, v[8:9]
	;; [unrolled: 1-line block ×4, first 2 shown]
	v_cndmask_b32_e64 v8, 0, 1, s[2:3]
	s_and_b64 s[2:3], s[16:17], s[30:31]
	v_and_b32_e32 v44, s60, v26
	v_and_b32_e32 v45, s61, v27
	v_cndmask_b32_e64 v9, 0, 1, s[2:3]
	s_and_b64 s[2:3], s[16:17], s[34:35]
	v_cmp_eq_u64_e64 s[26:27], s[62:63], v[44:45]
	v_cmp_ne_u32_e64 s[38:39], 0, v10
	v_cndmask_b32_e64 v10, 0, 1, s[2:3]
	s_and_b64 s[2:3], s[16:17], s[36:37]
	v_and_b32_e32 v4, 3, v12
	v_cmp_ne_u32_e64 s[28:29], 0, v11
	v_cndmask_b32_e64 v11, 0, 1, s[2:3]
	s_and_b64 s[2:3], s[26:27], s[18:19]
	v_cmp_eq_u64_e64 s[16:17], 0, v[4:5]
	v_cmp_eq_u64_e64 s[36:37], 1, v[4:5]
	;; [unrolled: 1-line block ×4, first 2 shown]
	v_cndmask_b32_e64 v4, 0, 1, s[2:3]
	s_and_b64 s[2:3], s[26:27], s[20:21]
	v_and_b32_e32 v14, s60, v28
	v_and_b32_e32 v15, s61, v29
	v_cndmask_b32_e64 v5, 0, 1, s[2:3]
	s_and_b64 s[2:3], s[26:27], s[22:23]
	v_cmp_eq_u64_e64 s[14:15], s[62:63], v[14:15]
	s_bcnt1_i32_b64 s8, s[38:39]
	v_cmp_ne_u32_e64 s[38:39], 0, v8
	v_cndmask_b32_e64 v8, 0, 1, s[2:3]
	s_and_b64 s[2:3], s[26:27], s[24:25]
	v_cmp_ne_u32_e64 s[18:19], 0, v9
	v_cndmask_b32_e64 v9, 0, 1, s[2:3]
	s_and_b64 s[2:3], s[14:15], s[16:17]
	;; [unrolled: 3-line block ×3, first 2 shown]
	v_cmp_ne_u32_e64 s[30:31], 0, v13
	v_cmp_ne_u32_e64 s[34:35], 0, v18
	v_cmp_ne_u32_e64 s[16:17], 0, v5
	v_cndmask_b32_e64 v5, 0, 1, s[2:3]
	s_and_b64 s[2:3], s[14:15], s[40:41]
	s_bcnt1_i32_b64 s9, s[28:29]
	s_bcnt1_i32_b64 s28, s[30:31]
	v_cmp_ne_u32_e64 s[20:21], 0, v10
	s_bcnt1_i32_b64 s29, s[34:35]
	v_cmp_ne_u32_e64 s[22:23], 0, v11
	;; [unrolled: 2-line block ×3, first 2 shown]
	v_cndmask_b32_e64 v8, 0, 1, s[2:3]
	s_and_b64 s[2:3], s[14:15], s[42:43]
	s_bcnt1_i32_b64 s26, s[38:39]
	s_add_i32 s8, s53, s8
	s_add_i32 s9, s52, s9
	s_bcnt1_i32_b64 s30, s[20:21]
	s_add_i32 s28, s51, s28
	s_bcnt1_i32_b64 s22, s[22:23]
	v_cmp_ne_u32_e64 s[20:21], 0, v9
	v_cndmask_b32_e64 v9, 0, 1, s[2:3]
	s_add_i32 s2, s50, s29
	s_bcnt1_i32_b64 s3, s[24:25]
	v_cmp_ne_u32_e64 s[14:15], 0, v4
	s_add_i32 s8, s8, s26
	s_bcnt1_i32_b64 s23, s[16:17]
	v_cmp_ne_u32_e64 s[16:17], 0, v5
	;; [unrolled: 3-line block ×4, first 2 shown]
	s_add_i32 s2, s2, s22
	s_bcnt1_i32_b64 s14, s[14:15]
	s_add_i32 s3, s8, s3
	s_bcnt1_i32_b64 s8, s[16:17]
	;; [unrolled: 2-line block ×4, first 2 shown]
	s_add_i32 s2, s2, s26
	s_add_i32 s53, s3, s14
	;; [unrolled: 1-line block ×5, first 2 shown]
	s_or_b64 s[46:47], vcc, s[46:47]
	v_mov_b32_e32 v8, s53
	v_mov_b32_e32 v9, s52
	;; [unrolled: 1-line block ×4, first 2 shown]
	s_andn2_b64 exec, exec, s[46:47]
	s_cbranch_execnz .LBB96_48
; %bb.49:                               ;   in Loop: Header=BB96_12 Depth=1
	s_or_b64 exec, exec, s[46:47]
	s_mov_b32 s50, s54
.LBB96_50:                              ;   in Loop: Header=BB96_12 Depth=1
	s_or_b64 exec, exec, s[44:45]
	v_pk_mov_b32 v[12:13], 0, 0
	s_and_saveexec_b64 s[14:15], s[10:11]
	s_cbranch_execz .LBB96_52
; %bb.51:                               ;   in Loop: Header=BB96_12 Depth=1
	global_load_dwordx2 v[12:13], v[24:25], off
.LBB96_52:                              ;   in Loop: Header=BB96_12 Depth=1
	s_or_b64 exec, exec, s[14:15]
	s_mov_b64 s[16:17], 0
	s_mov_b64 s[76:77], 0
	s_and_saveexec_b64 s[18:19], s[10:11]
	s_cbranch_execz .LBB96_59
; %bb.53:                               ;   in Loop: Header=BB96_12 Depth=1
	s_and_b32 s2, s74, 0xfe
	s_mov_b64 s[20:21], 0
	s_waitcnt vmcnt(0)
	v_mov_b32_e32 v4, v40
	v_mov_b32_e32 v3, v35
	s_branch .LBB96_55
.LBB96_54:                              ;   in Loop: Header=BB96_55 Depth=2
	s_or_b64 exec, exec, s[22:23]
	v_xor_b32_e32 v13, 0x80000000, v13
	v_and_b32_e32 v27, s61, v13
	v_and_b32_e32 v26, s60, v12
	v_lshrrev_b64 v[12:13], s2, v[12:13]
	s_and_b64 s[8:9], exec, vcc
	v_and_b32_e32 v18, 3, v12
	s_or_b64 s[20:21], s[8:9], s[20:21]
	v_cmp_eq_u64_e32 vcc, s[62:63], v[26:27]
	v_cmp_eq_u64_e64 s[14:15], 0, v[18:19]
	s_and_b64 s[8:9], vcc, s[14:15]
	v_cndmask_b32_e64 v5, 0, 1, s[8:9]
	v_cmp_ne_u32_e64 s[14:15], 0, v5
	s_bcnt1_i32_b64 s3, s[14:15]
	v_cmp_eq_u64_e64 s[14:15], 1, v[18:19]
	s_and_b64 s[8:9], vcc, s[14:15]
	v_cndmask_b32_e64 v5, 0, 1, s[8:9]
	v_cmp_ne_u32_e64 s[14:15], 0, v5
	v_add_u32_e32 v8, s3, v8
	s_bcnt1_i32_b64 s3, s[14:15]
	v_cmp_eq_u64_e64 s[14:15], 2, v[18:19]
	s_and_b64 s[8:9], vcc, s[14:15]
	v_cndmask_b32_e64 v5, 0, 1, s[8:9]
	v_cmp_ne_u32_e64 s[14:15], 0, v5
	v_add_u32_e32 v9, s3, v9
	s_bcnt1_i32_b64 s3, s[14:15]
	v_cmp_eq_u64_e64 s[14:15], 3, v[18:19]
	s_and_b64 s[8:9], vcc, s[14:15]
	v_cndmask_b32_e64 v5, 0, 1, s[8:9]
	v_cmp_ne_u32_e32 vcc, 0, v5
	v_add_u32_e32 v10, s3, v10
	s_bcnt1_i32_b64 s3, vcc
	v_add_u32_e32 v11, s3, v11
	v_add_u32_e32 v4, s73, v4
	s_waitcnt vmcnt(0)
	v_pk_mov_b32 v[12:13], v[14:15], v[14:15] op_sel:[0,1]
	s_andn2_b64 exec, exec, s[20:21]
	s_cbranch_execz .LBB96_58
.LBB96_55:                              ;   Parent Loop BB96_12 Depth=1
                                        ; =>  This Inner Loop Header: Depth=2
	v_add_u32_e32 v3, s57, v3
	v_cmp_gt_u32_e64 s[14:15], s56, v3
	v_cmp_le_u32_e32 vcc, s56, v3
	v_pk_mov_b32 v[14:15], 0, 0
	s_and_saveexec_b64 s[22:23], s[14:15]
	s_cbranch_execz .LBB96_54
; %bb.56:                               ;   in Loop: Header=BB96_55 Depth=2
	v_mov_b32_e32 v5, v19
	v_lshlrev_b64 v[14:15], 3, v[4:5]
	v_mov_b32_e32 v5, s33
	v_add_co_u32_e64 v14, s[14:15], s59, v14
	v_addc_co_u32_e64 v15, s[14:15], v5, v15, s[14:15]
	global_load_dwordx2 v[14:15], v[14:15], off
	s_branch .LBB96_54
.LBB96_57:                              ;   in Loop: Header=BB96_12 Depth=1
	s_mov_b64 s[76:77], 0
                                        ; implicit-def: $vgpr11
	s_cbranch_execnz .LBB96_60
	s_branch .LBB96_69
.LBB96_58:                              ;   in Loop: Header=BB96_12 Depth=1
	s_or_b64 exec, exec, s[20:21]
	s_mov_b64 s[76:77], exec
.LBB96_59:                              ;   in Loop: Header=BB96_12 Depth=1
	s_or_b64 exec, exec, s[18:19]
	s_and_b64 vcc, exec, s[16:17]
	s_cbranch_vccz .LBB96_69
.LBB96_60:                              ;   in Loop: Header=BB96_12 Depth=1
	s_mul_hi_u32 s2, s65, s55
	s_mul_i32 s2, s2, s72
	s_sub_i32 s2, s65, s2
	s_sub_i32 s3, s2, s72
	s_cmp_ge_u32 s2, s72
	s_cselect_b32 s2, s3, s2
	s_sub_i32 s3, s2, s72
	s_cmp_ge_u32 s2, s72
	s_cselect_b32 s2, s3, s2
	s_sub_i32 s71, s65, s2
	v_cmp_gt_u32_e32 vcc, s71, v30
	s_mov_b32 s8, 0
	v_mov_b32_e32 v8, 0
	v_mov_b32_e32 v9, 0
	;; [unrolled: 1-line block ×4, first 2 shown]
	s_and_saveexec_b64 s[78:79], vcc
	s_cbranch_execz .LBB96_64
; %bb.61:                               ;   in Loop: Header=BB96_12 Depth=1
	s_mov_b32 s6, s50
	s_mov_b32 s64, s55
	s_and_b32 s9, s74, 0xfe
	s_mov_b64 s[80:81], 0
	v_mov_b32_e32 v3, v41
	s_mov_b32 s75, 0
	s_mov_b32 s2, 0
	;; [unrolled: 1-line block ×3, first 2 shown]
	v_mov_b32_e32 v44, v30
.LBB96_62:                              ;   Parent Loop BB96_12 Depth=1
                                        ; =>  This Inner Loop Header: Depth=2
	s_waitcnt vmcnt(0)
	ds_read_b128 v[12:15], v3
	ds_read_b128 v[8:11], v3 offset:16
	v_mov_b32_e32 v5, v19
	v_mov_b32_e32 v27, v19
	;; [unrolled: 1-line block ×3, first 2 shown]
	s_waitcnt lgkmcnt(1)
	v_xor_b32_e32 v13, 0x80000000, v13
	v_xor_b32_e32 v15, 0x80000000, v15
	v_and_b32_e32 v46, s60, v12
	v_and_b32_e32 v47, s61, v13
	v_lshrrev_b64 v[12:13], s9, v[12:13]
	s_waitcnt lgkmcnt(0)
	v_xor_b32_e32 v9, 0x80000000, v9
	v_and_b32_e32 v48, s60, v14
	v_and_b32_e32 v49, s61, v15
	v_lshrrev_b64 v[14:15], s9, v[14:15]
	v_and_b32_e32 v18, 3, v12
	v_xor_b32_e32 v11, 0x80000000, v11
	v_and_b32_e32 v50, s60, v8
	v_and_b32_e32 v51, s61, v9
	v_lshrrev_b64 v[8:9], s9, v[8:9]
	v_cmp_eq_u64_e64 s[14:15], s[62:63], v[46:47]
	v_and_b32_e32 v4, 3, v14
	v_cmp_eq_u64_e64 s[22:23], 0, v[18:19]
	v_and_b32_e32 v52, s60, v10
	v_and_b32_e32 v53, s61, v11
	v_lshrrev_b64 v[10:11], s9, v[10:11]
	v_cmp_eq_u64_e64 s[16:17], s[62:63], v[48:49]
	v_and_b32_e32 v26, 3, v8
	v_cmp_eq_u64_e64 s[24:25], 0, v[4:5]
	s_and_b64 s[22:23], s[14:15], s[22:23]
	v_cmp_eq_u64_e64 s[18:19], s[62:63], v[50:51]
	v_and_b32_e32 v28, 3, v10
	v_cmp_eq_u64_e64 s[26:27], 0, v[26:27]
	v_cmp_eq_u64_e64 s[34:35], 1, v[4:5]
	;; [unrolled: 1-line block ×4, first 2 shown]
	v_cndmask_b32_e64 v4, 0, 1, s[22:23]
	s_and_b64 s[22:23], s[16:17], s[24:25]
	v_cmp_eq_u64_e64 s[20:21], s[62:63], v[52:53]
	v_cmp_eq_u64_e64 s[28:29], 0, v[28:29]
	v_cndmask_b32_e64 v5, 0, 1, s[22:23]
	s_and_b64 s[22:23], s[18:19], s[26:27]
	v_cmp_eq_u64_e64 s[30:31], 1, v[18:19]
	v_cndmask_b32_e64 v8, 0, 1, s[22:23]
	s_and_b64 s[22:23], s[20:21], s[28:29]
	v_cndmask_b32_e64 v9, 0, 1, s[22:23]
	s_and_b64 s[22:23], s[14:15], s[30:31]
	v_cmp_eq_u64_e64 s[36:37], 1, v[26:27]
	v_cndmask_b32_e64 v10, 0, 1, s[22:23]
	s_and_b64 s[22:23], s[16:17], s[34:35]
	v_cmp_eq_u64_e64 s[38:39], 1, v[28:29]
	v_cndmask_b32_e64 v11, 0, 1, s[22:23]
	s_and_b64 s[22:23], s[18:19], s[36:37]
	v_cmp_eq_u64_e64 s[40:41], 2, v[18:19]
	v_cmp_eq_u64_e64 s[48:49], 3, v[18:19]
	v_cndmask_b32_e64 v12, 0, 1, s[22:23]
	s_and_b64 s[22:23], s[20:21], s[38:39]
	v_cndmask_b32_e64 v13, 0, 1, s[22:23]
	s_and_b64 s[22:23], s[14:15], s[40:41]
	s_and_b64 s[14:15], s[14:15], s[48:49]
	v_cmp_eq_u64_e64 s[44:45], 2, v[26:27]
	v_cmp_eq_u64_e64 s[52:53], 3, v[26:27]
	v_cndmask_b32_e64 v14, 0, 1, s[22:23]
	s_and_b64 s[22:23], s[16:17], s[42:43]
	v_cndmask_b32_e64 v27, 0, 1, s[14:15]
	s_and_b64 s[14:15], s[16:17], s[50:51]
	v_cmp_eq_u64_e64 s[46:47], 2, v[28:29]
	v_cmp_eq_u64_e64 s[54:55], 3, v[28:29]
	v_cndmask_b32_e64 v15, 0, 1, s[22:23]
	s_and_b64 s[22:23], s[18:19], s[44:45]
	v_cndmask_b32_e64 v28, 0, 1, s[14:15]
	s_and_b64 s[14:15], s[18:19], s[52:53]
	;; [unrolled: 2-line block ×4, first 2 shown]
	v_cndmask_b32_e64 v26, 0, 1, s[22:23]
	v_cndmask_b32_e64 v45, 0, 1, s[14:15]
	v_cmp_ne_u32_e64 s[14:15], 0, v4
	v_cmp_ne_u32_e64 s[16:17], 0, v5
	v_cmp_ne_u32_e64 s[18:19], 0, v8
	v_cmp_ne_u32_e64 s[20:21], 0, v9
	v_cmp_ne_u32_e64 s[22:23], 0, v10
	v_cmp_ne_u32_e64 s[26:27], 0, v12
	v_cmp_ne_u32_e64 s[30:31], 0, v14
	v_cmp_ne_u32_e64 s[40:41], 0, v27
	v_cmp_ne_u32_e64 s[24:25], 0, v11
	v_cmp_ne_u32_e64 s[34:35], 0, v15
	v_cmp_ne_u32_e64 s[42:43], 0, v28
	s_bcnt1_i32_b64 s14, s[14:15]
	s_bcnt1_i32_b64 s15, s[16:17]
	;; [unrolled: 1-line block ×8, first 2 shown]
	v_cmp_ne_u32_e64 s[28:29], 0, v13
	v_cmp_ne_u32_e64 s[36:37], 0, v18
	;; [unrolled: 1-line block ×3, first 2 shown]
	s_bcnt1_i32_b64 s19, s[24:25]
	s_bcnt1_i32_b64 s23, s[34:35]
	;; [unrolled: 1-line block ×3, first 2 shown]
	s_add_i32 s3, s3, s14
	s_add_i32 s2, s2, s18
	;; [unrolled: 1-line block ×4, first 2 shown]
	v_cmp_ne_u32_e64 s[38:39], 0, v26
	v_cmp_ne_u32_e64 s[46:47], 0, v45
	s_bcnt1_i32_b64 s21, s[28:29]
	s_bcnt1_i32_b64 s24, s[36:37]
	;; [unrolled: 1-line block ×3, first 2 shown]
	s_add_i32 s3, s3, s15
	s_add_i32 s2, s2, s19
	;; [unrolled: 1-line block ×4, first 2 shown]
	v_add_u32_e32 v44, s72, v44
	s_bcnt1_i32_b64 s25, s[38:39]
	s_bcnt1_i32_b64 s29, s[46:47]
	s_add_i32 s3, s3, s16
	s_add_i32 s2, s2, s20
	;; [unrolled: 1-line block ×4, first 2 shown]
	v_cmp_le_u32_e32 vcc, s71, v44
	s_add_i32 s3, s3, s17
	s_add_i32 s2, s2, s21
	;; [unrolled: 1-line block ×4, first 2 shown]
	v_add_u32_e32 v3, s0, v3
	s_or_b64 s[80:81], vcc, s[80:81]
	v_mov_b32_e32 v8, s3
	v_mov_b32_e32 v9, s2
	;; [unrolled: 1-line block ×4, first 2 shown]
	s_andn2_b64 exec, exec, s[80:81]
	s_cbranch_execnz .LBB96_62
; %bb.63:                               ;   in Loop: Header=BB96_12 Depth=1
	s_or_b64 exec, exec, s[80:81]
	s_mov_b32 s55, s64
	s_mov_b32 s50, s6
.LBB96_64:                              ;   in Loop: Header=BB96_12 Depth=1
	s_or_b64 exec, exec, s[78:79]
	v_add_u32_e32 v3, s71, v0
	v_cmp_gt_u32_e32 vcc, s65, v3
	s_and_saveexec_b64 s[24:25], vcc
	s_cbranch_execz .LBB96_68
; %bb.65:                               ;   in Loop: Header=BB96_12 Depth=1
	s_and_b32 s2, s74, 0xfe
	s_waitcnt vmcnt(0)
	v_lshlrev_b32_e32 v4, 3, v3
	s_mov_b64 s[26:27], 0
.LBB96_66:                              ;   Parent Loop BB96_12 Depth=1
                                        ; =>  This Inner Loop Header: Depth=2
	ds_read_b64 v[12:13], v4
	v_add_u32_e32 v3, s57, v3
	v_cmp_le_u32_e32 vcc, s65, v3
	v_add_u32_e32 v4, s1, v4
	s_waitcnt lgkmcnt(0)
	v_xor_b32_e32 v13, 0x80000000, v13
	v_and_b32_e32 v14, s60, v12
	v_and_b32_e32 v15, s61, v13
	v_lshrrev_b64 v[12:13], s2, v[12:13]
	v_and_b32_e32 v18, 3, v12
	v_cmp_eq_u64_e64 s[14:15], s[62:63], v[14:15]
	v_cmp_eq_u64_e64 s[16:17], 0, v[18:19]
	;; [unrolled: 1-line block ×3, first 2 shown]
	s_and_b64 s[8:9], s[14:15], s[16:17]
	v_cmp_eq_u64_e64 s[20:21], 2, v[18:19]
	v_cndmask_b32_e64 v5, 0, 1, s[8:9]
	s_and_b64 s[8:9], s[14:15], s[18:19]
	v_cmp_eq_u64_e64 s[22:23], 3, v[18:19]
	v_cndmask_b32_e64 v12, 0, 1, s[8:9]
	s_and_b64 s[8:9], s[14:15], s[20:21]
	v_cndmask_b32_e64 v13, 0, 1, s[8:9]
	s_and_b64 s[8:9], s[14:15], s[22:23]
	v_cndmask_b32_e64 v14, 0, 1, s[8:9]
	v_cmp_ne_u32_e64 s[14:15], 0, v5
	v_cmp_ne_u32_e64 s[16:17], 0, v12
	;; [unrolled: 1-line block ×4, first 2 shown]
	s_bcnt1_i32_b64 s3, s[14:15]
	s_bcnt1_i32_b64 s8, s[16:17]
	;; [unrolled: 1-line block ×4, first 2 shown]
	v_add_u32_e32 v8, s3, v8
	v_add_u32_e32 v9, s8, v9
	;; [unrolled: 1-line block ×3, first 2 shown]
	s_or_b64 s[26:27], vcc, s[26:27]
	v_add_u32_e32 v11, s14, v11
	s_andn2_b64 exec, exec, s[26:27]
	s_cbranch_execnz .LBB96_66
; %bb.67:                               ;   in Loop: Header=BB96_12 Depth=1
	s_or_b64 exec, exec, s[26:27]
	s_or_b64 s[76:77], s[76:77], exec
.LBB96_68:                              ;   in Loop: Header=BB96_12 Depth=1
	s_or_b64 exec, exec, s[24:25]
.LBB96_69:                              ;   in Loop: Header=BB96_12 Depth=1
	s_and_saveexec_b64 s[14:15], s[76:77]
	s_or_b64 exec, exec, s[14:15]
	s_lshl_b32 s2, s13, 6
	s_and_saveexec_b64 s[14:15], s[4:5]
	s_cbranch_execz .LBB96_71
; %bb.70:                               ;   in Loop: Header=BB96_12 Depth=1
	v_or_b32_e32 v3, s2, v33
	v_lshlrev_b32_e32 v3, 2, v3
	ds_write_b128 v3, v[8:11] offset:3072
.LBB96_71:                              ;   in Loop: Header=BB96_12 Depth=1
	s_or_b64 exec, exec, s[14:15]
	s_waitcnt lgkmcnt(0)
	s_barrier
	s_and_saveexec_b64 s[14:15], s[66:67]
	s_cbranch_execz .LBB96_85
; %bb.72:                               ;   in Loop: Header=BB96_12 Depth=1
	v_readlane_b32 s8, v54, 14
	v_readlane_b32 s9, v54, 15
	v_add_u32_e32 v3, s2, v23
	s_andn2_b64 vcc, exec, s[8:9]
	s_waitcnt vmcnt(0)
	v_mov_b32_e32 v4, 0
	s_cbranch_vccnz .LBB96_84
; %bb.73:                               ;   in Loop: Header=BB96_12 Depth=1
	v_readlane_b32 s8, v54, 18
	v_readlane_b32 s9, v54, 19
	s_mov_b32 s3, 0
	s_and_b64 vcc, exec, s[8:9]
	v_mov_b32_e32 v4, 0
	s_cbranch_vccz .LBB96_77
; %bb.74:                               ;   in Loop: Header=BB96_12 Depth=1
	v_readlane_b32 s8, v54, 22
	v_readlane_b32 s9, v54, 23
	v_lshl_add_u32 v8, v3, 2, v43
	s_andn2_b64 vcc, exec, s[8:9]
	s_cbranch_vccnz .LBB96_78
; %bb.75:                               ;   in Loop: Header=BB96_12 Depth=1
	s_mov_b32 s17, 1
	s_mov_b32 s16, 0
	v_mov_b32_e32 v4, 0
	v_readlane_b32 s3, v54, 24
	v_mov_b32_e32 v5, 0
.LBB96_76:                              ;   Parent Loop BB96_12 Depth=1
                                        ; =>  This Inner Loop Header: Depth=2
	v_lshl_add_u32 v9, s16, 4, v8
	v_lshl_add_u32 v18, s17, 4, v8
	ds_read2_b32 v[10:11], v9 offset1:8
	ds_read2_b32 v[12:13], v18 offset1:8
	ds_read2_b32 v[14:15], v9 offset0:16 offset1:24
	ds_read2_b32 v[26:27], v18 offset0:16 offset1:24
	;; [unrolled: 1-line block ×6, first 2 shown]
	s_waitcnt lgkmcnt(7)
	v_add3_u32 v4, v10, v4, v11
	s_waitcnt lgkmcnt(6)
	v_add3_u32 v5, v12, v5, v13
	s_waitcnt lgkmcnt(4)
	v_add3_u32 v5, v26, v5, v27
	v_add3_u32 v4, v14, v4, v15
	s_add_i32 s17, s17, 16
	s_add_i32 s16, s16, 16
	s_add_i32 s3, s3, -8
	s_waitcnt lgkmcnt(3)
	v_add3_u32 v4, v28, v4, v29
	s_waitcnt lgkmcnt(2)
	v_add3_u32 v5, v44, v5, v45
	s_cmp_lg_u32 s3, 0
	s_waitcnt lgkmcnt(0)
	v_add3_u32 v5, v48, v5, v49
	v_add3_u32 v4, v46, v4, v47
	s_cbranch_scc1 .LBB96_76
	s_branch .LBB96_79
.LBB96_77:                              ;   in Loop: Header=BB96_12 Depth=1
	s_cbranch_execnz .LBB96_82
	s_branch .LBB96_84
.LBB96_78:                              ;   in Loop: Header=BB96_12 Depth=1
	s_mov_b32 s51, s50
	v_pk_mov_b32 v[4:5], s[50:51], s[50:51] op_sel:[0,1]
	s_mov_b32 s51, 1
	s_mov_b64 s[16:17], s[50:51]
.LBB96_79:                              ;   in Loop: Header=BB96_12 Depth=1
	v_readlane_b32 s8, v54, 26
	v_readlane_b32 s9, v54, 27
	s_andn2_b64 vcc, exec, s[8:9]
	v_readlane_b32 s3, v54, 25
	s_cbranch_vccnz .LBB96_81
.LBB96_80:                              ;   Parent Loop BB96_12 Depth=1
                                        ; =>  This Inner Loop Header: Depth=2
	v_lshl_add_u32 v9, s16, 4, v8
	v_lshl_add_u32 v10, s17, 4, v8
	ds_read_b32 v10, v10
	ds_read_b32 v9, v9
	s_add_i32 s17, s17, 2
	s_add_i32 s16, s16, 2
	s_add_i32 s3, s3, -1
	s_cmp_lg_u32 s3, 0
	s_waitcnt lgkmcnt(1)
	v_add_u32_e32 v5, v10, v5
	s_waitcnt lgkmcnt(0)
	v_add_u32_e32 v4, v9, v4
	s_cbranch_scc1 .LBB96_80
.LBB96_81:                              ;   in Loop: Header=BB96_12 Depth=1
	v_readlane_b32 s16, v54, 30
	v_add_u32_e32 v4, v4, v5
	v_readlane_b32 s3, v54, 29
	v_readlane_b32 s17, v54, 31
	s_and_b64 vcc, exec, s[16:17]
	s_cbranch_vccz .LBB96_84
.LBB96_82:                              ;   in Loop: Header=BB96_12 Depth=1
	s_lshl_b32 s8, s13, 8
	s_lshl_b32 s9, s3, 4
	s_add_i32 s8, s8, s9
	v_add_u32_e32 v5, s8, v42
	v_readlane_b32 s8, v54, 28
	s_sub_i32 s3, s8, s3
.LBB96_83:                              ;   Parent Loop BB96_12 Depth=1
                                        ; =>  This Inner Loop Header: Depth=2
	ds_read_b32 v8, v5
	s_add_i32 s3, s3, -1
	v_add_u32_e32 v5, 16, v5
	s_cmp_eq_u32 s3, 0
	s_waitcnt lgkmcnt(0)
	v_add_u32_e32 v4, v8, v4
	s_cbranch_scc0 .LBB96_83
.LBB96_84:                              ;   in Loop: Header=BB96_12 Depth=1
	v_lshlrev_b32_e32 v3, 2, v3
	ds_write_b32 v3, v4 offset:3072
.LBB96_85:                              ;   in Loop: Header=BB96_12 Depth=1
	s_or_b64 exec, exec, s[14:15]
	s_lshl_b32 s2, s2, 2
	v_mov_b32_e32 v3, s2
	s_waitcnt lgkmcnt(0)
	s_barrier
	ds_read_b128 v[8:11], v3 offset:3072
	s_and_b32 s47, s74, 0xfe
	s_lshl_b64 s[16:17], 3, s47
	s_not_b64 s[28:29], s[16:17]
	s_mov_b64 s[20:21], -1
	s_waitcnt lgkmcnt(0)
	v_readfirstlane_b32 s34, v8
	s_cmp_eq_u32 s34, 1
	s_cselect_b64 s[2:3], -1, 0
	s_cmp_eq_u32 s70, 1
	s_cselect_b64 s[8:9], -1, 0
	s_and_b64 s[22:23], s[2:3], s[8:9]
	v_readfirstlane_b32 s38, v9
	v_readfirstlane_b32 s46, v10
	;; [unrolled: 1-line block ×3, first 2 shown]
	s_and_b64 vcc, exec, s[22:23]
	s_cbranch_vccz .LBB96_97
; %bb.86:                               ;   in Loop: Header=BB96_12 Depth=1
	ds_read_b32 v3, v19 offset:4104
	v_readlane_b32 s6, v54, 20
	v_readlane_b32 s7, v54, 21
	s_waitcnt lgkmcnt(0)
	s_barrier
	v_readfirstlane_b32 s2, v3
	s_and_saveexec_b64 s[14:15], s[6:7]
	s_cbranch_execz .LBB96_88
; %bb.87:                               ;   in Loop: Header=BB96_12 Depth=1
	v_mov_b32_e32 v18, v19
	ds_write_b64 v32, v[18:19]
.LBB96_88:                              ;   in Loop: Header=BB96_12 Depth=1
	s_or_b64 exec, exec, s[14:15]
	s_and_b64 s[62:63], s[62:63], s[28:29]
	s_or_b64 s[60:61], s[60:61], s[16:17]
	s_cmp_eq_u32 s2, 0
	s_waitcnt lgkmcnt(0)
	s_barrier
	s_cbranch_scc1 .LBB96_98
; %bb.89:                               ;   in Loop: Header=BB96_12 Depth=1
	v_readlane_b32 s3, v54, 11
	s_add_i32 s3, s2, s3
	v_readlane_b32 s6, v54, 34
	s_mul_hi_u32 s8, s3, s6
	s_mul_i32 s8, s8, s57
	s_sub_i32 s8, s3, s8
	s_sub_i32 s9, s8, s57
	s_cmp_ge_u32 s8, s57
	s_cselect_b32 s8, s9, s8
	s_sub_i32 s9, s8, s57
	s_cmp_ge_u32 s8, s57
	s_cselect_b32 s8, s9, s8
	s_sub_i32 s3, s3, s8
	v_cmp_gt_u32_e32 vcc, s3, v0
	s_mov_b64 s[14:15], 0
                                        ; implicit-def: $vgpr6_vgpr7
	s_and_saveexec_b64 s[18:19], vcc
	s_cbranch_execz .LBB96_100
; %bb.90:                               ;   in Loop: Header=BB96_12 Depth=1
	s_mov_b64 s[24:25], 0
	v_mov_b32_e32 v8, v31
	v_mov_b32_e32 v9, v0
                                        ; implicit-def: $sgpr14_sgpr15
	s_branch .LBB96_92
.LBB96_91:                              ;   in Loop: Header=BB96_92 Depth=2
	s_or_b64 exec, exec, s[26:27]
	s_waitcnt lgkmcnt(0)
	s_barrier
	ds_read_b128 v[4:7], v19 offset:3072
	v_add_u32_e32 v9, s57, v9
	v_cmp_le_u32_e32 vcc, s3, v9
	v_add_u32_e32 v8, s1, v8
	s_waitcnt lgkmcnt(0)
	v_readfirstlane_b32 s9, v5
	v_readfirstlane_b32 s8, v4
	s_cmp_lg_u64 s[8:9], 0
	s_cselect_b64 s[8:9], -1, 0
	s_or_b64 s[26:27], vcc, s[8:9]
	s_and_b64 s[26:27], exec, s[26:27]
	s_or_b64 s[24:25], s[26:27], s[24:25]
	s_andn2_b64 s[14:15], s[14:15], exec
	s_and_b64 s[8:9], s[8:9], exec
	s_or_b64 s[14:15], s[14:15], s[8:9]
	s_barrier
	s_andn2_b64 exec, exec, s[24:25]
	s_cbranch_execz .LBB96_99
.LBB96_92:                              ;   Parent Loop BB96_12 Depth=1
                                        ; =>  This Inner Loop Header: Depth=2
	v_cmp_gt_u32_e32 vcc, s2, v9
	s_waitcnt vmcnt(0)
	v_pk_mov_b32 v[4:5], 0, 0
	s_and_saveexec_b64 s[26:27], vcc
	s_cbranch_execz .LBB96_94
; %bb.93:                               ;   in Loop: Header=BB96_92 Depth=2
	ds_read_b64 v[4:5], v8
.LBB96_94:                              ;   in Loop: Header=BB96_92 Depth=2
	s_or_b64 exec, exec, s[26:27]
	s_and_saveexec_b64 s[26:27], vcc
	s_cbranch_execz .LBB96_91
; %bb.95:                               ;   in Loop: Header=BB96_92 Depth=2
	s_waitcnt lgkmcnt(0)
	v_xor_b32_e32 v3, 0x80000000, v5
	v_and_b32_e32 v7, s61, v3
	v_and_b32_e32 v6, s60, v4
	v_cmp_eq_u64_e32 vcc, s[62:63], v[6:7]
	s_and_b64 exec, exec, vcc
	s_cbranch_execz .LBB96_91
; %bb.96:                               ;   in Loop: Header=BB96_92 Depth=2
	v_mov_b32_e32 v3, v19
	ds_write_b128 v19, v[2:5] offset:3072
	s_branch .LBB96_91
.LBB96_97:                              ;   in Loop: Header=BB96_12 Depth=1
	s_mov_b64 s[14:15], -1
                                        ; implicit-def: $sgpr18_sgpr19
                                        ; implicit-def: $sgpr26_sgpr27
                                        ; implicit-def: $sgpr24_sgpr25
	s_branch .LBB96_111
.LBB96_98:                              ;   in Loop: Header=BB96_12 Depth=1
	s_mov_b64 s[18:19], -1
	s_mov_b64 s[14:15], 0
                                        ; implicit-def: $sgpr24_sgpr25
                                        ; implicit-def: $vgpr6_vgpr7
	s_mov_b64 s[26:27], s[18:19]
	s_cbranch_execnz .LBB96_101
	s_branch .LBB96_111
.LBB96_99:                              ;   in Loop: Header=BB96_12 Depth=1
	s_or_b64 exec, exec, s[24:25]
	s_and_b64 s[14:15], s[14:15], exec
.LBB96_100:                             ;   in Loop: Header=BB96_12 Depth=1
	s_or_b64 exec, exec, s[18:19]
	s_mov_b64 s[24:25], -1
	s_mov_b64 s[18:19], 0
	s_mov_b64 s[26:27], s[18:19]
	s_branch .LBB96_111
.LBB96_101:                             ;   in Loop: Header=BB96_12 Depth=1
	s_mov_b64 s[14:15], 0
                                        ; implicit-def: $vgpr6_vgpr7
	s_mov_b64 s[18:19], exec
	v_readlane_b32 s2, v54, 35
	v_readlane_b32 s3, v54, 36
	s_and_b64 s[2:3], s[18:19], s[2:3]
	s_mov_b64 exec, s[2:3]
	s_cbranch_execz .LBB96_110
; %bb.102:                              ;   in Loop: Header=BB96_12 Depth=1
	s_mov_b64 s[26:27], 0
	v_mov_b32_e32 v18, v16
	v_mov_b32_e32 v8, v0
                                        ; implicit-def: $sgpr24_sgpr25
	s_branch .LBB96_104
.LBB96_103:                             ;   in Loop: Header=BB96_104 Depth=2
	s_or_b64 exec, exec, s[14:15]
	s_waitcnt lgkmcnt(0)
	s_barrier
	s_waitcnt vmcnt(0)
	ds_read_b128 v[4:7], v19 offset:3072
	v_add_u32_e32 v8, s57, v8
	v_cmp_le_u32_e32 vcc, s68, v8
	v_add_u32_e32 v18, s73, v18
	s_waitcnt lgkmcnt(0)
	v_readfirstlane_b32 s3, v5
	v_readfirstlane_b32 s2, v4
	s_cmp_lg_u64 s[2:3], 0
	s_cselect_b64 s[2:3], -1, 0
	s_or_b64 s[8:9], vcc, s[2:3]
	s_and_b64 s[8:9], exec, s[8:9]
	s_or_b64 s[26:27], s[8:9], s[26:27]
	s_andn2_b64 s[8:9], s[24:25], exec
	s_and_b64 s[2:3], s[2:3], exec
	s_or_b64 s[24:25], s[8:9], s[2:3]
	s_barrier
	s_andn2_b64 exec, exec, s[26:27]
	s_cbranch_execz .LBB96_109
.LBB96_104:                             ;   Parent Loop BB96_12 Depth=1
                                        ; =>  This Inner Loop Header: Depth=2
	v_cmp_gt_u32_e32 vcc, s56, v8
	s_waitcnt vmcnt(0)
	v_pk_mov_b32 v[4:5], 0, 0
	s_and_saveexec_b64 s[30:31], vcc
	s_cbranch_execz .LBB96_106
; %bb.105:                              ;   in Loop: Header=BB96_104 Depth=2
	v_lshlrev_b64 v[4:5], 3, v[18:19]
	v_mov_b32_e32 v3, s33
	v_add_co_u32_e64 v4, s[14:15], s59, v4
	v_addc_co_u32_e64 v5, s[14:15], v3, v5, s[14:15]
	global_load_dwordx2 v[4:5], v[4:5], off
.LBB96_106:                             ;   in Loop: Header=BB96_104 Depth=2
	s_or_b64 exec, exec, s[30:31]
	s_and_saveexec_b64 s[14:15], vcc
	s_cbranch_execz .LBB96_103
; %bb.107:                              ;   in Loop: Header=BB96_104 Depth=2
	s_waitcnt vmcnt(0)
	v_xor_b32_e32 v3, 0x80000000, v5
	v_and_b32_e32 v7, s61, v3
	v_and_b32_e32 v6, s60, v4
	v_cmp_eq_u64_e32 vcc, s[62:63], v[6:7]
	s_and_b64 exec, exec, vcc
	s_cbranch_execz .LBB96_103
; %bb.108:                              ;   in Loop: Header=BB96_104 Depth=2
	v_mov_b32_e32 v3, v19
	ds_write_b128 v19, v[2:5] offset:3072
	s_branch .LBB96_103
.LBB96_109:                             ;   in Loop: Header=BB96_12 Depth=1
	s_or_b64 exec, exec, s[26:27]
	s_and_b64 s[14:15], s[24:25], exec
.LBB96_110:                             ;   in Loop: Header=BB96_12 Depth=1
	s_or_b64 exec, exec, s[18:19]
	s_mov_b64 s[26:27], -1
	s_mov_b64 s[18:19], 0
	s_mov_b64 s[24:25], 0
.LBB96_111:                             ;   in Loop: Header=BB96_12 Depth=1
	s_andn2_b64 s[2:3], s[94:95], exec
	s_and_b64 s[8:9], s[18:19], exec
	s_or_b64 s[94:95], s[2:3], s[8:9]
	s_andn2_b64 s[2:3], s[92:93], exec
	s_and_b64 s[8:9], s[26:27], exec
	s_or_b64 s[92:93], s[2:3], s[8:9]
	;; [unrolled: 3-line block ×3, first 2 shown]
	s_and_saveexec_b64 s[18:19], s[14:15]
	s_cbranch_execz .LBB96_11
; %bb.112:                              ;   in Loop: Header=BB96_12 Depth=1
	s_xor_b64 s[2:3], s[22:23], -1
	s_mov_b64 s[14:15], 0
	s_andn2_b64 vcc, exec, s[2:3]
	s_mov_b32 s39, 1
	s_cbranch_vccnz .LBB96_123
; %bb.113:                              ;   in Loop: Header=BB96_12 Depth=1
	s_cmp_gt_u32 s70, s34
	s_mov_b64 s[14:15], -1
                                        ; implicit-def: $sgpr54
                                        ; implicit-def: $sgpr20_sgpr21
                                        ; implicit-def: $sgpr22_sgpr23
	s_cbranch_scc1 .LBB96_119
; %bb.114:                              ;   in Loop: Header=BB96_12 Depth=1
	ds_read_b32 v3, v19 offset:4104
	s_waitcnt lgkmcnt(0)
	v_cmp_ne_u32_e32 vcc, 0, v3
	s_cbranch_vccnz .LBB96_118
; %bb.115:                              ;   in Loop: Header=BB96_12 Depth=1
	s_mov_b64 s[14:15], exec
	v_readlane_b32 s2, v54, 0
	v_readlane_b32 s3, v54, 1
	s_and_b64 s[2:3], s[14:15], s[2:3]
	s_mov_b64 exec, s[2:3]
	s_cbranch_execz .LBB96_117
; %bb.116:                              ;   in Loop: Header=BB96_12 Depth=1
	v_mov_b32_e32 v3, s34
	ds_write_b32 v19, v3 offset:4108
.LBB96_117:                             ;   in Loop: Header=BB96_12 Depth=1
	s_or_b64 exec, exec, s[14:15]
	s_waitcnt lgkmcnt(0)
	s_barrier
.LBB96_118:                             ;   in Loop: Header=BB96_12 Depth=1
	s_and_b64 s[20:21], s[62:63], s[28:29]
	s_or_b64 s[22:23], s[60:61], s[16:17]
	s_mov_b64 s[14:15], 0
	s_mov_b32 s54, 8
.LBB96_119:                             ;   in Loop: Header=BB96_12 Depth=1
	s_andn2_b64 vcc, exec, s[14:15]
	s_cbranch_vccnz .LBB96_121
; %bb.120:                              ;   in Loop: Header=BB96_12 Depth=1
	s_sub_i32 s70, s70, s34
	s_mov_b64 s[14:15], -1
	s_mov_b32 s54, 0
	s_mov_b64 s[20:21], s[62:63]
	s_mov_b64 s[22:23], s[60:61]
.LBB96_121:                             ;   in Loop: Header=BB96_12 Depth=1
	s_mov_b64 s[60:61], s[22:23]
	s_mov_b64 s[62:63], s[20:21]
	s_mov_b32 s39, s70
	s_mov_b64 s[20:21], -1
	s_and_b64 vcc, exec, s[14:15]
	s_cbranch_vccnz .LBB96_124
.LBB96_122:                             ;   in Loop: Header=BB96_12 Depth=1
	s_mov_b64 s[36:37], -1
                                        ; implicit-def: $sgpr22_sgpr23
                                        ; implicit-def: $sgpr26_sgpr27
                                        ; implicit-def: $sgpr24_sgpr25
                                        ; implicit-def: $sgpr70
	s_and_saveexec_b64 s[2:3], s[36:37]
	s_xor_b64 s[14:15], exec, s[2:3]
	s_cbranch_execz .LBB96_10
	s_branch .LBB96_247
.LBB96_123:                             ;   in Loop: Header=BB96_12 Depth=1
	s_mov_b32 s54, 1
	s_mov_b64 s[20:21], -1
	s_and_b64 vcc, exec, s[14:15]
	s_cbranch_vccz .LBB96_122
.LBB96_124:                             ;   in Loop: Header=BB96_12 Depth=1
	s_cmp_eq_u32 s38, 1
	s_cselect_b64 s[2:3], -1, 0
	s_cmp_eq_u32 s39, 1
	s_cselect_b64 s[8:9], -1, 0
	s_and_b64 s[34:35], s[2:3], s[8:9]
	s_mov_b64 s[14:15], -1
	s_and_b64 vcc, exec, s[34:35]
	s_cbranch_vccz .LBB96_136
; %bb.125:                              ;   in Loop: Header=BB96_12 Depth=1
	ds_read_b32 v3, v19 offset:4104
	v_readlane_b32 s6, v54, 20
	v_readlane_b32 s7, v54, 21
	s_waitcnt lgkmcnt(0)
	s_barrier
	v_readfirstlane_b32 s2, v3
	s_and_saveexec_b64 s[14:15], s[6:7]
	s_cbranch_execz .LBB96_127
; %bb.126:                              ;   in Loop: Header=BB96_12 Depth=1
	v_mov_b32_e32 v18, v19
	ds_write_b64 v32, v[18:19]
.LBB96_127:                             ;   in Loop: Header=BB96_12 Depth=1
	s_or_b64 exec, exec, s[14:15]
	s_lshl_b64 s[8:9], 1, s47
	s_and_b64 s[14:15], s[62:63], s[28:29]
	s_or_b64 s[62:63], s[14:15], s[8:9]
	s_or_b64 s[60:61], s[60:61], s[16:17]
	s_cmp_eq_u32 s2, 0
	s_waitcnt lgkmcnt(0)
	s_barrier
	s_cbranch_scc1 .LBB96_137
; %bb.128:                              ;   in Loop: Header=BB96_12 Depth=1
	v_readlane_b32 s3, v54, 11
	s_add_i32 s3, s2, s3
	v_readlane_b32 s6, v54, 34
	s_mul_hi_u32 s8, s3, s6
	s_mul_i32 s8, s8, s57
	s_sub_i32 s8, s3, s8
	s_sub_i32 s9, s8, s57
	s_cmp_ge_u32 s8, s57
	s_cselect_b32 s8, s9, s8
	s_sub_i32 s9, s8, s57
	s_cmp_ge_u32 s8, s57
	s_cselect_b32 s8, s9, s8
	s_sub_i32 s3, s3, s8
	v_cmp_gt_u32_e32 vcc, s3, v0
	s_mov_b64 s[14:15], 0
                                        ; implicit-def: $vgpr6_vgpr7
	s_and_saveexec_b64 s[22:23], vcc
	s_cbranch_execz .LBB96_139
; %bb.129:                              ;   in Loop: Header=BB96_12 Depth=1
	s_mov_b64 s[24:25], 0
	v_mov_b32_e32 v8, v31
	v_mov_b32_e32 v9, v0
                                        ; implicit-def: $sgpr14_sgpr15
	s_branch .LBB96_131
.LBB96_130:                             ;   in Loop: Header=BB96_131 Depth=2
	s_or_b64 exec, exec, s[26:27]
	s_waitcnt lgkmcnt(0)
	s_barrier
	ds_read_b128 v[4:7], v19 offset:3072
	v_add_u32_e32 v9, s57, v9
	v_cmp_le_u32_e32 vcc, s3, v9
	v_add_u32_e32 v8, s1, v8
	s_waitcnt lgkmcnt(0)
	v_readfirstlane_b32 s9, v5
	v_readfirstlane_b32 s8, v4
	s_cmp_lg_u64 s[8:9], 0
	s_cselect_b64 s[8:9], -1, 0
	s_or_b64 s[26:27], vcc, s[8:9]
	s_and_b64 s[26:27], exec, s[26:27]
	s_or_b64 s[24:25], s[26:27], s[24:25]
	s_andn2_b64 s[14:15], s[14:15], exec
	s_and_b64 s[8:9], s[8:9], exec
	s_or_b64 s[14:15], s[14:15], s[8:9]
	s_barrier
	s_andn2_b64 exec, exec, s[24:25]
	s_cbranch_execz .LBB96_138
.LBB96_131:                             ;   Parent Loop BB96_12 Depth=1
                                        ; =>  This Inner Loop Header: Depth=2
	v_cmp_gt_u32_e32 vcc, s2, v9
	s_waitcnt vmcnt(0)
	v_pk_mov_b32 v[4:5], 0, 0
	s_and_saveexec_b64 s[26:27], vcc
	s_cbranch_execz .LBB96_133
; %bb.132:                              ;   in Loop: Header=BB96_131 Depth=2
	ds_read_b64 v[4:5], v8
.LBB96_133:                             ;   in Loop: Header=BB96_131 Depth=2
	s_or_b64 exec, exec, s[26:27]
	s_and_saveexec_b64 s[26:27], vcc
	s_cbranch_execz .LBB96_130
; %bb.134:                              ;   in Loop: Header=BB96_131 Depth=2
	s_waitcnt lgkmcnt(0)
	v_xor_b32_e32 v3, 0x80000000, v5
	v_and_b32_e32 v7, s61, v3
	v_and_b32_e32 v6, s60, v4
	v_cmp_eq_u64_e32 vcc, s[62:63], v[6:7]
	s_and_b64 exec, exec, vcc
	s_cbranch_execz .LBB96_130
; %bb.135:                              ;   in Loop: Header=BB96_131 Depth=2
	v_mov_b32_e32 v3, v19
	ds_write_b128 v19, v[2:5] offset:3072
	s_branch .LBB96_130
.LBB96_136:                             ;   in Loop: Header=BB96_12 Depth=1
                                        ; implicit-def: $sgpr24_sgpr25
                                        ; implicit-def: $sgpr26_sgpr27
                                        ; implicit-def: $sgpr22_sgpr23
	s_branch .LBB96_150
.LBB96_137:                             ;   in Loop: Header=BB96_12 Depth=1
	s_mov_b64 s[24:25], -1
	s_mov_b64 s[14:15], 0
                                        ; implicit-def: $sgpr22_sgpr23
                                        ; implicit-def: $vgpr6_vgpr7
	s_mov_b64 s[26:27], s[24:25]
	s_cbranch_execnz .LBB96_140
	s_branch .LBB96_150
.LBB96_138:                             ;   in Loop: Header=BB96_12 Depth=1
	s_or_b64 exec, exec, s[24:25]
	s_and_b64 s[14:15], s[14:15], exec
.LBB96_139:                             ;   in Loop: Header=BB96_12 Depth=1
	s_or_b64 exec, exec, s[22:23]
	s_mov_b64 s[22:23], -1
	s_mov_b64 s[24:25], 0
	s_mov_b64 s[26:27], s[24:25]
	s_branch .LBB96_150
.LBB96_140:                             ;   in Loop: Header=BB96_12 Depth=1
	s_mov_b64 s[14:15], 0
                                        ; implicit-def: $vgpr6_vgpr7
	s_mov_b64 s[22:23], exec
	v_readlane_b32 s2, v54, 35
	v_readlane_b32 s3, v54, 36
	s_and_b64 s[2:3], s[22:23], s[2:3]
	s_mov_b64 exec, s[2:3]
	s_cbranch_execz .LBB96_149
; %bb.141:                              ;   in Loop: Header=BB96_12 Depth=1
	s_mov_b64 s[26:27], 0
	v_mov_b32_e32 v18, v16
	v_mov_b32_e32 v8, v0
                                        ; implicit-def: $sgpr24_sgpr25
	s_branch .LBB96_143
.LBB96_142:                             ;   in Loop: Header=BB96_143 Depth=2
	s_or_b64 exec, exec, s[14:15]
	s_waitcnt lgkmcnt(0)
	s_barrier
	s_waitcnt vmcnt(0)
	ds_read_b128 v[4:7], v19 offset:3072
	v_add_u32_e32 v8, s57, v8
	v_cmp_le_u32_e32 vcc, s68, v8
	v_add_u32_e32 v18, s73, v18
	s_waitcnt lgkmcnt(0)
	v_readfirstlane_b32 s3, v5
	v_readfirstlane_b32 s2, v4
	s_cmp_lg_u64 s[2:3], 0
	s_cselect_b64 s[2:3], -1, 0
	s_or_b64 s[8:9], vcc, s[2:3]
	s_and_b64 s[8:9], exec, s[8:9]
	s_or_b64 s[26:27], s[8:9], s[26:27]
	s_andn2_b64 s[8:9], s[24:25], exec
	s_and_b64 s[2:3], s[2:3], exec
	s_or_b64 s[24:25], s[8:9], s[2:3]
	s_barrier
	s_andn2_b64 exec, exec, s[26:27]
	s_cbranch_execz .LBB96_148
.LBB96_143:                             ;   Parent Loop BB96_12 Depth=1
                                        ; =>  This Inner Loop Header: Depth=2
	v_cmp_gt_u32_e32 vcc, s56, v8
	s_waitcnt vmcnt(0)
	v_pk_mov_b32 v[4:5], 0, 0
	s_and_saveexec_b64 s[30:31], vcc
	s_cbranch_execz .LBB96_145
; %bb.144:                              ;   in Loop: Header=BB96_143 Depth=2
	v_lshlrev_b64 v[4:5], 3, v[18:19]
	v_mov_b32_e32 v3, s33
	v_add_co_u32_e64 v4, s[14:15], s59, v4
	v_addc_co_u32_e64 v5, s[14:15], v3, v5, s[14:15]
	global_load_dwordx2 v[4:5], v[4:5], off
.LBB96_145:                             ;   in Loop: Header=BB96_143 Depth=2
	s_or_b64 exec, exec, s[30:31]
	s_and_saveexec_b64 s[14:15], vcc
	s_cbranch_execz .LBB96_142
; %bb.146:                              ;   in Loop: Header=BB96_143 Depth=2
	s_waitcnt vmcnt(0)
	v_xor_b32_e32 v3, 0x80000000, v5
	v_and_b32_e32 v7, s61, v3
	v_and_b32_e32 v6, s60, v4
	v_cmp_eq_u64_e32 vcc, s[62:63], v[6:7]
	s_and_b64 exec, exec, vcc
	s_cbranch_execz .LBB96_142
; %bb.147:                              ;   in Loop: Header=BB96_143 Depth=2
	v_mov_b32_e32 v3, v19
	ds_write_b128 v19, v[2:5] offset:3072
	s_branch .LBB96_142
.LBB96_148:                             ;   in Loop: Header=BB96_12 Depth=1
	s_or_b64 exec, exec, s[26:27]
	s_and_b64 s[14:15], s[24:25], exec
.LBB96_149:                             ;   in Loop: Header=BB96_12 Depth=1
	s_or_b64 exec, exec, s[22:23]
	s_mov_b64 s[26:27], -1
	s_mov_b64 s[24:25], 0
	s_mov_b64 s[22:23], 0
.LBB96_150:                             ;   in Loop: Header=BB96_12 Depth=1
	s_mov_b64 s[36:37], 0
                                        ; implicit-def: $sgpr54
	s_and_saveexec_b64 s[30:31], s[14:15]
	s_cbranch_execz .LBB96_246
; %bb.151:                              ;   in Loop: Header=BB96_12 Depth=1
	s_xor_b64 s[2:3], s[34:35], -1
	s_mov_b64 s[14:15], 0
	s_andn2_b64 vcc, exec, s[2:3]
	s_mov_b32 s48, 1
	s_cbranch_vccnz .LBB96_162
; %bb.152:                              ;   in Loop: Header=BB96_12 Depth=1
	s_cmp_gt_u32 s39, s38
	s_mov_b64 s[14:15], -1
                                        ; implicit-def: $sgpr54
                                        ; implicit-def: $sgpr34_sgpr35
                                        ; implicit-def: $sgpr36_sgpr37
	s_cbranch_scc1 .LBB96_158
; %bb.153:                              ;   in Loop: Header=BB96_12 Depth=1
	ds_read_b32 v3, v19 offset:4104
	s_waitcnt lgkmcnt(0)
	v_cmp_ne_u32_e32 vcc, 0, v3
	s_cbranch_vccnz .LBB96_157
; %bb.154:                              ;   in Loop: Header=BB96_12 Depth=1
	s_mov_b64 s[14:15], exec
	v_readlane_b32 s2, v54, 0
	v_readlane_b32 s3, v54, 1
	s_and_b64 s[2:3], s[14:15], s[2:3]
	s_mov_b64 exec, s[2:3]
	s_cbranch_execz .LBB96_156
; %bb.155:                              ;   in Loop: Header=BB96_12 Depth=1
	v_mov_b32_e32 v3, s38
	ds_write_b32 v19, v3 offset:4108
.LBB96_156:                             ;   in Loop: Header=BB96_12 Depth=1
	s_or_b64 exec, exec, s[14:15]
	s_waitcnt lgkmcnt(0)
	s_barrier
.LBB96_157:                             ;   in Loop: Header=BB96_12 Depth=1
	s_lshl_b64 s[2:3], 1, s47
	s_and_b64 s[8:9], s[62:63], s[28:29]
	s_or_b64 s[34:35], s[8:9], s[2:3]
	s_or_b64 s[36:37], s[60:61], s[16:17]
	s_mov_b64 s[14:15], 0
	s_mov_b32 s54, 8
.LBB96_158:                             ;   in Loop: Header=BB96_12 Depth=1
	s_andn2_b64 vcc, exec, s[14:15]
	s_cbranch_vccnz .LBB96_160
; %bb.159:                              ;   in Loop: Header=BB96_12 Depth=1
	s_sub_i32 s39, s39, s38
	s_mov_b64 s[14:15], -1
	s_mov_b32 s54, 0
	s_mov_b64 s[34:35], s[62:63]
	s_mov_b64 s[36:37], s[60:61]
.LBB96_160:                             ;   in Loop: Header=BB96_12 Depth=1
	s_mov_b64 s[60:61], s[36:37]
	s_mov_b64 s[62:63], s[34:35]
	s_mov_b32 s48, s39
	s_andn2_b64 vcc, exec, s[14:15]
	s_mov_b64 s[44:45], -1
	s_cbranch_vccz .LBB96_163
.LBB96_161:                             ;   in Loop: Header=BB96_12 Depth=1
                                        ; implicit-def: $sgpr36_sgpr37
                                        ; implicit-def: $sgpr38_sgpr39
                                        ; implicit-def: $sgpr34_sgpr35
	s_branch .LBB96_245
.LBB96_162:                             ;   in Loop: Header=BB96_12 Depth=1
	s_mov_b32 s54, 1
	s_andn2_b64 vcc, exec, s[14:15]
	s_mov_b64 s[44:45], -1
	s_cbranch_vccnz .LBB96_161
.LBB96_163:                             ;   in Loop: Header=BB96_12 Depth=1
	s_cmp_eq_u32 s46, 1
	s_cselect_b64 s[2:3], -1, 0
	s_cmp_eq_u32 s48, 1
	s_cselect_b64 s[8:9], -1, 0
	s_and_b64 s[42:43], s[2:3], s[8:9]
	s_mov_b64 s[14:15], -1
	s_and_b64 vcc, exec, s[42:43]
	s_cbranch_vccz .LBB96_175
; %bb.164:                              ;   in Loop: Header=BB96_12 Depth=1
	ds_read_b32 v3, v19 offset:4104
	v_readlane_b32 s6, v54, 20
	v_readlane_b32 s7, v54, 21
	s_waitcnt lgkmcnt(0)
	s_barrier
	v_readfirstlane_b32 s2, v3
	s_and_saveexec_b64 s[14:15], s[6:7]
	s_cbranch_execz .LBB96_166
; %bb.165:                              ;   in Loop: Header=BB96_12 Depth=1
	v_mov_b32_e32 v18, v19
	ds_write_b64 v32, v[18:19]
.LBB96_166:                             ;   in Loop: Header=BB96_12 Depth=1
	s_or_b64 exec, exec, s[14:15]
	s_lshl_b64 s[8:9], 2, s47
	s_and_b64 s[14:15], s[62:63], s[28:29]
	s_or_b64 s[62:63], s[14:15], s[8:9]
	s_or_b64 s[60:61], s[60:61], s[16:17]
	s_cmp_eq_u32 s2, 0
	s_waitcnt lgkmcnt(0)
	s_barrier
	s_cbranch_scc1 .LBB96_176
; %bb.167:                              ;   in Loop: Header=BB96_12 Depth=1
	v_readlane_b32 s3, v54, 11
	s_add_i32 s3, s2, s3
	v_readlane_b32 s6, v54, 34
	s_mul_hi_u32 s8, s3, s6
	s_mul_i32 s8, s8, s57
	s_sub_i32 s8, s3, s8
	s_sub_i32 s9, s8, s57
	s_cmp_ge_u32 s8, s57
	s_cselect_b32 s8, s9, s8
	s_sub_i32 s9, s8, s57
	s_cmp_ge_u32 s8, s57
	s_cselect_b32 s8, s9, s8
	s_sub_i32 s3, s3, s8
	v_cmp_gt_u32_e32 vcc, s3, v0
	s_mov_b64 s[14:15], 0
                                        ; implicit-def: $vgpr6_vgpr7
	s_and_saveexec_b64 s[34:35], vcc
	s_cbranch_execz .LBB96_178
; %bb.168:                              ;   in Loop: Header=BB96_12 Depth=1
	s_mov_b64 s[36:37], 0
	v_mov_b32_e32 v8, v31
	v_mov_b32_e32 v9, v0
                                        ; implicit-def: $sgpr14_sgpr15
	s_branch .LBB96_170
.LBB96_169:                             ;   in Loop: Header=BB96_170 Depth=2
	s_or_b64 exec, exec, s[38:39]
	s_waitcnt lgkmcnt(0)
	s_barrier
	ds_read_b128 v[4:7], v19 offset:3072
	v_add_u32_e32 v9, s57, v9
	v_cmp_le_u32_e32 vcc, s3, v9
	v_add_u32_e32 v8, s1, v8
	s_waitcnt lgkmcnt(0)
	v_readfirstlane_b32 s9, v5
	v_readfirstlane_b32 s8, v4
	s_cmp_lg_u64 s[8:9], 0
	s_cselect_b64 s[8:9], -1, 0
	s_or_b64 s[38:39], vcc, s[8:9]
	s_and_b64 s[38:39], exec, s[38:39]
	s_or_b64 s[36:37], s[38:39], s[36:37]
	s_andn2_b64 s[14:15], s[14:15], exec
	s_and_b64 s[8:9], s[8:9], exec
	s_or_b64 s[14:15], s[14:15], s[8:9]
	s_barrier
	s_andn2_b64 exec, exec, s[36:37]
	s_cbranch_execz .LBB96_177
.LBB96_170:                             ;   Parent Loop BB96_12 Depth=1
                                        ; =>  This Inner Loop Header: Depth=2
	v_cmp_gt_u32_e32 vcc, s2, v9
	s_waitcnt vmcnt(0)
	v_pk_mov_b32 v[4:5], 0, 0
	s_and_saveexec_b64 s[38:39], vcc
	s_cbranch_execz .LBB96_172
; %bb.171:                              ;   in Loop: Header=BB96_170 Depth=2
	ds_read_b64 v[4:5], v8
.LBB96_172:                             ;   in Loop: Header=BB96_170 Depth=2
	s_or_b64 exec, exec, s[38:39]
	s_and_saveexec_b64 s[38:39], vcc
	s_cbranch_execz .LBB96_169
; %bb.173:                              ;   in Loop: Header=BB96_170 Depth=2
	s_waitcnt lgkmcnt(0)
	v_xor_b32_e32 v3, 0x80000000, v5
	v_and_b32_e32 v7, s61, v3
	v_and_b32_e32 v6, s60, v4
	v_cmp_eq_u64_e32 vcc, s[62:63], v[6:7]
	s_and_b64 exec, exec, vcc
	s_cbranch_execz .LBB96_169
; %bb.174:                              ;   in Loop: Header=BB96_170 Depth=2
	v_mov_b32_e32 v3, v19
	ds_write_b128 v19, v[2:5] offset:3072
	s_branch .LBB96_169
.LBB96_175:                             ;   in Loop: Header=BB96_12 Depth=1
                                        ; implicit-def: $sgpr34_sgpr35
                                        ; implicit-def: $sgpr38_sgpr39
                                        ; implicit-def: $sgpr36_sgpr37
	s_branch .LBB96_189
.LBB96_176:                             ;   in Loop: Header=BB96_12 Depth=1
	s_mov_b64 s[34:35], -1
	s_mov_b64 s[14:15], 0
                                        ; implicit-def: $sgpr36_sgpr37
                                        ; implicit-def: $vgpr6_vgpr7
	s_mov_b64 s[38:39], s[34:35]
	s_cbranch_execnz .LBB96_179
	s_branch .LBB96_189
.LBB96_177:                             ;   in Loop: Header=BB96_12 Depth=1
	s_or_b64 exec, exec, s[36:37]
	s_and_b64 s[14:15], s[14:15], exec
.LBB96_178:                             ;   in Loop: Header=BB96_12 Depth=1
	s_or_b64 exec, exec, s[34:35]
	s_mov_b64 s[36:37], -1
	s_mov_b64 s[34:35], 0
	s_mov_b64 s[38:39], s[34:35]
	s_branch .LBB96_189
.LBB96_179:                             ;   in Loop: Header=BB96_12 Depth=1
	s_mov_b64 s[14:15], 0
                                        ; implicit-def: $vgpr6_vgpr7
	s_mov_b64 s[34:35], exec
	v_readlane_b32 s2, v54, 35
	v_readlane_b32 s3, v54, 36
	s_and_b64 s[2:3], s[34:35], s[2:3]
	s_mov_b64 exec, s[2:3]
	s_cbranch_execz .LBB96_188
; %bb.180:                              ;   in Loop: Header=BB96_12 Depth=1
	s_mov_b64 s[38:39], 0
	v_mov_b32_e32 v18, v16
	v_mov_b32_e32 v8, v0
                                        ; implicit-def: $sgpr36_sgpr37
	s_branch .LBB96_182
.LBB96_181:                             ;   in Loop: Header=BB96_182 Depth=2
	s_or_b64 exec, exec, s[14:15]
	s_waitcnt lgkmcnt(0)
	s_barrier
	s_waitcnt vmcnt(0)
	ds_read_b128 v[4:7], v19 offset:3072
	v_add_u32_e32 v8, s57, v8
	v_cmp_le_u32_e32 vcc, s68, v8
	v_add_u32_e32 v18, s73, v18
	s_waitcnt lgkmcnt(0)
	v_readfirstlane_b32 s3, v5
	v_readfirstlane_b32 s2, v4
	s_cmp_lg_u64 s[2:3], 0
	s_cselect_b64 s[2:3], -1, 0
	s_or_b64 s[8:9], vcc, s[2:3]
	s_and_b64 s[8:9], exec, s[8:9]
	s_or_b64 s[38:39], s[8:9], s[38:39]
	s_andn2_b64 s[8:9], s[36:37], exec
	s_and_b64 s[2:3], s[2:3], exec
	s_or_b64 s[36:37], s[8:9], s[2:3]
	s_barrier
	s_andn2_b64 exec, exec, s[38:39]
	s_cbranch_execz .LBB96_187
.LBB96_182:                             ;   Parent Loop BB96_12 Depth=1
                                        ; =>  This Inner Loop Header: Depth=2
	v_cmp_gt_u32_e32 vcc, s56, v8
	s_waitcnt vmcnt(0)
	v_pk_mov_b32 v[4:5], 0, 0
	s_and_saveexec_b64 s[40:41], vcc
	s_cbranch_execz .LBB96_184
; %bb.183:                              ;   in Loop: Header=BB96_182 Depth=2
	v_lshlrev_b64 v[4:5], 3, v[18:19]
	v_mov_b32_e32 v3, s33
	v_add_co_u32_e64 v4, s[14:15], s59, v4
	v_addc_co_u32_e64 v5, s[14:15], v3, v5, s[14:15]
	global_load_dwordx2 v[4:5], v[4:5], off
.LBB96_184:                             ;   in Loop: Header=BB96_182 Depth=2
	s_or_b64 exec, exec, s[40:41]
	s_and_saveexec_b64 s[14:15], vcc
	s_cbranch_execz .LBB96_181
; %bb.185:                              ;   in Loop: Header=BB96_182 Depth=2
	s_waitcnt vmcnt(0)
	v_xor_b32_e32 v3, 0x80000000, v5
	v_and_b32_e32 v7, s61, v3
	v_and_b32_e32 v6, s60, v4
	v_cmp_eq_u64_e32 vcc, s[62:63], v[6:7]
	s_and_b64 exec, exec, vcc
	s_cbranch_execz .LBB96_181
; %bb.186:                              ;   in Loop: Header=BB96_182 Depth=2
	v_mov_b32_e32 v3, v19
	ds_write_b128 v19, v[2:5] offset:3072
	s_branch .LBB96_181
.LBB96_187:                             ;   in Loop: Header=BB96_12 Depth=1
	s_or_b64 exec, exec, s[38:39]
	s_and_b64 s[14:15], s[36:37], exec
.LBB96_188:                             ;   in Loop: Header=BB96_12 Depth=1
	s_or_b64 exec, exec, s[34:35]
	s_mov_b64 s[38:39], -1
	s_mov_b64 s[34:35], 0
	s_mov_b64 s[36:37], 0
.LBB96_189:                             ;   in Loop: Header=BB96_12 Depth=1
	s_mov_b64 s[44:45], 0
                                        ; implicit-def: $sgpr54
	s_and_saveexec_b64 s[40:41], s[14:15]
	s_cbranch_execz .LBB96_244
; %bb.190:                              ;   in Loop: Header=BB96_12 Depth=1
	s_xor_b64 s[2:3], s[42:43], -1
	s_mov_b64 s[14:15], 0
	s_andn2_b64 vcc, exec, s[2:3]
	s_mov_b32 s53, 1
	s_cbranch_vccnz .LBB96_201
; %bb.191:                              ;   in Loop: Header=BB96_12 Depth=1
	s_cmp_gt_u32 s48, s46
	s_mov_b64 s[14:15], -1
                                        ; implicit-def: $sgpr54
                                        ; implicit-def: $sgpr42_sgpr43
                                        ; implicit-def: $sgpr44_sgpr45
	s_cbranch_scc1 .LBB96_197
; %bb.192:                              ;   in Loop: Header=BB96_12 Depth=1
	ds_read_b32 v3, v19 offset:4104
	s_waitcnt lgkmcnt(0)
	v_cmp_ne_u32_e32 vcc, 0, v3
	s_cbranch_vccnz .LBB96_196
; %bb.193:                              ;   in Loop: Header=BB96_12 Depth=1
	s_mov_b64 s[14:15], exec
	v_readlane_b32 s2, v54, 0
	v_readlane_b32 s3, v54, 1
	s_and_b64 s[2:3], s[14:15], s[2:3]
	s_mov_b64 exec, s[2:3]
	s_cbranch_execz .LBB96_195
; %bb.194:                              ;   in Loop: Header=BB96_12 Depth=1
	v_mov_b32_e32 v3, s46
	ds_write_b32 v19, v3 offset:4108
.LBB96_195:                             ;   in Loop: Header=BB96_12 Depth=1
	s_or_b64 exec, exec, s[14:15]
	s_waitcnt lgkmcnt(0)
	s_barrier
.LBB96_196:                             ;   in Loop: Header=BB96_12 Depth=1
	s_lshl_b64 s[2:3], 2, s47
	s_and_b64 s[8:9], s[62:63], s[28:29]
	s_or_b64 s[42:43], s[8:9], s[2:3]
	s_or_b64 s[44:45], s[60:61], s[16:17]
	s_mov_b64 s[14:15], 0
	s_mov_b32 s54, 8
.LBB96_197:                             ;   in Loop: Header=BB96_12 Depth=1
	s_andn2_b64 vcc, exec, s[14:15]
	s_cbranch_vccnz .LBB96_199
; %bb.198:                              ;   in Loop: Header=BB96_12 Depth=1
	s_sub_i32 s48, s48, s46
	s_mov_b64 s[14:15], -1
	s_mov_b32 s54, 0
	s_mov_b64 s[42:43], s[62:63]
	s_mov_b64 s[44:45], s[60:61]
.LBB96_199:                             ;   in Loop: Header=BB96_12 Depth=1
	s_mov_b32 s64, s50
	s_mov_b64 s[60:61], s[44:45]
	s_mov_b64 s[62:63], s[42:43]
	s_mov_b32 s53, s48
	s_andn2_b64 vcc, exec, s[14:15]
	s_mov_b64 s[50:51], -1
	s_cbranch_vccz .LBB96_202
.LBB96_200:                             ;   in Loop: Header=BB96_12 Depth=1
                                        ; implicit-def: $sgpr14_sgpr15
                                        ; implicit-def: $sgpr44_sgpr45
                                        ; implicit-def: $sgpr42_sgpr43
	s_branch .LBB96_243
.LBB96_201:                             ;   in Loop: Header=BB96_12 Depth=1
	s_mov_b32 s64, s50
	s_mov_b32 s54, 1
	s_andn2_b64 vcc, exec, s[14:15]
	s_mov_b64 s[50:51], -1
	s_cbranch_vccnz .LBB96_200
.LBB96_202:                             ;   in Loop: Header=BB96_12 Depth=1
	s_cmp_eq_u32 s52, 1
	s_cselect_b64 s[2:3], -1, 0
	s_cmp_eq_u32 s53, 1
	s_cselect_b64 s[8:9], -1, 0
	s_and_b64 s[28:29], s[2:3], s[8:9]
	s_mov_b64 s[46:47], -1
	s_and_b64 vcc, exec, s[28:29]
	s_cbranch_vccz .LBB96_214
; %bb.203:                              ;   in Loop: Header=BB96_12 Depth=1
	ds_read_b32 v3, v19 offset:4104
	v_readlane_b32 s6, v54, 20
	v_readlane_b32 s7, v54, 21
	s_waitcnt lgkmcnt(0)
	s_barrier
	v_readfirstlane_b32 s2, v3
	s_and_saveexec_b64 s[14:15], s[6:7]
	s_cbranch_execz .LBB96_205
; %bb.204:                              ;   in Loop: Header=BB96_12 Depth=1
	v_mov_b32_e32 v18, v19
	ds_write_b64 v32, v[18:19]
.LBB96_205:                             ;   in Loop: Header=BB96_12 Depth=1
	s_or_b64 exec, exec, s[14:15]
	s_or_b64 s[62:63], s[62:63], s[16:17]
	s_or_b64 s[60:61], s[60:61], s[16:17]
	s_cmp_eq_u32 s2, 0
	s_waitcnt lgkmcnt(0)
	s_barrier
	s_cbranch_scc1 .LBB96_215
; %bb.206:                              ;   in Loop: Header=BB96_12 Depth=1
	v_readlane_b32 s3, v54, 11
	s_add_i32 s3, s2, s3
	v_readlane_b32 s6, v54, 34
	s_mul_hi_u32 s8, s3, s6
	s_mul_i32 s8, s8, s57
	s_sub_i32 s8, s3, s8
	s_sub_i32 s9, s8, s57
	s_cmp_ge_u32 s8, s57
	s_cselect_b32 s8, s9, s8
	s_sub_i32 s9, s8, s57
	s_cmp_ge_u32 s8, s57
	s_cselect_b32 s8, s9, s8
	s_sub_i32 s3, s3, s8
	v_cmp_gt_u32_e32 vcc, s3, v0
	s_mov_b64 s[46:47], 0
                                        ; implicit-def: $vgpr6_vgpr7
	s_and_saveexec_b64 s[14:15], vcc
	s_cbranch_execz .LBB96_217
; %bb.207:                              ;   in Loop: Header=BB96_12 Depth=1
	s_mov_b64 s[44:45], 0
	v_mov_b32_e32 v8, v31
	v_mov_b32_e32 v9, v0
                                        ; implicit-def: $sgpr42_sgpr43
	s_branch .LBB96_209
.LBB96_208:                             ;   in Loop: Header=BB96_209 Depth=2
	s_or_b64 exec, exec, s[46:47]
	s_waitcnt lgkmcnt(0)
	s_barrier
	ds_read_b128 v[4:7], v19 offset:3072
	v_add_u32_e32 v9, s57, v9
	v_cmp_le_u32_e32 vcc, s3, v9
	v_add_u32_e32 v8, s1, v8
	s_waitcnt lgkmcnt(0)
	v_readfirstlane_b32 s9, v5
	v_readfirstlane_b32 s8, v4
	s_cmp_lg_u64 s[8:9], 0
	s_cselect_b64 s[8:9], -1, 0
	s_or_b64 s[46:47], vcc, s[8:9]
	s_and_b64 s[46:47], exec, s[46:47]
	s_or_b64 s[44:45], s[46:47], s[44:45]
	s_andn2_b64 s[42:43], s[42:43], exec
	s_and_b64 s[8:9], s[8:9], exec
	s_or_b64 s[42:43], s[42:43], s[8:9]
	s_barrier
	s_andn2_b64 exec, exec, s[44:45]
	s_cbranch_execz .LBB96_216
.LBB96_209:                             ;   Parent Loop BB96_12 Depth=1
                                        ; =>  This Inner Loop Header: Depth=2
	v_cmp_gt_u32_e32 vcc, s2, v9
	s_waitcnt vmcnt(0)
	v_pk_mov_b32 v[4:5], 0, 0
	s_and_saveexec_b64 s[46:47], vcc
	s_cbranch_execz .LBB96_211
; %bb.210:                              ;   in Loop: Header=BB96_209 Depth=2
	ds_read_b64 v[4:5], v8
.LBB96_211:                             ;   in Loop: Header=BB96_209 Depth=2
	s_or_b64 exec, exec, s[46:47]
	s_and_saveexec_b64 s[46:47], vcc
	s_cbranch_execz .LBB96_208
; %bb.212:                              ;   in Loop: Header=BB96_209 Depth=2
	s_waitcnt lgkmcnt(0)
	v_xor_b32_e32 v3, 0x80000000, v5
	v_and_b32_e32 v7, s61, v3
	v_and_b32_e32 v6, s60, v4
	v_cmp_eq_u64_e32 vcc, s[62:63], v[6:7]
	s_and_b64 exec, exec, vcc
	s_cbranch_execz .LBB96_208
; %bb.213:                              ;   in Loop: Header=BB96_209 Depth=2
	v_mov_b32_e32 v3, v19
	ds_write_b128 v19, v[2:5] offset:3072
	s_branch .LBB96_208
.LBB96_214:                             ;   in Loop: Header=BB96_12 Depth=1
                                        ; implicit-def: $sgpr14_sgpr15
                                        ; implicit-def: $sgpr44_sgpr45
                                        ; implicit-def: $sgpr42_sgpr43
	s_branch .LBB96_228
.LBB96_215:                             ;   in Loop: Header=BB96_12 Depth=1
	s_mov_b64 s[14:15], -1
	s_mov_b64 s[46:47], 0
                                        ; implicit-def: $sgpr42_sgpr43
                                        ; implicit-def: $vgpr6_vgpr7
	s_mov_b64 s[44:45], s[14:15]
	s_cbranch_execnz .LBB96_218
	s_branch .LBB96_228
.LBB96_216:                             ;   in Loop: Header=BB96_12 Depth=1
	s_or_b64 exec, exec, s[44:45]
	s_and_b64 s[46:47], s[42:43], exec
.LBB96_217:                             ;   in Loop: Header=BB96_12 Depth=1
	s_or_b64 exec, exec, s[14:15]
	s_mov_b64 s[42:43], -1
	s_mov_b64 s[14:15], 0
	s_mov_b64 s[44:45], s[14:15]
	s_branch .LBB96_228
.LBB96_218:                             ;   in Loop: Header=BB96_12 Depth=1
	s_mov_b64 s[46:47], 0
                                        ; implicit-def: $vgpr6_vgpr7
	s_mov_b64 s[42:43], exec
	v_readlane_b32 s2, v54, 35
	v_readlane_b32 s3, v54, 36
	s_and_b64 s[2:3], s[42:43], s[2:3]
	s_mov_b64 exec, s[2:3]
	s_cbranch_execz .LBB96_227
; %bb.219:                              ;   in Loop: Header=BB96_12 Depth=1
	v_mov_b32_e32 v18, v16
	v_mov_b32_e32 v8, v0
                                        ; implicit-def: $sgpr44_sgpr45
	s_branch .LBB96_221
.LBB96_220:                             ;   in Loop: Header=BB96_221 Depth=2
	s_or_b64 exec, exec, s[14:15]
	s_waitcnt lgkmcnt(0)
	s_barrier
	s_waitcnt vmcnt(0)
	ds_read_b128 v[4:7], v19 offset:3072
	v_add_u32_e32 v8, s57, v8
	v_cmp_le_u32_e32 vcc, s68, v8
	v_add_u32_e32 v18, s73, v18
	s_waitcnt lgkmcnt(0)
	v_readfirstlane_b32 s3, v5
	v_readfirstlane_b32 s2, v4
	s_cmp_lg_u64 s[2:3], 0
	s_cselect_b64 s[2:3], -1, 0
	s_or_b64 s[8:9], vcc, s[2:3]
	s_and_b64 s[8:9], exec, s[8:9]
	s_or_b64 s[46:47], s[8:9], s[46:47]
	s_andn2_b64 s[8:9], s[44:45], exec
	s_and_b64 s[2:3], s[2:3], exec
	s_or_b64 s[44:45], s[8:9], s[2:3]
	s_barrier
	s_andn2_b64 exec, exec, s[46:47]
	s_cbranch_execz .LBB96_226
.LBB96_221:                             ;   Parent Loop BB96_12 Depth=1
                                        ; =>  This Inner Loop Header: Depth=2
	v_cmp_gt_u32_e32 vcc, s56, v8
	s_waitcnt vmcnt(0)
	v_pk_mov_b32 v[4:5], 0, 0
	s_and_saveexec_b64 s[48:49], vcc
	s_cbranch_execz .LBB96_223
; %bb.222:                              ;   in Loop: Header=BB96_221 Depth=2
	v_lshlrev_b64 v[4:5], 3, v[18:19]
	v_mov_b32_e32 v3, s33
	v_add_co_u32_e64 v4, s[14:15], s59, v4
	v_addc_co_u32_e64 v5, s[14:15], v3, v5, s[14:15]
	global_load_dwordx2 v[4:5], v[4:5], off
.LBB96_223:                             ;   in Loop: Header=BB96_221 Depth=2
	s_or_b64 exec, exec, s[48:49]
	s_and_saveexec_b64 s[14:15], vcc
	s_cbranch_execz .LBB96_220
; %bb.224:                              ;   in Loop: Header=BB96_221 Depth=2
	s_waitcnt vmcnt(0)
	v_xor_b32_e32 v3, 0x80000000, v5
	v_and_b32_e32 v7, s61, v3
	v_and_b32_e32 v6, s60, v4
	v_cmp_eq_u64_e32 vcc, s[62:63], v[6:7]
	s_and_b64 exec, exec, vcc
	s_cbranch_execz .LBB96_220
; %bb.225:                              ;   in Loop: Header=BB96_221 Depth=2
	v_mov_b32_e32 v3, v19
	ds_write_b128 v19, v[2:5] offset:3072
	s_branch .LBB96_220
.LBB96_226:                             ;   in Loop: Header=BB96_12 Depth=1
	s_or_b64 exec, exec, s[46:47]
	s_and_b64 s[46:47], s[44:45], exec
.LBB96_227:                             ;   in Loop: Header=BB96_12 Depth=1
	s_or_b64 exec, exec, s[42:43]
	s_mov_b64 s[44:45], -1
	s_mov_b64 s[14:15], 0
	s_mov_b64 s[42:43], 0
.LBB96_228:                             ;   in Loop: Header=BB96_12 Depth=1
	s_mov_b64 s[50:51], 0
                                        ; implicit-def: $sgpr54
	s_and_saveexec_b64 s[48:49], s[46:47]
	s_cbranch_execz .LBB96_242
; %bb.229:                              ;   in Loop: Header=BB96_12 Depth=1
	s_xor_b64 s[2:3], s[28:29], -1
	s_andn2_b64 vcc, exec, s[2:3]
	s_mov_b32 s54, 1
	s_cbranch_vccnz .LBB96_236
; %bb.230:                              ;   in Loop: Header=BB96_12 Depth=1
	s_cmp_gt_u32 s53, s52
	s_cbranch_scc1 .LBB96_237
; %bb.231:                              ;   in Loop: Header=BB96_12 Depth=1
	ds_read_b32 v3, v19 offset:4104
	s_waitcnt lgkmcnt(0)
	v_cmp_ne_u32_e32 vcc, 0, v3
	s_cbranch_vccnz .LBB96_235
; %bb.232:                              ;   in Loop: Header=BB96_12 Depth=1
	s_mov_b64 s[28:29], exec
	v_readlane_b32 s2, v54, 0
	v_readlane_b32 s3, v54, 1
	s_and_b64 s[2:3], s[28:29], s[2:3]
	s_mov_b64 exec, s[2:3]
	s_cbranch_execz .LBB96_234
; %bb.233:                              ;   in Loop: Header=BB96_12 Depth=1
	v_mov_b32_e32 v3, s52
	ds_write_b32 v19, v3 offset:4108
.LBB96_234:                             ;   in Loop: Header=BB96_12 Depth=1
	s_or_b64 exec, exec, s[28:29]
	s_waitcnt lgkmcnt(0)
	s_barrier
.LBB96_235:                             ;   in Loop: Header=BB96_12 Depth=1
	s_or_b64 s[28:29], s[62:63], s[16:17]
	s_or_b64 s[16:17], s[60:61], s[16:17]
	s_mov_b64 s[46:47], 0
	s_mov_b32 s54, 8
	s_branch .LBB96_238
.LBB96_236:                             ;   in Loop: Header=BB96_12 Depth=1
	s_mov_b32 s53, 1
	s_branch .LBB96_241
.LBB96_237:                             ;   in Loop: Header=BB96_12 Depth=1
	s_mov_b64 s[46:47], -1
                                        ; implicit-def: $sgpr54
                                        ; implicit-def: $sgpr28_sgpr29
                                        ; implicit-def: $sgpr16_sgpr17
.LBB96_238:                             ;   in Loop: Header=BB96_12 Depth=1
	s_andn2_b64 vcc, exec, s[46:47]
	s_cbranch_vccnz .LBB96_240
; %bb.239:                              ;   in Loop: Header=BB96_12 Depth=1
	s_sub_i32 s53, s53, s52
	s_mov_b32 s54, 8
	s_mov_b64 s[28:29], s[62:63]
	s_mov_b64 s[16:17], s[60:61]
.LBB96_240:                             ;   in Loop: Header=BB96_12 Depth=1
	s_mov_b64 s[62:63], s[28:29]
	s_mov_b64 s[60:61], s[16:17]
.LBB96_241:                             ;   in Loop: Header=BB96_12 Depth=1
	s_mov_b64 s[50:51], exec
.LBB96_242:                             ;   in Loop: Header=BB96_12 Depth=1
	s_or_b64 exec, exec, s[48:49]
.LBB96_243:                             ;   in Loop: Header=BB96_12 Depth=1
	s_andn2_b64 s[2:3], s[34:35], exec
	s_and_b64 s[8:9], s[14:15], exec
	s_or_b64 s[34:35], s[2:3], s[8:9]
	s_andn2_b64 s[2:3], s[38:39], exec
	s_and_b64 s[8:9], s[44:45], exec
	s_or_b64 s[38:39], s[2:3], s[8:9]
	;; [unrolled: 3-line block ×3, first 2 shown]
	s_and_b64 s[44:45], s[50:51], exec
	s_mov_b32 s48, s53
	s_mov_b32 s50, s64
.LBB96_244:                             ;   in Loop: Header=BB96_12 Depth=1
	s_or_b64 exec, exec, s[40:41]
.LBB96_245:                             ;   in Loop: Header=BB96_12 Depth=1
	s_andn2_b64 s[2:3], s[24:25], exec
	s_and_b64 s[8:9], s[34:35], exec
	s_or_b64 s[24:25], s[2:3], s[8:9]
	s_andn2_b64 s[2:3], s[26:27], exec
	s_and_b64 s[8:9], s[38:39], exec
	s_or_b64 s[26:27], s[2:3], s[8:9]
	s_andn2_b64 s[2:3], s[22:23], exec
	s_and_b64 s[8:9], s[36:37], exec
	s_or_b64 s[22:23], s[2:3], s[8:9]
	s_and_b64 s[36:37], s[44:45], exec
	s_mov_b32 s39, s48
.LBB96_246:                             ;   in Loop: Header=BB96_12 Depth=1
	s_or_b64 exec, exec, s[30:31]
                                        ; implicit-def: $sgpr70
	s_and_saveexec_b64 s[2:3], s[36:37]
	s_xor_b64 s[14:15], exec, s[2:3]
	s_cbranch_execz .LBB96_10
.LBB96_247:                             ;   in Loop: Header=BB96_12 Depth=1
	s_and_b32 s2, s54, -9
	s_cmp_eq_u32 s2, 0
	s_cbranch_scc1 .LBB96_8
; %bb.248:                              ;   in Loop: Header=BB96_12 Depth=1
	s_mov_b64 s[16:17], -1
                                        ; implicit-def: $sgpr60_sgpr61
                                        ; implicit-def: $sgpr39
                                        ; implicit-def: $sgpr74
                                        ; implicit-def: $sgpr13
	s_mov_b64 s[20:21], -1
	s_branch .LBB96_9
.LBB96_249:
	s_or_b64 exec, exec, s[82:83]
	s_xor_b64 s[8:9], s[88:89], -1
	s_xor_b64 s[0:1], s[84:85], -1
	;; [unrolled: 1-line block ×3, first 2 shown]
	s_mov_b64 s[4:5], 0
	s_and_saveexec_b64 s[2:3], s[0:1]
	s_xor_b64 s[0:1], exec, s[2:3]
	s_cbranch_execnz .LBB96_254
; %bb.250:
	s_andn2_saveexec_b64 s[0:1], s[0:1]
	s_cbranch_execnz .LBB96_267
.LBB96_251:
	s_or_b64 exec, exec, s[0:1]
	s_and_saveexec_b64 s[0:1], s[4:5]
.LBB96_252:
	; divergent unreachable
.LBB96_253:
	s_endpgm
.LBB96_254:
	s_and_saveexec_b64 s[2:3], s[8:9]
	s_xor_b64 s[4:5], exec, s[2:3]
	s_cbranch_execz .LBB96_265
; %bb.255:
	s_and_saveexec_b64 s[2:3], s[6:7]
	s_xor_b64 s[6:7], exec, s[2:3]
; %bb.256:
	v_xor_b32_e32 v5, 0x80000000, v5
	v_pk_mov_b32 v[6:7], v[4:5], v[4:5] op_sel:[0,1]
; %bb.257:
	s_or_b64 exec, exec, s[6:7]
	v_readlane_b32 s18, v54, 8
	v_readlane_b32 s2, v54, 7
	s_mul_i32 s2, s2, s18
	s_mov_b32 s3, 0
	s_lshl_b64 s[2:3], s[2:3], 3
	v_readlane_b32 s6, v54, 4
	v_readlane_b32 s7, v54, 5
	s_add_u32 s2, s6, s2
	s_addc_u32 s3, s7, s3
	v_mov_b32_e32 v17, 0
	global_store_dwordx2 v17, v[6:7], s[2:3]
	s_mov_b64 s[6:7], exec
	v_readlane_b32 s2, v54, 9
	v_readlane_b32 s3, v54, 10
	s_and_b64 s[2:3], s[6:7], s[2:3]
	s_mov_b64 exec, s[2:3]
	s_cbranch_execz .LBB96_264
; %bb.258:
	s_mov_b64 s[2:3], 0
	v_mov_b32_e32 v1, s33
                                        ; implicit-def: $sgpr8_sgpr9
                                        ; implicit-def: $sgpr12_sgpr13
                                        ; implicit-def: $sgpr10_sgpr11
	s_branch .LBB96_260
.LBB96_259:                             ;   in Loop: Header=BB96_260 Depth=1
	s_or_b64 exec, exec, s[14:15]
	s_and_b64 s[14:15], exec, s[12:13]
	s_or_b64 s[2:3], s[14:15], s[2:3]
	s_andn2_b64 s[8:9], s[8:9], exec
	s_and_b64 s[14:15], s[10:11], exec
	s_or_b64 s[8:9], s[8:9], s[14:15]
	s_andn2_b64 exec, exec, s[2:3]
	s_cbranch_execz .LBB96_262
.LBB96_260:                             ; =>This Inner Loop Header: Depth=1
	v_lshlrev_b64 v[2:3], 3, v[16:17]
	v_add_co_u32_e32 v2, vcc, s59, v2
	v_addc_co_u32_e32 v3, vcc, v1, v3, vcc
	global_load_dwordx2 v[4:5], v[2:3], off
	v_mov_b32_e32 v2, v0
	s_or_b64 s[10:11], s[10:11], exec
	s_or_b64 s[12:13], s[12:13], exec
                                        ; implicit-def: $vgpr0
	s_waitcnt vmcnt(0)
	v_cmp_ne_u64_e32 vcc, v[4:5], v[6:7]
	s_and_saveexec_b64 s[14:15], vcc
	s_cbranch_execz .LBB96_259
; %bb.261:                              ;   in Loop: Header=BB96_260 Depth=1
	v_add_u32_e32 v0, s57, v2
	v_cmp_le_u32_e32 vcc, s56, v0
	s_andn2_b64 s[12:13], s[12:13], exec
	s_and_b64 s[16:17], vcc, exec
	v_add_u32_e32 v16, s73, v16
	s_andn2_b64 s[10:11], s[10:11], exec
	s_or_b64 s[12:13], s[12:13], s[16:17]
	s_branch .LBB96_259
.LBB96_262:
	s_or_b64 exec, exec, s[2:3]
	s_and_saveexec_b64 s[2:3], s[8:9]
	s_xor_b64 s[2:3], exec, s[2:3]
	s_cbranch_execz .LBB96_264
; %bb.263:
	v_readlane_b32 s2, v54, 6
	s_mul_i32 s2, s2, s18
	s_mov_b32 s3, 0
	s_lshl_b64 s[2:3], s[2:3], 3
	v_readlane_b32 s8, v54, 2
	v_readlane_b32 s9, v54, 3
	s_add_u32 s2, s8, s2
	s_addc_u32 s3, s9, s3
	v_mov_b32_e32 v3, 0
	global_store_dwordx2 v3, v[2:3], s[2:3]
.LBB96_264:
	s_or_b64 exec, exec, s[6:7]
.LBB96_265:
	s_or_saveexec_b64 s[2:3], s[4:5]
	s_mov_b64 s[4:5], 0
	s_xor_b64 exec, exec, s[2:3]
	s_cbranch_execnz .LBB96_268
.LBB96_266:
	s_or_b64 exec, exec, s[2:3]
	s_and_b64 s[4:5], s[4:5], exec
	s_andn2_saveexec_b64 s[0:1], s[0:1]
	s_cbranch_execz .LBB96_251
.LBB96_267:
	s_or_b64 s[4:5], s[4:5], exec
	s_trap 2
	s_or_b64 exec, exec, s[0:1]
	s_and_saveexec_b64 s[0:1], s[4:5]
	s_cbranch_execnz .LBB96_252
	s_branch .LBB96_253
.LBB96_268:
	s_mov_b64 s[4:5], exec
	s_trap 2
	s_branch .LBB96_266
	.section	.rodata,"a",@progbits
	.p2align	6, 0x0
	.amdhsa_kernel _ZN2at6native12_GLOBAL__N_112gatherMedianIljLi1EEEvNS_4cuda6detail10TensorInfoIT_T0_EENS5_IlS7_EENS5_IKS6_S7_EES7_S7_S7_b
		.amdhsa_group_segment_fixed_size 4120
		.amdhsa_private_segment_fixed_size 0
		.amdhsa_kernarg_size 920
		.amdhsa_user_sgpr_count 6
		.amdhsa_user_sgpr_private_segment_buffer 1
		.amdhsa_user_sgpr_dispatch_ptr 0
		.amdhsa_user_sgpr_queue_ptr 0
		.amdhsa_user_sgpr_kernarg_segment_ptr 1
		.amdhsa_user_sgpr_dispatch_id 0
		.amdhsa_user_sgpr_flat_scratch_init 0
		.amdhsa_user_sgpr_kernarg_preload_length 0
		.amdhsa_user_sgpr_kernarg_preload_offset 0
		.amdhsa_user_sgpr_private_segment_size 0
		.amdhsa_uses_dynamic_stack 0
		.amdhsa_system_sgpr_private_segment_wavefront_offset 0
		.amdhsa_system_sgpr_workgroup_id_x 1
		.amdhsa_system_sgpr_workgroup_id_y 1
		.amdhsa_system_sgpr_workgroup_id_z 1
		.amdhsa_system_sgpr_workgroup_info 0
		.amdhsa_system_vgpr_workitem_id 0
		.amdhsa_next_free_vgpr 55
		.amdhsa_next_free_sgpr 96
		.amdhsa_accum_offset 56
		.amdhsa_reserve_vcc 1
		.amdhsa_reserve_flat_scratch 0
		.amdhsa_float_round_mode_32 0
		.amdhsa_float_round_mode_16_64 0
		.amdhsa_float_denorm_mode_32 3
		.amdhsa_float_denorm_mode_16_64 3
		.amdhsa_dx10_clamp 1
		.amdhsa_ieee_mode 1
		.amdhsa_fp16_overflow 0
		.amdhsa_tg_split 0
		.amdhsa_exception_fp_ieee_invalid_op 0
		.amdhsa_exception_fp_denorm_src 0
		.amdhsa_exception_fp_ieee_div_zero 0
		.amdhsa_exception_fp_ieee_overflow 0
		.amdhsa_exception_fp_ieee_underflow 0
		.amdhsa_exception_fp_ieee_inexact 0
		.amdhsa_exception_int_div_zero 0
	.end_amdhsa_kernel
	.section	.text._ZN2at6native12_GLOBAL__N_112gatherMedianIljLi1EEEvNS_4cuda6detail10TensorInfoIT_T0_EENS5_IlS7_EENS5_IKS6_S7_EES7_S7_S7_b,"axG",@progbits,_ZN2at6native12_GLOBAL__N_112gatherMedianIljLi1EEEvNS_4cuda6detail10TensorInfoIT_T0_EENS5_IlS7_EENS5_IKS6_S7_EES7_S7_S7_b,comdat
.Lfunc_end96:
	.size	_ZN2at6native12_GLOBAL__N_112gatherMedianIljLi1EEEvNS_4cuda6detail10TensorInfoIT_T0_EENS5_IlS7_EENS5_IKS6_S7_EES7_S7_S7_b, .Lfunc_end96-_ZN2at6native12_GLOBAL__N_112gatherMedianIljLi1EEEvNS_4cuda6detail10TensorInfoIT_T0_EENS5_IlS7_EENS5_IKS6_S7_EES7_S7_S7_b
                                        ; -- End function
	.section	.AMDGPU.csdata,"",@progbits
; Kernel info:
; codeLenInByte = 10160
; NumSgprs: 100
; NumVgprs: 55
; NumAgprs: 0
; TotalNumVgprs: 55
; ScratchSize: 0
; MemoryBound: 0
; FloatMode: 240
; IeeeMode: 1
; LDSByteSize: 4120 bytes/workgroup (compile time only)
; SGPRBlocks: 12
; VGPRBlocks: 6
; NumSGPRsForWavesPerEU: 100
; NumVGPRsForWavesPerEU: 55
; AccumOffset: 56
; Occupancy: 8
; WaveLimiterHint : 1
; COMPUTE_PGM_RSRC2:SCRATCH_EN: 0
; COMPUTE_PGM_RSRC2:USER_SGPR: 6
; COMPUTE_PGM_RSRC2:TRAP_HANDLER: 0
; COMPUTE_PGM_RSRC2:TGID_X_EN: 1
; COMPUTE_PGM_RSRC2:TGID_Y_EN: 1
; COMPUTE_PGM_RSRC2:TGID_Z_EN: 1
; COMPUTE_PGM_RSRC2:TIDIG_COMP_CNT: 0
; COMPUTE_PGM_RSRC3_GFX90A:ACCUM_OFFSET: 13
; COMPUTE_PGM_RSRC3_GFX90A:TG_SPLIT: 0
	.section	.text._ZN2at6native12_GLOBAL__N_112gatherMedianIljLi2EEEvNS_4cuda6detail10TensorInfoIT_T0_EENS5_IlS7_EENS5_IKS6_S7_EES7_S7_S7_b,"axG",@progbits,_ZN2at6native12_GLOBAL__N_112gatherMedianIljLi2EEEvNS_4cuda6detail10TensorInfoIT_T0_EENS5_IlS7_EENS5_IKS6_S7_EES7_S7_S7_b,comdat
	.globl	_ZN2at6native12_GLOBAL__N_112gatherMedianIljLi2EEEvNS_4cuda6detail10TensorInfoIT_T0_EENS5_IlS7_EENS5_IKS6_S7_EES7_S7_S7_b ; -- Begin function _ZN2at6native12_GLOBAL__N_112gatherMedianIljLi2EEEvNS_4cuda6detail10TensorInfoIT_T0_EENS5_IlS7_EENS5_IKS6_S7_EES7_S7_S7_b
	.p2align	8
	.type	_ZN2at6native12_GLOBAL__N_112gatherMedianIljLi2EEEvNS_4cuda6detail10TensorInfoIT_T0_EENS5_IlS7_EENS5_IKS6_S7_EES7_S7_S7_b,@function
_ZN2at6native12_GLOBAL__N_112gatherMedianIljLi2EEEvNS_4cuda6detail10TensorInfoIT_T0_EENS5_IlS7_EENS5_IKS6_S7_EES7_S7_S7_b: ; @_ZN2at6native12_GLOBAL__N_112gatherMedianIljLi2EEEvNS_4cuda6detail10TensorInfoIT_T0_EENS5_IlS7_EENS5_IKS6_S7_EES7_S7_S7_b
; %bb.0:
	s_load_dwordx2 s[12:13], s[4:5], 0x298
	s_load_dwordx4 s[56:59], s[4:5], 0x288
	s_add_u32 s10, s4, 0x298
	s_addc_u32 s11, s5, 0
	s_waitcnt lgkmcnt(0)
	s_mul_i32 s0, s13, s8
	s_add_i32 s0, s0, s7
	s_mul_i32 s0, s0, s12
	s_add_i32 s16, s0, s6
	s_cmp_ge_u32 s16, s57
	s_cbranch_scc1 .LBB97_253
; %bb.1:
	s_load_dword s1, s[4:5], 0xc
	s_load_dword s2, s[4:5], 0xe4
	;; [unrolled: 1-line block ×3, first 2 shown]
                                        ; implicit-def: $vgpr54 : SGPR spill to VGPR lane
	v_cmp_eq_u32_e64 s[14:15], 0, v0
	s_waitcnt lgkmcnt(0)
	v_cvt_f32_u32_e32 v1, s1
	v_cvt_f32_u32_e32 v2, s2
	;; [unrolled: 1-line block ×3, first 2 shown]
	v_writelane_b32 v54, s1, 0
	v_rcp_iflag_f32_e32 v1, v1
	v_rcp_iflag_f32_e32 v2, v2
	;; [unrolled: 1-line block ×3, first 2 shown]
	s_sub_i32 s1, 0, s1
	v_mul_f32_e32 v1, 0x4f7ffffe, v1
	v_mul_f32_e32 v2, 0x4f7ffffe, v2
	v_cvt_u32_f32_e32 v1, v1
	v_cvt_u32_f32_e32 v2, v2
	v_mul_f32_e32 v3, 0x4f7ffffe, v3
	v_cvt_u32_f32_e32 v3, v3
	v_writelane_b32 v54, s2, 1
	s_sub_i32 s2, 0, s2
	v_readfirstlane_b32 s7, v1
	v_readfirstlane_b32 s13, v2
	s_mul_i32 s1, s1, s7
	s_mul_i32 s2, s2, s13
	s_mul_hi_u32 s8, s7, s1
	s_mul_hi_u32 s9, s13, s2
	s_sub_i32 s1, 0, s0
	v_readfirstlane_b32 s2, v3
	s_mul_i32 s1, s1, s2
	s_mul_hi_u32 s1, s2, s1
	s_add_i32 s1, s2, s1
	s_mov_b64 s[2:3], exec
	v_writelane_b32 v54, s14, 2
	v_writelane_b32 v54, s15, 3
	s_and_b64 s[14:15], s[2:3], s[14:15]
	s_mov_b64 exec, s[14:15]
	s_cbranch_execz .LBB97_3
; %bb.2:
	v_mov_b32_e32 v2, 0
	v_mov_b32_e32 v3, v2
	ds_write_b64 v2, v[2:3] offset:4096
.LBB97_3:
	s_or_b64 exec, exec, s[2:3]
	v_mov_b32_e32 v1, 0
	s_waitcnt lgkmcnt(0)
	s_barrier
	s_barrier
	ds_read_b64 v[2:3], v1 offset:4096
	s_add_i32 s7, s7, s8
	s_add_i32 s13, s13, s9
	s_load_dwordx2 s[8:9], s[4:5], 0x21c
	s_load_dwordx2 s[2:3], s[4:5], 0x1b0
	s_bitcmp1_b32 s59, 0
	s_cselect_b64 s[14:15], -1, 0
	s_waitcnt lgkmcnt(0)
	v_cmp_gt_i64_e32 vcc, 1, v[2:3]
	s_or_b64 s[14:15], s[14:15], vcc
	s_mul_hi_u32 s1, s16, s1
	s_andn2_b64 vcc, exec, s[14:15]
	s_mov_b32 s74, s56
	s_cbranch_vccnz .LBB97_5
; %bb.4:
	v_not_b32_e32 v1, v2
	v_not_b32_e32 v2, v3
	v_add_co_u32_e32 v1, vcc, s56, v1
	v_addc_co_u32_e32 v2, vcc, 0, v2, vcc
	v_lshrrev_b32_e32 v3, 31, v2
	v_add_co_u32_e32 v1, vcc, v1, v3
	v_addc_co_u32_e32 v2, vcc, 0, v2, vcc
	v_alignbit_b32 v1, v2, v1, 1
	v_readfirstlane_b32 s14, v1
	s_add_i32 s74, s14, 1
.LBB97_5:
	s_load_dwordx2 s[14:15], s[4:5], 0x144
                                        ; kill: killed $sgpr4 killed $sgpr5
	s_waitcnt lgkmcnt(0)
	v_writelane_b32 v54, s14, 4
	v_writelane_b32 v54, s15, 5
	s_load_dwordx2 s[14:15], s[4:5], 0xd8
	s_waitcnt lgkmcnt(0)
	v_writelane_b32 v54, s14, 6
	v_writelane_b32 v54, s15, 7
	s_load_dwordx2 s[14:15], s[4:5], 0x6c
	;; [unrolled: 4-line block ×3, first 2 shown]
	s_mul_hi_u32 s4, s16, s7
	s_waitcnt lgkmcnt(0)
	v_writelane_b32 v54, s14, 10
	v_writelane_b32 v54, s15, 11
	;; [unrolled: 1-line block ×3, first 2 shown]
	s_mul_hi_u32 s4, s16, s13
	v_writelane_b32 v54, s4, 13
	s_mov_b64 s[4:5], exec
	v_readlane_b32 s14, v54, 2
	v_readlane_b32 s15, v54, 3
	s_and_b64 s[14:15], s[4:5], s[14:15]
	s_mov_b64 exec, s[14:15]
	s_cbranch_execz .LBB97_7
; %bb.6:
	v_mov_b32_e32 v2, 0
	v_mov_b32_e32 v3, s56
	ds_write_b32 v2, v2 offset:4112
	ds_write_b64 v2, v[2:3] offset:4104
.LBB97_7:
	s_or_b64 exec, exec, s[4:5]
	s_mul_i32 s4, s1, s0
	s_sub_i32 s4, s16, s4
	s_add_i32 s5, s1, 1
	s_sub_i32 s7, s4, s0
	s_cmp_ge_u32 s4, s0
	s_cselect_b32 s1, s5, s1
	s_cselect_b32 s4, s7, s4
	s_add_i32 s5, s1, 1
	s_cmp_ge_u32 s4, s0
	s_cselect_b32 s1, s5, s1
	s_mul_i32 s0, s1, s0
	s_sub_i32 s0, s16, s0
	s_mul_i32 s0, s0, s9
	s_mul_i32 s1, s1, s8
	s_mov_b32 s50, 0
	s_waitcnt lgkmcnt(0)
	s_barrier
	s_load_dword s4, s[10:11], 0xc
	s_add_i32 s0, s1, s0
	s_mov_b32 s1, s50
	s_lshl_b64 s[0:1], s[0:1], 3
	s_add_u32 s59, s2, s0
	v_writelane_b32 v54, s16, 14
	s_addc_u32 s76, s3, s1
	v_cmp_gt_u32_e64 s[0:1], s56, v0
	v_mbcnt_lo_u32_b32 v1, -1, 0
	v_writelane_b32 v54, s0, 15
	s_waitcnt lgkmcnt(0)
	s_and_b32 s57, s4, 0xffff
	v_mbcnt_hi_u32_b32 v23, -1, v1
	v_writelane_b32 v54, s1, 16
	s_bfe_u32 s3, s4, 0xa0006
	v_cmp_gt_u32_e32 vcc, 64, v0
	v_cmp_gt_i32_e64 s[4:5], 4, v23
	s_add_i32 s0, s57, -1
	s_lshl_b32 s33, s57, 2
	s_and_b64 s[70:71], vcc, s[4:5]
	v_writelane_b32 v54, s0, 17
	s_add_i32 s0, s0, s56
	s_cmpk_gt_u32 s56, 0x180
	s_cselect_b64 s[4:5], -1, 0
	v_writelane_b32 v54, s4, 18
	s_cmp_gt_u32 s57, 63
	v_writelane_b32 v54, s5, 19
	s_cselect_b64 s[4:5], -1, 0
	s_cmp_lt_u32 s6, s12
	v_writelane_b32 v54, s4, 20
	s_cselect_b32 s1, 12, 18
	v_writelane_b32 v54, s5, 21
	s_add_u32 s4, s10, s1
	v_mov_b32_e32 v19, 0
	s_addc_u32 s5, s11, 0
	s_add_i32 s1, s3, -2
	s_lshr_b32 s2, s1, 1
	v_mul_lo_u32 v16, v0, s58
	v_mov_b32_e32 v17, v19
	s_add_i32 s2, s2, 1
	v_lshlrev_b64 v[2:3], 3, v[16:17]
	v_writelane_b32 v54, s4, 22
	s_cmpk_gt_u32 s57, 0x7f
	v_mov_b32_e32 v17, s76
	v_add_co_u32_e32 v20, vcc, s59, v2
	v_writelane_b32 v54, s5, 23
	s_cselect_b64 s[4:5], -1, 0
	v_addc_co_u32_e32 v21, vcc, v17, v3, vcc
	v_lshlrev_b64 v[2:3], v23, -1
	v_writelane_b32 v54, s4, 24
	v_not_b32_e32 v22, v2
	v_cvt_f32_u32_e32 v2, s33
	v_writelane_b32 v54, s5, 25
	v_cmp_gt_u32_e64 s[6:7], 2, v0
	s_and_b32 s8, s3, 0x3fe
	s_and_b32 s9, s2, 7
	v_writelane_b32 v54, s6, 26
	s_cmp_gt_u32 s1, 13
	v_writelane_b32 v54, s7, 27
	s_cselect_b64 s[10:11], -1, 0
	v_writelane_b32 v54, s10, 28
	v_rcp_iflag_f32_e32 v2, v2
	v_writelane_b32 v54, s11, 29
	s_and_b32 s1, s2, -8
	v_writelane_b32 v54, s1, 30
	s_cmp_lg_u32 s9, 0
	v_writelane_b32 v54, s9, 31
	s_cselect_b64 s[10:11], -1, 0
	v_writelane_b32 v54, s10, 32
	v_mul_f32_e32 v2, 0x4f7ffffe, v2
	v_writelane_b32 v54, s11, 33
	v_cvt_u32_f32_e32 v2, v2
	v_writelane_b32 v54, s3, 34
	s_cmp_lg_u32 s8, s3
	v_writelane_b32 v54, s8, 35
	s_cselect_b64 s[2:3], -1, 0
	v_writelane_b32 v54, s2, 36
	v_writelane_b32 v54, s3, 37
	s_sub_i32 s1, 0, s33
	v_readfirstlane_b32 s2, v2
	s_mul_i32 s1, s1, s2
	s_mul_hi_u32 s1, s2, s1
	s_add_i32 s55, s2, s1
	v_cvt_f32_u32_e32 v2, s57
	s_mul_hi_u32 s1, s56, s55
	s_mul_i32 s1, s1, s33
	s_sub_i32 s1, s56, s1
	s_sub_i32 s2, s1, s33
	v_rcp_iflag_f32_e32 v5, v2
	s_cmp_ge_u32 s1, s33
	s_cselect_b32 s1, s2, s1
	s_sub_i32 s2, s1, s33
	s_cmp_ge_u32 s1, s33
	v_mul_f32_e32 v5, 0x4f7ffffe, v5
	s_cselect_b32 s1, s2, s1
	v_cvt_u32_f32_e32 v5, v5
	v_lshlrev_b32_e32 v30, 2, v0
	s_sub_i32 s12, s56, s1
	v_cmp_gt_u32_e64 s[2:3], s12, v30
	v_writelane_b32 v54, s2, 38
	v_writelane_b32 v54, s3, 39
	s_sub_i32 s2, 0, s57
	v_readfirstlane_b32 s3, v5
	s_mul_i32 s2, s2, s3
	s_mul_hi_u32 s2, s3, s2
	s_add_i32 s2, s3, s2
	v_writelane_b32 v54, s2, 40
	s_mul_hi_u32 s2, s0, s2
	s_mul_i32 s2, s2, s57
	s_sub_i32 s2, s0, s2
	s_sub_i32 s3, s2, s57
	v_add_u32_e32 v35, s12, v0
	s_cmp_ge_u32 s2, s57
	v_lshrrev_b32_e32 v1, 4, v0
	v_mul_lo_u32 v18, v35, s58
	s_cselect_b32 s2, s3, s2
	v_and_b32_e32 v33, 60, v1
	v_not_b32_e32 v1, v3
	v_lshlrev_b64 v[2:3], 3, v[18:19]
	s_sub_i32 s3, s2, s57
	v_add_co_u32_e32 v24, vcc, s59, v2
	s_cmp_ge_u32 s2, s57
	v_mul_lo_u32 v2, s58, v30
	s_cselect_b32 s2, s3, s2
	v_add_u32_e32 v36, s58, v2
	v_or_b32_e32 v2, 2, v30
	s_sub_i32 s72, s0, s2
	v_mul_lo_u32 v37, s58, v2
	v_or_b32_e32 v2, 3, v30
	s_add_i32 s0, s57, s56
	v_mul_lo_u32 v38, s58, v2
	v_add_u32_e32 v2, s0, v0
	v_lshlrev_b32_e32 v31, 3, v0
	v_lshlrev_b32_e32 v4, 2, v23
	v_mov_b32_e32 v6, s76
	v_cmp_gt_u32_e64 s[2:3], s72, v0
	s_mul_i32 s77, s58, s57
	v_subrev_u32_e32 v2, s1, v2
	v_cmp_eq_u32_e64 s[4:5], 0, v23
	v_add_u32_e32 v32, 0xc00, v31
	v_and_b32_e32 v34, 0x100, v4
	v_cmp_gt_u32_e64 s[10:11], s56, v35
	v_addc_co_u32_e32 v25, vcc, v6, v3, vcc
	v_writelane_b32 v54, s2, 41
	s_lshl_b32 s73, s77, 2
	v_lshlrev_b32_e32 v39, 2, v16
	v_mul_lo_u32 v40, s58, v2
	v_lshlrev_b32_e32 v41, 5, v0
	s_lshl_b32 s0, s57, 5
	s_lshl_b32 s1, s57, 3
	v_or_b32_e32 v42, 0xc00, v4
	s_mov_b32 s78, 62
	s_mov_b64 s[86:87], 0
	v_pk_mov_b32 v[6:7], 0, 0
	v_mov_b32_e32 v2, 1
	v_mov_b32_e32 v43, 0xc00
	s_mov_b32 s13, 0
	s_mov_b64 s[66:67], 0
	s_mov_b64 s[64:65], 0
	v_writelane_b32 v54, s3, 42
                                        ; implicit-def: $sgpr88_sgpr89
                                        ; implicit-def: $sgpr92_sgpr93
                                        ; implicit-def: $sgpr90_sgpr91
                                        ; implicit-def: $sgpr94_sgpr95
                                        ; implicit-def: $sgpr60_sgpr61
                                        ; implicit-def: $sgpr62_sgpr63
	s_branch .LBB97_12
.LBB97_8:                               ;   in Loop: Header=BB97_12 Depth=1
	s_xor_b32 s13, s13, 1
	s_add_i32 s2, s78, -2
	s_cmp_eq_u32 s78, 0
	s_mov_b64 s[16:17], 0
	s_cselect_b64 s[20:21], -1, 0
	s_mov_b32 s78, s2
.LBB97_9:                               ;   in Loop: Header=BB97_12 Depth=1
	s_andn2_b64 s[2:3], s[24:25], exec
	s_and_b64 s[8:9], s[16:17], exec
	s_or_b64 s[24:25], s[2:3], s[8:9]
	s_andn2_b64 s[26:27], s[26:27], exec
	s_andn2_b64 s[22:23], s[22:23], exec
	s_orn2_b64 s[20:21], s[20:21], exec
	s_mov_b32 s74, s39
.LBB97_10:                              ;   in Loop: Header=BB97_12 Depth=1
	s_or_b64 exec, exec, s[14:15]
	s_andn2_b64 s[2:3], s[62:63], exec
	s_and_b64 s[8:9], s[24:25], exec
	s_or_b64 s[62:63], s[2:3], s[8:9]
	s_andn2_b64 s[2:3], s[60:61], exec
	s_and_b64 s[8:9], s[26:27], exec
	s_or_b64 s[60:61], s[2:3], s[8:9]
	;; [unrolled: 3-line block ×3, first 2 shown]
	s_orn2_b64 s[20:21], s[20:21], exec
.LBB97_11:                              ;   in Loop: Header=BB97_12 Depth=1
	s_or_b64 exec, exec, s[18:19]
	s_and_b64 s[2:3], exec, s[20:21]
	s_or_b64 s[86:87], s[2:3], s[86:87]
	s_andn2_b64 s[2:3], s[90:91], exec
	s_and_b64 s[8:9], s[62:63], exec
	s_or_b64 s[90:91], s[2:3], s[8:9]
	s_andn2_b64 s[2:3], s[92:93], exec
	s_and_b64 s[8:9], s[60:61], exec
	s_or_b64 s[92:93], s[2:3], s[8:9]
	s_andn2_b64 s[2:3], s[88:89], exec
	s_and_b64 s[8:9], s[94:95], exec
	s_waitcnt vmcnt(0)
	v_pk_mov_b32 v[4:5], s[66:67], s[66:67] op_sel:[0,1]
	s_or_b64 s[88:89], s[2:3], s[8:9]
	s_andn2_b64 exec, exec, s[86:87]
	s_cbranch_execz .LBB97_249
.LBB97_12:                              ; =>This Loop Header: Depth=1
                                        ;     Child Loop BB97_20 Depth 2
                                        ;     Child Loop BB97_38 Depth 2
	;; [unrolled: 1-line block ×17, first 2 shown]
	ds_read_b64 v[4:5], v19 offset:4104
	s_waitcnt lgkmcnt(0)
	v_readfirstlane_b32 s69, v4
	s_cmp_lg_u32 s69, 0
	s_cbranch_scc1 .LBB97_45
; %bb.13:                               ;   in Loop: Header=BB97_12 Depth=1
	v_readlane_b32 s2, v54, 18
	v_readlane_b32 s3, v54, 19
	s_and_b64 vcc, exec, s[2:3]
	s_cbranch_vccz .LBB97_28
; %bb.14:                               ;   in Loop: Header=BB97_12 Depth=1
	s_movk_i32 s2, 0x181
	v_cmp_gt_u32_e32 vcc, s2, v5
	s_mov_b64 s[18:19], 0
	s_mov_b64 s[14:15], 0
	s_cbranch_vccz .LBB97_29
; %bb.15:                               ;   in Loop: Header=BB97_12 Depth=1
	v_pk_mov_b32 v[4:5], 0, 0
	s_mov_b64 s[14:15], exec
	v_readlane_b32 s2, v54, 15
	v_readlane_b32 s3, v54, 16
	s_and_b64 s[2:3], s[14:15], s[2:3]
	s_mov_b64 exec, s[2:3]
	s_cbranch_execz .LBB97_17
; %bb.16:                               ;   in Loop: Header=BB97_12 Depth=1
	global_load_dwordx2 v[4:5], v[20:21], off
.LBB97_17:                              ;   in Loop: Header=BB97_12 Depth=1
	s_or_b64 exec, exec, s[14:15]
	s_mov_b64 s[20:21], exec
	v_readlane_b32 s2, v54, 15
	v_readlane_b32 s3, v54, 16
	s_and_b64 s[2:3], s[20:21], s[2:3]
	s_mov_b64 exec, s[2:3]
	s_cbranch_execz .LBB97_30
; %bb.18:                               ;   in Loop: Header=BB97_12 Depth=1
	v_readlane_b32 s2, v54, 22
	v_readlane_b32 s3, v54, 23
	s_mov_b64 s[22:23], 0
	v_mov_b32_e32 v11, v0
	s_nop 2
	global_load_ushort v3, v19, s[2:3]
	s_waitcnt vmcnt(0)
	v_add_u32_e32 v8, v0, v3
	v_mul_lo_u32 v10, s58, v3
	v_mul_lo_u32 v18, s58, v8
	s_branch .LBB97_20
.LBB97_19:                              ;   in Loop: Header=BB97_20 Depth=2
	s_or_b64 exec, exec, s[16:17]
	v_add_u32_e32 v18, v18, v10
	s_waitcnt vmcnt(0)
	v_pk_mov_b32 v[4:5], v[8:9], v[8:9] op_sel:[0,1]
	s_andn2_b64 exec, exec, s[22:23]
	s_cbranch_execz .LBB97_30
.LBB97_20:                              ;   Parent Loop BB97_12 Depth=1
                                        ; =>  This Inner Loop Header: Depth=2
	v_add_u32_e32 v11, v11, v3
	v_cmp_gt_u32_e64 s[14:15], s56, v11
	v_cmp_le_u32_e32 vcc, s56, v11
	v_pk_mov_b32 v[8:9], 0, 0
	s_and_saveexec_b64 s[16:17], s[14:15]
	s_cbranch_execz .LBB97_22
; %bb.21:                               ;   in Loop: Header=BB97_20 Depth=2
	v_lshlrev_b64 v[8:9], 3, v[18:19]
	v_add_co_u32_e64 v8, s[14:15], s59, v8
	v_addc_co_u32_e64 v9, s[14:15], v17, v9, s[14:15]
	global_load_dwordx2 v[8:9], v[8:9], off
.LBB97_22:                              ;   in Loop: Header=BB97_20 Depth=2
	s_or_b64 exec, exec, s[16:17]
	s_waitcnt lgkmcnt(0)
	v_xor_b32_e32 v12, 0x80000000, v5
	v_and_b32_e32 v13, s65, v12
	v_and_b32_e32 v12, s64, v4
	v_cmp_eq_u64_e64 s[14:15], s[66:67], v[12:13]
	s_cmp_lg_u64 s[14:15], 0
	s_cselect_b64 s[2:3], -1, 0
	s_and_b64 s[2:3], s[4:5], s[2:3]
	v_mov_b32_e32 v12, 0
	s_and_saveexec_b64 s[24:25], s[2:3]
	s_cbranch_execz .LBB97_26
; %bb.23:                               ;   in Loop: Header=BB97_20 Depth=2
	s_mov_b64 s[28:29], exec
	v_mbcnt_lo_u32_b32 v12, s28, 0
	v_mbcnt_hi_u32_b32 v12, s29, v12
	s_bcnt1_i32_b64 s2, s[14:15]
	v_cmp_eq_u32_e64 s[16:17], 0, v12
                                        ; implicit-def: $vgpr13
	s_and_saveexec_b64 s[26:27], s[16:17]
	s_cbranch_execz .LBB97_25
; %bb.24:                               ;   in Loop: Header=BB97_20 Depth=2
	s_bcnt1_i32_b64 s3, s[28:29]
	s_mul_i32 s3, s2, s3
	v_mov_b32_e32 v13, s3
	ds_add_rtn_u32 v13, v19, v13 offset:4112
.LBB97_25:                              ;   in Loop: Header=BB97_20 Depth=2
	s_or_b64 exec, exec, s[26:27]
	s_waitcnt lgkmcnt(0)
	v_readfirstlane_b32 s3, v13
	v_mov_b32_e32 v13, s3
	v_mad_u32_u24 v12, s2, v12, v13
.LBB97_26:                              ;   in Loop: Header=BB97_20 Depth=2
	s_or_b64 exec, exec, s[24:25]
	ds_bpermute_b32 v12, v34, v12
	s_and_b64 s[2:3], exec, vcc
	s_or_b64 s[22:23], s[2:3], s[22:23]
	s_and_saveexec_b64 s[16:17], s[14:15]
	s_cbranch_execz .LBB97_19
; %bb.27:                               ;   in Loop: Header=BB97_20 Depth=2
	v_and_b32_e32 v14, s14, v22
	v_and_b32_e32 v13, s15, v1
	v_bcnt_u32_b32 v14, v14, 0
	v_bcnt_u32_b32 v13, v13, v14
	v_lshlrev_b32_e32 v13, 3, v13
	s_waitcnt lgkmcnt(0)
	v_lshl_add_u32 v12, v12, 3, v13
	ds_write_b64 v12, v[4:5]
	s_branch .LBB97_19
.LBB97_28:                              ;   in Loop: Header=BB97_12 Depth=1
	s_mov_b64 s[14:15], 0
                                        ; implicit-def: $sgpr69
	s_cbranch_execnz .LBB97_33
	s_branch .LBB97_43
.LBB97_29:                              ;   in Loop: Header=BB97_12 Depth=1
	s_mov_b32 s69, 0
	s_and_b64 vcc, exec, s[18:19]
	s_cbranch_vccnz .LBB97_33
	s_branch .LBB97_43
.LBB97_30:                              ;   in Loop: Header=BB97_12 Depth=1
	s_or_b64 exec, exec, s[20:21]
	s_waitcnt lgkmcnt(0)
	s_barrier
	s_mov_b64 s[14:15], exec
	v_readlane_b32 s2, v54, 2
	v_readlane_b32 s3, v54, 3
	s_and_b64 s[2:3], s[14:15], s[2:3]
	s_mov_b64 exec, s[2:3]
	s_cbranch_execz .LBB97_32
; %bb.31:                               ;   in Loop: Header=BB97_12 Depth=1
	ds_read_b32 v3, v19 offset:4112
	s_waitcnt lgkmcnt(0)
	ds_write_b32 v19, v3 offset:4104
.LBB97_32:                              ;   in Loop: Header=BB97_12 Depth=1
	s_or_b64 exec, exec, s[14:15]
	s_waitcnt lgkmcnt(0)
	s_barrier
	s_mov_b64 s[14:15], -1
	s_mov_b32 s69, 0
	s_and_b64 vcc, exec, s[18:19]
	s_cbranch_vccz .LBB97_43
.LBB97_33:                              ;   in Loop: Header=BB97_12 Depth=1
	s_waitcnt vmcnt(0)
	v_pk_mov_b32 v[4:5], 0, 0
	s_mov_b64 s[14:15], exec
	v_readlane_b32 s2, v54, 15
	v_readlane_b32 s3, v54, 16
	s_and_b64 s[2:3], s[14:15], s[2:3]
	s_mov_b64 exec, s[2:3]
	s_cbranch_execz .LBB97_35
; %bb.34:                               ;   in Loop: Header=BB97_12 Depth=1
	global_load_dwordx2 v[4:5], v[20:21], off
.LBB97_35:                              ;   in Loop: Header=BB97_12 Depth=1
	s_or_b64 exec, exec, s[14:15]
	s_mov_b64 s[16:17], exec
	v_readlane_b32 s2, v54, 15
	v_readlane_b32 s3, v54, 16
	s_and_b64 s[2:3], s[16:17], s[2:3]
	s_mov_b64 exec, s[2:3]
	s_cbranch_execz .LBB97_40
; %bb.36:                               ;   in Loop: Header=BB97_12 Depth=1
	v_readlane_b32 s2, v54, 22
	v_readlane_b32 s3, v54, 23
	s_mov_b64 s[18:19], 0
	v_mov_b32_e32 v10, v31
	v_mov_b32_e32 v13, v0
	s_nop 1
	global_load_ushort v3, v19, s[2:3]
	s_waitcnt vmcnt(0)
	v_add_u32_e32 v8, v0, v3
	v_lshlrev_b32_e32 v11, 3, v3
	v_mul_lo_u32 v12, s58, v3
	v_mul_lo_u32 v18, s58, v8
	s_branch .LBB97_38
.LBB97_37:                              ;   in Loop: Header=BB97_38 Depth=2
	s_or_b64 exec, exec, s[20:21]
	s_and_b64 s[2:3], exec, vcc
	s_or_b64 s[18:19], s[2:3], s[18:19]
	ds_write_b64 v10, v[4:5]
	v_add_u32_e32 v10, v10, v11
	v_add_u32_e32 v18, v18, v12
	s_waitcnt vmcnt(0)
	v_pk_mov_b32 v[4:5], v[8:9], v[8:9] op_sel:[0,1]
	s_andn2_b64 exec, exec, s[18:19]
	s_cbranch_execz .LBB97_40
.LBB97_38:                              ;   Parent Loop BB97_12 Depth=1
                                        ; =>  This Inner Loop Header: Depth=2
	v_add_u32_e32 v13, v13, v3
	v_cmp_gt_u32_e64 s[14:15], s56, v13
	v_cmp_le_u32_e32 vcc, s56, v13
	v_pk_mov_b32 v[8:9], 0, 0
	s_and_saveexec_b64 s[20:21], s[14:15]
	s_cbranch_execz .LBB97_37
; %bb.39:                               ;   in Loop: Header=BB97_38 Depth=2
	v_lshlrev_b64 v[8:9], 3, v[18:19]
	v_mov_b32_e32 v14, s76
	v_add_co_u32_e64 v8, s[14:15], s59, v8
	v_addc_co_u32_e64 v9, s[14:15], v14, v9, s[14:15]
	global_load_dwordx2 v[8:9], v[8:9], off
	s_branch .LBB97_37
.LBB97_40:                              ;   in Loop: Header=BB97_12 Depth=1
	s_or_b64 exec, exec, s[16:17]
	s_waitcnt lgkmcnt(0)
	s_barrier
	s_mov_b64 s[14:15], exec
	v_readlane_b32 s2, v54, 2
	v_readlane_b32 s3, v54, 3
	s_and_b64 s[2:3], s[14:15], s[2:3]
	s_mov_b64 exec, s[2:3]
	s_cbranch_execz .LBB97_42
; %bb.41:                               ;   in Loop: Header=BB97_12 Depth=1
	v_mov_b32_e32 v3, s56
	ds_write_b32 v19, v3 offset:4104
.LBB97_42:                              ;   in Loop: Header=BB97_12 Depth=1
	s_or_b64 exec, exec, s[14:15]
	s_mov_b64 s[14:15], -1
	s_waitcnt lgkmcnt(0)
	s_barrier
                                        ; implicit-def: $sgpr69
.LBB97_43:                              ;   in Loop: Header=BB97_12 Depth=1
	s_and_b64 vcc, exec, s[14:15]
	s_cbranch_vccz .LBB97_45
; %bb.44:                               ;   in Loop: Header=BB97_12 Depth=1
	ds_read_b32 v3, v19 offset:4104
	s_waitcnt lgkmcnt(0)
	v_readfirstlane_b32 s69, v3
.LBB97_45:                              ;   in Loop: Header=BB97_12 Depth=1
	s_cmp_lt_i32 s69, 1
	s_cbranch_scc0 .LBB97_57
; %bb.46:                               ;   in Loop: Header=BB97_12 Depth=1
	v_mov_b32_e32 v8, 0
	s_mov_b32 s48, 0
	v_mov_b32_e32 v9, 0
	v_mov_b32_e32 v10, v8
	;; [unrolled: 1-line block ×3, first 2 shown]
	s_mov_b64 s[44:45], exec
	v_readlane_b32 s2, v54, 38
	v_readlane_b32 s3, v54, 39
	s_and_b64 s[2:3], s[44:45], s[2:3]
	s_mov_b64 exec, s[2:3]
	s_cbranch_execz .LBB97_50
; %bb.47:                               ;   in Loop: Header=BB97_12 Depth=1
	s_mov_b32 s54, s50
	s_and_b32 s49, s78, 0xfe
	s_mov_b64 s[46:47], 0
	s_mov_b32 s50, 0
	s_mov_b32 s51, 0
	;; [unrolled: 1-line block ×4, first 2 shown]
	v_mov_b32_e32 v3, v30
.LBB97_48:                              ;   Parent Loop BB97_12 Depth=1
                                        ; =>  This Inner Loop Header: Depth=2
	v_add_u32_e32 v18, s48, v39
	v_lshlrev_b64 v[12:13], 3, v[18:19]
	s_waitcnt vmcnt(0)
	v_mov_b32_e32 v4, s76
	v_add_u32_e32 v18, s48, v36
	v_add_co_u32_e64 v12, s[14:15], s59, v12
	v_lshlrev_b64 v[14:15], 3, v[18:19]
	v_addc_co_u32_e64 v13, s[14:15], v4, v13, s[14:15]
	v_add_u32_e32 v18, s48, v37
	v_add_co_u32_e64 v14, s[14:15], s59, v14
	v_lshlrev_b64 v[26:27], 3, v[18:19]
	v_addc_co_u32_e64 v15, s[14:15], v4, v15, s[14:15]
	global_load_dwordx2 v[12:13], v[12:13], off
	v_add_u32_e32 v18, s48, v38
	global_load_dwordx2 v[14:15], v[14:15], off
	v_add_co_u32_e64 v26, s[14:15], s59, v26
	v_lshlrev_b64 v[28:29], 3, v[18:19]
	v_addc_co_u32_e64 v27, s[14:15], v4, v27, s[14:15]
	global_load_dwordx2 v[26:27], v[26:27], off
	v_add_co_u32_e64 v28, s[14:15], s59, v28
	v_addc_co_u32_e64 v29, s[14:15], v4, v29, s[14:15]
	global_load_dwordx2 v[28:29], v[28:29], off
	v_mov_b32_e32 v11, v19
	v_mov_b32_e32 v9, v19
	;; [unrolled: 1-line block ×3, first 2 shown]
	v_add_u32_e32 v3, s33, v3
	v_cmp_le_u32_e32 vcc, s12, v3
	s_add_i32 s48, s48, s73
	s_waitcnt vmcnt(3)
	v_xor_b32_e32 v13, 0x80000000, v13
	v_and_b32_e32 v44, s64, v12
	v_and_b32_e32 v45, s65, v13
	v_lshrrev_b64 v[12:13], s49, v[12:13]
	s_waitcnt vmcnt(2)
	v_xor_b32_e32 v15, 0x80000000, v15
	v_and_b32_e32 v18, 3, v12
	v_cmp_eq_u64_e64 s[14:15], s[66:67], v[44:45]
	v_lshrrev_b64 v[12:13], s49, v[14:15]
	v_cmp_eq_u64_e64 s[18:19], 0, v[18:19]
	s_waitcnt vmcnt(1)
	v_xor_b32_e32 v27, 0x80000000, v27
	v_and_b32_e32 v10, 3, v12
	v_cmp_eq_u64_e64 s[20:21], 1, v[18:19]
	s_and_b64 s[2:3], s[14:15], s[18:19]
	s_waitcnt vmcnt(0)
	v_xor_b32_e32 v29, 0x80000000, v29
	v_lshrrev_b64 v[12:13], s49, v[26:27]
	v_cmp_eq_u64_e64 s[22:23], 2, v[18:19]
	v_cmp_eq_u64_e64 s[28:29], 0, v[10:11]
	v_cmp_eq_u64_e64 s[30:31], 1, v[10:11]
	v_cmp_eq_u64_e64 s[34:35], 2, v[10:11]
	v_cmp_eq_u64_e64 s[36:37], 3, v[10:11]
	v_cndmask_b32_e64 v10, 0, 1, s[2:3]
	s_and_b64 s[2:3], s[14:15], s[20:21]
	v_and_b32_e32 v46, s64, v14
	v_and_b32_e32 v47, s65, v15
	v_cmp_eq_u64_e64 s[24:25], 3, v[18:19]
	v_and_b32_e32 v8, 3, v12
	v_lshrrev_b64 v[12:13], s49, v[28:29]
	v_cndmask_b32_e64 v11, 0, 1, s[2:3]
	s_and_b64 s[2:3], s[14:15], s[22:23]
	v_cmp_eq_u64_e64 s[16:17], s[66:67], v[46:47]
	v_cndmask_b32_e64 v13, 0, 1, s[2:3]
	s_and_b64 s[2:3], s[14:15], s[24:25]
	v_cndmask_b32_e64 v18, 0, 1, s[2:3]
	s_and_b64 s[2:3], s[16:17], s[28:29]
	v_cmp_eq_u64_e64 s[18:19], 0, v[8:9]
	v_cmp_eq_u64_e64 s[20:21], 1, v[8:9]
	;; [unrolled: 1-line block ×4, first 2 shown]
	v_cndmask_b32_e64 v8, 0, 1, s[2:3]
	s_and_b64 s[2:3], s[16:17], s[30:31]
	v_and_b32_e32 v44, s64, v26
	v_and_b32_e32 v45, s65, v27
	v_cndmask_b32_e64 v9, 0, 1, s[2:3]
	s_and_b64 s[2:3], s[16:17], s[34:35]
	v_cmp_eq_u64_e64 s[26:27], s[66:67], v[44:45]
	v_cmp_ne_u32_e64 s[38:39], 0, v10
	v_cndmask_b32_e64 v10, 0, 1, s[2:3]
	s_and_b64 s[2:3], s[16:17], s[36:37]
	v_and_b32_e32 v4, 3, v12
	v_cmp_ne_u32_e64 s[28:29], 0, v11
	v_cndmask_b32_e64 v11, 0, 1, s[2:3]
	s_and_b64 s[2:3], s[26:27], s[18:19]
	v_cmp_eq_u64_e64 s[16:17], 0, v[4:5]
	v_cmp_eq_u64_e64 s[36:37], 1, v[4:5]
	v_cmp_eq_u64_e64 s[40:41], 2, v[4:5]
	v_cmp_eq_u64_e64 s[42:43], 3, v[4:5]
	v_cndmask_b32_e64 v4, 0, 1, s[2:3]
	s_and_b64 s[2:3], s[26:27], s[20:21]
	v_and_b32_e32 v14, s64, v28
	v_and_b32_e32 v15, s65, v29
	v_cndmask_b32_e64 v5, 0, 1, s[2:3]
	s_and_b64 s[2:3], s[26:27], s[22:23]
	v_cmp_eq_u64_e64 s[14:15], s[66:67], v[14:15]
	s_bcnt1_i32_b64 s8, s[38:39]
	v_cmp_ne_u32_e64 s[38:39], 0, v8
	v_cndmask_b32_e64 v8, 0, 1, s[2:3]
	s_and_b64 s[2:3], s[26:27], s[24:25]
	v_cmp_ne_u32_e64 s[18:19], 0, v9
	v_cndmask_b32_e64 v9, 0, 1, s[2:3]
	s_and_b64 s[2:3], s[14:15], s[16:17]
	;; [unrolled: 3-line block ×3, first 2 shown]
	v_cmp_ne_u32_e64 s[30:31], 0, v13
	v_cmp_ne_u32_e64 s[34:35], 0, v18
	;; [unrolled: 1-line block ×3, first 2 shown]
	v_cndmask_b32_e64 v5, 0, 1, s[2:3]
	s_and_b64 s[2:3], s[14:15], s[40:41]
	s_bcnt1_i32_b64 s9, s[28:29]
	s_bcnt1_i32_b64 s28, s[30:31]
	v_cmp_ne_u32_e64 s[20:21], 0, v10
	s_bcnt1_i32_b64 s29, s[34:35]
	v_cmp_ne_u32_e64 s[22:23], 0, v11
	;; [unrolled: 2-line block ×3, first 2 shown]
	v_cndmask_b32_e64 v8, 0, 1, s[2:3]
	s_and_b64 s[2:3], s[14:15], s[42:43]
	s_bcnt1_i32_b64 s26, s[38:39]
	s_add_i32 s8, s53, s8
	s_add_i32 s9, s52, s9
	s_bcnt1_i32_b64 s30, s[20:21]
	s_add_i32 s28, s51, s28
	s_bcnt1_i32_b64 s22, s[22:23]
	v_cmp_ne_u32_e64 s[20:21], 0, v9
	v_cndmask_b32_e64 v9, 0, 1, s[2:3]
	s_add_i32 s2, s50, s29
	s_bcnt1_i32_b64 s3, s[24:25]
	v_cmp_ne_u32_e64 s[14:15], 0, v4
	s_add_i32 s8, s8, s26
	s_bcnt1_i32_b64 s23, s[16:17]
	v_cmp_ne_u32_e64 s[16:17], 0, v5
	;; [unrolled: 3-line block ×4, first 2 shown]
	s_add_i32 s2, s2, s22
	s_bcnt1_i32_b64 s14, s[14:15]
	s_add_i32 s3, s8, s3
	s_bcnt1_i32_b64 s8, s[16:17]
	;; [unrolled: 2-line block ×4, first 2 shown]
	s_add_i32 s2, s2, s26
	s_add_i32 s53, s3, s14
	;; [unrolled: 1-line block ×5, first 2 shown]
	s_or_b64 s[46:47], vcc, s[46:47]
	v_mov_b32_e32 v8, s53
	v_mov_b32_e32 v9, s52
	;; [unrolled: 1-line block ×4, first 2 shown]
	s_andn2_b64 exec, exec, s[46:47]
	s_cbranch_execnz .LBB97_48
; %bb.49:                               ;   in Loop: Header=BB97_12 Depth=1
	s_or_b64 exec, exec, s[46:47]
	s_mov_b32 s50, s54
.LBB97_50:                              ;   in Loop: Header=BB97_12 Depth=1
	s_or_b64 exec, exec, s[44:45]
	v_pk_mov_b32 v[12:13], 0, 0
	s_and_saveexec_b64 s[14:15], s[10:11]
	s_cbranch_execz .LBB97_52
; %bb.51:                               ;   in Loop: Header=BB97_12 Depth=1
	global_load_dwordx2 v[12:13], v[24:25], off
.LBB97_52:                              ;   in Loop: Header=BB97_12 Depth=1
	s_or_b64 exec, exec, s[14:15]
	s_mov_b64 s[16:17], 0
	s_mov_b64 s[80:81], 0
	s_and_saveexec_b64 s[18:19], s[10:11]
	s_cbranch_execz .LBB97_59
; %bb.53:                               ;   in Loop: Header=BB97_12 Depth=1
	s_and_b32 s2, s78, 0xfe
	s_mov_b64 s[20:21], 0
	s_waitcnt vmcnt(0)
	v_mov_b32_e32 v4, v40
	v_mov_b32_e32 v3, v35
	s_branch .LBB97_55
.LBB97_54:                              ;   in Loop: Header=BB97_55 Depth=2
	s_or_b64 exec, exec, s[22:23]
	v_xor_b32_e32 v13, 0x80000000, v13
	v_and_b32_e32 v27, s65, v13
	v_and_b32_e32 v26, s64, v12
	v_lshrrev_b64 v[12:13], s2, v[12:13]
	s_and_b64 s[8:9], exec, vcc
	v_and_b32_e32 v18, 3, v12
	s_or_b64 s[20:21], s[8:9], s[20:21]
	v_cmp_eq_u64_e32 vcc, s[66:67], v[26:27]
	v_cmp_eq_u64_e64 s[14:15], 0, v[18:19]
	s_and_b64 s[8:9], vcc, s[14:15]
	v_cndmask_b32_e64 v5, 0, 1, s[8:9]
	v_cmp_ne_u32_e64 s[14:15], 0, v5
	s_bcnt1_i32_b64 s3, s[14:15]
	v_cmp_eq_u64_e64 s[14:15], 1, v[18:19]
	s_and_b64 s[8:9], vcc, s[14:15]
	v_cndmask_b32_e64 v5, 0, 1, s[8:9]
	v_cmp_ne_u32_e64 s[14:15], 0, v5
	v_add_u32_e32 v8, s3, v8
	s_bcnt1_i32_b64 s3, s[14:15]
	v_cmp_eq_u64_e64 s[14:15], 2, v[18:19]
	s_and_b64 s[8:9], vcc, s[14:15]
	v_cndmask_b32_e64 v5, 0, 1, s[8:9]
	v_cmp_ne_u32_e64 s[14:15], 0, v5
	v_add_u32_e32 v9, s3, v9
	s_bcnt1_i32_b64 s3, s[14:15]
	v_cmp_eq_u64_e64 s[14:15], 3, v[18:19]
	s_and_b64 s[8:9], vcc, s[14:15]
	v_cndmask_b32_e64 v5, 0, 1, s[8:9]
	v_cmp_ne_u32_e32 vcc, 0, v5
	v_add_u32_e32 v10, s3, v10
	s_bcnt1_i32_b64 s3, vcc
	v_add_u32_e32 v11, s3, v11
	v_add_u32_e32 v4, s77, v4
	s_waitcnt vmcnt(0)
	v_pk_mov_b32 v[12:13], v[14:15], v[14:15] op_sel:[0,1]
	s_andn2_b64 exec, exec, s[20:21]
	s_cbranch_execz .LBB97_58
.LBB97_55:                              ;   Parent Loop BB97_12 Depth=1
                                        ; =>  This Inner Loop Header: Depth=2
	v_add_u32_e32 v3, s57, v3
	v_cmp_gt_u32_e64 s[14:15], s56, v3
	v_cmp_le_u32_e32 vcc, s56, v3
	v_pk_mov_b32 v[14:15], 0, 0
	s_and_saveexec_b64 s[22:23], s[14:15]
	s_cbranch_execz .LBB97_54
; %bb.56:                               ;   in Loop: Header=BB97_55 Depth=2
	v_mov_b32_e32 v5, v19
	v_lshlrev_b64 v[14:15], 3, v[4:5]
	v_mov_b32_e32 v5, s76
	v_add_co_u32_e64 v14, s[14:15], s59, v14
	v_addc_co_u32_e64 v15, s[14:15], v5, v15, s[14:15]
	global_load_dwordx2 v[14:15], v[14:15], off
	s_branch .LBB97_54
.LBB97_57:                              ;   in Loop: Header=BB97_12 Depth=1
	s_mov_b64 s[80:81], 0
                                        ; implicit-def: $vgpr11
	s_cbranch_execnz .LBB97_60
	s_branch .LBB97_69
.LBB97_58:                              ;   in Loop: Header=BB97_12 Depth=1
	s_or_b64 exec, exec, s[20:21]
	s_mov_b64 s[80:81], exec
.LBB97_59:                              ;   in Loop: Header=BB97_12 Depth=1
	s_or_b64 exec, exec, s[18:19]
	s_and_b64 vcc, exec, s[16:17]
	s_cbranch_vccz .LBB97_69
.LBB97_60:                              ;   in Loop: Header=BB97_12 Depth=1
	s_mul_hi_u32 s2, s69, s55
	s_mul_i32 s2, s2, s33
	s_sub_i32 s2, s69, s2
	s_sub_i32 s3, s2, s33
	s_cmp_ge_u32 s2, s33
	s_cselect_b32 s2, s3, s2
	s_sub_i32 s3, s2, s33
	s_cmp_ge_u32 s2, s33
	s_cselect_b32 s2, s3, s2
	s_sub_i32 s75, s69, s2
	v_cmp_gt_u32_e32 vcc, s75, v30
	s_mov_b32 s8, 0
	v_mov_b32_e32 v8, 0
	v_mov_b32_e32 v9, 0
	;; [unrolled: 1-line block ×4, first 2 shown]
	s_and_saveexec_b64 s[82:83], vcc
	s_cbranch_execz .LBB97_64
; %bb.61:                               ;   in Loop: Header=BB97_12 Depth=1
	s_mov_b32 s6, s50
	s_mov_b32 s68, s55
	s_and_b32 s9, s78, 0xfe
	s_mov_b64 s[84:85], 0
	v_mov_b32_e32 v3, v41
	s_mov_b32 s79, 0
	s_mov_b32 s2, 0
	;; [unrolled: 1-line block ×3, first 2 shown]
	v_mov_b32_e32 v44, v30
.LBB97_62:                              ;   Parent Loop BB97_12 Depth=1
                                        ; =>  This Inner Loop Header: Depth=2
	s_waitcnt vmcnt(0)
	ds_read_b128 v[12:15], v3
	ds_read_b128 v[8:11], v3 offset:16
	v_mov_b32_e32 v5, v19
	v_mov_b32_e32 v27, v19
	;; [unrolled: 1-line block ×3, first 2 shown]
	s_waitcnt lgkmcnt(1)
	v_xor_b32_e32 v13, 0x80000000, v13
	v_xor_b32_e32 v15, 0x80000000, v15
	v_and_b32_e32 v46, s64, v12
	v_and_b32_e32 v47, s65, v13
	v_lshrrev_b64 v[12:13], s9, v[12:13]
	s_waitcnt lgkmcnt(0)
	v_xor_b32_e32 v9, 0x80000000, v9
	v_and_b32_e32 v48, s64, v14
	v_and_b32_e32 v49, s65, v15
	v_lshrrev_b64 v[14:15], s9, v[14:15]
	v_and_b32_e32 v18, 3, v12
	v_xor_b32_e32 v11, 0x80000000, v11
	v_and_b32_e32 v50, s64, v8
	v_and_b32_e32 v51, s65, v9
	v_lshrrev_b64 v[8:9], s9, v[8:9]
	v_cmp_eq_u64_e64 s[14:15], s[66:67], v[46:47]
	v_and_b32_e32 v4, 3, v14
	v_cmp_eq_u64_e64 s[22:23], 0, v[18:19]
	v_and_b32_e32 v52, s64, v10
	v_and_b32_e32 v53, s65, v11
	v_lshrrev_b64 v[10:11], s9, v[10:11]
	v_cmp_eq_u64_e64 s[16:17], s[66:67], v[48:49]
	v_and_b32_e32 v26, 3, v8
	v_cmp_eq_u64_e64 s[24:25], 0, v[4:5]
	s_and_b64 s[22:23], s[14:15], s[22:23]
	v_cmp_eq_u64_e64 s[18:19], s[66:67], v[50:51]
	v_and_b32_e32 v28, 3, v10
	v_cmp_eq_u64_e64 s[26:27], 0, v[26:27]
	v_cmp_eq_u64_e64 s[34:35], 1, v[4:5]
	;; [unrolled: 1-line block ×4, first 2 shown]
	v_cndmask_b32_e64 v4, 0, 1, s[22:23]
	s_and_b64 s[22:23], s[16:17], s[24:25]
	v_cmp_eq_u64_e64 s[20:21], s[66:67], v[52:53]
	v_cmp_eq_u64_e64 s[28:29], 0, v[28:29]
	v_cndmask_b32_e64 v5, 0, 1, s[22:23]
	s_and_b64 s[22:23], s[18:19], s[26:27]
	v_cmp_eq_u64_e64 s[30:31], 1, v[18:19]
	v_cndmask_b32_e64 v8, 0, 1, s[22:23]
	s_and_b64 s[22:23], s[20:21], s[28:29]
	v_cndmask_b32_e64 v9, 0, 1, s[22:23]
	s_and_b64 s[22:23], s[14:15], s[30:31]
	v_cmp_eq_u64_e64 s[36:37], 1, v[26:27]
	v_cndmask_b32_e64 v10, 0, 1, s[22:23]
	s_and_b64 s[22:23], s[16:17], s[34:35]
	v_cmp_eq_u64_e64 s[38:39], 1, v[28:29]
	;; [unrolled: 3-line block ×3, first 2 shown]
	v_cmp_eq_u64_e64 s[48:49], 3, v[18:19]
	v_cndmask_b32_e64 v12, 0, 1, s[22:23]
	s_and_b64 s[22:23], s[20:21], s[38:39]
	v_cndmask_b32_e64 v13, 0, 1, s[22:23]
	s_and_b64 s[22:23], s[14:15], s[40:41]
	s_and_b64 s[14:15], s[14:15], s[48:49]
	v_cmp_eq_u64_e64 s[44:45], 2, v[26:27]
	v_cmp_eq_u64_e64 s[52:53], 3, v[26:27]
	v_cndmask_b32_e64 v14, 0, 1, s[22:23]
	s_and_b64 s[22:23], s[16:17], s[42:43]
	v_cndmask_b32_e64 v27, 0, 1, s[14:15]
	s_and_b64 s[14:15], s[16:17], s[50:51]
	v_cmp_eq_u64_e64 s[46:47], 2, v[28:29]
	v_cmp_eq_u64_e64 s[54:55], 3, v[28:29]
	v_cndmask_b32_e64 v15, 0, 1, s[22:23]
	s_and_b64 s[22:23], s[18:19], s[44:45]
	v_cndmask_b32_e64 v28, 0, 1, s[14:15]
	s_and_b64 s[14:15], s[18:19], s[52:53]
	;; [unrolled: 2-line block ×4, first 2 shown]
	v_cndmask_b32_e64 v26, 0, 1, s[22:23]
	v_cndmask_b32_e64 v45, 0, 1, s[14:15]
	v_cmp_ne_u32_e64 s[14:15], 0, v4
	v_cmp_ne_u32_e64 s[16:17], 0, v5
	;; [unrolled: 1-line block ×11, first 2 shown]
	s_bcnt1_i32_b64 s14, s[14:15]
	s_bcnt1_i32_b64 s15, s[16:17]
	;; [unrolled: 1-line block ×8, first 2 shown]
	v_cmp_ne_u32_e64 s[28:29], 0, v13
	v_cmp_ne_u32_e64 s[36:37], 0, v18
	;; [unrolled: 1-line block ×3, first 2 shown]
	s_bcnt1_i32_b64 s19, s[24:25]
	s_bcnt1_i32_b64 s23, s[34:35]
	;; [unrolled: 1-line block ×3, first 2 shown]
	s_add_i32 s3, s3, s14
	s_add_i32 s2, s2, s18
	;; [unrolled: 1-line block ×4, first 2 shown]
	v_cmp_ne_u32_e64 s[38:39], 0, v26
	v_cmp_ne_u32_e64 s[46:47], 0, v45
	s_bcnt1_i32_b64 s21, s[28:29]
	s_bcnt1_i32_b64 s24, s[36:37]
	;; [unrolled: 1-line block ×3, first 2 shown]
	s_add_i32 s3, s3, s15
	s_add_i32 s2, s2, s19
	;; [unrolled: 1-line block ×4, first 2 shown]
	v_add_u32_e32 v44, s33, v44
	s_bcnt1_i32_b64 s25, s[38:39]
	s_bcnt1_i32_b64 s29, s[46:47]
	s_add_i32 s3, s3, s16
	s_add_i32 s2, s2, s20
	;; [unrolled: 1-line block ×4, first 2 shown]
	v_cmp_le_u32_e32 vcc, s75, v44
	s_add_i32 s3, s3, s17
	s_add_i32 s2, s2, s21
	;; [unrolled: 1-line block ×4, first 2 shown]
	v_add_u32_e32 v3, s0, v3
	s_or_b64 s[84:85], vcc, s[84:85]
	v_mov_b32_e32 v8, s3
	v_mov_b32_e32 v9, s2
	;; [unrolled: 1-line block ×4, first 2 shown]
	s_andn2_b64 exec, exec, s[84:85]
	s_cbranch_execnz .LBB97_62
; %bb.63:                               ;   in Loop: Header=BB97_12 Depth=1
	s_or_b64 exec, exec, s[84:85]
	s_mov_b32 s55, s68
	s_mov_b32 s50, s6
.LBB97_64:                              ;   in Loop: Header=BB97_12 Depth=1
	s_or_b64 exec, exec, s[82:83]
	v_add_u32_e32 v3, s75, v0
	v_cmp_gt_u32_e32 vcc, s69, v3
	s_and_saveexec_b64 s[24:25], vcc
	s_cbranch_execz .LBB97_68
; %bb.65:                               ;   in Loop: Header=BB97_12 Depth=1
	s_and_b32 s2, s78, 0xfe
	s_waitcnt vmcnt(0)
	v_lshlrev_b32_e32 v4, 3, v3
	s_mov_b64 s[26:27], 0
.LBB97_66:                              ;   Parent Loop BB97_12 Depth=1
                                        ; =>  This Inner Loop Header: Depth=2
	ds_read_b64 v[12:13], v4
	v_add_u32_e32 v3, s57, v3
	v_cmp_le_u32_e32 vcc, s69, v3
	v_add_u32_e32 v4, s1, v4
	s_waitcnt lgkmcnt(0)
	v_xor_b32_e32 v13, 0x80000000, v13
	v_and_b32_e32 v14, s64, v12
	v_and_b32_e32 v15, s65, v13
	v_lshrrev_b64 v[12:13], s2, v[12:13]
	v_and_b32_e32 v18, 3, v12
	v_cmp_eq_u64_e64 s[14:15], s[66:67], v[14:15]
	v_cmp_eq_u64_e64 s[16:17], 0, v[18:19]
	;; [unrolled: 1-line block ×3, first 2 shown]
	s_and_b64 s[8:9], s[14:15], s[16:17]
	v_cmp_eq_u64_e64 s[20:21], 2, v[18:19]
	v_cndmask_b32_e64 v5, 0, 1, s[8:9]
	s_and_b64 s[8:9], s[14:15], s[18:19]
	v_cmp_eq_u64_e64 s[22:23], 3, v[18:19]
	v_cndmask_b32_e64 v12, 0, 1, s[8:9]
	s_and_b64 s[8:9], s[14:15], s[20:21]
	v_cndmask_b32_e64 v13, 0, 1, s[8:9]
	s_and_b64 s[8:9], s[14:15], s[22:23]
	v_cndmask_b32_e64 v14, 0, 1, s[8:9]
	v_cmp_ne_u32_e64 s[14:15], 0, v5
	v_cmp_ne_u32_e64 s[16:17], 0, v12
	;; [unrolled: 1-line block ×4, first 2 shown]
	s_bcnt1_i32_b64 s3, s[14:15]
	s_bcnt1_i32_b64 s8, s[16:17]
	;; [unrolled: 1-line block ×4, first 2 shown]
	v_add_u32_e32 v8, s3, v8
	v_add_u32_e32 v9, s8, v9
	;; [unrolled: 1-line block ×3, first 2 shown]
	s_or_b64 s[26:27], vcc, s[26:27]
	v_add_u32_e32 v11, s14, v11
	s_andn2_b64 exec, exec, s[26:27]
	s_cbranch_execnz .LBB97_66
; %bb.67:                               ;   in Loop: Header=BB97_12 Depth=1
	s_or_b64 exec, exec, s[26:27]
	s_or_b64 s[80:81], s[80:81], exec
.LBB97_68:                              ;   in Loop: Header=BB97_12 Depth=1
	s_or_b64 exec, exec, s[24:25]
.LBB97_69:                              ;   in Loop: Header=BB97_12 Depth=1
	s_and_saveexec_b64 s[14:15], s[80:81]
	s_or_b64 exec, exec, s[14:15]
	s_lshl_b32 s2, s13, 6
	s_and_saveexec_b64 s[14:15], s[4:5]
	s_cbranch_execz .LBB97_71
; %bb.70:                               ;   in Loop: Header=BB97_12 Depth=1
	v_or_b32_e32 v3, s2, v33
	v_lshlrev_b32_e32 v3, 2, v3
	ds_write_b128 v3, v[8:11] offset:3072
.LBB97_71:                              ;   in Loop: Header=BB97_12 Depth=1
	s_or_b64 exec, exec, s[14:15]
	s_waitcnt lgkmcnt(0)
	s_barrier
	s_and_saveexec_b64 s[14:15], s[70:71]
	s_cbranch_execz .LBB97_85
; %bb.72:                               ;   in Loop: Header=BB97_12 Depth=1
	v_readlane_b32 s8, v54, 20
	v_readlane_b32 s9, v54, 21
	v_add_u32_e32 v3, s2, v23
	s_andn2_b64 vcc, exec, s[8:9]
	s_waitcnt vmcnt(0)
	v_mov_b32_e32 v4, 0
	s_cbranch_vccnz .LBB97_84
; %bb.73:                               ;   in Loop: Header=BB97_12 Depth=1
	v_readlane_b32 s8, v54, 24
	v_readlane_b32 s9, v54, 25
	s_mov_b32 s3, 0
	s_and_b64 vcc, exec, s[8:9]
	v_mov_b32_e32 v4, 0
	s_cbranch_vccz .LBB97_77
; %bb.74:                               ;   in Loop: Header=BB97_12 Depth=1
	v_readlane_b32 s8, v54, 28
	v_readlane_b32 s9, v54, 29
	v_lshl_add_u32 v8, v3, 2, v43
	s_andn2_b64 vcc, exec, s[8:9]
	s_cbranch_vccnz .LBB97_78
; %bb.75:                               ;   in Loop: Header=BB97_12 Depth=1
	s_mov_b32 s17, 1
	s_mov_b32 s16, 0
	v_mov_b32_e32 v4, 0
	v_readlane_b32 s3, v54, 30
	v_mov_b32_e32 v5, 0
.LBB97_76:                              ;   Parent Loop BB97_12 Depth=1
                                        ; =>  This Inner Loop Header: Depth=2
	v_lshl_add_u32 v9, s16, 4, v8
	v_lshl_add_u32 v18, s17, 4, v8
	ds_read2_b32 v[10:11], v9 offset1:8
	ds_read2_b32 v[12:13], v18 offset1:8
	ds_read2_b32 v[14:15], v9 offset0:16 offset1:24
	ds_read2_b32 v[26:27], v18 offset0:16 offset1:24
	;; [unrolled: 1-line block ×6, first 2 shown]
	s_waitcnt lgkmcnt(7)
	v_add3_u32 v4, v10, v4, v11
	s_waitcnt lgkmcnt(6)
	v_add3_u32 v5, v12, v5, v13
	;; [unrolled: 2-line block ×3, first 2 shown]
	v_add3_u32 v4, v14, v4, v15
	s_add_i32 s17, s17, 16
	s_add_i32 s16, s16, 16
	s_add_i32 s3, s3, -8
	s_waitcnt lgkmcnt(3)
	v_add3_u32 v4, v28, v4, v29
	s_waitcnt lgkmcnt(2)
	v_add3_u32 v5, v44, v5, v45
	s_cmp_lg_u32 s3, 0
	s_waitcnt lgkmcnt(0)
	v_add3_u32 v5, v48, v5, v49
	v_add3_u32 v4, v46, v4, v47
	s_cbranch_scc1 .LBB97_76
	s_branch .LBB97_79
.LBB97_77:                              ;   in Loop: Header=BB97_12 Depth=1
	s_cbranch_execnz .LBB97_82
	s_branch .LBB97_84
.LBB97_78:                              ;   in Loop: Header=BB97_12 Depth=1
	s_mov_b32 s51, s50
	v_pk_mov_b32 v[4:5], s[50:51], s[50:51] op_sel:[0,1]
	s_mov_b32 s51, 1
	s_mov_b64 s[16:17], s[50:51]
.LBB97_79:                              ;   in Loop: Header=BB97_12 Depth=1
	v_readlane_b32 s8, v54, 32
	v_readlane_b32 s9, v54, 33
	s_andn2_b64 vcc, exec, s[8:9]
	v_readlane_b32 s3, v54, 31
	s_cbranch_vccnz .LBB97_81
.LBB97_80:                              ;   Parent Loop BB97_12 Depth=1
                                        ; =>  This Inner Loop Header: Depth=2
	v_lshl_add_u32 v9, s16, 4, v8
	v_lshl_add_u32 v10, s17, 4, v8
	ds_read_b32 v10, v10
	ds_read_b32 v9, v9
	s_add_i32 s17, s17, 2
	s_add_i32 s16, s16, 2
	s_add_i32 s3, s3, -1
	s_cmp_lg_u32 s3, 0
	s_waitcnt lgkmcnt(1)
	v_add_u32_e32 v5, v10, v5
	s_waitcnt lgkmcnt(0)
	v_add_u32_e32 v4, v9, v4
	s_cbranch_scc1 .LBB97_80
.LBB97_81:                              ;   in Loop: Header=BB97_12 Depth=1
	v_readlane_b32 s16, v54, 36
	v_add_u32_e32 v4, v4, v5
	v_readlane_b32 s3, v54, 35
	v_readlane_b32 s17, v54, 37
	s_and_b64 vcc, exec, s[16:17]
	s_cbranch_vccz .LBB97_84
.LBB97_82:                              ;   in Loop: Header=BB97_12 Depth=1
	s_lshl_b32 s8, s13, 8
	s_lshl_b32 s9, s3, 4
	s_add_i32 s8, s8, s9
	v_add_u32_e32 v5, s8, v42
	v_readlane_b32 s8, v54, 34
	s_sub_i32 s3, s8, s3
.LBB97_83:                              ;   Parent Loop BB97_12 Depth=1
                                        ; =>  This Inner Loop Header: Depth=2
	ds_read_b32 v8, v5
	s_add_i32 s3, s3, -1
	v_add_u32_e32 v5, 16, v5
	s_cmp_eq_u32 s3, 0
	s_waitcnt lgkmcnt(0)
	v_add_u32_e32 v4, v8, v4
	s_cbranch_scc0 .LBB97_83
.LBB97_84:                              ;   in Loop: Header=BB97_12 Depth=1
	v_lshlrev_b32_e32 v3, 2, v3
	ds_write_b32 v3, v4 offset:3072
.LBB97_85:                              ;   in Loop: Header=BB97_12 Depth=1
	s_or_b64 exec, exec, s[14:15]
	s_lshl_b32 s2, s2, 2
	v_mov_b32_e32 v3, s2
	s_waitcnt lgkmcnt(0)
	s_barrier
	ds_read_b128 v[8:11], v3 offset:3072
	s_and_b32 s47, s78, 0xfe
	s_lshl_b64 s[16:17], 3, s47
	s_not_b64 s[28:29], s[16:17]
	s_mov_b64 s[20:21], -1
	s_waitcnt lgkmcnt(0)
	v_readfirstlane_b32 s34, v8
	s_cmp_eq_u32 s34, 1
	s_cselect_b64 s[2:3], -1, 0
	s_cmp_eq_u32 s74, 1
	s_cselect_b64 s[8:9], -1, 0
	s_and_b64 s[22:23], s[2:3], s[8:9]
	v_readfirstlane_b32 s38, v9
	v_readfirstlane_b32 s46, v10
	;; [unrolled: 1-line block ×3, first 2 shown]
	s_and_b64 vcc, exec, s[22:23]
	s_cbranch_vccz .LBB97_97
; %bb.86:                               ;   in Loop: Header=BB97_12 Depth=1
	ds_read_b32 v3, v19 offset:4104
	v_readlane_b32 s6, v54, 26
	v_readlane_b32 s7, v54, 27
	s_waitcnt lgkmcnt(0)
	s_barrier
	v_readfirstlane_b32 s2, v3
	s_and_saveexec_b64 s[14:15], s[6:7]
	s_cbranch_execz .LBB97_88
; %bb.87:                               ;   in Loop: Header=BB97_12 Depth=1
	v_mov_b32_e32 v18, v19
	ds_write_b64 v32, v[18:19]
.LBB97_88:                              ;   in Loop: Header=BB97_12 Depth=1
	s_or_b64 exec, exec, s[14:15]
	s_and_b64 s[66:67], s[66:67], s[28:29]
	s_or_b64 s[64:65], s[64:65], s[16:17]
	s_cmp_eq_u32 s2, 0
	s_waitcnt lgkmcnt(0)
	s_barrier
	s_cbranch_scc1 .LBB97_98
; %bb.89:                               ;   in Loop: Header=BB97_12 Depth=1
	v_readlane_b32 s3, v54, 17
	s_add_i32 s3, s2, s3
	v_readlane_b32 s6, v54, 40
	s_mul_hi_u32 s8, s3, s6
	s_mul_i32 s8, s8, s57
	s_sub_i32 s8, s3, s8
	s_sub_i32 s9, s8, s57
	s_cmp_ge_u32 s8, s57
	s_cselect_b32 s8, s9, s8
	s_sub_i32 s9, s8, s57
	s_cmp_ge_u32 s8, s57
	s_cselect_b32 s8, s9, s8
	s_sub_i32 s3, s3, s8
	v_cmp_gt_u32_e32 vcc, s3, v0
	s_mov_b64 s[14:15], 0
                                        ; implicit-def: $vgpr6_vgpr7
	s_and_saveexec_b64 s[18:19], vcc
	s_cbranch_execz .LBB97_100
; %bb.90:                               ;   in Loop: Header=BB97_12 Depth=1
	s_mov_b64 s[24:25], 0
	v_mov_b32_e32 v8, v31
	v_mov_b32_e32 v9, v0
                                        ; implicit-def: $sgpr14_sgpr15
	s_branch .LBB97_92
.LBB97_91:                              ;   in Loop: Header=BB97_92 Depth=2
	s_or_b64 exec, exec, s[26:27]
	s_waitcnt lgkmcnt(0)
	s_barrier
	ds_read_b128 v[4:7], v19 offset:3072
	v_add_u32_e32 v9, s57, v9
	v_cmp_le_u32_e32 vcc, s3, v9
	v_add_u32_e32 v8, s1, v8
	s_waitcnt lgkmcnt(0)
	v_readfirstlane_b32 s9, v5
	v_readfirstlane_b32 s8, v4
	s_cmp_lg_u64 s[8:9], 0
	s_cselect_b64 s[8:9], -1, 0
	s_or_b64 s[26:27], vcc, s[8:9]
	s_and_b64 s[26:27], exec, s[26:27]
	s_or_b64 s[24:25], s[26:27], s[24:25]
	s_andn2_b64 s[14:15], s[14:15], exec
	s_and_b64 s[8:9], s[8:9], exec
	s_or_b64 s[14:15], s[14:15], s[8:9]
	s_barrier
	s_andn2_b64 exec, exec, s[24:25]
	s_cbranch_execz .LBB97_99
.LBB97_92:                              ;   Parent Loop BB97_12 Depth=1
                                        ; =>  This Inner Loop Header: Depth=2
	v_cmp_gt_u32_e32 vcc, s2, v9
	s_waitcnt vmcnt(0)
	v_pk_mov_b32 v[4:5], 0, 0
	s_and_saveexec_b64 s[26:27], vcc
	s_cbranch_execz .LBB97_94
; %bb.93:                               ;   in Loop: Header=BB97_92 Depth=2
	ds_read_b64 v[4:5], v8
.LBB97_94:                              ;   in Loop: Header=BB97_92 Depth=2
	s_or_b64 exec, exec, s[26:27]
	s_and_saveexec_b64 s[26:27], vcc
	s_cbranch_execz .LBB97_91
; %bb.95:                               ;   in Loop: Header=BB97_92 Depth=2
	s_waitcnt lgkmcnt(0)
	v_xor_b32_e32 v3, 0x80000000, v5
	v_and_b32_e32 v7, s65, v3
	v_and_b32_e32 v6, s64, v4
	v_cmp_eq_u64_e32 vcc, s[66:67], v[6:7]
	s_and_b64 exec, exec, vcc
	s_cbranch_execz .LBB97_91
; %bb.96:                               ;   in Loop: Header=BB97_92 Depth=2
	v_mov_b32_e32 v3, v19
	ds_write_b128 v19, v[2:5] offset:3072
	s_branch .LBB97_91
.LBB97_97:                              ;   in Loop: Header=BB97_12 Depth=1
	s_mov_b64 s[14:15], -1
                                        ; implicit-def: $sgpr18_sgpr19
                                        ; implicit-def: $sgpr26_sgpr27
                                        ; implicit-def: $sgpr24_sgpr25
	s_branch .LBB97_111
.LBB97_98:                              ;   in Loop: Header=BB97_12 Depth=1
	s_mov_b64 s[18:19], -1
	s_mov_b64 s[14:15], 0
                                        ; implicit-def: $sgpr24_sgpr25
                                        ; implicit-def: $vgpr6_vgpr7
	s_mov_b64 s[26:27], s[18:19]
	s_cbranch_execnz .LBB97_101
	s_branch .LBB97_111
.LBB97_99:                              ;   in Loop: Header=BB97_12 Depth=1
	s_or_b64 exec, exec, s[24:25]
	s_and_b64 s[14:15], s[14:15], exec
.LBB97_100:                             ;   in Loop: Header=BB97_12 Depth=1
	s_or_b64 exec, exec, s[18:19]
	s_mov_b64 s[24:25], -1
	s_mov_b64 s[18:19], 0
	s_mov_b64 s[26:27], s[18:19]
	s_branch .LBB97_111
.LBB97_101:                             ;   in Loop: Header=BB97_12 Depth=1
	s_mov_b64 s[14:15], 0
                                        ; implicit-def: $vgpr6_vgpr7
	s_mov_b64 s[18:19], exec
	v_readlane_b32 s2, v54, 41
	v_readlane_b32 s3, v54, 42
	s_and_b64 s[2:3], s[18:19], s[2:3]
	s_mov_b64 exec, s[2:3]
	s_cbranch_execz .LBB97_110
; %bb.102:                              ;   in Loop: Header=BB97_12 Depth=1
	s_mov_b64 s[26:27], 0
	v_mov_b32_e32 v18, v16
	v_mov_b32_e32 v8, v0
                                        ; implicit-def: $sgpr24_sgpr25
	s_branch .LBB97_104
.LBB97_103:                             ;   in Loop: Header=BB97_104 Depth=2
	s_or_b64 exec, exec, s[14:15]
	s_waitcnt lgkmcnt(0)
	s_barrier
	s_waitcnt vmcnt(0)
	ds_read_b128 v[4:7], v19 offset:3072
	v_add_u32_e32 v8, s57, v8
	v_cmp_le_u32_e32 vcc, s72, v8
	v_add_u32_e32 v18, s77, v18
	s_waitcnt lgkmcnt(0)
	v_readfirstlane_b32 s3, v5
	v_readfirstlane_b32 s2, v4
	s_cmp_lg_u64 s[2:3], 0
	s_cselect_b64 s[2:3], -1, 0
	s_or_b64 s[8:9], vcc, s[2:3]
	s_and_b64 s[8:9], exec, s[8:9]
	s_or_b64 s[26:27], s[8:9], s[26:27]
	s_andn2_b64 s[8:9], s[24:25], exec
	s_and_b64 s[2:3], s[2:3], exec
	s_or_b64 s[24:25], s[8:9], s[2:3]
	s_barrier
	s_andn2_b64 exec, exec, s[26:27]
	s_cbranch_execz .LBB97_109
.LBB97_104:                             ;   Parent Loop BB97_12 Depth=1
                                        ; =>  This Inner Loop Header: Depth=2
	v_cmp_gt_u32_e32 vcc, s56, v8
	s_waitcnt vmcnt(0)
	v_pk_mov_b32 v[4:5], 0, 0
	s_and_saveexec_b64 s[30:31], vcc
	s_cbranch_execz .LBB97_106
; %bb.105:                              ;   in Loop: Header=BB97_104 Depth=2
	v_lshlrev_b64 v[4:5], 3, v[18:19]
	v_mov_b32_e32 v3, s76
	v_add_co_u32_e64 v4, s[14:15], s59, v4
	v_addc_co_u32_e64 v5, s[14:15], v3, v5, s[14:15]
	global_load_dwordx2 v[4:5], v[4:5], off
.LBB97_106:                             ;   in Loop: Header=BB97_104 Depth=2
	s_or_b64 exec, exec, s[30:31]
	s_and_saveexec_b64 s[14:15], vcc
	s_cbranch_execz .LBB97_103
; %bb.107:                              ;   in Loop: Header=BB97_104 Depth=2
	s_waitcnt vmcnt(0)
	v_xor_b32_e32 v3, 0x80000000, v5
	v_and_b32_e32 v7, s65, v3
	v_and_b32_e32 v6, s64, v4
	v_cmp_eq_u64_e32 vcc, s[66:67], v[6:7]
	s_and_b64 exec, exec, vcc
	s_cbranch_execz .LBB97_103
; %bb.108:                              ;   in Loop: Header=BB97_104 Depth=2
	v_mov_b32_e32 v3, v19
	ds_write_b128 v19, v[2:5] offset:3072
	s_branch .LBB97_103
.LBB97_109:                             ;   in Loop: Header=BB97_12 Depth=1
	s_or_b64 exec, exec, s[26:27]
	s_and_b64 s[14:15], s[24:25], exec
.LBB97_110:                             ;   in Loop: Header=BB97_12 Depth=1
	s_or_b64 exec, exec, s[18:19]
	s_mov_b64 s[26:27], -1
	s_mov_b64 s[18:19], 0
	s_mov_b64 s[24:25], 0
.LBB97_111:                             ;   in Loop: Header=BB97_12 Depth=1
	s_andn2_b64 s[2:3], s[62:63], exec
	s_and_b64 s[8:9], s[18:19], exec
	s_or_b64 s[62:63], s[2:3], s[8:9]
	s_andn2_b64 s[2:3], s[60:61], exec
	s_and_b64 s[8:9], s[26:27], exec
	s_or_b64 s[60:61], s[2:3], s[8:9]
	;; [unrolled: 3-line block ×3, first 2 shown]
	s_and_saveexec_b64 s[18:19], s[14:15]
	s_cbranch_execz .LBB97_11
; %bb.112:                              ;   in Loop: Header=BB97_12 Depth=1
	s_xor_b64 s[2:3], s[22:23], -1
	s_mov_b64 s[14:15], 0
	s_andn2_b64 vcc, exec, s[2:3]
	s_mov_b32 s39, 1
	s_cbranch_vccnz .LBB97_123
; %bb.113:                              ;   in Loop: Header=BB97_12 Depth=1
	s_cmp_gt_u32 s74, s34
	s_mov_b64 s[14:15], -1
                                        ; implicit-def: $sgpr54
                                        ; implicit-def: $sgpr20_sgpr21
                                        ; implicit-def: $sgpr22_sgpr23
	s_cbranch_scc1 .LBB97_119
; %bb.114:                              ;   in Loop: Header=BB97_12 Depth=1
	ds_read_b32 v3, v19 offset:4104
	s_waitcnt lgkmcnt(0)
	v_cmp_ne_u32_e32 vcc, 0, v3
	s_cbranch_vccnz .LBB97_118
; %bb.115:                              ;   in Loop: Header=BB97_12 Depth=1
	s_mov_b64 s[14:15], exec
	v_readlane_b32 s2, v54, 2
	v_readlane_b32 s3, v54, 3
	s_and_b64 s[2:3], s[14:15], s[2:3]
	s_mov_b64 exec, s[2:3]
	s_cbranch_execz .LBB97_117
; %bb.116:                              ;   in Loop: Header=BB97_12 Depth=1
	v_mov_b32_e32 v3, s34
	ds_write_b32 v19, v3 offset:4108
.LBB97_117:                             ;   in Loop: Header=BB97_12 Depth=1
	s_or_b64 exec, exec, s[14:15]
	s_waitcnt lgkmcnt(0)
	s_barrier
.LBB97_118:                             ;   in Loop: Header=BB97_12 Depth=1
	s_and_b64 s[20:21], s[66:67], s[28:29]
	s_or_b64 s[22:23], s[64:65], s[16:17]
	s_mov_b64 s[14:15], 0
	s_mov_b32 s54, 8
.LBB97_119:                             ;   in Loop: Header=BB97_12 Depth=1
	s_andn2_b64 vcc, exec, s[14:15]
	s_cbranch_vccnz .LBB97_121
; %bb.120:                              ;   in Loop: Header=BB97_12 Depth=1
	s_sub_i32 s74, s74, s34
	s_mov_b64 s[14:15], -1
	s_mov_b32 s54, 0
	s_mov_b64 s[20:21], s[66:67]
	s_mov_b64 s[22:23], s[64:65]
.LBB97_121:                             ;   in Loop: Header=BB97_12 Depth=1
	s_mov_b64 s[64:65], s[22:23]
	s_mov_b64 s[66:67], s[20:21]
	s_mov_b32 s39, s74
	s_mov_b64 s[20:21], -1
	s_and_b64 vcc, exec, s[14:15]
	s_cbranch_vccnz .LBB97_124
.LBB97_122:                             ;   in Loop: Header=BB97_12 Depth=1
	s_mov_b64 s[36:37], -1
                                        ; implicit-def: $sgpr22_sgpr23
                                        ; implicit-def: $sgpr26_sgpr27
                                        ; implicit-def: $sgpr24_sgpr25
                                        ; implicit-def: $sgpr74
	s_and_saveexec_b64 s[2:3], s[36:37]
	s_xor_b64 s[14:15], exec, s[2:3]
	s_cbranch_execz .LBB97_10
	s_branch .LBB97_247
.LBB97_123:                             ;   in Loop: Header=BB97_12 Depth=1
	s_mov_b32 s54, 1
	s_mov_b64 s[20:21], -1
	s_and_b64 vcc, exec, s[14:15]
	s_cbranch_vccz .LBB97_122
.LBB97_124:                             ;   in Loop: Header=BB97_12 Depth=1
	s_cmp_eq_u32 s38, 1
	s_cselect_b64 s[2:3], -1, 0
	s_cmp_eq_u32 s39, 1
	s_cselect_b64 s[8:9], -1, 0
	s_and_b64 s[34:35], s[2:3], s[8:9]
	s_mov_b64 s[14:15], -1
	s_and_b64 vcc, exec, s[34:35]
	s_cbranch_vccz .LBB97_136
; %bb.125:                              ;   in Loop: Header=BB97_12 Depth=1
	ds_read_b32 v3, v19 offset:4104
	v_readlane_b32 s6, v54, 26
	v_readlane_b32 s7, v54, 27
	s_waitcnt lgkmcnt(0)
	s_barrier
	v_readfirstlane_b32 s2, v3
	s_and_saveexec_b64 s[14:15], s[6:7]
	s_cbranch_execz .LBB97_127
; %bb.126:                              ;   in Loop: Header=BB97_12 Depth=1
	v_mov_b32_e32 v18, v19
	ds_write_b64 v32, v[18:19]
.LBB97_127:                             ;   in Loop: Header=BB97_12 Depth=1
	s_or_b64 exec, exec, s[14:15]
	s_lshl_b64 s[8:9], 1, s47
	s_and_b64 s[14:15], s[66:67], s[28:29]
	s_or_b64 s[66:67], s[14:15], s[8:9]
	s_or_b64 s[64:65], s[64:65], s[16:17]
	s_cmp_eq_u32 s2, 0
	s_waitcnt lgkmcnt(0)
	s_barrier
	s_cbranch_scc1 .LBB97_137
; %bb.128:                              ;   in Loop: Header=BB97_12 Depth=1
	v_readlane_b32 s3, v54, 17
	s_add_i32 s3, s2, s3
	v_readlane_b32 s6, v54, 40
	s_mul_hi_u32 s8, s3, s6
	s_mul_i32 s8, s8, s57
	s_sub_i32 s8, s3, s8
	s_sub_i32 s9, s8, s57
	s_cmp_ge_u32 s8, s57
	s_cselect_b32 s8, s9, s8
	s_sub_i32 s9, s8, s57
	s_cmp_ge_u32 s8, s57
	s_cselect_b32 s8, s9, s8
	s_sub_i32 s3, s3, s8
	v_cmp_gt_u32_e32 vcc, s3, v0
	s_mov_b64 s[14:15], 0
                                        ; implicit-def: $vgpr6_vgpr7
	s_and_saveexec_b64 s[22:23], vcc
	s_cbranch_execz .LBB97_139
; %bb.129:                              ;   in Loop: Header=BB97_12 Depth=1
	s_mov_b64 s[24:25], 0
	v_mov_b32_e32 v8, v31
	v_mov_b32_e32 v9, v0
                                        ; implicit-def: $sgpr14_sgpr15
	s_branch .LBB97_131
.LBB97_130:                             ;   in Loop: Header=BB97_131 Depth=2
	s_or_b64 exec, exec, s[26:27]
	s_waitcnt lgkmcnt(0)
	s_barrier
	ds_read_b128 v[4:7], v19 offset:3072
	v_add_u32_e32 v9, s57, v9
	v_cmp_le_u32_e32 vcc, s3, v9
	v_add_u32_e32 v8, s1, v8
	s_waitcnt lgkmcnt(0)
	v_readfirstlane_b32 s9, v5
	v_readfirstlane_b32 s8, v4
	s_cmp_lg_u64 s[8:9], 0
	s_cselect_b64 s[8:9], -1, 0
	s_or_b64 s[26:27], vcc, s[8:9]
	s_and_b64 s[26:27], exec, s[26:27]
	s_or_b64 s[24:25], s[26:27], s[24:25]
	s_andn2_b64 s[14:15], s[14:15], exec
	s_and_b64 s[8:9], s[8:9], exec
	s_or_b64 s[14:15], s[14:15], s[8:9]
	s_barrier
	s_andn2_b64 exec, exec, s[24:25]
	s_cbranch_execz .LBB97_138
.LBB97_131:                             ;   Parent Loop BB97_12 Depth=1
                                        ; =>  This Inner Loop Header: Depth=2
	v_cmp_gt_u32_e32 vcc, s2, v9
	s_waitcnt vmcnt(0)
	v_pk_mov_b32 v[4:5], 0, 0
	s_and_saveexec_b64 s[26:27], vcc
	s_cbranch_execz .LBB97_133
; %bb.132:                              ;   in Loop: Header=BB97_131 Depth=2
	ds_read_b64 v[4:5], v8
.LBB97_133:                             ;   in Loop: Header=BB97_131 Depth=2
	s_or_b64 exec, exec, s[26:27]
	s_and_saveexec_b64 s[26:27], vcc
	s_cbranch_execz .LBB97_130
; %bb.134:                              ;   in Loop: Header=BB97_131 Depth=2
	s_waitcnt lgkmcnt(0)
	v_xor_b32_e32 v3, 0x80000000, v5
	v_and_b32_e32 v7, s65, v3
	v_and_b32_e32 v6, s64, v4
	v_cmp_eq_u64_e32 vcc, s[66:67], v[6:7]
	s_and_b64 exec, exec, vcc
	s_cbranch_execz .LBB97_130
; %bb.135:                              ;   in Loop: Header=BB97_131 Depth=2
	v_mov_b32_e32 v3, v19
	ds_write_b128 v19, v[2:5] offset:3072
	s_branch .LBB97_130
.LBB97_136:                             ;   in Loop: Header=BB97_12 Depth=1
                                        ; implicit-def: $sgpr24_sgpr25
                                        ; implicit-def: $sgpr26_sgpr27
                                        ; implicit-def: $sgpr22_sgpr23
	s_branch .LBB97_150
.LBB97_137:                             ;   in Loop: Header=BB97_12 Depth=1
	s_mov_b64 s[24:25], -1
	s_mov_b64 s[14:15], 0
                                        ; implicit-def: $sgpr22_sgpr23
                                        ; implicit-def: $vgpr6_vgpr7
	s_mov_b64 s[26:27], s[24:25]
	s_cbranch_execnz .LBB97_140
	s_branch .LBB97_150
.LBB97_138:                             ;   in Loop: Header=BB97_12 Depth=1
	s_or_b64 exec, exec, s[24:25]
	s_and_b64 s[14:15], s[14:15], exec
.LBB97_139:                             ;   in Loop: Header=BB97_12 Depth=1
	s_or_b64 exec, exec, s[22:23]
	s_mov_b64 s[22:23], -1
	s_mov_b64 s[24:25], 0
	s_mov_b64 s[26:27], s[24:25]
	s_branch .LBB97_150
.LBB97_140:                             ;   in Loop: Header=BB97_12 Depth=1
	s_mov_b64 s[14:15], 0
                                        ; implicit-def: $vgpr6_vgpr7
	s_mov_b64 s[22:23], exec
	v_readlane_b32 s2, v54, 41
	v_readlane_b32 s3, v54, 42
	s_and_b64 s[2:3], s[22:23], s[2:3]
	s_mov_b64 exec, s[2:3]
	s_cbranch_execz .LBB97_149
; %bb.141:                              ;   in Loop: Header=BB97_12 Depth=1
	s_mov_b64 s[26:27], 0
	v_mov_b32_e32 v18, v16
	v_mov_b32_e32 v8, v0
                                        ; implicit-def: $sgpr24_sgpr25
	s_branch .LBB97_143
.LBB97_142:                             ;   in Loop: Header=BB97_143 Depth=2
	s_or_b64 exec, exec, s[14:15]
	s_waitcnt lgkmcnt(0)
	s_barrier
	s_waitcnt vmcnt(0)
	ds_read_b128 v[4:7], v19 offset:3072
	v_add_u32_e32 v8, s57, v8
	v_cmp_le_u32_e32 vcc, s72, v8
	v_add_u32_e32 v18, s77, v18
	s_waitcnt lgkmcnt(0)
	v_readfirstlane_b32 s3, v5
	v_readfirstlane_b32 s2, v4
	s_cmp_lg_u64 s[2:3], 0
	s_cselect_b64 s[2:3], -1, 0
	s_or_b64 s[8:9], vcc, s[2:3]
	s_and_b64 s[8:9], exec, s[8:9]
	s_or_b64 s[26:27], s[8:9], s[26:27]
	s_andn2_b64 s[8:9], s[24:25], exec
	s_and_b64 s[2:3], s[2:3], exec
	s_or_b64 s[24:25], s[8:9], s[2:3]
	s_barrier
	s_andn2_b64 exec, exec, s[26:27]
	s_cbranch_execz .LBB97_148
.LBB97_143:                             ;   Parent Loop BB97_12 Depth=1
                                        ; =>  This Inner Loop Header: Depth=2
	v_cmp_gt_u32_e32 vcc, s56, v8
	s_waitcnt vmcnt(0)
	v_pk_mov_b32 v[4:5], 0, 0
	s_and_saveexec_b64 s[30:31], vcc
	s_cbranch_execz .LBB97_145
; %bb.144:                              ;   in Loop: Header=BB97_143 Depth=2
	v_lshlrev_b64 v[4:5], 3, v[18:19]
	v_mov_b32_e32 v3, s76
	v_add_co_u32_e64 v4, s[14:15], s59, v4
	v_addc_co_u32_e64 v5, s[14:15], v3, v5, s[14:15]
	global_load_dwordx2 v[4:5], v[4:5], off
.LBB97_145:                             ;   in Loop: Header=BB97_143 Depth=2
	s_or_b64 exec, exec, s[30:31]
	s_and_saveexec_b64 s[14:15], vcc
	s_cbranch_execz .LBB97_142
; %bb.146:                              ;   in Loop: Header=BB97_143 Depth=2
	s_waitcnt vmcnt(0)
	v_xor_b32_e32 v3, 0x80000000, v5
	v_and_b32_e32 v7, s65, v3
	v_and_b32_e32 v6, s64, v4
	v_cmp_eq_u64_e32 vcc, s[66:67], v[6:7]
	s_and_b64 exec, exec, vcc
	s_cbranch_execz .LBB97_142
; %bb.147:                              ;   in Loop: Header=BB97_143 Depth=2
	v_mov_b32_e32 v3, v19
	ds_write_b128 v19, v[2:5] offset:3072
	s_branch .LBB97_142
.LBB97_148:                             ;   in Loop: Header=BB97_12 Depth=1
	s_or_b64 exec, exec, s[26:27]
	s_and_b64 s[14:15], s[24:25], exec
.LBB97_149:                             ;   in Loop: Header=BB97_12 Depth=1
	s_or_b64 exec, exec, s[22:23]
	s_mov_b64 s[26:27], -1
	s_mov_b64 s[24:25], 0
	s_mov_b64 s[22:23], 0
.LBB97_150:                             ;   in Loop: Header=BB97_12 Depth=1
	s_mov_b64 s[36:37], 0
                                        ; implicit-def: $sgpr54
	s_and_saveexec_b64 s[30:31], s[14:15]
	s_cbranch_execz .LBB97_246
; %bb.151:                              ;   in Loop: Header=BB97_12 Depth=1
	s_xor_b64 s[2:3], s[34:35], -1
	s_mov_b64 s[14:15], 0
	s_andn2_b64 vcc, exec, s[2:3]
	s_mov_b32 s48, 1
	s_cbranch_vccnz .LBB97_162
; %bb.152:                              ;   in Loop: Header=BB97_12 Depth=1
	s_cmp_gt_u32 s39, s38
	s_mov_b64 s[14:15], -1
                                        ; implicit-def: $sgpr54
                                        ; implicit-def: $sgpr34_sgpr35
                                        ; implicit-def: $sgpr36_sgpr37
	s_cbranch_scc1 .LBB97_158
; %bb.153:                              ;   in Loop: Header=BB97_12 Depth=1
	ds_read_b32 v3, v19 offset:4104
	s_waitcnt lgkmcnt(0)
	v_cmp_ne_u32_e32 vcc, 0, v3
	s_cbranch_vccnz .LBB97_157
; %bb.154:                              ;   in Loop: Header=BB97_12 Depth=1
	s_mov_b64 s[14:15], exec
	v_readlane_b32 s2, v54, 2
	v_readlane_b32 s3, v54, 3
	s_and_b64 s[2:3], s[14:15], s[2:3]
	s_mov_b64 exec, s[2:3]
	s_cbranch_execz .LBB97_156
; %bb.155:                              ;   in Loop: Header=BB97_12 Depth=1
	v_mov_b32_e32 v3, s38
	ds_write_b32 v19, v3 offset:4108
.LBB97_156:                             ;   in Loop: Header=BB97_12 Depth=1
	s_or_b64 exec, exec, s[14:15]
	s_waitcnt lgkmcnt(0)
	s_barrier
.LBB97_157:                             ;   in Loop: Header=BB97_12 Depth=1
	s_lshl_b64 s[2:3], 1, s47
	s_and_b64 s[8:9], s[66:67], s[28:29]
	s_or_b64 s[34:35], s[8:9], s[2:3]
	s_or_b64 s[36:37], s[64:65], s[16:17]
	s_mov_b64 s[14:15], 0
	s_mov_b32 s54, 8
.LBB97_158:                             ;   in Loop: Header=BB97_12 Depth=1
	s_andn2_b64 vcc, exec, s[14:15]
	s_cbranch_vccnz .LBB97_160
; %bb.159:                              ;   in Loop: Header=BB97_12 Depth=1
	s_sub_i32 s39, s39, s38
	s_mov_b64 s[14:15], -1
	s_mov_b32 s54, 0
	s_mov_b64 s[34:35], s[66:67]
	s_mov_b64 s[36:37], s[64:65]
.LBB97_160:                             ;   in Loop: Header=BB97_12 Depth=1
	s_mov_b64 s[64:65], s[36:37]
	s_mov_b64 s[66:67], s[34:35]
	s_mov_b32 s48, s39
	s_andn2_b64 vcc, exec, s[14:15]
	s_mov_b64 s[44:45], -1
	s_cbranch_vccz .LBB97_163
.LBB97_161:                             ;   in Loop: Header=BB97_12 Depth=1
                                        ; implicit-def: $sgpr36_sgpr37
                                        ; implicit-def: $sgpr38_sgpr39
                                        ; implicit-def: $sgpr34_sgpr35
	s_branch .LBB97_245
.LBB97_162:                             ;   in Loop: Header=BB97_12 Depth=1
	s_mov_b32 s54, 1
	s_andn2_b64 vcc, exec, s[14:15]
	s_mov_b64 s[44:45], -1
	s_cbranch_vccnz .LBB97_161
.LBB97_163:                             ;   in Loop: Header=BB97_12 Depth=1
	s_cmp_eq_u32 s46, 1
	s_cselect_b64 s[2:3], -1, 0
	s_cmp_eq_u32 s48, 1
	s_cselect_b64 s[8:9], -1, 0
	s_and_b64 s[42:43], s[2:3], s[8:9]
	s_mov_b64 s[14:15], -1
	s_and_b64 vcc, exec, s[42:43]
	s_cbranch_vccz .LBB97_175
; %bb.164:                              ;   in Loop: Header=BB97_12 Depth=1
	ds_read_b32 v3, v19 offset:4104
	v_readlane_b32 s6, v54, 26
	v_readlane_b32 s7, v54, 27
	s_waitcnt lgkmcnt(0)
	s_barrier
	v_readfirstlane_b32 s2, v3
	s_and_saveexec_b64 s[14:15], s[6:7]
	s_cbranch_execz .LBB97_166
; %bb.165:                              ;   in Loop: Header=BB97_12 Depth=1
	v_mov_b32_e32 v18, v19
	ds_write_b64 v32, v[18:19]
.LBB97_166:                             ;   in Loop: Header=BB97_12 Depth=1
	s_or_b64 exec, exec, s[14:15]
	s_lshl_b64 s[8:9], 2, s47
	s_and_b64 s[14:15], s[66:67], s[28:29]
	s_or_b64 s[66:67], s[14:15], s[8:9]
	s_or_b64 s[64:65], s[64:65], s[16:17]
	s_cmp_eq_u32 s2, 0
	s_waitcnt lgkmcnt(0)
	s_barrier
	s_cbranch_scc1 .LBB97_176
; %bb.167:                              ;   in Loop: Header=BB97_12 Depth=1
	v_readlane_b32 s3, v54, 17
	s_add_i32 s3, s2, s3
	v_readlane_b32 s6, v54, 40
	s_mul_hi_u32 s8, s3, s6
	s_mul_i32 s8, s8, s57
	s_sub_i32 s8, s3, s8
	s_sub_i32 s9, s8, s57
	s_cmp_ge_u32 s8, s57
	s_cselect_b32 s8, s9, s8
	s_sub_i32 s9, s8, s57
	s_cmp_ge_u32 s8, s57
	s_cselect_b32 s8, s9, s8
	s_sub_i32 s3, s3, s8
	v_cmp_gt_u32_e32 vcc, s3, v0
	s_mov_b64 s[14:15], 0
                                        ; implicit-def: $vgpr6_vgpr7
	s_and_saveexec_b64 s[34:35], vcc
	s_cbranch_execz .LBB97_178
; %bb.168:                              ;   in Loop: Header=BB97_12 Depth=1
	s_mov_b64 s[36:37], 0
	v_mov_b32_e32 v8, v31
	v_mov_b32_e32 v9, v0
                                        ; implicit-def: $sgpr14_sgpr15
	s_branch .LBB97_170
.LBB97_169:                             ;   in Loop: Header=BB97_170 Depth=2
	s_or_b64 exec, exec, s[38:39]
	s_waitcnt lgkmcnt(0)
	s_barrier
	ds_read_b128 v[4:7], v19 offset:3072
	v_add_u32_e32 v9, s57, v9
	v_cmp_le_u32_e32 vcc, s3, v9
	v_add_u32_e32 v8, s1, v8
	s_waitcnt lgkmcnt(0)
	v_readfirstlane_b32 s9, v5
	v_readfirstlane_b32 s8, v4
	s_cmp_lg_u64 s[8:9], 0
	s_cselect_b64 s[8:9], -1, 0
	s_or_b64 s[38:39], vcc, s[8:9]
	s_and_b64 s[38:39], exec, s[38:39]
	s_or_b64 s[36:37], s[38:39], s[36:37]
	s_andn2_b64 s[14:15], s[14:15], exec
	s_and_b64 s[8:9], s[8:9], exec
	s_or_b64 s[14:15], s[14:15], s[8:9]
	s_barrier
	s_andn2_b64 exec, exec, s[36:37]
	s_cbranch_execz .LBB97_177
.LBB97_170:                             ;   Parent Loop BB97_12 Depth=1
                                        ; =>  This Inner Loop Header: Depth=2
	v_cmp_gt_u32_e32 vcc, s2, v9
	s_waitcnt vmcnt(0)
	v_pk_mov_b32 v[4:5], 0, 0
	s_and_saveexec_b64 s[38:39], vcc
	s_cbranch_execz .LBB97_172
; %bb.171:                              ;   in Loop: Header=BB97_170 Depth=2
	ds_read_b64 v[4:5], v8
.LBB97_172:                             ;   in Loop: Header=BB97_170 Depth=2
	s_or_b64 exec, exec, s[38:39]
	s_and_saveexec_b64 s[38:39], vcc
	s_cbranch_execz .LBB97_169
; %bb.173:                              ;   in Loop: Header=BB97_170 Depth=2
	s_waitcnt lgkmcnt(0)
	v_xor_b32_e32 v3, 0x80000000, v5
	v_and_b32_e32 v7, s65, v3
	v_and_b32_e32 v6, s64, v4
	v_cmp_eq_u64_e32 vcc, s[66:67], v[6:7]
	s_and_b64 exec, exec, vcc
	s_cbranch_execz .LBB97_169
; %bb.174:                              ;   in Loop: Header=BB97_170 Depth=2
	v_mov_b32_e32 v3, v19
	ds_write_b128 v19, v[2:5] offset:3072
	s_branch .LBB97_169
.LBB97_175:                             ;   in Loop: Header=BB97_12 Depth=1
                                        ; implicit-def: $sgpr34_sgpr35
                                        ; implicit-def: $sgpr38_sgpr39
                                        ; implicit-def: $sgpr36_sgpr37
	s_branch .LBB97_189
.LBB97_176:                             ;   in Loop: Header=BB97_12 Depth=1
	s_mov_b64 s[34:35], -1
	s_mov_b64 s[14:15], 0
                                        ; implicit-def: $sgpr36_sgpr37
                                        ; implicit-def: $vgpr6_vgpr7
	s_mov_b64 s[38:39], s[34:35]
	s_cbranch_execnz .LBB97_179
	s_branch .LBB97_189
.LBB97_177:                             ;   in Loop: Header=BB97_12 Depth=1
	s_or_b64 exec, exec, s[36:37]
	s_and_b64 s[14:15], s[14:15], exec
.LBB97_178:                             ;   in Loop: Header=BB97_12 Depth=1
	s_or_b64 exec, exec, s[34:35]
	s_mov_b64 s[36:37], -1
	s_mov_b64 s[34:35], 0
	s_mov_b64 s[38:39], s[34:35]
	s_branch .LBB97_189
.LBB97_179:                             ;   in Loop: Header=BB97_12 Depth=1
	s_mov_b64 s[14:15], 0
                                        ; implicit-def: $vgpr6_vgpr7
	s_mov_b64 s[34:35], exec
	v_readlane_b32 s2, v54, 41
	v_readlane_b32 s3, v54, 42
	s_and_b64 s[2:3], s[34:35], s[2:3]
	s_mov_b64 exec, s[2:3]
	s_cbranch_execz .LBB97_188
; %bb.180:                              ;   in Loop: Header=BB97_12 Depth=1
	s_mov_b64 s[38:39], 0
	v_mov_b32_e32 v18, v16
	v_mov_b32_e32 v8, v0
                                        ; implicit-def: $sgpr36_sgpr37
	s_branch .LBB97_182
.LBB97_181:                             ;   in Loop: Header=BB97_182 Depth=2
	s_or_b64 exec, exec, s[14:15]
	s_waitcnt lgkmcnt(0)
	s_barrier
	s_waitcnt vmcnt(0)
	ds_read_b128 v[4:7], v19 offset:3072
	v_add_u32_e32 v8, s57, v8
	v_cmp_le_u32_e32 vcc, s72, v8
	v_add_u32_e32 v18, s77, v18
	s_waitcnt lgkmcnt(0)
	v_readfirstlane_b32 s3, v5
	v_readfirstlane_b32 s2, v4
	s_cmp_lg_u64 s[2:3], 0
	s_cselect_b64 s[2:3], -1, 0
	s_or_b64 s[8:9], vcc, s[2:3]
	s_and_b64 s[8:9], exec, s[8:9]
	s_or_b64 s[38:39], s[8:9], s[38:39]
	s_andn2_b64 s[8:9], s[36:37], exec
	s_and_b64 s[2:3], s[2:3], exec
	s_or_b64 s[36:37], s[8:9], s[2:3]
	s_barrier
	s_andn2_b64 exec, exec, s[38:39]
	s_cbranch_execz .LBB97_187
.LBB97_182:                             ;   Parent Loop BB97_12 Depth=1
                                        ; =>  This Inner Loop Header: Depth=2
	v_cmp_gt_u32_e32 vcc, s56, v8
	s_waitcnt vmcnt(0)
	v_pk_mov_b32 v[4:5], 0, 0
	s_and_saveexec_b64 s[40:41], vcc
	s_cbranch_execz .LBB97_184
; %bb.183:                              ;   in Loop: Header=BB97_182 Depth=2
	v_lshlrev_b64 v[4:5], 3, v[18:19]
	v_mov_b32_e32 v3, s76
	v_add_co_u32_e64 v4, s[14:15], s59, v4
	v_addc_co_u32_e64 v5, s[14:15], v3, v5, s[14:15]
	global_load_dwordx2 v[4:5], v[4:5], off
.LBB97_184:                             ;   in Loop: Header=BB97_182 Depth=2
	s_or_b64 exec, exec, s[40:41]
	s_and_saveexec_b64 s[14:15], vcc
	s_cbranch_execz .LBB97_181
; %bb.185:                              ;   in Loop: Header=BB97_182 Depth=2
	s_waitcnt vmcnt(0)
	v_xor_b32_e32 v3, 0x80000000, v5
	v_and_b32_e32 v7, s65, v3
	v_and_b32_e32 v6, s64, v4
	v_cmp_eq_u64_e32 vcc, s[66:67], v[6:7]
	s_and_b64 exec, exec, vcc
	s_cbranch_execz .LBB97_181
; %bb.186:                              ;   in Loop: Header=BB97_182 Depth=2
	v_mov_b32_e32 v3, v19
	ds_write_b128 v19, v[2:5] offset:3072
	s_branch .LBB97_181
.LBB97_187:                             ;   in Loop: Header=BB97_12 Depth=1
	s_or_b64 exec, exec, s[38:39]
	s_and_b64 s[14:15], s[36:37], exec
.LBB97_188:                             ;   in Loop: Header=BB97_12 Depth=1
	s_or_b64 exec, exec, s[34:35]
	s_mov_b64 s[38:39], -1
	s_mov_b64 s[34:35], 0
	s_mov_b64 s[36:37], 0
.LBB97_189:                             ;   in Loop: Header=BB97_12 Depth=1
	s_mov_b64 s[44:45], 0
                                        ; implicit-def: $sgpr54
	s_and_saveexec_b64 s[40:41], s[14:15]
	s_cbranch_execz .LBB97_244
; %bb.190:                              ;   in Loop: Header=BB97_12 Depth=1
	s_xor_b64 s[2:3], s[42:43], -1
	s_mov_b64 s[14:15], 0
	s_andn2_b64 vcc, exec, s[2:3]
	s_mov_b32 s53, 1
	s_cbranch_vccnz .LBB97_201
; %bb.191:                              ;   in Loop: Header=BB97_12 Depth=1
	s_cmp_gt_u32 s48, s46
	s_mov_b64 s[14:15], -1
                                        ; implicit-def: $sgpr54
                                        ; implicit-def: $sgpr42_sgpr43
                                        ; implicit-def: $sgpr44_sgpr45
	s_cbranch_scc1 .LBB97_197
; %bb.192:                              ;   in Loop: Header=BB97_12 Depth=1
	ds_read_b32 v3, v19 offset:4104
	s_waitcnt lgkmcnt(0)
	v_cmp_ne_u32_e32 vcc, 0, v3
	s_cbranch_vccnz .LBB97_196
; %bb.193:                              ;   in Loop: Header=BB97_12 Depth=1
	s_mov_b64 s[14:15], exec
	v_readlane_b32 s2, v54, 2
	v_readlane_b32 s3, v54, 3
	s_and_b64 s[2:3], s[14:15], s[2:3]
	s_mov_b64 exec, s[2:3]
	s_cbranch_execz .LBB97_195
; %bb.194:                              ;   in Loop: Header=BB97_12 Depth=1
	v_mov_b32_e32 v3, s46
	ds_write_b32 v19, v3 offset:4108
.LBB97_195:                             ;   in Loop: Header=BB97_12 Depth=1
	s_or_b64 exec, exec, s[14:15]
	s_waitcnt lgkmcnt(0)
	s_barrier
.LBB97_196:                             ;   in Loop: Header=BB97_12 Depth=1
	s_lshl_b64 s[2:3], 2, s47
	s_and_b64 s[8:9], s[66:67], s[28:29]
	s_or_b64 s[42:43], s[8:9], s[2:3]
	s_or_b64 s[44:45], s[64:65], s[16:17]
	s_mov_b64 s[14:15], 0
	s_mov_b32 s54, 8
.LBB97_197:                             ;   in Loop: Header=BB97_12 Depth=1
	s_andn2_b64 vcc, exec, s[14:15]
	s_cbranch_vccnz .LBB97_199
; %bb.198:                              ;   in Loop: Header=BB97_12 Depth=1
	s_sub_i32 s48, s48, s46
	s_mov_b64 s[14:15], -1
	s_mov_b32 s54, 0
	s_mov_b64 s[42:43], s[66:67]
	s_mov_b64 s[44:45], s[64:65]
.LBB97_199:                             ;   in Loop: Header=BB97_12 Depth=1
	s_mov_b32 s68, s50
	s_mov_b64 s[64:65], s[44:45]
	s_mov_b64 s[66:67], s[42:43]
	s_mov_b32 s53, s48
	s_andn2_b64 vcc, exec, s[14:15]
	s_mov_b64 s[50:51], -1
	s_cbranch_vccz .LBB97_202
.LBB97_200:                             ;   in Loop: Header=BB97_12 Depth=1
                                        ; implicit-def: $sgpr14_sgpr15
                                        ; implicit-def: $sgpr44_sgpr45
                                        ; implicit-def: $sgpr42_sgpr43
	s_branch .LBB97_243
.LBB97_201:                             ;   in Loop: Header=BB97_12 Depth=1
	s_mov_b32 s68, s50
	s_mov_b32 s54, 1
	s_andn2_b64 vcc, exec, s[14:15]
	s_mov_b64 s[50:51], -1
	s_cbranch_vccnz .LBB97_200
.LBB97_202:                             ;   in Loop: Header=BB97_12 Depth=1
	s_cmp_eq_u32 s52, 1
	s_cselect_b64 s[2:3], -1, 0
	s_cmp_eq_u32 s53, 1
	s_cselect_b64 s[8:9], -1, 0
	s_and_b64 s[28:29], s[2:3], s[8:9]
	s_mov_b64 s[46:47], -1
	s_and_b64 vcc, exec, s[28:29]
	s_cbranch_vccz .LBB97_214
; %bb.203:                              ;   in Loop: Header=BB97_12 Depth=1
	ds_read_b32 v3, v19 offset:4104
	v_readlane_b32 s6, v54, 26
	v_readlane_b32 s7, v54, 27
	s_waitcnt lgkmcnt(0)
	s_barrier
	v_readfirstlane_b32 s2, v3
	s_and_saveexec_b64 s[14:15], s[6:7]
	s_cbranch_execz .LBB97_205
; %bb.204:                              ;   in Loop: Header=BB97_12 Depth=1
	v_mov_b32_e32 v18, v19
	ds_write_b64 v32, v[18:19]
.LBB97_205:                             ;   in Loop: Header=BB97_12 Depth=1
	s_or_b64 exec, exec, s[14:15]
	s_or_b64 s[66:67], s[66:67], s[16:17]
	s_or_b64 s[64:65], s[64:65], s[16:17]
	s_cmp_eq_u32 s2, 0
	s_waitcnt lgkmcnt(0)
	s_barrier
	s_cbranch_scc1 .LBB97_215
; %bb.206:                              ;   in Loop: Header=BB97_12 Depth=1
	v_readlane_b32 s3, v54, 17
	s_add_i32 s3, s2, s3
	v_readlane_b32 s6, v54, 40
	s_mul_hi_u32 s8, s3, s6
	s_mul_i32 s8, s8, s57
	s_sub_i32 s8, s3, s8
	s_sub_i32 s9, s8, s57
	s_cmp_ge_u32 s8, s57
	s_cselect_b32 s8, s9, s8
	s_sub_i32 s9, s8, s57
	s_cmp_ge_u32 s8, s57
	s_cselect_b32 s8, s9, s8
	s_sub_i32 s3, s3, s8
	v_cmp_gt_u32_e32 vcc, s3, v0
	s_mov_b64 s[46:47], 0
                                        ; implicit-def: $vgpr6_vgpr7
	s_and_saveexec_b64 s[14:15], vcc
	s_cbranch_execz .LBB97_217
; %bb.207:                              ;   in Loop: Header=BB97_12 Depth=1
	s_mov_b64 s[44:45], 0
	v_mov_b32_e32 v8, v31
	v_mov_b32_e32 v9, v0
                                        ; implicit-def: $sgpr42_sgpr43
	s_branch .LBB97_209
.LBB97_208:                             ;   in Loop: Header=BB97_209 Depth=2
	s_or_b64 exec, exec, s[46:47]
	s_waitcnt lgkmcnt(0)
	s_barrier
	ds_read_b128 v[4:7], v19 offset:3072
	v_add_u32_e32 v9, s57, v9
	v_cmp_le_u32_e32 vcc, s3, v9
	v_add_u32_e32 v8, s1, v8
	s_waitcnt lgkmcnt(0)
	v_readfirstlane_b32 s9, v5
	v_readfirstlane_b32 s8, v4
	s_cmp_lg_u64 s[8:9], 0
	s_cselect_b64 s[8:9], -1, 0
	s_or_b64 s[46:47], vcc, s[8:9]
	s_and_b64 s[46:47], exec, s[46:47]
	s_or_b64 s[44:45], s[46:47], s[44:45]
	s_andn2_b64 s[42:43], s[42:43], exec
	s_and_b64 s[8:9], s[8:9], exec
	s_or_b64 s[42:43], s[42:43], s[8:9]
	s_barrier
	s_andn2_b64 exec, exec, s[44:45]
	s_cbranch_execz .LBB97_216
.LBB97_209:                             ;   Parent Loop BB97_12 Depth=1
                                        ; =>  This Inner Loop Header: Depth=2
	v_cmp_gt_u32_e32 vcc, s2, v9
	s_waitcnt vmcnt(0)
	v_pk_mov_b32 v[4:5], 0, 0
	s_and_saveexec_b64 s[46:47], vcc
	s_cbranch_execz .LBB97_211
; %bb.210:                              ;   in Loop: Header=BB97_209 Depth=2
	ds_read_b64 v[4:5], v8
.LBB97_211:                             ;   in Loop: Header=BB97_209 Depth=2
	s_or_b64 exec, exec, s[46:47]
	s_and_saveexec_b64 s[46:47], vcc
	s_cbranch_execz .LBB97_208
; %bb.212:                              ;   in Loop: Header=BB97_209 Depth=2
	s_waitcnt lgkmcnt(0)
	v_xor_b32_e32 v3, 0x80000000, v5
	v_and_b32_e32 v7, s65, v3
	v_and_b32_e32 v6, s64, v4
	v_cmp_eq_u64_e32 vcc, s[66:67], v[6:7]
	s_and_b64 exec, exec, vcc
	s_cbranch_execz .LBB97_208
; %bb.213:                              ;   in Loop: Header=BB97_209 Depth=2
	v_mov_b32_e32 v3, v19
	ds_write_b128 v19, v[2:5] offset:3072
	s_branch .LBB97_208
.LBB97_214:                             ;   in Loop: Header=BB97_12 Depth=1
                                        ; implicit-def: $sgpr14_sgpr15
                                        ; implicit-def: $sgpr44_sgpr45
                                        ; implicit-def: $sgpr42_sgpr43
	s_branch .LBB97_228
.LBB97_215:                             ;   in Loop: Header=BB97_12 Depth=1
	s_mov_b64 s[14:15], -1
	s_mov_b64 s[46:47], 0
                                        ; implicit-def: $sgpr42_sgpr43
                                        ; implicit-def: $vgpr6_vgpr7
	s_mov_b64 s[44:45], s[14:15]
	s_cbranch_execnz .LBB97_218
	s_branch .LBB97_228
.LBB97_216:                             ;   in Loop: Header=BB97_12 Depth=1
	s_or_b64 exec, exec, s[44:45]
	s_and_b64 s[46:47], s[42:43], exec
.LBB97_217:                             ;   in Loop: Header=BB97_12 Depth=1
	s_or_b64 exec, exec, s[14:15]
	s_mov_b64 s[42:43], -1
	s_mov_b64 s[14:15], 0
	s_mov_b64 s[44:45], s[14:15]
	s_branch .LBB97_228
.LBB97_218:                             ;   in Loop: Header=BB97_12 Depth=1
	s_mov_b64 s[46:47], 0
                                        ; implicit-def: $vgpr6_vgpr7
	s_mov_b64 s[42:43], exec
	v_readlane_b32 s2, v54, 41
	v_readlane_b32 s3, v54, 42
	s_and_b64 s[2:3], s[42:43], s[2:3]
	s_mov_b64 exec, s[2:3]
	s_cbranch_execz .LBB97_227
; %bb.219:                              ;   in Loop: Header=BB97_12 Depth=1
	v_mov_b32_e32 v18, v16
	v_mov_b32_e32 v8, v0
                                        ; implicit-def: $sgpr44_sgpr45
	s_branch .LBB97_221
.LBB97_220:                             ;   in Loop: Header=BB97_221 Depth=2
	s_or_b64 exec, exec, s[14:15]
	s_waitcnt lgkmcnt(0)
	s_barrier
	s_waitcnt vmcnt(0)
	ds_read_b128 v[4:7], v19 offset:3072
	v_add_u32_e32 v8, s57, v8
	v_cmp_le_u32_e32 vcc, s72, v8
	v_add_u32_e32 v18, s77, v18
	s_waitcnt lgkmcnt(0)
	v_readfirstlane_b32 s3, v5
	v_readfirstlane_b32 s2, v4
	s_cmp_lg_u64 s[2:3], 0
	s_cselect_b64 s[2:3], -1, 0
	s_or_b64 s[8:9], vcc, s[2:3]
	s_and_b64 s[8:9], exec, s[8:9]
	s_or_b64 s[46:47], s[8:9], s[46:47]
	s_andn2_b64 s[8:9], s[44:45], exec
	s_and_b64 s[2:3], s[2:3], exec
	s_or_b64 s[44:45], s[8:9], s[2:3]
	s_barrier
	s_andn2_b64 exec, exec, s[46:47]
	s_cbranch_execz .LBB97_226
.LBB97_221:                             ;   Parent Loop BB97_12 Depth=1
                                        ; =>  This Inner Loop Header: Depth=2
	v_cmp_gt_u32_e32 vcc, s56, v8
	s_waitcnt vmcnt(0)
	v_pk_mov_b32 v[4:5], 0, 0
	s_and_saveexec_b64 s[48:49], vcc
	s_cbranch_execz .LBB97_223
; %bb.222:                              ;   in Loop: Header=BB97_221 Depth=2
	v_lshlrev_b64 v[4:5], 3, v[18:19]
	v_mov_b32_e32 v3, s76
	v_add_co_u32_e64 v4, s[14:15], s59, v4
	v_addc_co_u32_e64 v5, s[14:15], v3, v5, s[14:15]
	global_load_dwordx2 v[4:5], v[4:5], off
.LBB97_223:                             ;   in Loop: Header=BB97_221 Depth=2
	s_or_b64 exec, exec, s[48:49]
	s_and_saveexec_b64 s[14:15], vcc
	s_cbranch_execz .LBB97_220
; %bb.224:                              ;   in Loop: Header=BB97_221 Depth=2
	s_waitcnt vmcnt(0)
	v_xor_b32_e32 v3, 0x80000000, v5
	v_and_b32_e32 v7, s65, v3
	v_and_b32_e32 v6, s64, v4
	v_cmp_eq_u64_e32 vcc, s[66:67], v[6:7]
	s_and_b64 exec, exec, vcc
	s_cbranch_execz .LBB97_220
; %bb.225:                              ;   in Loop: Header=BB97_221 Depth=2
	v_mov_b32_e32 v3, v19
	ds_write_b128 v19, v[2:5] offset:3072
	s_branch .LBB97_220
.LBB97_226:                             ;   in Loop: Header=BB97_12 Depth=1
	s_or_b64 exec, exec, s[46:47]
	s_and_b64 s[46:47], s[44:45], exec
.LBB97_227:                             ;   in Loop: Header=BB97_12 Depth=1
	s_or_b64 exec, exec, s[42:43]
	s_mov_b64 s[44:45], -1
	s_mov_b64 s[14:15], 0
	s_mov_b64 s[42:43], 0
.LBB97_228:                             ;   in Loop: Header=BB97_12 Depth=1
	s_mov_b64 s[50:51], 0
                                        ; implicit-def: $sgpr54
	s_and_saveexec_b64 s[48:49], s[46:47]
	s_cbranch_execz .LBB97_242
; %bb.229:                              ;   in Loop: Header=BB97_12 Depth=1
	s_xor_b64 s[2:3], s[28:29], -1
	s_andn2_b64 vcc, exec, s[2:3]
	s_mov_b32 s54, 1
	s_cbranch_vccnz .LBB97_236
; %bb.230:                              ;   in Loop: Header=BB97_12 Depth=1
	s_cmp_gt_u32 s53, s52
	s_cbranch_scc1 .LBB97_237
; %bb.231:                              ;   in Loop: Header=BB97_12 Depth=1
	ds_read_b32 v3, v19 offset:4104
	s_waitcnt lgkmcnt(0)
	v_cmp_ne_u32_e32 vcc, 0, v3
	s_cbranch_vccnz .LBB97_235
; %bb.232:                              ;   in Loop: Header=BB97_12 Depth=1
	s_mov_b64 s[28:29], exec
	v_readlane_b32 s2, v54, 2
	v_readlane_b32 s3, v54, 3
	s_and_b64 s[2:3], s[28:29], s[2:3]
	s_mov_b64 exec, s[2:3]
	s_cbranch_execz .LBB97_234
; %bb.233:                              ;   in Loop: Header=BB97_12 Depth=1
	v_mov_b32_e32 v3, s52
	ds_write_b32 v19, v3 offset:4108
.LBB97_234:                             ;   in Loop: Header=BB97_12 Depth=1
	s_or_b64 exec, exec, s[28:29]
	s_waitcnt lgkmcnt(0)
	s_barrier
.LBB97_235:                             ;   in Loop: Header=BB97_12 Depth=1
	s_or_b64 s[28:29], s[66:67], s[16:17]
	s_or_b64 s[16:17], s[64:65], s[16:17]
	s_mov_b64 s[46:47], 0
	s_mov_b32 s54, 8
	s_branch .LBB97_238
.LBB97_236:                             ;   in Loop: Header=BB97_12 Depth=1
	s_mov_b32 s53, 1
	s_branch .LBB97_241
.LBB97_237:                             ;   in Loop: Header=BB97_12 Depth=1
	s_mov_b64 s[46:47], -1
                                        ; implicit-def: $sgpr54
                                        ; implicit-def: $sgpr28_sgpr29
                                        ; implicit-def: $sgpr16_sgpr17
.LBB97_238:                             ;   in Loop: Header=BB97_12 Depth=1
	s_andn2_b64 vcc, exec, s[46:47]
	s_cbranch_vccnz .LBB97_240
; %bb.239:                              ;   in Loop: Header=BB97_12 Depth=1
	s_sub_i32 s53, s53, s52
	s_mov_b32 s54, 8
	s_mov_b64 s[28:29], s[66:67]
	s_mov_b64 s[16:17], s[64:65]
.LBB97_240:                             ;   in Loop: Header=BB97_12 Depth=1
	s_mov_b64 s[66:67], s[28:29]
	s_mov_b64 s[64:65], s[16:17]
.LBB97_241:                             ;   in Loop: Header=BB97_12 Depth=1
	s_mov_b64 s[50:51], exec
.LBB97_242:                             ;   in Loop: Header=BB97_12 Depth=1
	s_or_b64 exec, exec, s[48:49]
.LBB97_243:                             ;   in Loop: Header=BB97_12 Depth=1
	s_andn2_b64 s[2:3], s[34:35], exec
	s_and_b64 s[8:9], s[14:15], exec
	s_or_b64 s[34:35], s[2:3], s[8:9]
	s_andn2_b64 s[2:3], s[38:39], exec
	s_and_b64 s[8:9], s[44:45], exec
	s_or_b64 s[38:39], s[2:3], s[8:9]
	;; [unrolled: 3-line block ×3, first 2 shown]
	s_and_b64 s[44:45], s[50:51], exec
	s_mov_b32 s48, s53
	s_mov_b32 s50, s68
.LBB97_244:                             ;   in Loop: Header=BB97_12 Depth=1
	s_or_b64 exec, exec, s[40:41]
.LBB97_245:                             ;   in Loop: Header=BB97_12 Depth=1
	s_andn2_b64 s[2:3], s[24:25], exec
	s_and_b64 s[8:9], s[34:35], exec
	s_or_b64 s[24:25], s[2:3], s[8:9]
	s_andn2_b64 s[2:3], s[26:27], exec
	s_and_b64 s[8:9], s[38:39], exec
	s_or_b64 s[26:27], s[2:3], s[8:9]
	;; [unrolled: 3-line block ×3, first 2 shown]
	s_and_b64 s[36:37], s[44:45], exec
	s_mov_b32 s39, s48
.LBB97_246:                             ;   in Loop: Header=BB97_12 Depth=1
	s_or_b64 exec, exec, s[30:31]
                                        ; implicit-def: $sgpr74
	s_and_saveexec_b64 s[2:3], s[36:37]
	s_xor_b64 s[14:15], exec, s[2:3]
	s_cbranch_execz .LBB97_10
.LBB97_247:                             ;   in Loop: Header=BB97_12 Depth=1
	s_and_b32 s2, s54, -9
	s_cmp_eq_u32 s2, 0
	s_cbranch_scc1 .LBB97_8
; %bb.248:                              ;   in Loop: Header=BB97_12 Depth=1
	s_mov_b64 s[16:17], -1
                                        ; implicit-def: $sgpr64_sgpr65
                                        ; implicit-def: $sgpr39
                                        ; implicit-def: $sgpr78
                                        ; implicit-def: $sgpr13
	s_mov_b64 s[20:21], -1
	s_branch .LBB97_9
.LBB97_249:
	s_or_b64 exec, exec, s[86:87]
	s_xor_b64 s[8:9], s[92:93], -1
	s_xor_b64 s[0:1], s[88:89], -1
	;; [unrolled: 1-line block ×3, first 2 shown]
	s_mov_b64 s[4:5], 0
	s_and_saveexec_b64 s[2:3], s[0:1]
	s_xor_b64 s[0:1], exec, s[2:3]
	s_cbranch_execnz .LBB97_254
; %bb.250:
	s_andn2_saveexec_b64 s[0:1], s[0:1]
	s_cbranch_execnz .LBB97_267
.LBB97_251:
	s_or_b64 exec, exec, s[0:1]
	s_and_saveexec_b64 s[0:1], s[4:5]
.LBB97_252:
	; divergent unreachable
.LBB97_253:
	s_endpgm
.LBB97_254:
	s_and_saveexec_b64 s[2:3], s[8:9]
	s_xor_b64 s[4:5], exec, s[2:3]
	s_cbranch_execz .LBB97_265
; %bb.255:
	s_and_saveexec_b64 s[2:3], s[6:7]
	s_xor_b64 s[6:7], exec, s[2:3]
; %bb.256:
	v_xor_b32_e32 v5, 0x80000000, v5
	v_pk_mov_b32 v[6:7], v[4:5], v[4:5] op_sel:[0,1]
; %bb.257:
	s_or_b64 exec, exec, s[6:7]
	v_readlane_b32 s7, v54, 0
	v_readlane_b32 s8, v54, 12
	s_mul_i32 s2, s8, s7
	v_readlane_b32 s18, v54, 14
	s_sub_i32 s2, s18, s2
	s_add_i32 s3, s8, 1
	s_sub_i32 s6, s2, s7
	s_cmp_ge_u32 s2, s7
	s_cselect_b32 s3, s3, s8
	s_cselect_b32 s2, s6, s2
	s_add_i32 s6, s3, 1
	s_cmp_ge_u32 s2, s7
	s_cselect_b32 s2, s6, s3
	s_mul_i32 s3, s2, s7
	v_readlane_b32 s6, v54, 8
	s_sub_i32 s3, s18, s3
	v_readlane_b32 s7, v54, 9
	s_mul_i32 s3, s3, s7
	s_mul_i32 s2, s2, s6
	s_add_i32 s2, s2, s3
	s_mov_b32 s3, 0
	s_lshl_b64 s[2:3], s[2:3], 3
	v_readlane_b32 s6, v54, 10
	v_readlane_b32 s7, v54, 11
	s_add_u32 s2, s6, s2
	s_addc_u32 s3, s7, s3
	v_mov_b32_e32 v17, 0
	global_store_dwordx2 v17, v[6:7], s[2:3]
	s_mov_b64 s[6:7], exec
	v_readlane_b32 s2, v54, 15
	v_readlane_b32 s3, v54, 16
	s_and_b64 s[2:3], s[6:7], s[2:3]
	s_mov_b64 exec, s[2:3]
	s_cbranch_execz .LBB97_264
; %bb.258:
	s_mov_b64 s[2:3], 0
	v_mov_b32_e32 v1, s76
                                        ; implicit-def: $sgpr8_sgpr9
                                        ; implicit-def: $sgpr12_sgpr13
                                        ; implicit-def: $sgpr10_sgpr11
	s_branch .LBB97_260
.LBB97_259:                             ;   in Loop: Header=BB97_260 Depth=1
	s_or_b64 exec, exec, s[14:15]
	s_and_b64 s[14:15], exec, s[12:13]
	s_or_b64 s[2:3], s[14:15], s[2:3]
	s_andn2_b64 s[8:9], s[8:9], exec
	s_and_b64 s[14:15], s[10:11], exec
	s_or_b64 s[8:9], s[8:9], s[14:15]
	s_andn2_b64 exec, exec, s[2:3]
	s_cbranch_execz .LBB97_262
.LBB97_260:                             ; =>This Inner Loop Header: Depth=1
	v_lshlrev_b64 v[2:3], 3, v[16:17]
	v_add_co_u32_e32 v2, vcc, s59, v2
	v_addc_co_u32_e32 v3, vcc, v1, v3, vcc
	global_load_dwordx2 v[4:5], v[2:3], off
	v_mov_b32_e32 v2, v0
	s_or_b64 s[10:11], s[10:11], exec
	s_or_b64 s[12:13], s[12:13], exec
                                        ; implicit-def: $vgpr0
	s_waitcnt vmcnt(0)
	v_cmp_ne_u64_e32 vcc, v[4:5], v[6:7]
	s_and_saveexec_b64 s[14:15], vcc
	s_cbranch_execz .LBB97_259
; %bb.261:                              ;   in Loop: Header=BB97_260 Depth=1
	v_add_u32_e32 v0, s57, v2
	v_cmp_le_u32_e32 vcc, s56, v0
	s_andn2_b64 s[12:13], s[12:13], exec
	s_and_b64 s[16:17], vcc, exec
	v_add_u32_e32 v16, s77, v16
	s_andn2_b64 s[10:11], s[10:11], exec
	s_or_b64 s[12:13], s[12:13], s[16:17]
	s_branch .LBB97_259
.LBB97_262:
	s_or_b64 exec, exec, s[2:3]
	s_and_saveexec_b64 s[2:3], s[8:9]
	s_xor_b64 s[2:3], exec, s[2:3]
	s_cbranch_execz .LBB97_264
; %bb.263:
	v_readlane_b32 s9, v54, 1
	v_readlane_b32 s10, v54, 13
	s_mul_i32 s2, s10, s9
	s_sub_i32 s2, s18, s2
	s_add_i32 s3, s10, 1
	s_sub_i32 s8, s2, s9
	s_cmp_ge_u32 s2, s9
	s_cselect_b32 s3, s3, s10
	s_cselect_b32 s2, s8, s2
	s_add_i32 s8, s3, 1
	s_cmp_ge_u32 s2, s9
	s_cselect_b32 s2, s8, s3
	s_mul_i32 s3, s2, s9
	v_readlane_b32 s8, v54, 4
	s_sub_i32 s3, s18, s3
	v_readlane_b32 s9, v54, 5
	s_mul_i32 s3, s3, s9
	s_mul_i32 s2, s2, s8
	s_add_i32 s2, s2, s3
	s_mov_b32 s3, 0
	s_lshl_b64 s[2:3], s[2:3], 3
	v_readlane_b32 s8, v54, 6
	v_readlane_b32 s9, v54, 7
	s_add_u32 s2, s8, s2
	s_addc_u32 s3, s9, s3
	v_mov_b32_e32 v3, 0
	global_store_dwordx2 v3, v[2:3], s[2:3]
.LBB97_264:
	s_or_b64 exec, exec, s[6:7]
.LBB97_265:
	s_or_saveexec_b64 s[2:3], s[4:5]
	s_mov_b64 s[4:5], 0
	s_xor_b64 exec, exec, s[2:3]
	s_cbranch_execnz .LBB97_268
.LBB97_266:
	s_or_b64 exec, exec, s[2:3]
	s_and_b64 s[4:5], s[4:5], exec
	s_andn2_saveexec_b64 s[0:1], s[0:1]
	s_cbranch_execz .LBB97_251
.LBB97_267:
	s_or_b64 s[4:5], s[4:5], exec
	s_trap 2
	s_or_b64 exec, exec, s[0:1]
	s_and_saveexec_b64 s[0:1], s[4:5]
	s_cbranch_execnz .LBB97_252
	s_branch .LBB97_253
.LBB97_268:
	s_mov_b64 s[4:5], exec
	s_trap 2
	s_branch .LBB97_266
	.section	.rodata,"a",@progbits
	.p2align	6, 0x0
	.amdhsa_kernel _ZN2at6native12_GLOBAL__N_112gatherMedianIljLi2EEEvNS_4cuda6detail10TensorInfoIT_T0_EENS5_IlS7_EENS5_IKS6_S7_EES7_S7_S7_b
		.amdhsa_group_segment_fixed_size 4120
		.amdhsa_private_segment_fixed_size 0
		.amdhsa_kernarg_size 920
		.amdhsa_user_sgpr_count 6
		.amdhsa_user_sgpr_private_segment_buffer 1
		.amdhsa_user_sgpr_dispatch_ptr 0
		.amdhsa_user_sgpr_queue_ptr 0
		.amdhsa_user_sgpr_kernarg_segment_ptr 1
		.amdhsa_user_sgpr_dispatch_id 0
		.amdhsa_user_sgpr_flat_scratch_init 0
		.amdhsa_user_sgpr_kernarg_preload_length 0
		.amdhsa_user_sgpr_kernarg_preload_offset 0
		.amdhsa_user_sgpr_private_segment_size 0
		.amdhsa_uses_dynamic_stack 0
		.amdhsa_system_sgpr_private_segment_wavefront_offset 0
		.amdhsa_system_sgpr_workgroup_id_x 1
		.amdhsa_system_sgpr_workgroup_id_y 1
		.amdhsa_system_sgpr_workgroup_id_z 1
		.amdhsa_system_sgpr_workgroup_info 0
		.amdhsa_system_vgpr_workitem_id 0
		.amdhsa_next_free_vgpr 55
		.amdhsa_next_free_sgpr 96
		.amdhsa_accum_offset 56
		.amdhsa_reserve_vcc 1
		.amdhsa_reserve_flat_scratch 0
		.amdhsa_float_round_mode_32 0
		.amdhsa_float_round_mode_16_64 0
		.amdhsa_float_denorm_mode_32 3
		.amdhsa_float_denorm_mode_16_64 3
		.amdhsa_dx10_clamp 1
		.amdhsa_ieee_mode 1
		.amdhsa_fp16_overflow 0
		.amdhsa_tg_split 0
		.amdhsa_exception_fp_ieee_invalid_op 0
		.amdhsa_exception_fp_denorm_src 0
		.amdhsa_exception_fp_ieee_div_zero 0
		.amdhsa_exception_fp_ieee_overflow 0
		.amdhsa_exception_fp_ieee_underflow 0
		.amdhsa_exception_fp_ieee_inexact 0
		.amdhsa_exception_int_div_zero 0
	.end_amdhsa_kernel
	.section	.text._ZN2at6native12_GLOBAL__N_112gatherMedianIljLi2EEEvNS_4cuda6detail10TensorInfoIT_T0_EENS5_IlS7_EENS5_IKS6_S7_EES7_S7_S7_b,"axG",@progbits,_ZN2at6native12_GLOBAL__N_112gatherMedianIljLi2EEEvNS_4cuda6detail10TensorInfoIT_T0_EENS5_IlS7_EENS5_IKS6_S7_EES7_S7_S7_b,comdat
.Lfunc_end97:
	.size	_ZN2at6native12_GLOBAL__N_112gatherMedianIljLi2EEEvNS_4cuda6detail10TensorInfoIT_T0_EENS5_IlS7_EENS5_IKS6_S7_EES7_S7_S7_b, .Lfunc_end97-_ZN2at6native12_GLOBAL__N_112gatherMedianIljLi2EEEvNS_4cuda6detail10TensorInfoIT_T0_EENS5_IlS7_EENS5_IKS6_S7_EES7_S7_S7_b
                                        ; -- End function
	.section	.AMDGPU.csdata,"",@progbits
; Kernel info:
; codeLenInByte = 10592
; NumSgprs: 100
; NumVgprs: 55
; NumAgprs: 0
; TotalNumVgprs: 55
; ScratchSize: 0
; MemoryBound: 0
; FloatMode: 240
; IeeeMode: 1
; LDSByteSize: 4120 bytes/workgroup (compile time only)
; SGPRBlocks: 12
; VGPRBlocks: 6
; NumSGPRsForWavesPerEU: 100
; NumVGPRsForWavesPerEU: 55
; AccumOffset: 56
; Occupancy: 8
; WaveLimiterHint : 1
; COMPUTE_PGM_RSRC2:SCRATCH_EN: 0
; COMPUTE_PGM_RSRC2:USER_SGPR: 6
; COMPUTE_PGM_RSRC2:TRAP_HANDLER: 0
; COMPUTE_PGM_RSRC2:TGID_X_EN: 1
; COMPUTE_PGM_RSRC2:TGID_Y_EN: 1
; COMPUTE_PGM_RSRC2:TGID_Z_EN: 1
; COMPUTE_PGM_RSRC2:TIDIG_COMP_CNT: 0
; COMPUTE_PGM_RSRC3_GFX90A:ACCUM_OFFSET: 13
; COMPUTE_PGM_RSRC3_GFX90A:TG_SPLIT: 0
	.section	.text._ZN2at6native12_GLOBAL__N_112gatherMedianIljLi3EEEvNS_4cuda6detail10TensorInfoIT_T0_EENS5_IlS7_EENS5_IKS6_S7_EES7_S7_S7_b,"axG",@progbits,_ZN2at6native12_GLOBAL__N_112gatherMedianIljLi3EEEvNS_4cuda6detail10TensorInfoIT_T0_EENS5_IlS7_EENS5_IKS6_S7_EES7_S7_S7_b,comdat
	.globl	_ZN2at6native12_GLOBAL__N_112gatherMedianIljLi3EEEvNS_4cuda6detail10TensorInfoIT_T0_EENS5_IlS7_EENS5_IKS6_S7_EES7_S7_S7_b ; -- Begin function _ZN2at6native12_GLOBAL__N_112gatherMedianIljLi3EEEvNS_4cuda6detail10TensorInfoIT_T0_EENS5_IlS7_EENS5_IKS6_S7_EES7_S7_S7_b
	.p2align	8
	.type	_ZN2at6native12_GLOBAL__N_112gatherMedianIljLi3EEEvNS_4cuda6detail10TensorInfoIT_T0_EENS5_IlS7_EENS5_IKS6_S7_EES7_S7_S7_b,@function
_ZN2at6native12_GLOBAL__N_112gatherMedianIljLi3EEEvNS_4cuda6detail10TensorInfoIT_T0_EENS5_IlS7_EENS5_IKS6_S7_EES7_S7_S7_b: ; @_ZN2at6native12_GLOBAL__N_112gatherMedianIljLi3EEEvNS_4cuda6detail10TensorInfoIT_T0_EENS5_IlS7_EENS5_IKS6_S7_EES7_S7_S7_b
; %bb.0:
	s_load_dwordx2 s[14:15], s[4:5], 0x298
	s_load_dwordx4 s[56:59], s[4:5], 0x288
	s_add_u32 s12, s4, 0x298
	s_addc_u32 s13, s5, 0
	s_waitcnt lgkmcnt(0)
	s_mul_i32 s0, s15, s8
	s_add_i32 s0, s0, s7
	s_mul_i32 s0, s0, s14
	s_add_i32 s22, s0, s6
	s_cmp_ge_u32 s22, s57
	s_cbranch_scc1 .LBB98_253
; %bb.1:
	s_load_dwordx2 s[16:17], s[4:5], 0xc
	s_load_dwordx2 s[2:3], s[4:5], 0x1bc
	s_load_dwordx2 s[18:19], s[4:5], 0xe4
	s_load_dwordx4 s[8:11], s[4:5], 0x21c
                                        ; implicit-def: $vgpr54 : SGPR spill to VGPR lane
	v_cmp_eq_u32_e64 s[20:21], 0, v0
	s_waitcnt lgkmcnt(0)
	v_cvt_f32_u32_e32 v3, s19
	v_cvt_f32_u32_e32 v1, s17
	s_sub_i32 s0, 0, s17
	v_cvt_f32_u32_e32 v2, s16
	v_rcp_iflag_f32_e32 v3, v3
	v_rcp_iflag_f32_e32 v1, v1
	;; [unrolled: 1-line block ×3, first 2 shown]
	v_mul_f32_e32 v1, 0x4f7ffffe, v1
	v_cvt_u32_f32_e32 v1, v1
	v_mul_f32_e32 v2, 0x4f7ffffe, v2
	v_cvt_u32_f32_e32 v2, v2
	v_readfirstlane_b32 s1, v1
	s_mul_i32 s0, s0, s1
	s_mul_hi_u32 s0, s1, s0
	s_add_i32 s1, s1, s0
	s_mul_hi_u32 s0, s22, s1
	s_mul_i32 s1, s0, s17
	s_sub_i32 s1, s22, s1
	s_add_i32 s7, s0, 1
	s_sub_i32 s11, s1, s17
	s_cmp_ge_u32 s1, s17
	s_cselect_b32 s0, s7, s0
	v_mul_f32_e32 v1, 0x4f7ffffe, v3
	s_cselect_b32 s1, s11, s1
	s_add_i32 s7, s0, 1
	v_cvt_u32_f32_e32 v1, v1
	s_cmp_ge_u32 s1, s17
	s_cselect_b32 s0, s7, s0
	v_writelane_b32 v54, s0, 0
	v_writelane_b32 v54, s16, 1
	s_sub_i32 s0, 0, s16
	v_readfirstlane_b32 s1, v2
	v_readfirstlane_b32 s11, v1
	v_cvt_f32_u32_e32 v1, s18
	s_mul_i32 s0, s0, s1
	s_mul_hi_u32 s7, s1, s0
	s_sub_i32 s0, 0, s19
	s_mul_i32 s0, s0, s11
	s_mul_hi_u32 s0, s11, s0
	v_rcp_iflag_f32_e32 v1, v1
	s_add_i32 s11, s11, s0
	v_cvt_f32_u32_e32 v2, s3
	s_mul_hi_u32 s0, s22, s11
	s_mul_i32 s11, s0, s19
	s_sub_i32 s11, s22, s11
	v_mul_f32_e32 v1, 0x4f7ffffe, v1
	v_writelane_b32 v54, s17, 2
	s_add_i32 s15, s0, 1
	s_sub_i32 s16, s11, s19
	v_cvt_u32_f32_e32 v1, v1
	v_rcp_iflag_f32_e32 v2, v2
	s_cmp_ge_u32 s11, s19
	s_cselect_b32 s0, s15, s0
	s_cselect_b32 s11, s16, s11
	s_add_i32 s15, s0, 1
	s_cmp_ge_u32 s11, s19
	v_readfirstlane_b32 s11, v1
	v_mul_f32_e32 v1, 0x4f7ffffe, v2
	v_cvt_u32_f32_e32 v1, v1
	s_cselect_b32 s0, s15, s0
	v_writelane_b32 v54, s0, 3
	v_writelane_b32 v54, s18, 4
	s_sub_i32 s0, 0, s18
	s_mul_i32 s0, s0, s11
	v_readfirstlane_b32 s16, v1
	v_cvt_f32_u32_e32 v1, s2
	s_mul_hi_u32 s15, s11, s0
	s_sub_i32 s0, 0, s3
	s_mul_i32 s0, s0, s16
	s_mul_hi_u32 s0, s16, s0
	s_add_i32 s16, s16, s0
	v_rcp_iflag_f32_e32 v1, v1
	s_mul_hi_u32 s0, s22, s16
	s_mul_i32 s16, s0, s3
	s_sub_i32 s16, s22, s16
	v_writelane_b32 v54, s19, 5
	s_add_i32 s17, s0, 1
	s_sub_i32 s18, s16, s3
	v_mul_f32_e32 v1, 0x4f7ffffe, v1
	s_cmp_ge_u32 s16, s3
	v_cvt_u32_f32_e32 v1, v1
	s_cselect_b32 s0, s17, s0
	s_cselect_b32 s16, s18, s16
	s_add_i32 s17, s0, 1
	s_cmp_ge_u32 s16, s3
	s_cselect_b32 s0, s17, s0
	s_sub_i32 s16, 0, s2
	v_readfirstlane_b32 s18, v1
	s_mul_i32 s16, s16, s18
	s_mul_hi_u32 s16, s18, s16
	s_add_i32 s18, s18, s16
	s_mov_b64 s[16:17], exec
	v_writelane_b32 v54, s20, 6
	v_writelane_b32 v54, s21, 7
	s_and_b64 s[20:21], s[16:17], s[20:21]
	s_mov_b64 exec, s[20:21]
	s_cbranch_execz .LBB98_3
; %bb.2:
	v_mov_b32_e32 v2, 0
	v_mov_b32_e32 v3, v2
	ds_write_b64 v2, v[2:3] offset:4096
.LBB98_3:
	s_or_b64 exec, exec, s[16:17]
	s_load_dwordx4 s[24:27], s[4:5], 0x144
	v_mov_b32_e32 v1, 0
	s_waitcnt lgkmcnt(0)
	s_barrier
	v_writelane_b32 v54, s24, 8
	v_writelane_b32 v54, s25, 9
	;; [unrolled: 1-line block ×4, first 2 shown]
	s_load_dwordx4 s[24:27], s[4:5], 0x6c
	s_load_dwordx2 s[16:17], s[4:5], 0x1b0
	s_waitcnt lgkmcnt(0)
	s_barrier
	ds_read_b64 v[2:3], v1 offset:4096
	s_add_i32 s7, s1, s7
	s_add_i32 s11, s11, s15
	s_bitcmp1_b32 s59, 0
	v_writelane_b32 v54, s24, 12
	s_mul_hi_u32 s1, s0, s18
	s_cselect_b64 s[18:19], -1, 0
	s_waitcnt lgkmcnt(0)
	v_cmp_gt_i64_e32 vcc, 1, v[2:3]
	v_writelane_b32 v54, s25, 13
	s_or_b64 s[18:19], s[18:19], vcc
	v_writelane_b32 v54, s26, 14
	s_andn2_b64 vcc, exec, s[18:19]
	s_mov_b32 s82, s56
	v_writelane_b32 v54, s27, 15
	s_cbranch_vccnz .LBB98_5
; %bb.4:
	v_not_b32_e32 v1, v2
	v_not_b32_e32 v2, v3
	v_add_co_u32_e32 v1, vcc, s56, v1
	v_addc_co_u32_e32 v2, vcc, 0, v2, vcc
	v_lshrrev_b32_e32 v3, 31, v2
	v_add_co_u32_e32 v1, vcc, v1, v3
	v_addc_co_u32_e32 v2, vcc, 0, v2, vcc
	v_alignbit_b32 v1, v2, v1, 1
	v_readfirstlane_b32 s15, v1
	s_add_i32 s82, s15, 1
.LBB98_5:
	s_load_dwordx2 s[18:19], s[4:5], 0xd8
                                        ; kill: killed $sgpr4 killed $sgpr5
	s_waitcnt lgkmcnt(0)
	v_writelane_b32 v54, s18, 16
	v_writelane_b32 v54, s19, 17
	s_load_dwordx2 s[18:19], s[4:5], 0x0
	s_waitcnt lgkmcnt(0)
	v_writelane_b32 v54, s18, 18
	v_writelane_b32 v54, s19, 19
	v_readlane_b32 s4, v54, 0
	s_mul_hi_u32 s4, s4, s7
	v_writelane_b32 v54, s4, 20
	v_readlane_b32 s4, v54, 3
	s_mul_hi_u32 s4, s4, s11
	v_writelane_b32 v54, s4, 21
	s_mov_b64 s[4:5], exec
	v_readlane_b32 s18, v54, 6
	v_readlane_b32 s19, v54, 7
	s_and_b64 s[18:19], s[4:5], s[18:19]
	s_mov_b64 exec, s[18:19]
	s_cbranch_execz .LBB98_7
; %bb.6:
	v_mov_b32_e32 v2, 0
	v_mov_b32_e32 v3, s56
	ds_write_b32 v2, v2 offset:4112
	ds_write_b64 v2, v[2:3] offset:4104
.LBB98_7:
	s_or_b64 exec, exec, s[4:5]
	s_mul_i32 s4, s1, s2
	s_mul_i32 s3, s0, s3
	s_sub_i32 s4, s0, s4
	s_sub_i32 s3, s22, s3
	s_add_i32 s5, s1, 1
	s_sub_i32 s7, s4, s2
	s_cmp_ge_u32 s4, s2
	s_cselect_b32 s1, s5, s1
	s_cselect_b32 s4, s7, s4
	s_add_i32 s5, s1, 1
	s_cmp_ge_u32 s4, s2
	s_cselect_b32 s1, s5, s1
	s_mul_i32 s2, s1, s2
	s_sub_i32 s0, s0, s2
	s_mul_i32 s3, s3, s10
	s_mul_i32 s0, s0, s9
	s_add_i32 s0, s0, s3
	s_mul_i32 s1, s1, s8
	s_mov_b32 s50, 0
	s_waitcnt lgkmcnt(0)
	s_barrier
	s_load_dword s2, s[12:13], 0xc
	s_add_i32 s0, s0, s1
	s_mov_b32 s1, s50
	s_lshl_b64 s[0:1], s[0:1], 3
	s_add_u32 s59, s16, s0
	v_writelane_b32 v54, s22, 22
	s_addc_u32 s84, s17, s1
	v_cmp_gt_u32_e64 s[0:1], s56, v0
	v_mbcnt_lo_u32_b32 v1, -1, 0
	v_writelane_b32 v54, s0, 23
	s_waitcnt lgkmcnt(0)
	s_and_b32 s57, s2, 0xffff
	v_mbcnt_hi_u32_b32 v23, -1, v1
	v_writelane_b32 v54, s1, 24
	v_cmp_gt_u32_e32 vcc, 64, v0
	v_cmp_gt_i32_e64 s[4:5], 4, v23
	s_add_i32 s0, s57, -1
	s_lshl_b32 s86, s57, 2
	s_bfe_u32 s3, s2, 0xa0006
	s_and_b64 s[78:79], vcc, s[4:5]
	v_writelane_b32 v54, s0, 25
	s_add_i32 s0, s0, s56
	s_cmpk_gt_u32 s56, 0x180
	s_cselect_b64 s[4:5], -1, 0
	v_writelane_b32 v54, s4, 26
	s_cmp_gt_u32 s57, 63
	v_writelane_b32 v54, s5, 27
	s_cselect_b64 s[4:5], -1, 0
	s_cmp_lt_u32 s6, s14
	v_writelane_b32 v54, s4, 28
	s_cselect_b32 s1, 12, 18
	v_writelane_b32 v54, s5, 29
	s_add_u32 s4, s12, s1
	v_mov_b32_e32 v19, 0
	s_addc_u32 s5, s13, 0
	s_add_i32 s1, s3, -2
	s_lshr_b32 s2, s1, 1
	v_mul_lo_u32 v16, v0, s58
	v_mov_b32_e32 v17, v19
	s_add_i32 s2, s2, 1
	v_lshlrev_b64 v[2:3], 3, v[16:17]
	v_writelane_b32 v54, s4, 30
	s_cmpk_gt_u32 s57, 0x7f
	v_mov_b32_e32 v17, s84
	v_add_co_u32_e32 v20, vcc, s59, v2
	v_writelane_b32 v54, s5, 31
	s_cselect_b64 s[4:5], -1, 0
	v_addc_co_u32_e32 v21, vcc, v17, v3, vcc
	v_lshlrev_b64 v[2:3], v23, -1
	v_writelane_b32 v54, s4, 32
	v_not_b32_e32 v22, v2
	v_cvt_f32_u32_e32 v2, s86
	v_writelane_b32 v54, s5, 33
	v_cmp_gt_u32_e64 s[6:7], 2, v0
	s_and_b32 s8, s3, 0x3fe
	s_and_b32 s9, s2, 7
	v_writelane_b32 v54, s6, 34
	s_cmp_gt_u32 s1, 13
	v_writelane_b32 v54, s7, 35
	s_cselect_b64 s[10:11], -1, 0
	v_writelane_b32 v54, s10, 36
	v_rcp_iflag_f32_e32 v2, v2
	v_writelane_b32 v54, s11, 37
	s_and_b32 s1, s2, -8
	v_writelane_b32 v54, s1, 38
	s_cmp_lg_u32 s9, 0
	v_writelane_b32 v54, s9, 39
	s_cselect_b64 s[10:11], -1, 0
	v_writelane_b32 v54, s10, 40
	v_mul_f32_e32 v2, 0x4f7ffffe, v2
	v_writelane_b32 v54, s11, 41
	v_cvt_u32_f32_e32 v2, v2
	v_writelane_b32 v54, s3, 42
	s_cmp_lg_u32 s8, s3
	v_writelane_b32 v54, s8, 43
	s_cselect_b64 s[2:3], -1, 0
	v_writelane_b32 v54, s2, 44
	v_writelane_b32 v54, s3, 45
	s_sub_i32 s1, 0, s86
	v_readfirstlane_b32 s2, v2
	s_mul_i32 s1, s1, s2
	s_mul_hi_u32 s1, s2, s1
	s_add_i32 s33, s2, s1
	v_cvt_f32_u32_e32 v2, s57
	s_mul_hi_u32 s1, s56, s33
	s_mul_i32 s1, s1, s86
	s_sub_i32 s1, s56, s1
	s_sub_i32 s2, s1, s86
	v_rcp_iflag_f32_e32 v5, v2
	s_cmp_ge_u32 s1, s86
	s_cselect_b32 s1, s2, s1
	s_sub_i32 s2, s1, s86
	s_cmp_ge_u32 s1, s86
	v_mul_f32_e32 v5, 0x4f7ffffe, v5
	s_cselect_b32 s1, s2, s1
	v_cvt_u32_f32_e32 v5, v5
	v_lshlrev_b32_e32 v30, 2, v0
	s_sub_i32 s12, s56, s1
	v_cmp_gt_u32_e64 s[2:3], s12, v30
	v_writelane_b32 v54, s2, 46
	v_writelane_b32 v54, s3, 47
	s_sub_i32 s2, 0, s57
	v_readfirstlane_b32 s3, v5
	s_mul_i32 s2, s2, s3
	s_mul_hi_u32 s2, s3, s2
	s_add_i32 s2, s3, s2
	v_writelane_b32 v54, s2, 48
	s_mul_hi_u32 s2, s0, s2
	s_mul_i32 s2, s2, s57
	s_sub_i32 s2, s0, s2
	s_sub_i32 s3, s2, s57
	v_add_u32_e32 v35, s12, v0
	s_cmp_ge_u32 s2, s57
	v_lshrrev_b32_e32 v1, 4, v0
	v_mul_lo_u32 v18, v35, s58
	s_cselect_b32 s2, s3, s2
	v_and_b32_e32 v33, 60, v1
	v_not_b32_e32 v1, v3
	v_lshlrev_b64 v[2:3], 3, v[18:19]
	s_sub_i32 s3, s2, s57
	v_add_co_u32_e32 v24, vcc, s59, v2
	s_cmp_ge_u32 s2, s57
	v_mul_lo_u32 v2, s58, v30
	s_cselect_b32 s2, s3, s2
	v_add_u32_e32 v36, s58, v2
	v_or_b32_e32 v2, 2, v30
	s_sub_i32 s80, s0, s2
	v_mul_lo_u32 v37, s58, v2
	v_or_b32_e32 v2, 3, v30
	s_add_i32 s0, s57, s56
	v_mul_lo_u32 v38, s58, v2
	v_add_u32_e32 v2, s0, v0
	v_lshlrev_b32_e32 v31, 3, v0
	v_lshlrev_b32_e32 v4, 2, v23
	v_mov_b32_e32 v6, s84
	v_cmp_gt_u32_e64 s[2:3], s80, v0
	s_mul_i32 s85, s58, s57
	v_subrev_u32_e32 v2, s1, v2
	v_cmp_eq_u32_e64 s[4:5], 0, v23
	v_add_u32_e32 v32, 0xc00, v31
	v_and_b32_e32 v34, 0x100, v4
	v_cmp_gt_u32_e64 s[10:11], s56, v35
	v_addc_co_u32_e32 v25, vcc, v6, v3, vcc
	v_writelane_b32 v54, s2, 49
	s_lshl_b32 s81, s85, 2
	v_lshlrev_b32_e32 v39, 2, v16
	v_mul_lo_u32 v40, s58, v2
	v_lshlrev_b32_e32 v41, 5, v0
	s_lshl_b32 s0, s57, 5
	s_lshl_b32 s1, s57, 3
	v_or_b32_e32 v42, 0xc00, v4
	s_mov_b32 s87, 62
	s_mov_b64 s[94:95], 0
	v_pk_mov_b32 v[6:7], 0, 0
	v_mov_b32_e32 v2, 1
	v_mov_b32_e32 v43, 0xc00
	s_mov_b32 s13, 0
	s_mov_b64 s[70:71], 0
	s_mov_b64 s[68:69], 0
	v_writelane_b32 v54, s3, 50
                                        ; implicit-def: $sgpr72_sgpr73
                                        ; implicit-def: $sgpr62_sgpr63
                                        ; implicit-def: $sgpr60_sgpr61
                                        ; implicit-def: $sgpr74_sgpr75
                                        ; implicit-def: $sgpr64_sgpr65
                                        ; implicit-def: $sgpr66_sgpr67
	s_branch .LBB98_12
.LBB98_8:                               ;   in Loop: Header=BB98_12 Depth=1
	s_xor_b32 s13, s13, 1
	s_add_i32 s2, s87, -2
	s_cmp_eq_u32 s87, 0
	s_mov_b64 s[16:17], 0
	s_cselect_b64 s[20:21], -1, 0
	s_mov_b32 s87, s2
.LBB98_9:                               ;   in Loop: Header=BB98_12 Depth=1
	s_andn2_b64 s[2:3], s[24:25], exec
	s_and_b64 s[8:9], s[16:17], exec
	s_or_b64 s[24:25], s[2:3], s[8:9]
	s_andn2_b64 s[26:27], s[26:27], exec
	s_andn2_b64 s[22:23], s[22:23], exec
	s_orn2_b64 s[20:21], s[20:21], exec
	s_mov_b32 s82, s39
.LBB98_10:                              ;   in Loop: Header=BB98_12 Depth=1
	s_or_b64 exec, exec, s[14:15]
	s_andn2_b64 s[2:3], s[66:67], exec
	s_and_b64 s[8:9], s[24:25], exec
	s_or_b64 s[66:67], s[2:3], s[8:9]
	s_andn2_b64 s[2:3], s[64:65], exec
	s_and_b64 s[8:9], s[26:27], exec
	s_or_b64 s[64:65], s[2:3], s[8:9]
	;; [unrolled: 3-line block ×3, first 2 shown]
	s_orn2_b64 s[20:21], s[20:21], exec
.LBB98_11:                              ;   in Loop: Header=BB98_12 Depth=1
	s_or_b64 exec, exec, s[18:19]
	s_and_b64 s[2:3], exec, s[20:21]
	s_or_b64 s[94:95], s[2:3], s[94:95]
	s_andn2_b64 s[2:3], s[60:61], exec
	s_and_b64 s[8:9], s[66:67], exec
	s_or_b64 s[60:61], s[2:3], s[8:9]
	s_andn2_b64 s[2:3], s[62:63], exec
	s_and_b64 s[8:9], s[64:65], exec
	;; [unrolled: 3-line block ×3, first 2 shown]
	s_waitcnt vmcnt(0)
	v_pk_mov_b32 v[4:5], s[70:71], s[70:71] op_sel:[0,1]
	s_or_b64 s[72:73], s[2:3], s[8:9]
	s_andn2_b64 exec, exec, s[94:95]
	s_cbranch_execz .LBB98_249
.LBB98_12:                              ; =>This Loop Header: Depth=1
                                        ;     Child Loop BB98_20 Depth 2
                                        ;     Child Loop BB98_38 Depth 2
	;; [unrolled: 1-line block ×17, first 2 shown]
	ds_read_b64 v[4:5], v19 offset:4104
	s_waitcnt lgkmcnt(0)
	v_readfirstlane_b32 s77, v4
	s_cmp_lg_u32 s77, 0
	s_cbranch_scc1 .LBB98_45
; %bb.13:                               ;   in Loop: Header=BB98_12 Depth=1
	v_readlane_b32 s2, v54, 26
	v_readlane_b32 s3, v54, 27
	s_and_b64 vcc, exec, s[2:3]
	s_cbranch_vccz .LBB98_28
; %bb.14:                               ;   in Loop: Header=BB98_12 Depth=1
	s_movk_i32 s2, 0x181
	v_cmp_gt_u32_e32 vcc, s2, v5
	s_mov_b64 s[18:19], 0
	s_mov_b64 s[14:15], 0
	s_cbranch_vccz .LBB98_29
; %bb.15:                               ;   in Loop: Header=BB98_12 Depth=1
	v_pk_mov_b32 v[4:5], 0, 0
	s_mov_b64 s[14:15], exec
	v_readlane_b32 s2, v54, 23
	v_readlane_b32 s3, v54, 24
	s_and_b64 s[2:3], s[14:15], s[2:3]
	s_mov_b64 exec, s[2:3]
	s_cbranch_execz .LBB98_17
; %bb.16:                               ;   in Loop: Header=BB98_12 Depth=1
	global_load_dwordx2 v[4:5], v[20:21], off
.LBB98_17:                              ;   in Loop: Header=BB98_12 Depth=1
	s_or_b64 exec, exec, s[14:15]
	s_mov_b64 s[20:21], exec
	v_readlane_b32 s2, v54, 23
	v_readlane_b32 s3, v54, 24
	s_and_b64 s[2:3], s[20:21], s[2:3]
	s_mov_b64 exec, s[2:3]
	s_cbranch_execz .LBB98_30
; %bb.18:                               ;   in Loop: Header=BB98_12 Depth=1
	v_readlane_b32 s2, v54, 30
	v_readlane_b32 s3, v54, 31
	s_mov_b64 s[22:23], 0
	v_mov_b32_e32 v11, v0
	s_nop 2
	global_load_ushort v3, v19, s[2:3]
	s_waitcnt vmcnt(0)
	v_add_u32_e32 v8, v0, v3
	v_mul_lo_u32 v10, s58, v3
	v_mul_lo_u32 v18, s58, v8
	s_branch .LBB98_20
.LBB98_19:                              ;   in Loop: Header=BB98_20 Depth=2
	s_or_b64 exec, exec, s[16:17]
	v_add_u32_e32 v18, v18, v10
	s_waitcnt vmcnt(0)
	v_pk_mov_b32 v[4:5], v[8:9], v[8:9] op_sel:[0,1]
	s_andn2_b64 exec, exec, s[22:23]
	s_cbranch_execz .LBB98_30
.LBB98_20:                              ;   Parent Loop BB98_12 Depth=1
                                        ; =>  This Inner Loop Header: Depth=2
	v_add_u32_e32 v11, v11, v3
	v_cmp_gt_u32_e64 s[14:15], s56, v11
	v_cmp_le_u32_e32 vcc, s56, v11
	v_pk_mov_b32 v[8:9], 0, 0
	s_and_saveexec_b64 s[16:17], s[14:15]
	s_cbranch_execz .LBB98_22
; %bb.21:                               ;   in Loop: Header=BB98_20 Depth=2
	v_lshlrev_b64 v[8:9], 3, v[18:19]
	v_add_co_u32_e64 v8, s[14:15], s59, v8
	v_addc_co_u32_e64 v9, s[14:15], v17, v9, s[14:15]
	global_load_dwordx2 v[8:9], v[8:9], off
.LBB98_22:                              ;   in Loop: Header=BB98_20 Depth=2
	s_or_b64 exec, exec, s[16:17]
	s_waitcnt lgkmcnt(0)
	v_xor_b32_e32 v12, 0x80000000, v5
	v_and_b32_e32 v13, s69, v12
	v_and_b32_e32 v12, s68, v4
	v_cmp_eq_u64_e64 s[14:15], s[70:71], v[12:13]
	s_cmp_lg_u64 s[14:15], 0
	s_cselect_b64 s[2:3], -1, 0
	s_and_b64 s[2:3], s[4:5], s[2:3]
	v_mov_b32_e32 v12, 0
	s_and_saveexec_b64 s[24:25], s[2:3]
	s_cbranch_execz .LBB98_26
; %bb.23:                               ;   in Loop: Header=BB98_20 Depth=2
	s_mov_b64 s[28:29], exec
	v_mbcnt_lo_u32_b32 v12, s28, 0
	v_mbcnt_hi_u32_b32 v12, s29, v12
	s_bcnt1_i32_b64 s2, s[14:15]
	v_cmp_eq_u32_e64 s[16:17], 0, v12
                                        ; implicit-def: $vgpr13
	s_and_saveexec_b64 s[26:27], s[16:17]
	s_cbranch_execz .LBB98_25
; %bb.24:                               ;   in Loop: Header=BB98_20 Depth=2
	s_bcnt1_i32_b64 s3, s[28:29]
	s_mul_i32 s3, s2, s3
	v_mov_b32_e32 v13, s3
	ds_add_rtn_u32 v13, v19, v13 offset:4112
.LBB98_25:                              ;   in Loop: Header=BB98_20 Depth=2
	s_or_b64 exec, exec, s[26:27]
	s_waitcnt lgkmcnt(0)
	v_readfirstlane_b32 s3, v13
	v_mov_b32_e32 v13, s3
	v_mad_u32_u24 v12, s2, v12, v13
.LBB98_26:                              ;   in Loop: Header=BB98_20 Depth=2
	s_or_b64 exec, exec, s[24:25]
	ds_bpermute_b32 v12, v34, v12
	s_and_b64 s[2:3], exec, vcc
	s_or_b64 s[22:23], s[2:3], s[22:23]
	s_and_saveexec_b64 s[16:17], s[14:15]
	s_cbranch_execz .LBB98_19
; %bb.27:                               ;   in Loop: Header=BB98_20 Depth=2
	v_and_b32_e32 v14, s14, v22
	v_and_b32_e32 v13, s15, v1
	v_bcnt_u32_b32 v14, v14, 0
	v_bcnt_u32_b32 v13, v13, v14
	v_lshlrev_b32_e32 v13, 3, v13
	s_waitcnt lgkmcnt(0)
	v_lshl_add_u32 v12, v12, 3, v13
	ds_write_b64 v12, v[4:5]
	s_branch .LBB98_19
.LBB98_28:                              ;   in Loop: Header=BB98_12 Depth=1
	s_mov_b64 s[14:15], 0
                                        ; implicit-def: $sgpr77
	s_cbranch_execnz .LBB98_33
	s_branch .LBB98_43
.LBB98_29:                              ;   in Loop: Header=BB98_12 Depth=1
	s_mov_b32 s77, 0
	s_and_b64 vcc, exec, s[18:19]
	s_cbranch_vccnz .LBB98_33
	s_branch .LBB98_43
.LBB98_30:                              ;   in Loop: Header=BB98_12 Depth=1
	s_or_b64 exec, exec, s[20:21]
	s_waitcnt lgkmcnt(0)
	s_barrier
	s_mov_b64 s[14:15], exec
	v_readlane_b32 s2, v54, 6
	v_readlane_b32 s3, v54, 7
	s_and_b64 s[2:3], s[14:15], s[2:3]
	s_mov_b64 exec, s[2:3]
	s_cbranch_execz .LBB98_32
; %bb.31:                               ;   in Loop: Header=BB98_12 Depth=1
	ds_read_b32 v3, v19 offset:4112
	s_waitcnt lgkmcnt(0)
	ds_write_b32 v19, v3 offset:4104
.LBB98_32:                              ;   in Loop: Header=BB98_12 Depth=1
	s_or_b64 exec, exec, s[14:15]
	s_waitcnt lgkmcnt(0)
	s_barrier
	s_mov_b64 s[14:15], -1
	s_mov_b32 s77, 0
	s_and_b64 vcc, exec, s[18:19]
	s_cbranch_vccz .LBB98_43
.LBB98_33:                              ;   in Loop: Header=BB98_12 Depth=1
	s_waitcnt vmcnt(0)
	v_pk_mov_b32 v[4:5], 0, 0
	s_mov_b64 s[14:15], exec
	v_readlane_b32 s2, v54, 23
	v_readlane_b32 s3, v54, 24
	s_and_b64 s[2:3], s[14:15], s[2:3]
	s_mov_b64 exec, s[2:3]
	s_cbranch_execz .LBB98_35
; %bb.34:                               ;   in Loop: Header=BB98_12 Depth=1
	global_load_dwordx2 v[4:5], v[20:21], off
.LBB98_35:                              ;   in Loop: Header=BB98_12 Depth=1
	s_or_b64 exec, exec, s[14:15]
	s_mov_b64 s[16:17], exec
	v_readlane_b32 s2, v54, 23
	v_readlane_b32 s3, v54, 24
	s_and_b64 s[2:3], s[16:17], s[2:3]
	s_mov_b64 exec, s[2:3]
	s_cbranch_execz .LBB98_40
; %bb.36:                               ;   in Loop: Header=BB98_12 Depth=1
	v_readlane_b32 s2, v54, 30
	v_readlane_b32 s3, v54, 31
	s_mov_b64 s[18:19], 0
	v_mov_b32_e32 v10, v31
	v_mov_b32_e32 v13, v0
	s_nop 1
	global_load_ushort v3, v19, s[2:3]
	s_waitcnt vmcnt(0)
	v_add_u32_e32 v8, v0, v3
	v_lshlrev_b32_e32 v11, 3, v3
	v_mul_lo_u32 v12, s58, v3
	v_mul_lo_u32 v18, s58, v8
	s_branch .LBB98_38
.LBB98_37:                              ;   in Loop: Header=BB98_38 Depth=2
	s_or_b64 exec, exec, s[20:21]
	s_and_b64 s[2:3], exec, vcc
	s_or_b64 s[18:19], s[2:3], s[18:19]
	ds_write_b64 v10, v[4:5]
	v_add_u32_e32 v10, v10, v11
	v_add_u32_e32 v18, v18, v12
	s_waitcnt vmcnt(0)
	v_pk_mov_b32 v[4:5], v[8:9], v[8:9] op_sel:[0,1]
	s_andn2_b64 exec, exec, s[18:19]
	s_cbranch_execz .LBB98_40
.LBB98_38:                              ;   Parent Loop BB98_12 Depth=1
                                        ; =>  This Inner Loop Header: Depth=2
	v_add_u32_e32 v13, v13, v3
	v_cmp_gt_u32_e64 s[14:15], s56, v13
	v_cmp_le_u32_e32 vcc, s56, v13
	v_pk_mov_b32 v[8:9], 0, 0
	s_and_saveexec_b64 s[20:21], s[14:15]
	s_cbranch_execz .LBB98_37
; %bb.39:                               ;   in Loop: Header=BB98_38 Depth=2
	v_lshlrev_b64 v[8:9], 3, v[18:19]
	v_mov_b32_e32 v14, s84
	v_add_co_u32_e64 v8, s[14:15], s59, v8
	v_addc_co_u32_e64 v9, s[14:15], v14, v9, s[14:15]
	global_load_dwordx2 v[8:9], v[8:9], off
	s_branch .LBB98_37
.LBB98_40:                              ;   in Loop: Header=BB98_12 Depth=1
	s_or_b64 exec, exec, s[16:17]
	s_waitcnt lgkmcnt(0)
	s_barrier
	s_mov_b64 s[14:15], exec
	v_readlane_b32 s2, v54, 6
	v_readlane_b32 s3, v54, 7
	s_and_b64 s[2:3], s[14:15], s[2:3]
	s_mov_b64 exec, s[2:3]
	s_cbranch_execz .LBB98_42
; %bb.41:                               ;   in Loop: Header=BB98_12 Depth=1
	v_mov_b32_e32 v3, s56
	ds_write_b32 v19, v3 offset:4104
.LBB98_42:                              ;   in Loop: Header=BB98_12 Depth=1
	s_or_b64 exec, exec, s[14:15]
	s_mov_b64 s[14:15], -1
	s_waitcnt lgkmcnt(0)
	s_barrier
                                        ; implicit-def: $sgpr77
.LBB98_43:                              ;   in Loop: Header=BB98_12 Depth=1
	s_and_b64 vcc, exec, s[14:15]
	s_cbranch_vccz .LBB98_45
; %bb.44:                               ;   in Loop: Header=BB98_12 Depth=1
	ds_read_b32 v3, v19 offset:4104
	s_waitcnt lgkmcnt(0)
	v_readfirstlane_b32 s77, v3
.LBB98_45:                              ;   in Loop: Header=BB98_12 Depth=1
	s_cmp_lt_i32 s77, 1
	s_cbranch_scc0 .LBB98_57
; %bb.46:                               ;   in Loop: Header=BB98_12 Depth=1
	v_mov_b32_e32 v8, 0
	s_mov_b32 s48, 0
	v_mov_b32_e32 v9, 0
	v_mov_b32_e32 v10, v8
	v_mov_b32_e32 v11, 0
	s_mov_b64 s[44:45], exec
	v_readlane_b32 s2, v54, 46
	v_readlane_b32 s3, v54, 47
	s_and_b64 s[2:3], s[44:45], s[2:3]
	s_mov_b64 exec, s[2:3]
	s_cbranch_execz .LBB98_50
; %bb.47:                               ;   in Loop: Header=BB98_12 Depth=1
	s_mov_b32 s54, s50
	s_and_b32 s49, s87, 0xfe
	s_mov_b64 s[46:47], 0
	s_mov_b32 s50, 0
	s_mov_b32 s51, 0
	;; [unrolled: 1-line block ×4, first 2 shown]
	v_mov_b32_e32 v3, v30
.LBB98_48:                              ;   Parent Loop BB98_12 Depth=1
                                        ; =>  This Inner Loop Header: Depth=2
	v_add_u32_e32 v18, s48, v39
	v_lshlrev_b64 v[12:13], 3, v[18:19]
	s_waitcnt vmcnt(0)
	v_mov_b32_e32 v4, s84
	v_add_u32_e32 v18, s48, v36
	v_add_co_u32_e64 v12, s[14:15], s59, v12
	v_lshlrev_b64 v[14:15], 3, v[18:19]
	v_addc_co_u32_e64 v13, s[14:15], v4, v13, s[14:15]
	v_add_u32_e32 v18, s48, v37
	v_add_co_u32_e64 v14, s[14:15], s59, v14
	v_lshlrev_b64 v[26:27], 3, v[18:19]
	v_addc_co_u32_e64 v15, s[14:15], v4, v15, s[14:15]
	global_load_dwordx2 v[12:13], v[12:13], off
	v_add_u32_e32 v18, s48, v38
	global_load_dwordx2 v[14:15], v[14:15], off
	v_add_co_u32_e64 v26, s[14:15], s59, v26
	v_lshlrev_b64 v[28:29], 3, v[18:19]
	v_addc_co_u32_e64 v27, s[14:15], v4, v27, s[14:15]
	global_load_dwordx2 v[26:27], v[26:27], off
	v_add_co_u32_e64 v28, s[14:15], s59, v28
	v_addc_co_u32_e64 v29, s[14:15], v4, v29, s[14:15]
	global_load_dwordx2 v[28:29], v[28:29], off
	v_mov_b32_e32 v11, v19
	v_mov_b32_e32 v9, v19
	;; [unrolled: 1-line block ×3, first 2 shown]
	v_add_u32_e32 v3, s86, v3
	v_cmp_le_u32_e32 vcc, s12, v3
	s_add_i32 s48, s48, s81
	s_waitcnt vmcnt(3)
	v_xor_b32_e32 v13, 0x80000000, v13
	v_and_b32_e32 v44, s68, v12
	v_and_b32_e32 v45, s69, v13
	v_lshrrev_b64 v[12:13], s49, v[12:13]
	s_waitcnt vmcnt(2)
	v_xor_b32_e32 v15, 0x80000000, v15
	v_and_b32_e32 v18, 3, v12
	v_cmp_eq_u64_e64 s[14:15], s[70:71], v[44:45]
	v_lshrrev_b64 v[12:13], s49, v[14:15]
	v_cmp_eq_u64_e64 s[18:19], 0, v[18:19]
	s_waitcnt vmcnt(1)
	v_xor_b32_e32 v27, 0x80000000, v27
	v_and_b32_e32 v10, 3, v12
	v_cmp_eq_u64_e64 s[20:21], 1, v[18:19]
	s_and_b64 s[2:3], s[14:15], s[18:19]
	s_waitcnt vmcnt(0)
	v_xor_b32_e32 v29, 0x80000000, v29
	v_lshrrev_b64 v[12:13], s49, v[26:27]
	v_cmp_eq_u64_e64 s[22:23], 2, v[18:19]
	v_cmp_eq_u64_e64 s[28:29], 0, v[10:11]
	;; [unrolled: 1-line block ×5, first 2 shown]
	v_cndmask_b32_e64 v10, 0, 1, s[2:3]
	s_and_b64 s[2:3], s[14:15], s[20:21]
	v_and_b32_e32 v46, s68, v14
	v_and_b32_e32 v47, s69, v15
	v_cmp_eq_u64_e64 s[24:25], 3, v[18:19]
	v_and_b32_e32 v8, 3, v12
	v_lshrrev_b64 v[12:13], s49, v[28:29]
	v_cndmask_b32_e64 v11, 0, 1, s[2:3]
	s_and_b64 s[2:3], s[14:15], s[22:23]
	v_cmp_eq_u64_e64 s[16:17], s[70:71], v[46:47]
	v_cndmask_b32_e64 v13, 0, 1, s[2:3]
	s_and_b64 s[2:3], s[14:15], s[24:25]
	v_cndmask_b32_e64 v18, 0, 1, s[2:3]
	s_and_b64 s[2:3], s[16:17], s[28:29]
	v_cmp_eq_u64_e64 s[18:19], 0, v[8:9]
	v_cmp_eq_u64_e64 s[20:21], 1, v[8:9]
	;; [unrolled: 1-line block ×4, first 2 shown]
	v_cndmask_b32_e64 v8, 0, 1, s[2:3]
	s_and_b64 s[2:3], s[16:17], s[30:31]
	v_and_b32_e32 v44, s68, v26
	v_and_b32_e32 v45, s69, v27
	v_cndmask_b32_e64 v9, 0, 1, s[2:3]
	s_and_b64 s[2:3], s[16:17], s[34:35]
	v_cmp_eq_u64_e64 s[26:27], s[70:71], v[44:45]
	v_cmp_ne_u32_e64 s[38:39], 0, v10
	v_cndmask_b32_e64 v10, 0, 1, s[2:3]
	s_and_b64 s[2:3], s[16:17], s[36:37]
	v_and_b32_e32 v4, 3, v12
	v_cmp_ne_u32_e64 s[28:29], 0, v11
	v_cndmask_b32_e64 v11, 0, 1, s[2:3]
	s_and_b64 s[2:3], s[26:27], s[18:19]
	v_cmp_eq_u64_e64 s[16:17], 0, v[4:5]
	v_cmp_eq_u64_e64 s[36:37], 1, v[4:5]
	;; [unrolled: 1-line block ×4, first 2 shown]
	v_cndmask_b32_e64 v4, 0, 1, s[2:3]
	s_and_b64 s[2:3], s[26:27], s[20:21]
	v_and_b32_e32 v14, s68, v28
	v_and_b32_e32 v15, s69, v29
	v_cndmask_b32_e64 v5, 0, 1, s[2:3]
	s_and_b64 s[2:3], s[26:27], s[22:23]
	v_cmp_eq_u64_e64 s[14:15], s[70:71], v[14:15]
	s_bcnt1_i32_b64 s8, s[38:39]
	v_cmp_ne_u32_e64 s[38:39], 0, v8
	v_cndmask_b32_e64 v8, 0, 1, s[2:3]
	s_and_b64 s[2:3], s[26:27], s[24:25]
	v_cmp_ne_u32_e64 s[18:19], 0, v9
	v_cndmask_b32_e64 v9, 0, 1, s[2:3]
	s_and_b64 s[2:3], s[14:15], s[16:17]
	;; [unrolled: 3-line block ×3, first 2 shown]
	v_cmp_ne_u32_e64 s[30:31], 0, v13
	v_cmp_ne_u32_e64 s[34:35], 0, v18
	;; [unrolled: 1-line block ×3, first 2 shown]
	v_cndmask_b32_e64 v5, 0, 1, s[2:3]
	s_and_b64 s[2:3], s[14:15], s[40:41]
	s_bcnt1_i32_b64 s9, s[28:29]
	s_bcnt1_i32_b64 s28, s[30:31]
	v_cmp_ne_u32_e64 s[20:21], 0, v10
	s_bcnt1_i32_b64 s29, s[34:35]
	v_cmp_ne_u32_e64 s[22:23], 0, v11
	;; [unrolled: 2-line block ×3, first 2 shown]
	v_cndmask_b32_e64 v8, 0, 1, s[2:3]
	s_and_b64 s[2:3], s[14:15], s[42:43]
	s_bcnt1_i32_b64 s26, s[38:39]
	s_add_i32 s8, s53, s8
	s_add_i32 s9, s52, s9
	s_bcnt1_i32_b64 s30, s[20:21]
	s_add_i32 s28, s51, s28
	s_bcnt1_i32_b64 s22, s[22:23]
	v_cmp_ne_u32_e64 s[20:21], 0, v9
	v_cndmask_b32_e64 v9, 0, 1, s[2:3]
	s_add_i32 s2, s50, s29
	s_bcnt1_i32_b64 s3, s[24:25]
	v_cmp_ne_u32_e64 s[14:15], 0, v4
	s_add_i32 s8, s8, s26
	s_bcnt1_i32_b64 s23, s[16:17]
	v_cmp_ne_u32_e64 s[16:17], 0, v5
	;; [unrolled: 3-line block ×4, first 2 shown]
	s_add_i32 s2, s2, s22
	s_bcnt1_i32_b64 s14, s[14:15]
	s_add_i32 s3, s8, s3
	s_bcnt1_i32_b64 s8, s[16:17]
	s_add_i32 s9, s9, s23
	s_bcnt1_i32_b64 s15, s[18:19]
	s_add_i32 s16, s25, s24
	s_bcnt1_i32_b64 s17, s[20:21]
	s_add_i32 s2, s2, s26
	s_add_i32 s53, s3, s14
	;; [unrolled: 1-line block ×5, first 2 shown]
	s_or_b64 s[46:47], vcc, s[46:47]
	v_mov_b32_e32 v8, s53
	v_mov_b32_e32 v9, s52
	;; [unrolled: 1-line block ×4, first 2 shown]
	s_andn2_b64 exec, exec, s[46:47]
	s_cbranch_execnz .LBB98_48
; %bb.49:                               ;   in Loop: Header=BB98_12 Depth=1
	s_or_b64 exec, exec, s[46:47]
	s_mov_b32 s50, s54
.LBB98_50:                              ;   in Loop: Header=BB98_12 Depth=1
	s_or_b64 exec, exec, s[44:45]
	v_pk_mov_b32 v[12:13], 0, 0
	s_and_saveexec_b64 s[14:15], s[10:11]
	s_cbranch_execz .LBB98_52
; %bb.51:                               ;   in Loop: Header=BB98_12 Depth=1
	global_load_dwordx2 v[12:13], v[24:25], off
.LBB98_52:                              ;   in Loop: Header=BB98_12 Depth=1
	s_or_b64 exec, exec, s[14:15]
	s_mov_b64 s[16:17], 0
	s_mov_b64 s[88:89], 0
	s_and_saveexec_b64 s[18:19], s[10:11]
	s_cbranch_execz .LBB98_59
; %bb.53:                               ;   in Loop: Header=BB98_12 Depth=1
	s_and_b32 s2, s87, 0xfe
	s_mov_b64 s[20:21], 0
	s_waitcnt vmcnt(0)
	v_mov_b32_e32 v4, v40
	v_mov_b32_e32 v3, v35
	s_branch .LBB98_55
.LBB98_54:                              ;   in Loop: Header=BB98_55 Depth=2
	s_or_b64 exec, exec, s[22:23]
	v_xor_b32_e32 v13, 0x80000000, v13
	v_and_b32_e32 v27, s69, v13
	v_and_b32_e32 v26, s68, v12
	v_lshrrev_b64 v[12:13], s2, v[12:13]
	s_and_b64 s[8:9], exec, vcc
	v_and_b32_e32 v18, 3, v12
	s_or_b64 s[20:21], s[8:9], s[20:21]
	v_cmp_eq_u64_e32 vcc, s[70:71], v[26:27]
	v_cmp_eq_u64_e64 s[14:15], 0, v[18:19]
	s_and_b64 s[8:9], vcc, s[14:15]
	v_cndmask_b32_e64 v5, 0, 1, s[8:9]
	v_cmp_ne_u32_e64 s[14:15], 0, v5
	s_bcnt1_i32_b64 s3, s[14:15]
	v_cmp_eq_u64_e64 s[14:15], 1, v[18:19]
	s_and_b64 s[8:9], vcc, s[14:15]
	v_cndmask_b32_e64 v5, 0, 1, s[8:9]
	v_cmp_ne_u32_e64 s[14:15], 0, v5
	v_add_u32_e32 v8, s3, v8
	s_bcnt1_i32_b64 s3, s[14:15]
	v_cmp_eq_u64_e64 s[14:15], 2, v[18:19]
	s_and_b64 s[8:9], vcc, s[14:15]
	v_cndmask_b32_e64 v5, 0, 1, s[8:9]
	v_cmp_ne_u32_e64 s[14:15], 0, v5
	v_add_u32_e32 v9, s3, v9
	s_bcnt1_i32_b64 s3, s[14:15]
	v_cmp_eq_u64_e64 s[14:15], 3, v[18:19]
	s_and_b64 s[8:9], vcc, s[14:15]
	v_cndmask_b32_e64 v5, 0, 1, s[8:9]
	v_cmp_ne_u32_e32 vcc, 0, v5
	v_add_u32_e32 v10, s3, v10
	s_bcnt1_i32_b64 s3, vcc
	v_add_u32_e32 v11, s3, v11
	v_add_u32_e32 v4, s85, v4
	s_waitcnt vmcnt(0)
	v_pk_mov_b32 v[12:13], v[14:15], v[14:15] op_sel:[0,1]
	s_andn2_b64 exec, exec, s[20:21]
	s_cbranch_execz .LBB98_58
.LBB98_55:                              ;   Parent Loop BB98_12 Depth=1
                                        ; =>  This Inner Loop Header: Depth=2
	v_add_u32_e32 v3, s57, v3
	v_cmp_gt_u32_e64 s[14:15], s56, v3
	v_cmp_le_u32_e32 vcc, s56, v3
	v_pk_mov_b32 v[14:15], 0, 0
	s_and_saveexec_b64 s[22:23], s[14:15]
	s_cbranch_execz .LBB98_54
; %bb.56:                               ;   in Loop: Header=BB98_55 Depth=2
	v_mov_b32_e32 v5, v19
	v_lshlrev_b64 v[14:15], 3, v[4:5]
	v_mov_b32_e32 v5, s84
	v_add_co_u32_e64 v14, s[14:15], s59, v14
	v_addc_co_u32_e64 v15, s[14:15], v5, v15, s[14:15]
	global_load_dwordx2 v[14:15], v[14:15], off
	s_branch .LBB98_54
.LBB98_57:                              ;   in Loop: Header=BB98_12 Depth=1
	s_mov_b64 s[88:89], 0
                                        ; implicit-def: $vgpr11
	s_cbranch_execnz .LBB98_60
	s_branch .LBB98_69
.LBB98_58:                              ;   in Loop: Header=BB98_12 Depth=1
	s_or_b64 exec, exec, s[20:21]
	s_mov_b64 s[88:89], exec
.LBB98_59:                              ;   in Loop: Header=BB98_12 Depth=1
	s_or_b64 exec, exec, s[18:19]
	s_and_b64 vcc, exec, s[16:17]
	s_cbranch_vccz .LBB98_69
.LBB98_60:                              ;   in Loop: Header=BB98_12 Depth=1
	s_mul_hi_u32 s2, s77, s33
	s_mul_i32 s2, s2, s86
	s_sub_i32 s2, s77, s2
	s_sub_i32 s3, s2, s86
	s_cmp_ge_u32 s2, s86
	s_cselect_b32 s2, s3, s2
	s_sub_i32 s3, s2, s86
	s_cmp_ge_u32 s2, s86
	s_cselect_b32 s2, s3, s2
	s_sub_i32 s83, s77, s2
	v_cmp_gt_u32_e32 vcc, s83, v30
	s_mov_b32 s8, 0
	v_mov_b32_e32 v8, 0
	v_mov_b32_e32 v9, 0
	;; [unrolled: 1-line block ×4, first 2 shown]
	s_and_saveexec_b64 s[90:91], vcc
	s_cbranch_execz .LBB98_64
; %bb.61:                               ;   in Loop: Header=BB98_12 Depth=1
	s_mov_b32 s6, s50
	s_mov_b32 s76, s33
	s_and_b32 s9, s87, 0xfe
	s_mov_b64 s[92:93], 0
	v_mov_b32_e32 v3, v41
	s_mov_b32 s33, 0
	s_mov_b32 s2, 0
	;; [unrolled: 1-line block ×3, first 2 shown]
	v_mov_b32_e32 v44, v30
.LBB98_62:                              ;   Parent Loop BB98_12 Depth=1
                                        ; =>  This Inner Loop Header: Depth=2
	s_waitcnt vmcnt(0)
	ds_read_b128 v[12:15], v3
	ds_read_b128 v[8:11], v3 offset:16
	v_mov_b32_e32 v5, v19
	v_mov_b32_e32 v27, v19
	;; [unrolled: 1-line block ×3, first 2 shown]
	s_waitcnt lgkmcnt(1)
	v_xor_b32_e32 v13, 0x80000000, v13
	v_xor_b32_e32 v15, 0x80000000, v15
	v_and_b32_e32 v46, s68, v12
	v_and_b32_e32 v47, s69, v13
	v_lshrrev_b64 v[12:13], s9, v[12:13]
	s_waitcnt lgkmcnt(0)
	v_xor_b32_e32 v9, 0x80000000, v9
	v_and_b32_e32 v48, s68, v14
	v_and_b32_e32 v49, s69, v15
	v_lshrrev_b64 v[14:15], s9, v[14:15]
	v_and_b32_e32 v18, 3, v12
	v_xor_b32_e32 v11, 0x80000000, v11
	v_and_b32_e32 v50, s68, v8
	v_and_b32_e32 v51, s69, v9
	v_lshrrev_b64 v[8:9], s9, v[8:9]
	v_cmp_eq_u64_e64 s[14:15], s[70:71], v[46:47]
	v_and_b32_e32 v4, 3, v14
	v_cmp_eq_u64_e64 s[22:23], 0, v[18:19]
	v_and_b32_e32 v52, s68, v10
	v_and_b32_e32 v53, s69, v11
	v_lshrrev_b64 v[10:11], s9, v[10:11]
	v_cmp_eq_u64_e64 s[16:17], s[70:71], v[48:49]
	v_and_b32_e32 v26, 3, v8
	v_cmp_eq_u64_e64 s[24:25], 0, v[4:5]
	s_and_b64 s[22:23], s[14:15], s[22:23]
	v_cmp_eq_u64_e64 s[18:19], s[70:71], v[50:51]
	v_and_b32_e32 v28, 3, v10
	v_cmp_eq_u64_e64 s[26:27], 0, v[26:27]
	v_cmp_eq_u64_e64 s[34:35], 1, v[4:5]
	;; [unrolled: 1-line block ×4, first 2 shown]
	v_cndmask_b32_e64 v4, 0, 1, s[22:23]
	s_and_b64 s[22:23], s[16:17], s[24:25]
	v_cmp_eq_u64_e64 s[20:21], s[70:71], v[52:53]
	v_cmp_eq_u64_e64 s[28:29], 0, v[28:29]
	v_cndmask_b32_e64 v5, 0, 1, s[22:23]
	s_and_b64 s[22:23], s[18:19], s[26:27]
	v_cmp_eq_u64_e64 s[30:31], 1, v[18:19]
	v_cndmask_b32_e64 v8, 0, 1, s[22:23]
	s_and_b64 s[22:23], s[20:21], s[28:29]
	v_cndmask_b32_e64 v9, 0, 1, s[22:23]
	s_and_b64 s[22:23], s[14:15], s[30:31]
	v_cmp_eq_u64_e64 s[36:37], 1, v[26:27]
	v_cndmask_b32_e64 v10, 0, 1, s[22:23]
	s_and_b64 s[22:23], s[16:17], s[34:35]
	v_cmp_eq_u64_e64 s[38:39], 1, v[28:29]
	v_cndmask_b32_e64 v11, 0, 1, s[22:23]
	s_and_b64 s[22:23], s[18:19], s[36:37]
	v_cmp_eq_u64_e64 s[40:41], 2, v[18:19]
	v_cmp_eq_u64_e64 s[48:49], 3, v[18:19]
	v_cndmask_b32_e64 v12, 0, 1, s[22:23]
	s_and_b64 s[22:23], s[20:21], s[38:39]
	v_cndmask_b32_e64 v13, 0, 1, s[22:23]
	s_and_b64 s[22:23], s[14:15], s[40:41]
	s_and_b64 s[14:15], s[14:15], s[48:49]
	v_cmp_eq_u64_e64 s[44:45], 2, v[26:27]
	v_cmp_eq_u64_e64 s[52:53], 3, v[26:27]
	v_cndmask_b32_e64 v14, 0, 1, s[22:23]
	s_and_b64 s[22:23], s[16:17], s[42:43]
	v_cndmask_b32_e64 v27, 0, 1, s[14:15]
	s_and_b64 s[14:15], s[16:17], s[50:51]
	v_cmp_eq_u64_e64 s[46:47], 2, v[28:29]
	v_cmp_eq_u64_e64 s[54:55], 3, v[28:29]
	v_cndmask_b32_e64 v15, 0, 1, s[22:23]
	s_and_b64 s[22:23], s[18:19], s[44:45]
	v_cndmask_b32_e64 v28, 0, 1, s[14:15]
	s_and_b64 s[14:15], s[18:19], s[52:53]
	;; [unrolled: 2-line block ×4, first 2 shown]
	v_cndmask_b32_e64 v26, 0, 1, s[22:23]
	v_cndmask_b32_e64 v45, 0, 1, s[14:15]
	v_cmp_ne_u32_e64 s[14:15], 0, v4
	v_cmp_ne_u32_e64 s[16:17], 0, v5
	;; [unrolled: 1-line block ×11, first 2 shown]
	s_bcnt1_i32_b64 s14, s[14:15]
	s_bcnt1_i32_b64 s15, s[16:17]
	;; [unrolled: 1-line block ×8, first 2 shown]
	v_cmp_ne_u32_e64 s[28:29], 0, v13
	v_cmp_ne_u32_e64 s[36:37], 0, v18
	;; [unrolled: 1-line block ×3, first 2 shown]
	s_bcnt1_i32_b64 s19, s[24:25]
	s_bcnt1_i32_b64 s23, s[34:35]
	;; [unrolled: 1-line block ×3, first 2 shown]
	s_add_i32 s3, s3, s14
	s_add_i32 s2, s2, s18
	;; [unrolled: 1-line block ×4, first 2 shown]
	v_cmp_ne_u32_e64 s[38:39], 0, v26
	v_cmp_ne_u32_e64 s[46:47], 0, v45
	s_bcnt1_i32_b64 s21, s[28:29]
	s_bcnt1_i32_b64 s24, s[36:37]
	;; [unrolled: 1-line block ×3, first 2 shown]
	s_add_i32 s3, s3, s15
	s_add_i32 s2, s2, s19
	;; [unrolled: 1-line block ×4, first 2 shown]
	v_add_u32_e32 v44, s86, v44
	s_bcnt1_i32_b64 s25, s[38:39]
	s_bcnt1_i32_b64 s29, s[46:47]
	s_add_i32 s3, s3, s16
	s_add_i32 s2, s2, s20
	;; [unrolled: 1-line block ×4, first 2 shown]
	v_cmp_le_u32_e32 vcc, s83, v44
	s_add_i32 s3, s3, s17
	s_add_i32 s2, s2, s21
	;; [unrolled: 1-line block ×4, first 2 shown]
	v_add_u32_e32 v3, s0, v3
	s_or_b64 s[92:93], vcc, s[92:93]
	v_mov_b32_e32 v8, s3
	v_mov_b32_e32 v9, s2
	v_mov_b32_e32 v10, s33
	v_mov_b32_e32 v11, s8
	s_andn2_b64 exec, exec, s[92:93]
	s_cbranch_execnz .LBB98_62
; %bb.63:                               ;   in Loop: Header=BB98_12 Depth=1
	s_or_b64 exec, exec, s[92:93]
	s_mov_b32 s33, s76
	s_mov_b32 s50, s6
.LBB98_64:                              ;   in Loop: Header=BB98_12 Depth=1
	s_or_b64 exec, exec, s[90:91]
	v_add_u32_e32 v3, s83, v0
	v_cmp_gt_u32_e32 vcc, s77, v3
	s_and_saveexec_b64 s[24:25], vcc
	s_cbranch_execz .LBB98_68
; %bb.65:                               ;   in Loop: Header=BB98_12 Depth=1
	s_and_b32 s2, s87, 0xfe
	s_waitcnt vmcnt(0)
	v_lshlrev_b32_e32 v4, 3, v3
	s_mov_b64 s[26:27], 0
.LBB98_66:                              ;   Parent Loop BB98_12 Depth=1
                                        ; =>  This Inner Loop Header: Depth=2
	ds_read_b64 v[12:13], v4
	v_add_u32_e32 v3, s57, v3
	v_cmp_le_u32_e32 vcc, s77, v3
	v_add_u32_e32 v4, s1, v4
	s_waitcnt lgkmcnt(0)
	v_xor_b32_e32 v13, 0x80000000, v13
	v_and_b32_e32 v14, s68, v12
	v_and_b32_e32 v15, s69, v13
	v_lshrrev_b64 v[12:13], s2, v[12:13]
	v_and_b32_e32 v18, 3, v12
	v_cmp_eq_u64_e64 s[14:15], s[70:71], v[14:15]
	v_cmp_eq_u64_e64 s[16:17], 0, v[18:19]
	;; [unrolled: 1-line block ×3, first 2 shown]
	s_and_b64 s[8:9], s[14:15], s[16:17]
	v_cmp_eq_u64_e64 s[20:21], 2, v[18:19]
	v_cndmask_b32_e64 v5, 0, 1, s[8:9]
	s_and_b64 s[8:9], s[14:15], s[18:19]
	v_cmp_eq_u64_e64 s[22:23], 3, v[18:19]
	v_cndmask_b32_e64 v12, 0, 1, s[8:9]
	s_and_b64 s[8:9], s[14:15], s[20:21]
	v_cndmask_b32_e64 v13, 0, 1, s[8:9]
	s_and_b64 s[8:9], s[14:15], s[22:23]
	v_cndmask_b32_e64 v14, 0, 1, s[8:9]
	v_cmp_ne_u32_e64 s[14:15], 0, v5
	v_cmp_ne_u32_e64 s[16:17], 0, v12
	;; [unrolled: 1-line block ×4, first 2 shown]
	s_bcnt1_i32_b64 s3, s[14:15]
	s_bcnt1_i32_b64 s8, s[16:17]
	;; [unrolled: 1-line block ×4, first 2 shown]
	v_add_u32_e32 v8, s3, v8
	v_add_u32_e32 v9, s8, v9
	;; [unrolled: 1-line block ×3, first 2 shown]
	s_or_b64 s[26:27], vcc, s[26:27]
	v_add_u32_e32 v11, s14, v11
	s_andn2_b64 exec, exec, s[26:27]
	s_cbranch_execnz .LBB98_66
; %bb.67:                               ;   in Loop: Header=BB98_12 Depth=1
	s_or_b64 exec, exec, s[26:27]
	s_or_b64 s[88:89], s[88:89], exec
.LBB98_68:                              ;   in Loop: Header=BB98_12 Depth=1
	s_or_b64 exec, exec, s[24:25]
.LBB98_69:                              ;   in Loop: Header=BB98_12 Depth=1
	s_and_saveexec_b64 s[14:15], s[88:89]
	s_or_b64 exec, exec, s[14:15]
	s_lshl_b32 s2, s13, 6
	s_and_saveexec_b64 s[14:15], s[4:5]
	s_cbranch_execz .LBB98_71
; %bb.70:                               ;   in Loop: Header=BB98_12 Depth=1
	v_or_b32_e32 v3, s2, v33
	v_lshlrev_b32_e32 v3, 2, v3
	ds_write_b128 v3, v[8:11] offset:3072
.LBB98_71:                              ;   in Loop: Header=BB98_12 Depth=1
	s_or_b64 exec, exec, s[14:15]
	s_waitcnt lgkmcnt(0)
	s_barrier
	s_and_saveexec_b64 s[14:15], s[78:79]
	s_cbranch_execz .LBB98_85
; %bb.72:                               ;   in Loop: Header=BB98_12 Depth=1
	v_readlane_b32 s8, v54, 28
	v_readlane_b32 s9, v54, 29
	v_add_u32_e32 v3, s2, v23
	s_andn2_b64 vcc, exec, s[8:9]
	s_waitcnt vmcnt(0)
	v_mov_b32_e32 v4, 0
	s_cbranch_vccnz .LBB98_84
; %bb.73:                               ;   in Loop: Header=BB98_12 Depth=1
	v_readlane_b32 s8, v54, 32
	v_readlane_b32 s9, v54, 33
	s_mov_b32 s3, 0
	s_and_b64 vcc, exec, s[8:9]
	v_mov_b32_e32 v4, 0
	s_cbranch_vccz .LBB98_77
; %bb.74:                               ;   in Loop: Header=BB98_12 Depth=1
	v_readlane_b32 s8, v54, 36
	v_readlane_b32 s9, v54, 37
	v_lshl_add_u32 v8, v3, 2, v43
	s_andn2_b64 vcc, exec, s[8:9]
	s_cbranch_vccnz .LBB98_78
; %bb.75:                               ;   in Loop: Header=BB98_12 Depth=1
	s_mov_b32 s17, 1
	s_mov_b32 s16, 0
	v_mov_b32_e32 v4, 0
	v_readlane_b32 s3, v54, 38
	v_mov_b32_e32 v5, 0
.LBB98_76:                              ;   Parent Loop BB98_12 Depth=1
                                        ; =>  This Inner Loop Header: Depth=2
	v_lshl_add_u32 v9, s16, 4, v8
	v_lshl_add_u32 v18, s17, 4, v8
	ds_read2_b32 v[10:11], v9 offset1:8
	ds_read2_b32 v[12:13], v18 offset1:8
	ds_read2_b32 v[14:15], v9 offset0:16 offset1:24
	ds_read2_b32 v[26:27], v18 offset0:16 offset1:24
	ds_read2_b32 v[28:29], v9 offset0:32 offset1:40
	ds_read2_b32 v[44:45], v18 offset0:32 offset1:40
	ds_read2_b32 v[46:47], v9 offset0:48 offset1:56
	ds_read2_b32 v[48:49], v18 offset0:48 offset1:56
	s_waitcnt lgkmcnt(7)
	v_add3_u32 v4, v10, v4, v11
	s_waitcnt lgkmcnt(6)
	v_add3_u32 v5, v12, v5, v13
	;; [unrolled: 2-line block ×3, first 2 shown]
	v_add3_u32 v4, v14, v4, v15
	s_add_i32 s17, s17, 16
	s_add_i32 s16, s16, 16
	s_add_i32 s3, s3, -8
	s_waitcnt lgkmcnt(3)
	v_add3_u32 v4, v28, v4, v29
	s_waitcnt lgkmcnt(2)
	v_add3_u32 v5, v44, v5, v45
	s_cmp_lg_u32 s3, 0
	s_waitcnt lgkmcnt(0)
	v_add3_u32 v5, v48, v5, v49
	v_add3_u32 v4, v46, v4, v47
	s_cbranch_scc1 .LBB98_76
	s_branch .LBB98_79
.LBB98_77:                              ;   in Loop: Header=BB98_12 Depth=1
	s_cbranch_execnz .LBB98_82
	s_branch .LBB98_84
.LBB98_78:                              ;   in Loop: Header=BB98_12 Depth=1
	s_mov_b32 s51, s50
	v_pk_mov_b32 v[4:5], s[50:51], s[50:51] op_sel:[0,1]
	s_mov_b32 s51, 1
	s_mov_b64 s[16:17], s[50:51]
.LBB98_79:                              ;   in Loop: Header=BB98_12 Depth=1
	v_readlane_b32 s8, v54, 40
	v_readlane_b32 s9, v54, 41
	s_andn2_b64 vcc, exec, s[8:9]
	v_readlane_b32 s3, v54, 39
	s_cbranch_vccnz .LBB98_81
.LBB98_80:                              ;   Parent Loop BB98_12 Depth=1
                                        ; =>  This Inner Loop Header: Depth=2
	v_lshl_add_u32 v9, s16, 4, v8
	v_lshl_add_u32 v10, s17, 4, v8
	ds_read_b32 v10, v10
	ds_read_b32 v9, v9
	s_add_i32 s17, s17, 2
	s_add_i32 s16, s16, 2
	s_add_i32 s3, s3, -1
	s_cmp_lg_u32 s3, 0
	s_waitcnt lgkmcnt(1)
	v_add_u32_e32 v5, v10, v5
	s_waitcnt lgkmcnt(0)
	v_add_u32_e32 v4, v9, v4
	s_cbranch_scc1 .LBB98_80
.LBB98_81:                              ;   in Loop: Header=BB98_12 Depth=1
	v_readlane_b32 s16, v54, 44
	v_add_u32_e32 v4, v4, v5
	v_readlane_b32 s3, v54, 43
	v_readlane_b32 s17, v54, 45
	s_and_b64 vcc, exec, s[16:17]
	s_cbranch_vccz .LBB98_84
.LBB98_82:                              ;   in Loop: Header=BB98_12 Depth=1
	s_lshl_b32 s8, s13, 8
	s_lshl_b32 s9, s3, 4
	s_add_i32 s8, s8, s9
	v_add_u32_e32 v5, s8, v42
	v_readlane_b32 s8, v54, 42
	s_sub_i32 s3, s8, s3
.LBB98_83:                              ;   Parent Loop BB98_12 Depth=1
                                        ; =>  This Inner Loop Header: Depth=2
	ds_read_b32 v8, v5
	s_add_i32 s3, s3, -1
	v_add_u32_e32 v5, 16, v5
	s_cmp_eq_u32 s3, 0
	s_waitcnt lgkmcnt(0)
	v_add_u32_e32 v4, v8, v4
	s_cbranch_scc0 .LBB98_83
.LBB98_84:                              ;   in Loop: Header=BB98_12 Depth=1
	v_lshlrev_b32_e32 v3, 2, v3
	ds_write_b32 v3, v4 offset:3072
.LBB98_85:                              ;   in Loop: Header=BB98_12 Depth=1
	s_or_b64 exec, exec, s[14:15]
	s_lshl_b32 s2, s2, 2
	v_mov_b32_e32 v3, s2
	s_waitcnt lgkmcnt(0)
	s_barrier
	ds_read_b128 v[8:11], v3 offset:3072
	s_and_b32 s47, s87, 0xfe
	s_lshl_b64 s[16:17], 3, s47
	s_not_b64 s[28:29], s[16:17]
	s_mov_b64 s[20:21], -1
	s_waitcnt lgkmcnt(0)
	v_readfirstlane_b32 s34, v8
	s_cmp_eq_u32 s34, 1
	s_cselect_b64 s[2:3], -1, 0
	s_cmp_eq_u32 s82, 1
	s_cselect_b64 s[8:9], -1, 0
	s_and_b64 s[22:23], s[2:3], s[8:9]
	v_readfirstlane_b32 s38, v9
	v_readfirstlane_b32 s46, v10
	;; [unrolled: 1-line block ×3, first 2 shown]
	s_and_b64 vcc, exec, s[22:23]
	s_cbranch_vccz .LBB98_97
; %bb.86:                               ;   in Loop: Header=BB98_12 Depth=1
	ds_read_b32 v3, v19 offset:4104
	v_readlane_b32 s6, v54, 34
	v_readlane_b32 s7, v54, 35
	s_waitcnt lgkmcnt(0)
	s_barrier
	v_readfirstlane_b32 s2, v3
	s_and_saveexec_b64 s[14:15], s[6:7]
	s_cbranch_execz .LBB98_88
; %bb.87:                               ;   in Loop: Header=BB98_12 Depth=1
	v_mov_b32_e32 v18, v19
	ds_write_b64 v32, v[18:19]
.LBB98_88:                              ;   in Loop: Header=BB98_12 Depth=1
	s_or_b64 exec, exec, s[14:15]
	s_and_b64 s[70:71], s[70:71], s[28:29]
	s_or_b64 s[68:69], s[68:69], s[16:17]
	s_cmp_eq_u32 s2, 0
	s_waitcnt lgkmcnt(0)
	s_barrier
	s_cbranch_scc1 .LBB98_98
; %bb.89:                               ;   in Loop: Header=BB98_12 Depth=1
	v_readlane_b32 s3, v54, 25
	s_add_i32 s3, s2, s3
	v_readlane_b32 s6, v54, 48
	s_mul_hi_u32 s8, s3, s6
	s_mul_i32 s8, s8, s57
	s_sub_i32 s8, s3, s8
	s_sub_i32 s9, s8, s57
	s_cmp_ge_u32 s8, s57
	s_cselect_b32 s8, s9, s8
	s_sub_i32 s9, s8, s57
	s_cmp_ge_u32 s8, s57
	s_cselect_b32 s8, s9, s8
	s_sub_i32 s3, s3, s8
	v_cmp_gt_u32_e32 vcc, s3, v0
	s_mov_b64 s[14:15], 0
                                        ; implicit-def: $vgpr6_vgpr7
	s_and_saveexec_b64 s[18:19], vcc
	s_cbranch_execz .LBB98_100
; %bb.90:                               ;   in Loop: Header=BB98_12 Depth=1
	s_mov_b64 s[24:25], 0
	v_mov_b32_e32 v8, v31
	v_mov_b32_e32 v9, v0
                                        ; implicit-def: $sgpr14_sgpr15
	s_branch .LBB98_92
.LBB98_91:                              ;   in Loop: Header=BB98_92 Depth=2
	s_or_b64 exec, exec, s[26:27]
	s_waitcnt lgkmcnt(0)
	s_barrier
	ds_read_b128 v[4:7], v19 offset:3072
	v_add_u32_e32 v9, s57, v9
	v_cmp_le_u32_e32 vcc, s3, v9
	v_add_u32_e32 v8, s1, v8
	s_waitcnt lgkmcnt(0)
	v_readfirstlane_b32 s9, v5
	v_readfirstlane_b32 s8, v4
	s_cmp_lg_u64 s[8:9], 0
	s_cselect_b64 s[8:9], -1, 0
	s_or_b64 s[26:27], vcc, s[8:9]
	s_and_b64 s[26:27], exec, s[26:27]
	s_or_b64 s[24:25], s[26:27], s[24:25]
	s_andn2_b64 s[14:15], s[14:15], exec
	s_and_b64 s[8:9], s[8:9], exec
	s_or_b64 s[14:15], s[14:15], s[8:9]
	s_barrier
	s_andn2_b64 exec, exec, s[24:25]
	s_cbranch_execz .LBB98_99
.LBB98_92:                              ;   Parent Loop BB98_12 Depth=1
                                        ; =>  This Inner Loop Header: Depth=2
	v_cmp_gt_u32_e32 vcc, s2, v9
	s_waitcnt vmcnt(0)
	v_pk_mov_b32 v[4:5], 0, 0
	s_and_saveexec_b64 s[26:27], vcc
	s_cbranch_execz .LBB98_94
; %bb.93:                               ;   in Loop: Header=BB98_92 Depth=2
	ds_read_b64 v[4:5], v8
.LBB98_94:                              ;   in Loop: Header=BB98_92 Depth=2
	s_or_b64 exec, exec, s[26:27]
	s_and_saveexec_b64 s[26:27], vcc
	s_cbranch_execz .LBB98_91
; %bb.95:                               ;   in Loop: Header=BB98_92 Depth=2
	s_waitcnt lgkmcnt(0)
	v_xor_b32_e32 v3, 0x80000000, v5
	v_and_b32_e32 v7, s69, v3
	v_and_b32_e32 v6, s68, v4
	v_cmp_eq_u64_e32 vcc, s[70:71], v[6:7]
	s_and_b64 exec, exec, vcc
	s_cbranch_execz .LBB98_91
; %bb.96:                               ;   in Loop: Header=BB98_92 Depth=2
	v_mov_b32_e32 v3, v19
	ds_write_b128 v19, v[2:5] offset:3072
	s_branch .LBB98_91
.LBB98_97:                              ;   in Loop: Header=BB98_12 Depth=1
	s_mov_b64 s[14:15], -1
                                        ; implicit-def: $sgpr18_sgpr19
                                        ; implicit-def: $sgpr26_sgpr27
                                        ; implicit-def: $sgpr24_sgpr25
	s_branch .LBB98_111
.LBB98_98:                              ;   in Loop: Header=BB98_12 Depth=1
	s_mov_b64 s[18:19], -1
	s_mov_b64 s[14:15], 0
                                        ; implicit-def: $sgpr24_sgpr25
                                        ; implicit-def: $vgpr6_vgpr7
	s_mov_b64 s[26:27], s[18:19]
	s_cbranch_execnz .LBB98_101
	s_branch .LBB98_111
.LBB98_99:                              ;   in Loop: Header=BB98_12 Depth=1
	s_or_b64 exec, exec, s[24:25]
	s_and_b64 s[14:15], s[14:15], exec
.LBB98_100:                             ;   in Loop: Header=BB98_12 Depth=1
	s_or_b64 exec, exec, s[18:19]
	s_mov_b64 s[24:25], -1
	s_mov_b64 s[18:19], 0
	s_mov_b64 s[26:27], s[18:19]
	s_branch .LBB98_111
.LBB98_101:                             ;   in Loop: Header=BB98_12 Depth=1
	s_mov_b64 s[14:15], 0
                                        ; implicit-def: $vgpr6_vgpr7
	s_mov_b64 s[18:19], exec
	v_readlane_b32 s2, v54, 49
	v_readlane_b32 s3, v54, 50
	s_and_b64 s[2:3], s[18:19], s[2:3]
	s_mov_b64 exec, s[2:3]
	s_cbranch_execz .LBB98_110
; %bb.102:                              ;   in Loop: Header=BB98_12 Depth=1
	s_mov_b64 s[26:27], 0
	v_mov_b32_e32 v18, v16
	v_mov_b32_e32 v8, v0
                                        ; implicit-def: $sgpr24_sgpr25
	s_branch .LBB98_104
.LBB98_103:                             ;   in Loop: Header=BB98_104 Depth=2
	s_or_b64 exec, exec, s[14:15]
	s_waitcnt lgkmcnt(0)
	s_barrier
	s_waitcnt vmcnt(0)
	ds_read_b128 v[4:7], v19 offset:3072
	v_add_u32_e32 v8, s57, v8
	v_cmp_le_u32_e32 vcc, s80, v8
	v_add_u32_e32 v18, s85, v18
	s_waitcnt lgkmcnt(0)
	v_readfirstlane_b32 s3, v5
	v_readfirstlane_b32 s2, v4
	s_cmp_lg_u64 s[2:3], 0
	s_cselect_b64 s[2:3], -1, 0
	s_or_b64 s[8:9], vcc, s[2:3]
	s_and_b64 s[8:9], exec, s[8:9]
	s_or_b64 s[26:27], s[8:9], s[26:27]
	s_andn2_b64 s[8:9], s[24:25], exec
	s_and_b64 s[2:3], s[2:3], exec
	s_or_b64 s[24:25], s[8:9], s[2:3]
	s_barrier
	s_andn2_b64 exec, exec, s[26:27]
	s_cbranch_execz .LBB98_109
.LBB98_104:                             ;   Parent Loop BB98_12 Depth=1
                                        ; =>  This Inner Loop Header: Depth=2
	v_cmp_gt_u32_e32 vcc, s56, v8
	s_waitcnt vmcnt(0)
	v_pk_mov_b32 v[4:5], 0, 0
	s_and_saveexec_b64 s[30:31], vcc
	s_cbranch_execz .LBB98_106
; %bb.105:                              ;   in Loop: Header=BB98_104 Depth=2
	v_lshlrev_b64 v[4:5], 3, v[18:19]
	v_mov_b32_e32 v3, s84
	v_add_co_u32_e64 v4, s[14:15], s59, v4
	v_addc_co_u32_e64 v5, s[14:15], v3, v5, s[14:15]
	global_load_dwordx2 v[4:5], v[4:5], off
.LBB98_106:                             ;   in Loop: Header=BB98_104 Depth=2
	s_or_b64 exec, exec, s[30:31]
	s_and_saveexec_b64 s[14:15], vcc
	s_cbranch_execz .LBB98_103
; %bb.107:                              ;   in Loop: Header=BB98_104 Depth=2
	s_waitcnt vmcnt(0)
	v_xor_b32_e32 v3, 0x80000000, v5
	v_and_b32_e32 v7, s69, v3
	v_and_b32_e32 v6, s68, v4
	v_cmp_eq_u64_e32 vcc, s[70:71], v[6:7]
	s_and_b64 exec, exec, vcc
	s_cbranch_execz .LBB98_103
; %bb.108:                              ;   in Loop: Header=BB98_104 Depth=2
	v_mov_b32_e32 v3, v19
	ds_write_b128 v19, v[2:5] offset:3072
	s_branch .LBB98_103
.LBB98_109:                             ;   in Loop: Header=BB98_12 Depth=1
	s_or_b64 exec, exec, s[26:27]
	s_and_b64 s[14:15], s[24:25], exec
.LBB98_110:                             ;   in Loop: Header=BB98_12 Depth=1
	s_or_b64 exec, exec, s[18:19]
	s_mov_b64 s[26:27], -1
	s_mov_b64 s[18:19], 0
	s_mov_b64 s[24:25], 0
.LBB98_111:                             ;   in Loop: Header=BB98_12 Depth=1
	s_andn2_b64 s[2:3], s[66:67], exec
	s_and_b64 s[8:9], s[18:19], exec
	s_or_b64 s[66:67], s[2:3], s[8:9]
	s_andn2_b64 s[2:3], s[64:65], exec
	s_and_b64 s[8:9], s[26:27], exec
	s_or_b64 s[64:65], s[2:3], s[8:9]
	;; [unrolled: 3-line block ×3, first 2 shown]
	s_and_saveexec_b64 s[18:19], s[14:15]
	s_cbranch_execz .LBB98_11
; %bb.112:                              ;   in Loop: Header=BB98_12 Depth=1
	s_xor_b64 s[2:3], s[22:23], -1
	s_mov_b64 s[14:15], 0
	s_andn2_b64 vcc, exec, s[2:3]
	s_mov_b32 s39, 1
	s_cbranch_vccnz .LBB98_123
; %bb.113:                              ;   in Loop: Header=BB98_12 Depth=1
	s_cmp_gt_u32 s82, s34
	s_mov_b64 s[14:15], -1
                                        ; implicit-def: $sgpr54
                                        ; implicit-def: $sgpr20_sgpr21
                                        ; implicit-def: $sgpr22_sgpr23
	s_cbranch_scc1 .LBB98_119
; %bb.114:                              ;   in Loop: Header=BB98_12 Depth=1
	ds_read_b32 v3, v19 offset:4104
	s_waitcnt lgkmcnt(0)
	v_cmp_ne_u32_e32 vcc, 0, v3
	s_cbranch_vccnz .LBB98_118
; %bb.115:                              ;   in Loop: Header=BB98_12 Depth=1
	s_mov_b64 s[14:15], exec
	v_readlane_b32 s2, v54, 6
	v_readlane_b32 s3, v54, 7
	s_and_b64 s[2:3], s[14:15], s[2:3]
	s_mov_b64 exec, s[2:3]
	s_cbranch_execz .LBB98_117
; %bb.116:                              ;   in Loop: Header=BB98_12 Depth=1
	v_mov_b32_e32 v3, s34
	ds_write_b32 v19, v3 offset:4108
.LBB98_117:                             ;   in Loop: Header=BB98_12 Depth=1
	s_or_b64 exec, exec, s[14:15]
	s_waitcnt lgkmcnt(0)
	s_barrier
.LBB98_118:                             ;   in Loop: Header=BB98_12 Depth=1
	s_and_b64 s[20:21], s[70:71], s[28:29]
	s_or_b64 s[22:23], s[68:69], s[16:17]
	s_mov_b64 s[14:15], 0
	s_mov_b32 s54, 8
.LBB98_119:                             ;   in Loop: Header=BB98_12 Depth=1
	s_andn2_b64 vcc, exec, s[14:15]
	s_cbranch_vccnz .LBB98_121
; %bb.120:                              ;   in Loop: Header=BB98_12 Depth=1
	s_sub_i32 s82, s82, s34
	s_mov_b64 s[14:15], -1
	s_mov_b32 s54, 0
	s_mov_b64 s[20:21], s[70:71]
	s_mov_b64 s[22:23], s[68:69]
.LBB98_121:                             ;   in Loop: Header=BB98_12 Depth=1
	s_mov_b64 s[68:69], s[22:23]
	s_mov_b64 s[70:71], s[20:21]
	s_mov_b32 s39, s82
	s_mov_b64 s[20:21], -1
	s_and_b64 vcc, exec, s[14:15]
	s_cbranch_vccnz .LBB98_124
.LBB98_122:                             ;   in Loop: Header=BB98_12 Depth=1
	s_mov_b64 s[36:37], -1
                                        ; implicit-def: $sgpr22_sgpr23
                                        ; implicit-def: $sgpr26_sgpr27
                                        ; implicit-def: $sgpr24_sgpr25
                                        ; implicit-def: $sgpr82
	s_and_saveexec_b64 s[2:3], s[36:37]
	s_xor_b64 s[14:15], exec, s[2:3]
	s_cbranch_execz .LBB98_10
	s_branch .LBB98_247
.LBB98_123:                             ;   in Loop: Header=BB98_12 Depth=1
	s_mov_b32 s54, 1
	s_mov_b64 s[20:21], -1
	s_and_b64 vcc, exec, s[14:15]
	s_cbranch_vccz .LBB98_122
.LBB98_124:                             ;   in Loop: Header=BB98_12 Depth=1
	s_cmp_eq_u32 s38, 1
	s_cselect_b64 s[2:3], -1, 0
	s_cmp_eq_u32 s39, 1
	s_cselect_b64 s[8:9], -1, 0
	s_and_b64 s[34:35], s[2:3], s[8:9]
	s_mov_b64 s[14:15], -1
	s_and_b64 vcc, exec, s[34:35]
	s_cbranch_vccz .LBB98_136
; %bb.125:                              ;   in Loop: Header=BB98_12 Depth=1
	ds_read_b32 v3, v19 offset:4104
	v_readlane_b32 s6, v54, 34
	v_readlane_b32 s7, v54, 35
	s_waitcnt lgkmcnt(0)
	s_barrier
	v_readfirstlane_b32 s2, v3
	s_and_saveexec_b64 s[14:15], s[6:7]
	s_cbranch_execz .LBB98_127
; %bb.126:                              ;   in Loop: Header=BB98_12 Depth=1
	v_mov_b32_e32 v18, v19
	ds_write_b64 v32, v[18:19]
.LBB98_127:                             ;   in Loop: Header=BB98_12 Depth=1
	s_or_b64 exec, exec, s[14:15]
	s_lshl_b64 s[8:9], 1, s47
	s_and_b64 s[14:15], s[70:71], s[28:29]
	s_or_b64 s[70:71], s[14:15], s[8:9]
	s_or_b64 s[68:69], s[68:69], s[16:17]
	s_cmp_eq_u32 s2, 0
	s_waitcnt lgkmcnt(0)
	s_barrier
	s_cbranch_scc1 .LBB98_137
; %bb.128:                              ;   in Loop: Header=BB98_12 Depth=1
	v_readlane_b32 s3, v54, 25
	s_add_i32 s3, s2, s3
	v_readlane_b32 s6, v54, 48
	s_mul_hi_u32 s8, s3, s6
	s_mul_i32 s8, s8, s57
	s_sub_i32 s8, s3, s8
	s_sub_i32 s9, s8, s57
	s_cmp_ge_u32 s8, s57
	s_cselect_b32 s8, s9, s8
	s_sub_i32 s9, s8, s57
	s_cmp_ge_u32 s8, s57
	s_cselect_b32 s8, s9, s8
	s_sub_i32 s3, s3, s8
	v_cmp_gt_u32_e32 vcc, s3, v0
	s_mov_b64 s[14:15], 0
                                        ; implicit-def: $vgpr6_vgpr7
	s_and_saveexec_b64 s[22:23], vcc
	s_cbranch_execz .LBB98_139
; %bb.129:                              ;   in Loop: Header=BB98_12 Depth=1
	s_mov_b64 s[24:25], 0
	v_mov_b32_e32 v8, v31
	v_mov_b32_e32 v9, v0
                                        ; implicit-def: $sgpr14_sgpr15
	s_branch .LBB98_131
.LBB98_130:                             ;   in Loop: Header=BB98_131 Depth=2
	s_or_b64 exec, exec, s[26:27]
	s_waitcnt lgkmcnt(0)
	s_barrier
	ds_read_b128 v[4:7], v19 offset:3072
	v_add_u32_e32 v9, s57, v9
	v_cmp_le_u32_e32 vcc, s3, v9
	v_add_u32_e32 v8, s1, v8
	s_waitcnt lgkmcnt(0)
	v_readfirstlane_b32 s9, v5
	v_readfirstlane_b32 s8, v4
	s_cmp_lg_u64 s[8:9], 0
	s_cselect_b64 s[8:9], -1, 0
	s_or_b64 s[26:27], vcc, s[8:9]
	s_and_b64 s[26:27], exec, s[26:27]
	s_or_b64 s[24:25], s[26:27], s[24:25]
	s_andn2_b64 s[14:15], s[14:15], exec
	s_and_b64 s[8:9], s[8:9], exec
	s_or_b64 s[14:15], s[14:15], s[8:9]
	s_barrier
	s_andn2_b64 exec, exec, s[24:25]
	s_cbranch_execz .LBB98_138
.LBB98_131:                             ;   Parent Loop BB98_12 Depth=1
                                        ; =>  This Inner Loop Header: Depth=2
	v_cmp_gt_u32_e32 vcc, s2, v9
	s_waitcnt vmcnt(0)
	v_pk_mov_b32 v[4:5], 0, 0
	s_and_saveexec_b64 s[26:27], vcc
	s_cbranch_execz .LBB98_133
; %bb.132:                              ;   in Loop: Header=BB98_131 Depth=2
	ds_read_b64 v[4:5], v8
.LBB98_133:                             ;   in Loop: Header=BB98_131 Depth=2
	s_or_b64 exec, exec, s[26:27]
	s_and_saveexec_b64 s[26:27], vcc
	s_cbranch_execz .LBB98_130
; %bb.134:                              ;   in Loop: Header=BB98_131 Depth=2
	s_waitcnt lgkmcnt(0)
	v_xor_b32_e32 v3, 0x80000000, v5
	v_and_b32_e32 v7, s69, v3
	v_and_b32_e32 v6, s68, v4
	v_cmp_eq_u64_e32 vcc, s[70:71], v[6:7]
	s_and_b64 exec, exec, vcc
	s_cbranch_execz .LBB98_130
; %bb.135:                              ;   in Loop: Header=BB98_131 Depth=2
	v_mov_b32_e32 v3, v19
	ds_write_b128 v19, v[2:5] offset:3072
	s_branch .LBB98_130
.LBB98_136:                             ;   in Loop: Header=BB98_12 Depth=1
                                        ; implicit-def: $sgpr24_sgpr25
                                        ; implicit-def: $sgpr26_sgpr27
                                        ; implicit-def: $sgpr22_sgpr23
	s_branch .LBB98_150
.LBB98_137:                             ;   in Loop: Header=BB98_12 Depth=1
	s_mov_b64 s[24:25], -1
	s_mov_b64 s[14:15], 0
                                        ; implicit-def: $sgpr22_sgpr23
                                        ; implicit-def: $vgpr6_vgpr7
	s_mov_b64 s[26:27], s[24:25]
	s_cbranch_execnz .LBB98_140
	s_branch .LBB98_150
.LBB98_138:                             ;   in Loop: Header=BB98_12 Depth=1
	s_or_b64 exec, exec, s[24:25]
	s_and_b64 s[14:15], s[14:15], exec
.LBB98_139:                             ;   in Loop: Header=BB98_12 Depth=1
	s_or_b64 exec, exec, s[22:23]
	s_mov_b64 s[22:23], -1
	s_mov_b64 s[24:25], 0
	s_mov_b64 s[26:27], s[24:25]
	s_branch .LBB98_150
.LBB98_140:                             ;   in Loop: Header=BB98_12 Depth=1
	s_mov_b64 s[14:15], 0
                                        ; implicit-def: $vgpr6_vgpr7
	s_mov_b64 s[22:23], exec
	v_readlane_b32 s2, v54, 49
	v_readlane_b32 s3, v54, 50
	s_and_b64 s[2:3], s[22:23], s[2:3]
	s_mov_b64 exec, s[2:3]
	s_cbranch_execz .LBB98_149
; %bb.141:                              ;   in Loop: Header=BB98_12 Depth=1
	s_mov_b64 s[26:27], 0
	v_mov_b32_e32 v18, v16
	v_mov_b32_e32 v8, v0
                                        ; implicit-def: $sgpr24_sgpr25
	s_branch .LBB98_143
.LBB98_142:                             ;   in Loop: Header=BB98_143 Depth=2
	s_or_b64 exec, exec, s[14:15]
	s_waitcnt lgkmcnt(0)
	s_barrier
	s_waitcnt vmcnt(0)
	ds_read_b128 v[4:7], v19 offset:3072
	v_add_u32_e32 v8, s57, v8
	v_cmp_le_u32_e32 vcc, s80, v8
	v_add_u32_e32 v18, s85, v18
	s_waitcnt lgkmcnt(0)
	v_readfirstlane_b32 s3, v5
	v_readfirstlane_b32 s2, v4
	s_cmp_lg_u64 s[2:3], 0
	s_cselect_b64 s[2:3], -1, 0
	s_or_b64 s[8:9], vcc, s[2:3]
	s_and_b64 s[8:9], exec, s[8:9]
	s_or_b64 s[26:27], s[8:9], s[26:27]
	s_andn2_b64 s[8:9], s[24:25], exec
	s_and_b64 s[2:3], s[2:3], exec
	s_or_b64 s[24:25], s[8:9], s[2:3]
	s_barrier
	s_andn2_b64 exec, exec, s[26:27]
	s_cbranch_execz .LBB98_148
.LBB98_143:                             ;   Parent Loop BB98_12 Depth=1
                                        ; =>  This Inner Loop Header: Depth=2
	v_cmp_gt_u32_e32 vcc, s56, v8
	s_waitcnt vmcnt(0)
	v_pk_mov_b32 v[4:5], 0, 0
	s_and_saveexec_b64 s[30:31], vcc
	s_cbranch_execz .LBB98_145
; %bb.144:                              ;   in Loop: Header=BB98_143 Depth=2
	v_lshlrev_b64 v[4:5], 3, v[18:19]
	v_mov_b32_e32 v3, s84
	v_add_co_u32_e64 v4, s[14:15], s59, v4
	v_addc_co_u32_e64 v5, s[14:15], v3, v5, s[14:15]
	global_load_dwordx2 v[4:5], v[4:5], off
.LBB98_145:                             ;   in Loop: Header=BB98_143 Depth=2
	s_or_b64 exec, exec, s[30:31]
	s_and_saveexec_b64 s[14:15], vcc
	s_cbranch_execz .LBB98_142
; %bb.146:                              ;   in Loop: Header=BB98_143 Depth=2
	s_waitcnt vmcnt(0)
	v_xor_b32_e32 v3, 0x80000000, v5
	v_and_b32_e32 v7, s69, v3
	v_and_b32_e32 v6, s68, v4
	v_cmp_eq_u64_e32 vcc, s[70:71], v[6:7]
	s_and_b64 exec, exec, vcc
	s_cbranch_execz .LBB98_142
; %bb.147:                              ;   in Loop: Header=BB98_143 Depth=2
	v_mov_b32_e32 v3, v19
	ds_write_b128 v19, v[2:5] offset:3072
	s_branch .LBB98_142
.LBB98_148:                             ;   in Loop: Header=BB98_12 Depth=1
	s_or_b64 exec, exec, s[26:27]
	s_and_b64 s[14:15], s[24:25], exec
.LBB98_149:                             ;   in Loop: Header=BB98_12 Depth=1
	s_or_b64 exec, exec, s[22:23]
	s_mov_b64 s[26:27], -1
	s_mov_b64 s[24:25], 0
	s_mov_b64 s[22:23], 0
.LBB98_150:                             ;   in Loop: Header=BB98_12 Depth=1
	s_mov_b64 s[36:37], 0
                                        ; implicit-def: $sgpr54
	s_and_saveexec_b64 s[30:31], s[14:15]
	s_cbranch_execz .LBB98_246
; %bb.151:                              ;   in Loop: Header=BB98_12 Depth=1
	s_xor_b64 s[2:3], s[34:35], -1
	s_mov_b64 s[14:15], 0
	s_andn2_b64 vcc, exec, s[2:3]
	s_mov_b32 s48, 1
	s_cbranch_vccnz .LBB98_162
; %bb.152:                              ;   in Loop: Header=BB98_12 Depth=1
	s_cmp_gt_u32 s39, s38
	s_mov_b64 s[14:15], -1
                                        ; implicit-def: $sgpr54
                                        ; implicit-def: $sgpr34_sgpr35
                                        ; implicit-def: $sgpr36_sgpr37
	s_cbranch_scc1 .LBB98_158
; %bb.153:                              ;   in Loop: Header=BB98_12 Depth=1
	ds_read_b32 v3, v19 offset:4104
	s_waitcnt lgkmcnt(0)
	v_cmp_ne_u32_e32 vcc, 0, v3
	s_cbranch_vccnz .LBB98_157
; %bb.154:                              ;   in Loop: Header=BB98_12 Depth=1
	s_mov_b64 s[14:15], exec
	v_readlane_b32 s2, v54, 6
	v_readlane_b32 s3, v54, 7
	s_and_b64 s[2:3], s[14:15], s[2:3]
	s_mov_b64 exec, s[2:3]
	s_cbranch_execz .LBB98_156
; %bb.155:                              ;   in Loop: Header=BB98_12 Depth=1
	v_mov_b32_e32 v3, s38
	ds_write_b32 v19, v3 offset:4108
.LBB98_156:                             ;   in Loop: Header=BB98_12 Depth=1
	s_or_b64 exec, exec, s[14:15]
	s_waitcnt lgkmcnt(0)
	s_barrier
.LBB98_157:                             ;   in Loop: Header=BB98_12 Depth=1
	s_lshl_b64 s[2:3], 1, s47
	s_and_b64 s[8:9], s[70:71], s[28:29]
	s_or_b64 s[34:35], s[8:9], s[2:3]
	s_or_b64 s[36:37], s[68:69], s[16:17]
	s_mov_b64 s[14:15], 0
	s_mov_b32 s54, 8
.LBB98_158:                             ;   in Loop: Header=BB98_12 Depth=1
	s_andn2_b64 vcc, exec, s[14:15]
	s_cbranch_vccnz .LBB98_160
; %bb.159:                              ;   in Loop: Header=BB98_12 Depth=1
	s_sub_i32 s39, s39, s38
	s_mov_b64 s[14:15], -1
	s_mov_b32 s54, 0
	s_mov_b64 s[34:35], s[70:71]
	s_mov_b64 s[36:37], s[68:69]
.LBB98_160:                             ;   in Loop: Header=BB98_12 Depth=1
	s_mov_b64 s[68:69], s[36:37]
	s_mov_b64 s[70:71], s[34:35]
	s_mov_b32 s48, s39
	s_andn2_b64 vcc, exec, s[14:15]
	s_mov_b64 s[44:45], -1
	s_cbranch_vccz .LBB98_163
.LBB98_161:                             ;   in Loop: Header=BB98_12 Depth=1
                                        ; implicit-def: $sgpr36_sgpr37
                                        ; implicit-def: $sgpr38_sgpr39
                                        ; implicit-def: $sgpr34_sgpr35
	s_branch .LBB98_245
.LBB98_162:                             ;   in Loop: Header=BB98_12 Depth=1
	s_mov_b32 s54, 1
	s_andn2_b64 vcc, exec, s[14:15]
	s_mov_b64 s[44:45], -1
	s_cbranch_vccnz .LBB98_161
.LBB98_163:                             ;   in Loop: Header=BB98_12 Depth=1
	s_cmp_eq_u32 s46, 1
	s_cselect_b64 s[2:3], -1, 0
	s_cmp_eq_u32 s48, 1
	s_cselect_b64 s[8:9], -1, 0
	s_and_b64 s[42:43], s[2:3], s[8:9]
	s_mov_b64 s[14:15], -1
	s_and_b64 vcc, exec, s[42:43]
	s_cbranch_vccz .LBB98_175
; %bb.164:                              ;   in Loop: Header=BB98_12 Depth=1
	ds_read_b32 v3, v19 offset:4104
	v_readlane_b32 s6, v54, 34
	v_readlane_b32 s7, v54, 35
	s_waitcnt lgkmcnt(0)
	s_barrier
	v_readfirstlane_b32 s2, v3
	s_and_saveexec_b64 s[14:15], s[6:7]
	s_cbranch_execz .LBB98_166
; %bb.165:                              ;   in Loop: Header=BB98_12 Depth=1
	v_mov_b32_e32 v18, v19
	ds_write_b64 v32, v[18:19]
.LBB98_166:                             ;   in Loop: Header=BB98_12 Depth=1
	s_or_b64 exec, exec, s[14:15]
	s_lshl_b64 s[8:9], 2, s47
	s_and_b64 s[14:15], s[70:71], s[28:29]
	s_or_b64 s[70:71], s[14:15], s[8:9]
	s_or_b64 s[68:69], s[68:69], s[16:17]
	s_cmp_eq_u32 s2, 0
	s_waitcnt lgkmcnt(0)
	s_barrier
	s_cbranch_scc1 .LBB98_176
; %bb.167:                              ;   in Loop: Header=BB98_12 Depth=1
	v_readlane_b32 s3, v54, 25
	s_add_i32 s3, s2, s3
	v_readlane_b32 s6, v54, 48
	s_mul_hi_u32 s8, s3, s6
	s_mul_i32 s8, s8, s57
	s_sub_i32 s8, s3, s8
	s_sub_i32 s9, s8, s57
	s_cmp_ge_u32 s8, s57
	s_cselect_b32 s8, s9, s8
	s_sub_i32 s9, s8, s57
	s_cmp_ge_u32 s8, s57
	s_cselect_b32 s8, s9, s8
	s_sub_i32 s3, s3, s8
	v_cmp_gt_u32_e32 vcc, s3, v0
	s_mov_b64 s[14:15], 0
                                        ; implicit-def: $vgpr6_vgpr7
	s_and_saveexec_b64 s[34:35], vcc
	s_cbranch_execz .LBB98_178
; %bb.168:                              ;   in Loop: Header=BB98_12 Depth=1
	s_mov_b64 s[36:37], 0
	v_mov_b32_e32 v8, v31
	v_mov_b32_e32 v9, v0
                                        ; implicit-def: $sgpr14_sgpr15
	s_branch .LBB98_170
.LBB98_169:                             ;   in Loop: Header=BB98_170 Depth=2
	s_or_b64 exec, exec, s[38:39]
	s_waitcnt lgkmcnt(0)
	s_barrier
	ds_read_b128 v[4:7], v19 offset:3072
	v_add_u32_e32 v9, s57, v9
	v_cmp_le_u32_e32 vcc, s3, v9
	v_add_u32_e32 v8, s1, v8
	s_waitcnt lgkmcnt(0)
	v_readfirstlane_b32 s9, v5
	v_readfirstlane_b32 s8, v4
	s_cmp_lg_u64 s[8:9], 0
	s_cselect_b64 s[8:9], -1, 0
	s_or_b64 s[38:39], vcc, s[8:9]
	s_and_b64 s[38:39], exec, s[38:39]
	s_or_b64 s[36:37], s[38:39], s[36:37]
	s_andn2_b64 s[14:15], s[14:15], exec
	s_and_b64 s[8:9], s[8:9], exec
	s_or_b64 s[14:15], s[14:15], s[8:9]
	s_barrier
	s_andn2_b64 exec, exec, s[36:37]
	s_cbranch_execz .LBB98_177
.LBB98_170:                             ;   Parent Loop BB98_12 Depth=1
                                        ; =>  This Inner Loop Header: Depth=2
	v_cmp_gt_u32_e32 vcc, s2, v9
	s_waitcnt vmcnt(0)
	v_pk_mov_b32 v[4:5], 0, 0
	s_and_saveexec_b64 s[38:39], vcc
	s_cbranch_execz .LBB98_172
; %bb.171:                              ;   in Loop: Header=BB98_170 Depth=2
	ds_read_b64 v[4:5], v8
.LBB98_172:                             ;   in Loop: Header=BB98_170 Depth=2
	s_or_b64 exec, exec, s[38:39]
	s_and_saveexec_b64 s[38:39], vcc
	s_cbranch_execz .LBB98_169
; %bb.173:                              ;   in Loop: Header=BB98_170 Depth=2
	s_waitcnt lgkmcnt(0)
	v_xor_b32_e32 v3, 0x80000000, v5
	v_and_b32_e32 v7, s69, v3
	v_and_b32_e32 v6, s68, v4
	v_cmp_eq_u64_e32 vcc, s[70:71], v[6:7]
	s_and_b64 exec, exec, vcc
	s_cbranch_execz .LBB98_169
; %bb.174:                              ;   in Loop: Header=BB98_170 Depth=2
	v_mov_b32_e32 v3, v19
	ds_write_b128 v19, v[2:5] offset:3072
	s_branch .LBB98_169
.LBB98_175:                             ;   in Loop: Header=BB98_12 Depth=1
                                        ; implicit-def: $sgpr34_sgpr35
                                        ; implicit-def: $sgpr38_sgpr39
                                        ; implicit-def: $sgpr36_sgpr37
	s_branch .LBB98_189
.LBB98_176:                             ;   in Loop: Header=BB98_12 Depth=1
	s_mov_b64 s[34:35], -1
	s_mov_b64 s[14:15], 0
                                        ; implicit-def: $sgpr36_sgpr37
                                        ; implicit-def: $vgpr6_vgpr7
	s_mov_b64 s[38:39], s[34:35]
	s_cbranch_execnz .LBB98_179
	s_branch .LBB98_189
.LBB98_177:                             ;   in Loop: Header=BB98_12 Depth=1
	s_or_b64 exec, exec, s[36:37]
	s_and_b64 s[14:15], s[14:15], exec
.LBB98_178:                             ;   in Loop: Header=BB98_12 Depth=1
	s_or_b64 exec, exec, s[34:35]
	s_mov_b64 s[36:37], -1
	s_mov_b64 s[34:35], 0
	s_mov_b64 s[38:39], s[34:35]
	s_branch .LBB98_189
.LBB98_179:                             ;   in Loop: Header=BB98_12 Depth=1
	s_mov_b64 s[14:15], 0
                                        ; implicit-def: $vgpr6_vgpr7
	s_mov_b64 s[34:35], exec
	v_readlane_b32 s2, v54, 49
	v_readlane_b32 s3, v54, 50
	s_and_b64 s[2:3], s[34:35], s[2:3]
	s_mov_b64 exec, s[2:3]
	s_cbranch_execz .LBB98_188
; %bb.180:                              ;   in Loop: Header=BB98_12 Depth=1
	s_mov_b64 s[38:39], 0
	v_mov_b32_e32 v18, v16
	v_mov_b32_e32 v8, v0
                                        ; implicit-def: $sgpr36_sgpr37
	s_branch .LBB98_182
.LBB98_181:                             ;   in Loop: Header=BB98_182 Depth=2
	s_or_b64 exec, exec, s[14:15]
	s_waitcnt lgkmcnt(0)
	s_barrier
	s_waitcnt vmcnt(0)
	ds_read_b128 v[4:7], v19 offset:3072
	v_add_u32_e32 v8, s57, v8
	v_cmp_le_u32_e32 vcc, s80, v8
	v_add_u32_e32 v18, s85, v18
	s_waitcnt lgkmcnt(0)
	v_readfirstlane_b32 s3, v5
	v_readfirstlane_b32 s2, v4
	s_cmp_lg_u64 s[2:3], 0
	s_cselect_b64 s[2:3], -1, 0
	s_or_b64 s[8:9], vcc, s[2:3]
	s_and_b64 s[8:9], exec, s[8:9]
	s_or_b64 s[38:39], s[8:9], s[38:39]
	s_andn2_b64 s[8:9], s[36:37], exec
	s_and_b64 s[2:3], s[2:3], exec
	s_or_b64 s[36:37], s[8:9], s[2:3]
	s_barrier
	s_andn2_b64 exec, exec, s[38:39]
	s_cbranch_execz .LBB98_187
.LBB98_182:                             ;   Parent Loop BB98_12 Depth=1
                                        ; =>  This Inner Loop Header: Depth=2
	v_cmp_gt_u32_e32 vcc, s56, v8
	s_waitcnt vmcnt(0)
	v_pk_mov_b32 v[4:5], 0, 0
	s_and_saveexec_b64 s[40:41], vcc
	s_cbranch_execz .LBB98_184
; %bb.183:                              ;   in Loop: Header=BB98_182 Depth=2
	v_lshlrev_b64 v[4:5], 3, v[18:19]
	v_mov_b32_e32 v3, s84
	v_add_co_u32_e64 v4, s[14:15], s59, v4
	v_addc_co_u32_e64 v5, s[14:15], v3, v5, s[14:15]
	global_load_dwordx2 v[4:5], v[4:5], off
.LBB98_184:                             ;   in Loop: Header=BB98_182 Depth=2
	s_or_b64 exec, exec, s[40:41]
	s_and_saveexec_b64 s[14:15], vcc
	s_cbranch_execz .LBB98_181
; %bb.185:                              ;   in Loop: Header=BB98_182 Depth=2
	s_waitcnt vmcnt(0)
	v_xor_b32_e32 v3, 0x80000000, v5
	v_and_b32_e32 v7, s69, v3
	v_and_b32_e32 v6, s68, v4
	v_cmp_eq_u64_e32 vcc, s[70:71], v[6:7]
	s_and_b64 exec, exec, vcc
	s_cbranch_execz .LBB98_181
; %bb.186:                              ;   in Loop: Header=BB98_182 Depth=2
	v_mov_b32_e32 v3, v19
	ds_write_b128 v19, v[2:5] offset:3072
	s_branch .LBB98_181
.LBB98_187:                             ;   in Loop: Header=BB98_12 Depth=1
	s_or_b64 exec, exec, s[38:39]
	s_and_b64 s[14:15], s[36:37], exec
.LBB98_188:                             ;   in Loop: Header=BB98_12 Depth=1
	s_or_b64 exec, exec, s[34:35]
	s_mov_b64 s[38:39], -1
	s_mov_b64 s[34:35], 0
	s_mov_b64 s[36:37], 0
.LBB98_189:                             ;   in Loop: Header=BB98_12 Depth=1
	s_mov_b64 s[44:45], 0
                                        ; implicit-def: $sgpr54
	s_and_saveexec_b64 s[40:41], s[14:15]
	s_cbranch_execz .LBB98_244
; %bb.190:                              ;   in Loop: Header=BB98_12 Depth=1
	s_xor_b64 s[2:3], s[42:43], -1
	s_mov_b64 s[14:15], 0
	s_andn2_b64 vcc, exec, s[2:3]
	s_mov_b32 s53, 1
	s_cbranch_vccnz .LBB98_201
; %bb.191:                              ;   in Loop: Header=BB98_12 Depth=1
	s_cmp_gt_u32 s48, s46
	s_mov_b64 s[14:15], -1
                                        ; implicit-def: $sgpr54
                                        ; implicit-def: $sgpr42_sgpr43
                                        ; implicit-def: $sgpr44_sgpr45
	s_cbranch_scc1 .LBB98_197
; %bb.192:                              ;   in Loop: Header=BB98_12 Depth=1
	ds_read_b32 v3, v19 offset:4104
	s_waitcnt lgkmcnt(0)
	v_cmp_ne_u32_e32 vcc, 0, v3
	s_cbranch_vccnz .LBB98_196
; %bb.193:                              ;   in Loop: Header=BB98_12 Depth=1
	s_mov_b64 s[14:15], exec
	v_readlane_b32 s2, v54, 6
	v_readlane_b32 s3, v54, 7
	s_and_b64 s[2:3], s[14:15], s[2:3]
	s_mov_b64 exec, s[2:3]
	s_cbranch_execz .LBB98_195
; %bb.194:                              ;   in Loop: Header=BB98_12 Depth=1
	v_mov_b32_e32 v3, s46
	ds_write_b32 v19, v3 offset:4108
.LBB98_195:                             ;   in Loop: Header=BB98_12 Depth=1
	s_or_b64 exec, exec, s[14:15]
	s_waitcnt lgkmcnt(0)
	s_barrier
.LBB98_196:                             ;   in Loop: Header=BB98_12 Depth=1
	s_lshl_b64 s[2:3], 2, s47
	s_and_b64 s[8:9], s[70:71], s[28:29]
	s_or_b64 s[42:43], s[8:9], s[2:3]
	s_or_b64 s[44:45], s[68:69], s[16:17]
	s_mov_b64 s[14:15], 0
	s_mov_b32 s54, 8
.LBB98_197:                             ;   in Loop: Header=BB98_12 Depth=1
	s_andn2_b64 vcc, exec, s[14:15]
	s_cbranch_vccnz .LBB98_199
; %bb.198:                              ;   in Loop: Header=BB98_12 Depth=1
	s_sub_i32 s48, s48, s46
	s_mov_b64 s[14:15], -1
	s_mov_b32 s54, 0
	s_mov_b64 s[42:43], s[70:71]
	s_mov_b64 s[44:45], s[68:69]
.LBB98_199:                             ;   in Loop: Header=BB98_12 Depth=1
	s_mov_b32 s76, s50
	s_mov_b64 s[68:69], s[44:45]
	s_mov_b64 s[70:71], s[42:43]
	s_mov_b32 s53, s48
	s_andn2_b64 vcc, exec, s[14:15]
	s_mov_b64 s[50:51], -1
	s_cbranch_vccz .LBB98_202
.LBB98_200:                             ;   in Loop: Header=BB98_12 Depth=1
                                        ; implicit-def: $sgpr14_sgpr15
                                        ; implicit-def: $sgpr44_sgpr45
                                        ; implicit-def: $sgpr42_sgpr43
	s_branch .LBB98_243
.LBB98_201:                             ;   in Loop: Header=BB98_12 Depth=1
	s_mov_b32 s76, s50
	s_mov_b32 s54, 1
	s_andn2_b64 vcc, exec, s[14:15]
	s_mov_b64 s[50:51], -1
	s_cbranch_vccnz .LBB98_200
.LBB98_202:                             ;   in Loop: Header=BB98_12 Depth=1
	s_cmp_eq_u32 s52, 1
	s_cselect_b64 s[2:3], -1, 0
	s_cmp_eq_u32 s53, 1
	s_cselect_b64 s[8:9], -1, 0
	s_and_b64 s[28:29], s[2:3], s[8:9]
	s_mov_b64 s[46:47], -1
	s_and_b64 vcc, exec, s[28:29]
	s_cbranch_vccz .LBB98_214
; %bb.203:                              ;   in Loop: Header=BB98_12 Depth=1
	ds_read_b32 v3, v19 offset:4104
	v_readlane_b32 s6, v54, 34
	v_readlane_b32 s7, v54, 35
	s_waitcnt lgkmcnt(0)
	s_barrier
	v_readfirstlane_b32 s2, v3
	s_and_saveexec_b64 s[14:15], s[6:7]
	s_cbranch_execz .LBB98_205
; %bb.204:                              ;   in Loop: Header=BB98_12 Depth=1
	v_mov_b32_e32 v18, v19
	ds_write_b64 v32, v[18:19]
.LBB98_205:                             ;   in Loop: Header=BB98_12 Depth=1
	s_or_b64 exec, exec, s[14:15]
	s_or_b64 s[70:71], s[70:71], s[16:17]
	s_or_b64 s[68:69], s[68:69], s[16:17]
	s_cmp_eq_u32 s2, 0
	s_waitcnt lgkmcnt(0)
	s_barrier
	s_cbranch_scc1 .LBB98_215
; %bb.206:                              ;   in Loop: Header=BB98_12 Depth=1
	v_readlane_b32 s3, v54, 25
	s_add_i32 s3, s2, s3
	v_readlane_b32 s6, v54, 48
	s_mul_hi_u32 s8, s3, s6
	s_mul_i32 s8, s8, s57
	s_sub_i32 s8, s3, s8
	s_sub_i32 s9, s8, s57
	s_cmp_ge_u32 s8, s57
	s_cselect_b32 s8, s9, s8
	s_sub_i32 s9, s8, s57
	s_cmp_ge_u32 s8, s57
	s_cselect_b32 s8, s9, s8
	s_sub_i32 s3, s3, s8
	v_cmp_gt_u32_e32 vcc, s3, v0
	s_mov_b64 s[46:47], 0
                                        ; implicit-def: $vgpr6_vgpr7
	s_and_saveexec_b64 s[14:15], vcc
	s_cbranch_execz .LBB98_217
; %bb.207:                              ;   in Loop: Header=BB98_12 Depth=1
	s_mov_b64 s[44:45], 0
	v_mov_b32_e32 v8, v31
	v_mov_b32_e32 v9, v0
                                        ; implicit-def: $sgpr42_sgpr43
	s_branch .LBB98_209
.LBB98_208:                             ;   in Loop: Header=BB98_209 Depth=2
	s_or_b64 exec, exec, s[46:47]
	s_waitcnt lgkmcnt(0)
	s_barrier
	ds_read_b128 v[4:7], v19 offset:3072
	v_add_u32_e32 v9, s57, v9
	v_cmp_le_u32_e32 vcc, s3, v9
	v_add_u32_e32 v8, s1, v8
	s_waitcnt lgkmcnt(0)
	v_readfirstlane_b32 s9, v5
	v_readfirstlane_b32 s8, v4
	s_cmp_lg_u64 s[8:9], 0
	s_cselect_b64 s[8:9], -1, 0
	s_or_b64 s[46:47], vcc, s[8:9]
	s_and_b64 s[46:47], exec, s[46:47]
	s_or_b64 s[44:45], s[46:47], s[44:45]
	s_andn2_b64 s[42:43], s[42:43], exec
	s_and_b64 s[8:9], s[8:9], exec
	s_or_b64 s[42:43], s[42:43], s[8:9]
	s_barrier
	s_andn2_b64 exec, exec, s[44:45]
	s_cbranch_execz .LBB98_216
.LBB98_209:                             ;   Parent Loop BB98_12 Depth=1
                                        ; =>  This Inner Loop Header: Depth=2
	v_cmp_gt_u32_e32 vcc, s2, v9
	s_waitcnt vmcnt(0)
	v_pk_mov_b32 v[4:5], 0, 0
	s_and_saveexec_b64 s[46:47], vcc
	s_cbranch_execz .LBB98_211
; %bb.210:                              ;   in Loop: Header=BB98_209 Depth=2
	ds_read_b64 v[4:5], v8
.LBB98_211:                             ;   in Loop: Header=BB98_209 Depth=2
	s_or_b64 exec, exec, s[46:47]
	s_and_saveexec_b64 s[46:47], vcc
	s_cbranch_execz .LBB98_208
; %bb.212:                              ;   in Loop: Header=BB98_209 Depth=2
	s_waitcnt lgkmcnt(0)
	v_xor_b32_e32 v3, 0x80000000, v5
	v_and_b32_e32 v7, s69, v3
	v_and_b32_e32 v6, s68, v4
	v_cmp_eq_u64_e32 vcc, s[70:71], v[6:7]
	s_and_b64 exec, exec, vcc
	s_cbranch_execz .LBB98_208
; %bb.213:                              ;   in Loop: Header=BB98_209 Depth=2
	v_mov_b32_e32 v3, v19
	ds_write_b128 v19, v[2:5] offset:3072
	s_branch .LBB98_208
.LBB98_214:                             ;   in Loop: Header=BB98_12 Depth=1
                                        ; implicit-def: $sgpr14_sgpr15
                                        ; implicit-def: $sgpr44_sgpr45
                                        ; implicit-def: $sgpr42_sgpr43
	s_branch .LBB98_228
.LBB98_215:                             ;   in Loop: Header=BB98_12 Depth=1
	s_mov_b64 s[14:15], -1
	s_mov_b64 s[46:47], 0
                                        ; implicit-def: $sgpr42_sgpr43
                                        ; implicit-def: $vgpr6_vgpr7
	s_mov_b64 s[44:45], s[14:15]
	s_cbranch_execnz .LBB98_218
	s_branch .LBB98_228
.LBB98_216:                             ;   in Loop: Header=BB98_12 Depth=1
	s_or_b64 exec, exec, s[44:45]
	s_and_b64 s[46:47], s[42:43], exec
.LBB98_217:                             ;   in Loop: Header=BB98_12 Depth=1
	s_or_b64 exec, exec, s[14:15]
	s_mov_b64 s[42:43], -1
	s_mov_b64 s[14:15], 0
	s_mov_b64 s[44:45], s[14:15]
	s_branch .LBB98_228
.LBB98_218:                             ;   in Loop: Header=BB98_12 Depth=1
	s_mov_b64 s[46:47], 0
                                        ; implicit-def: $vgpr6_vgpr7
	s_mov_b64 s[42:43], exec
	v_readlane_b32 s2, v54, 49
	v_readlane_b32 s3, v54, 50
	s_and_b64 s[2:3], s[42:43], s[2:3]
	s_mov_b64 exec, s[2:3]
	s_cbranch_execz .LBB98_227
; %bb.219:                              ;   in Loop: Header=BB98_12 Depth=1
	v_mov_b32_e32 v18, v16
	v_mov_b32_e32 v8, v0
                                        ; implicit-def: $sgpr44_sgpr45
	s_branch .LBB98_221
.LBB98_220:                             ;   in Loop: Header=BB98_221 Depth=2
	s_or_b64 exec, exec, s[14:15]
	s_waitcnt lgkmcnt(0)
	s_barrier
	s_waitcnt vmcnt(0)
	ds_read_b128 v[4:7], v19 offset:3072
	v_add_u32_e32 v8, s57, v8
	v_cmp_le_u32_e32 vcc, s80, v8
	v_add_u32_e32 v18, s85, v18
	s_waitcnt lgkmcnt(0)
	v_readfirstlane_b32 s3, v5
	v_readfirstlane_b32 s2, v4
	s_cmp_lg_u64 s[2:3], 0
	s_cselect_b64 s[2:3], -1, 0
	s_or_b64 s[8:9], vcc, s[2:3]
	s_and_b64 s[8:9], exec, s[8:9]
	s_or_b64 s[46:47], s[8:9], s[46:47]
	s_andn2_b64 s[8:9], s[44:45], exec
	s_and_b64 s[2:3], s[2:3], exec
	s_or_b64 s[44:45], s[8:9], s[2:3]
	s_barrier
	s_andn2_b64 exec, exec, s[46:47]
	s_cbranch_execz .LBB98_226
.LBB98_221:                             ;   Parent Loop BB98_12 Depth=1
                                        ; =>  This Inner Loop Header: Depth=2
	v_cmp_gt_u32_e32 vcc, s56, v8
	s_waitcnt vmcnt(0)
	v_pk_mov_b32 v[4:5], 0, 0
	s_and_saveexec_b64 s[48:49], vcc
	s_cbranch_execz .LBB98_223
; %bb.222:                              ;   in Loop: Header=BB98_221 Depth=2
	v_lshlrev_b64 v[4:5], 3, v[18:19]
	v_mov_b32_e32 v3, s84
	v_add_co_u32_e64 v4, s[14:15], s59, v4
	v_addc_co_u32_e64 v5, s[14:15], v3, v5, s[14:15]
	global_load_dwordx2 v[4:5], v[4:5], off
.LBB98_223:                             ;   in Loop: Header=BB98_221 Depth=2
	s_or_b64 exec, exec, s[48:49]
	s_and_saveexec_b64 s[14:15], vcc
	s_cbranch_execz .LBB98_220
; %bb.224:                              ;   in Loop: Header=BB98_221 Depth=2
	s_waitcnt vmcnt(0)
	v_xor_b32_e32 v3, 0x80000000, v5
	v_and_b32_e32 v7, s69, v3
	v_and_b32_e32 v6, s68, v4
	v_cmp_eq_u64_e32 vcc, s[70:71], v[6:7]
	s_and_b64 exec, exec, vcc
	s_cbranch_execz .LBB98_220
; %bb.225:                              ;   in Loop: Header=BB98_221 Depth=2
	v_mov_b32_e32 v3, v19
	ds_write_b128 v19, v[2:5] offset:3072
	s_branch .LBB98_220
.LBB98_226:                             ;   in Loop: Header=BB98_12 Depth=1
	s_or_b64 exec, exec, s[46:47]
	s_and_b64 s[46:47], s[44:45], exec
.LBB98_227:                             ;   in Loop: Header=BB98_12 Depth=1
	s_or_b64 exec, exec, s[42:43]
	s_mov_b64 s[44:45], -1
	s_mov_b64 s[14:15], 0
	s_mov_b64 s[42:43], 0
.LBB98_228:                             ;   in Loop: Header=BB98_12 Depth=1
	s_mov_b64 s[50:51], 0
                                        ; implicit-def: $sgpr54
	s_and_saveexec_b64 s[48:49], s[46:47]
	s_cbranch_execz .LBB98_242
; %bb.229:                              ;   in Loop: Header=BB98_12 Depth=1
	s_xor_b64 s[2:3], s[28:29], -1
	s_andn2_b64 vcc, exec, s[2:3]
	s_mov_b32 s54, 1
	s_cbranch_vccnz .LBB98_236
; %bb.230:                              ;   in Loop: Header=BB98_12 Depth=1
	s_cmp_gt_u32 s53, s52
	s_cbranch_scc1 .LBB98_237
; %bb.231:                              ;   in Loop: Header=BB98_12 Depth=1
	ds_read_b32 v3, v19 offset:4104
	s_waitcnt lgkmcnt(0)
	v_cmp_ne_u32_e32 vcc, 0, v3
	s_cbranch_vccnz .LBB98_235
; %bb.232:                              ;   in Loop: Header=BB98_12 Depth=1
	s_mov_b64 s[28:29], exec
	v_readlane_b32 s2, v54, 6
	v_readlane_b32 s3, v54, 7
	s_and_b64 s[2:3], s[28:29], s[2:3]
	s_mov_b64 exec, s[2:3]
	s_cbranch_execz .LBB98_234
; %bb.233:                              ;   in Loop: Header=BB98_12 Depth=1
	v_mov_b32_e32 v3, s52
	ds_write_b32 v19, v3 offset:4108
.LBB98_234:                             ;   in Loop: Header=BB98_12 Depth=1
	s_or_b64 exec, exec, s[28:29]
	s_waitcnt lgkmcnt(0)
	s_barrier
.LBB98_235:                             ;   in Loop: Header=BB98_12 Depth=1
	s_or_b64 s[28:29], s[70:71], s[16:17]
	s_or_b64 s[16:17], s[68:69], s[16:17]
	s_mov_b64 s[46:47], 0
	s_mov_b32 s54, 8
	s_branch .LBB98_238
.LBB98_236:                             ;   in Loop: Header=BB98_12 Depth=1
	s_mov_b32 s53, 1
	s_branch .LBB98_241
.LBB98_237:                             ;   in Loop: Header=BB98_12 Depth=1
	s_mov_b64 s[46:47], -1
                                        ; implicit-def: $sgpr54
                                        ; implicit-def: $sgpr28_sgpr29
                                        ; implicit-def: $sgpr16_sgpr17
.LBB98_238:                             ;   in Loop: Header=BB98_12 Depth=1
	s_andn2_b64 vcc, exec, s[46:47]
	s_cbranch_vccnz .LBB98_240
; %bb.239:                              ;   in Loop: Header=BB98_12 Depth=1
	s_sub_i32 s53, s53, s52
	s_mov_b32 s54, 8
	s_mov_b64 s[28:29], s[70:71]
	s_mov_b64 s[16:17], s[68:69]
.LBB98_240:                             ;   in Loop: Header=BB98_12 Depth=1
	s_mov_b64 s[70:71], s[28:29]
	s_mov_b64 s[68:69], s[16:17]
.LBB98_241:                             ;   in Loop: Header=BB98_12 Depth=1
	s_mov_b64 s[50:51], exec
.LBB98_242:                             ;   in Loop: Header=BB98_12 Depth=1
	s_or_b64 exec, exec, s[48:49]
.LBB98_243:                             ;   in Loop: Header=BB98_12 Depth=1
	s_andn2_b64 s[2:3], s[34:35], exec
	s_and_b64 s[8:9], s[14:15], exec
	s_or_b64 s[34:35], s[2:3], s[8:9]
	s_andn2_b64 s[2:3], s[38:39], exec
	s_and_b64 s[8:9], s[44:45], exec
	s_or_b64 s[38:39], s[2:3], s[8:9]
	;; [unrolled: 3-line block ×3, first 2 shown]
	s_and_b64 s[44:45], s[50:51], exec
	s_mov_b32 s48, s53
	s_mov_b32 s50, s76
.LBB98_244:                             ;   in Loop: Header=BB98_12 Depth=1
	s_or_b64 exec, exec, s[40:41]
.LBB98_245:                             ;   in Loop: Header=BB98_12 Depth=1
	s_andn2_b64 s[2:3], s[24:25], exec
	s_and_b64 s[8:9], s[34:35], exec
	s_or_b64 s[24:25], s[2:3], s[8:9]
	s_andn2_b64 s[2:3], s[26:27], exec
	s_and_b64 s[8:9], s[38:39], exec
	s_or_b64 s[26:27], s[2:3], s[8:9]
	s_andn2_b64 s[2:3], s[22:23], exec
	s_and_b64 s[8:9], s[36:37], exec
	s_or_b64 s[22:23], s[2:3], s[8:9]
	s_and_b64 s[36:37], s[44:45], exec
	s_mov_b32 s39, s48
.LBB98_246:                             ;   in Loop: Header=BB98_12 Depth=1
	s_or_b64 exec, exec, s[30:31]
                                        ; implicit-def: $sgpr82
	s_and_saveexec_b64 s[2:3], s[36:37]
	s_xor_b64 s[14:15], exec, s[2:3]
	s_cbranch_execz .LBB98_10
.LBB98_247:                             ;   in Loop: Header=BB98_12 Depth=1
	s_and_b32 s2, s54, -9
	s_cmp_eq_u32 s2, 0
	s_cbranch_scc1 .LBB98_8
; %bb.248:                              ;   in Loop: Header=BB98_12 Depth=1
	s_mov_b64 s[16:17], -1
                                        ; implicit-def: $sgpr68_sgpr69
                                        ; implicit-def: $sgpr39
                                        ; implicit-def: $sgpr87
                                        ; implicit-def: $sgpr13
	s_mov_b64 s[20:21], -1
	s_branch .LBB98_9
.LBB98_249:
	s_or_b64 exec, exec, s[94:95]
	s_xor_b64 s[8:9], s[62:63], -1
	s_xor_b64 s[0:1], s[72:73], -1
	;; [unrolled: 1-line block ×3, first 2 shown]
	s_mov_b64 s[4:5], 0
	s_and_saveexec_b64 s[2:3], s[0:1]
	s_xor_b64 s[0:1], exec, s[2:3]
	s_cbranch_execnz .LBB98_254
; %bb.250:
	s_andn2_saveexec_b64 s[0:1], s[0:1]
	s_cbranch_execnz .LBB98_267
.LBB98_251:
	s_or_b64 exec, exec, s[0:1]
	s_and_saveexec_b64 s[0:1], s[4:5]
.LBB98_252:
	; divergent unreachable
.LBB98_253:
	s_endpgm
.LBB98_254:
	s_and_saveexec_b64 s[2:3], s[8:9]
	s_xor_b64 s[4:5], exec, s[2:3]
	s_cbranch_execz .LBB98_265
; %bb.255:
	s_and_saveexec_b64 s[2:3], s[6:7]
	s_xor_b64 s[6:7], exec, s[2:3]
; %bb.256:
	v_xor_b32_e32 v5, 0x80000000, v5
	v_pk_mov_b32 v[6:7], v[4:5], v[4:5] op_sel:[0,1]
; %bb.257:
	s_or_b64 exec, exec, s[6:7]
	v_readlane_b32 s8, v54, 1
	v_readlane_b32 s9, v54, 2
	;; [unrolled: 1-line block ×3, first 2 shown]
	s_mul_i32 s2, s10, s9
	v_readlane_b32 s9, v54, 20
	s_mul_i32 s3, s9, s8
	v_readlane_b32 s18, v54, 22
	s_sub_i32 s3, s10, s3
	s_sub_i32 s2, s18, s2
	s_add_i32 s6, s9, 1
	s_sub_i32 s7, s3, s8
	s_cmp_ge_u32 s3, s8
	s_cselect_b32 s6, s6, s9
	s_cselect_b32 s3, s7, s3
	s_add_i32 s7, s6, 1
	s_cmp_ge_u32 s3, s8
	s_cselect_b32 s3, s7, s6
	v_readlane_b32 s12, v54, 12
	s_mul_i32 s6, s3, s8
	v_readlane_b32 s13, v54, 13
	v_readlane_b32 s14, v54, 14
	s_sub_i32 s6, s10, s6
	s_mul_i32 s2, s2, s14
	s_mul_i32 s6, s6, s13
	s_add_i32 s2, s6, s2
	s_mul_i32 s3, s3, s12
	s_add_i32 s2, s2, s3
	s_mov_b32 s3, 0
	s_lshl_b64 s[2:3], s[2:3], 3
	v_readlane_b32 s6, v54, 18
	v_readlane_b32 s7, v54, 19
	s_add_u32 s2, s6, s2
	s_addc_u32 s3, s7, s3
	v_mov_b32_e32 v17, 0
	v_readlane_b32 s15, v54, 15
	global_store_dwordx2 v17, v[6:7], s[2:3]
	s_mov_b64 s[6:7], exec
	v_readlane_b32 s2, v54, 23
	v_readlane_b32 s3, v54, 24
	s_and_b64 s[2:3], s[6:7], s[2:3]
	s_mov_b64 exec, s[2:3]
	s_cbranch_execz .LBB98_264
; %bb.258:
	s_mov_b64 s[2:3], 0
	v_mov_b32_e32 v1, s84
                                        ; implicit-def: $sgpr8_sgpr9
                                        ; implicit-def: $sgpr12_sgpr13
                                        ; implicit-def: $sgpr10_sgpr11
	s_branch .LBB98_260
.LBB98_259:                             ;   in Loop: Header=BB98_260 Depth=1
	s_or_b64 exec, exec, s[14:15]
	s_and_b64 s[14:15], exec, s[12:13]
	s_or_b64 s[2:3], s[14:15], s[2:3]
	s_andn2_b64 s[8:9], s[8:9], exec
	s_and_b64 s[14:15], s[10:11], exec
	s_or_b64 s[8:9], s[8:9], s[14:15]
	s_andn2_b64 exec, exec, s[2:3]
	s_cbranch_execz .LBB98_262
.LBB98_260:                             ; =>This Inner Loop Header: Depth=1
	v_lshlrev_b64 v[2:3], 3, v[16:17]
	v_add_co_u32_e32 v2, vcc, s59, v2
	v_addc_co_u32_e32 v3, vcc, v1, v3, vcc
	global_load_dwordx2 v[4:5], v[2:3], off
	v_mov_b32_e32 v2, v0
	s_or_b64 s[10:11], s[10:11], exec
	s_or_b64 s[12:13], s[12:13], exec
                                        ; implicit-def: $vgpr0
	s_waitcnt vmcnt(0)
	v_cmp_ne_u64_e32 vcc, v[4:5], v[6:7]
	s_and_saveexec_b64 s[14:15], vcc
	s_cbranch_execz .LBB98_259
; %bb.261:                              ;   in Loop: Header=BB98_260 Depth=1
	v_add_u32_e32 v0, s57, v2
	v_cmp_le_u32_e32 vcc, s56, v0
	s_andn2_b64 s[12:13], s[12:13], exec
	s_and_b64 s[16:17], vcc, exec
	v_add_u32_e32 v16, s85, v16
	s_andn2_b64 s[10:11], s[10:11], exec
	s_or_b64 s[12:13], s[12:13], s[16:17]
	s_branch .LBB98_259
.LBB98_262:
	s_or_b64 exec, exec, s[2:3]
	s_and_saveexec_b64 s[2:3], s[8:9]
	s_xor_b64 s[2:3], exec, s[2:3]
	s_cbranch_execz .LBB98_264
; %bb.263:
	v_readlane_b32 s10, v54, 4
	v_readlane_b32 s11, v54, 5
	;; [unrolled: 1-line block ×3, first 2 shown]
	s_mul_i32 s2, s12, s11
	v_readlane_b32 s11, v54, 21
	s_mul_i32 s3, s11, s10
	s_sub_i32 s3, s12, s3
	s_sub_i32 s2, s18, s2
	s_add_i32 s8, s11, 1
	s_sub_i32 s9, s3, s10
	s_cmp_ge_u32 s3, s10
	s_cselect_b32 s8, s8, s11
	s_cselect_b32 s3, s9, s3
	s_add_i32 s9, s8, 1
	s_cmp_ge_u32 s3, s10
	s_cselect_b32 s3, s9, s8
	v_readlane_b32 s16, v54, 8
	s_mul_i32 s8, s3, s10
	v_readlane_b32 s17, v54, 9
	v_readlane_b32 s18, v54, 10
	s_sub_i32 s8, s12, s8
	s_mul_i32 s2, s2, s18
	s_mul_i32 s8, s8, s17
	s_add_i32 s2, s8, s2
	s_mul_i32 s3, s3, s16
	s_add_i32 s2, s2, s3
	s_mov_b32 s3, 0
	s_lshl_b64 s[2:3], s[2:3], 3
	v_readlane_b32 s8, v54, 16
	v_readlane_b32 s9, v54, 17
	s_add_u32 s2, s8, s2
	s_addc_u32 s3, s9, s3
	v_mov_b32_e32 v3, 0
	v_readlane_b32 s19, v54, 11
	global_store_dwordx2 v3, v[2:3], s[2:3]
.LBB98_264:
	s_or_b64 exec, exec, s[6:7]
.LBB98_265:
	s_or_saveexec_b64 s[2:3], s[4:5]
	s_mov_b64 s[4:5], 0
	s_xor_b64 exec, exec, s[2:3]
	s_cbranch_execnz .LBB98_268
.LBB98_266:
	s_or_b64 exec, exec, s[2:3]
	s_and_b64 s[4:5], s[4:5], exec
	s_andn2_saveexec_b64 s[0:1], s[0:1]
	s_cbranch_execz .LBB98_251
.LBB98_267:
	s_or_b64 s[4:5], s[4:5], exec
	s_trap 2
	s_or_b64 exec, exec, s[0:1]
	s_and_saveexec_b64 s[0:1], s[4:5]
	s_cbranch_execnz .LBB98_252
	s_branch .LBB98_253
.LBB98_268:
	s_mov_b64 s[4:5], exec
	s_trap 2
	s_branch .LBB98_266
	.section	.rodata,"a",@progbits
	.p2align	6, 0x0
	.amdhsa_kernel _ZN2at6native12_GLOBAL__N_112gatherMedianIljLi3EEEvNS_4cuda6detail10TensorInfoIT_T0_EENS5_IlS7_EENS5_IKS6_S7_EES7_S7_S7_b
		.amdhsa_group_segment_fixed_size 4120
		.amdhsa_private_segment_fixed_size 0
		.amdhsa_kernarg_size 920
		.amdhsa_user_sgpr_count 6
		.amdhsa_user_sgpr_private_segment_buffer 1
		.amdhsa_user_sgpr_dispatch_ptr 0
		.amdhsa_user_sgpr_queue_ptr 0
		.amdhsa_user_sgpr_kernarg_segment_ptr 1
		.amdhsa_user_sgpr_dispatch_id 0
		.amdhsa_user_sgpr_flat_scratch_init 0
		.amdhsa_user_sgpr_kernarg_preload_length 0
		.amdhsa_user_sgpr_kernarg_preload_offset 0
		.amdhsa_user_sgpr_private_segment_size 0
		.amdhsa_uses_dynamic_stack 0
		.amdhsa_system_sgpr_private_segment_wavefront_offset 0
		.amdhsa_system_sgpr_workgroup_id_x 1
		.amdhsa_system_sgpr_workgroup_id_y 1
		.amdhsa_system_sgpr_workgroup_id_z 1
		.amdhsa_system_sgpr_workgroup_info 0
		.amdhsa_system_vgpr_workitem_id 0
		.amdhsa_next_free_vgpr 55
		.amdhsa_next_free_sgpr 96
		.amdhsa_accum_offset 56
		.amdhsa_reserve_vcc 1
		.amdhsa_reserve_flat_scratch 0
		.amdhsa_float_round_mode_32 0
		.amdhsa_float_round_mode_16_64 0
		.amdhsa_float_denorm_mode_32 3
		.amdhsa_float_denorm_mode_16_64 3
		.amdhsa_dx10_clamp 1
		.amdhsa_ieee_mode 1
		.amdhsa_fp16_overflow 0
		.amdhsa_tg_split 0
		.amdhsa_exception_fp_ieee_invalid_op 0
		.amdhsa_exception_fp_denorm_src 0
		.amdhsa_exception_fp_ieee_div_zero 0
		.amdhsa_exception_fp_ieee_overflow 0
		.amdhsa_exception_fp_ieee_underflow 0
		.amdhsa_exception_fp_ieee_inexact 0
		.amdhsa_exception_int_div_zero 0
	.end_amdhsa_kernel
	.section	.text._ZN2at6native12_GLOBAL__N_112gatherMedianIljLi3EEEvNS_4cuda6detail10TensorInfoIT_T0_EENS5_IlS7_EENS5_IKS6_S7_EES7_S7_S7_b,"axG",@progbits,_ZN2at6native12_GLOBAL__N_112gatherMedianIljLi3EEEvNS_4cuda6detail10TensorInfoIT_T0_EENS5_IlS7_EENS5_IKS6_S7_EES7_S7_S7_b,comdat
.Lfunc_end98:
	.size	_ZN2at6native12_GLOBAL__N_112gatherMedianIljLi3EEEvNS_4cuda6detail10TensorInfoIT_T0_EENS5_IlS7_EENS5_IKS6_S7_EES7_S7_S7_b, .Lfunc_end98-_ZN2at6native12_GLOBAL__N_112gatherMedianIljLi3EEEvNS_4cuda6detail10TensorInfoIT_T0_EENS5_IlS7_EENS5_IKS6_S7_EES7_S7_S7_b
                                        ; -- End function
	.section	.AMDGPU.csdata,"",@progbits
; Kernel info:
; codeLenInByte = 11032
; NumSgprs: 100
; NumVgprs: 55
; NumAgprs: 0
; TotalNumVgprs: 55
; ScratchSize: 0
; MemoryBound: 0
; FloatMode: 240
; IeeeMode: 1
; LDSByteSize: 4120 bytes/workgroup (compile time only)
; SGPRBlocks: 12
; VGPRBlocks: 6
; NumSGPRsForWavesPerEU: 100
; NumVGPRsForWavesPerEU: 55
; AccumOffset: 56
; Occupancy: 8
; WaveLimiterHint : 1
; COMPUTE_PGM_RSRC2:SCRATCH_EN: 0
; COMPUTE_PGM_RSRC2:USER_SGPR: 6
; COMPUTE_PGM_RSRC2:TRAP_HANDLER: 0
; COMPUTE_PGM_RSRC2:TGID_X_EN: 1
; COMPUTE_PGM_RSRC2:TGID_Y_EN: 1
; COMPUTE_PGM_RSRC2:TGID_Z_EN: 1
; COMPUTE_PGM_RSRC2:TIDIG_COMP_CNT: 0
; COMPUTE_PGM_RSRC3_GFX90A:ACCUM_OFFSET: 13
; COMPUTE_PGM_RSRC3_GFX90A:TG_SPLIT: 0
	.section	.text._ZN2at6native12_GLOBAL__N_112gatherMedianIljLin1EEEvNS_4cuda6detail10TensorInfoIT_T0_EENS5_IlS7_EENS5_IKS6_S7_EES7_S7_S7_b,"axG",@progbits,_ZN2at6native12_GLOBAL__N_112gatherMedianIljLin1EEEvNS_4cuda6detail10TensorInfoIT_T0_EENS5_IlS7_EENS5_IKS6_S7_EES7_S7_S7_b,comdat
	.globl	_ZN2at6native12_GLOBAL__N_112gatherMedianIljLin1EEEvNS_4cuda6detail10TensorInfoIT_T0_EENS5_IlS7_EENS5_IKS6_S7_EES7_S7_S7_b ; -- Begin function _ZN2at6native12_GLOBAL__N_112gatherMedianIljLin1EEEvNS_4cuda6detail10TensorInfoIT_T0_EENS5_IlS7_EENS5_IKS6_S7_EES7_S7_S7_b
	.p2align	8
	.type	_ZN2at6native12_GLOBAL__N_112gatherMedianIljLin1EEEvNS_4cuda6detail10TensorInfoIT_T0_EENS5_IlS7_EENS5_IKS6_S7_EES7_S7_S7_b,@function
_ZN2at6native12_GLOBAL__N_112gatherMedianIljLin1EEEvNS_4cuda6detail10TensorInfoIT_T0_EENS5_IlS7_EENS5_IKS6_S7_EES7_S7_S7_b: ; @_ZN2at6native12_GLOBAL__N_112gatherMedianIljLin1EEEvNS_4cuda6detail10TensorInfoIT_T0_EENS5_IlS7_EENS5_IKS6_S7_EES7_S7_S7_b
; %bb.0:
	s_load_dwordx2 s[12:13], s[4:5], 0x298
	s_load_dwordx4 s[56:59], s[4:5], 0x288
	s_add_u32 s10, s4, 0x298
	s_addc_u32 s11, s5, 0
	s_waitcnt lgkmcnt(0)
	s_mul_i32 s0, s13, s8
	s_add_i32 s0, s0, s7
	s_mul_i32 s0, s0, s12
	s_add_i32 s7, s0, s6
	s_cmp_ge_u32 s7, s57
	s_cbranch_scc1 .LBB99_262
; %bb.1:
	s_load_dword s0, s[4:5], 0xd0
	s_mov_b32 s61, 0
	s_mov_b32 s13, s7
	s_waitcnt lgkmcnt(0)
	s_cmp_lt_i32 s0, 2
	s_cbranch_scc1 .LBB99_4
; %bb.2:
	s_add_i32 s60, s0, -1
	s_add_i32 s2, s0, 1
	s_lshl_b64 s[0:1], s[60:61], 2
	s_add_u32 s0, s0, s4
	s_addc_u32 s1, s1, s5
	s_add_u32 s0, s0, 8
	s_addc_u32 s1, s1, 0
	s_mov_b32 s13, s7
.LBB99_3:                               ; =>This Inner Loop Header: Depth=1
	s_load_dword s3, s[0:1], 0x0
	s_load_dword s9, s[0:1], 0x64
	s_mov_b32 s8, s13
	s_waitcnt lgkmcnt(0)
	v_cvt_f32_u32_e32 v1, s3
	s_sub_i32 s13, 0, s3
	v_rcp_iflag_f32_e32 v1, v1
	v_mul_f32_e32 v1, 0x4f7ffffe, v1
	v_cvt_u32_f32_e32 v1, v1
	v_readfirstlane_b32 s14, v1
	s_mul_i32 s13, s13, s14
	s_mul_hi_u32 s13, s14, s13
	s_add_i32 s14, s14, s13
	s_mul_hi_u32 s13, s8, s14
	s_mul_i32 s14, s13, s3
	s_sub_i32 s14, s8, s14
	s_add_i32 s15, s13, 1
	s_sub_i32 s16, s14, s3
	s_cmp_ge_u32 s14, s3
	s_cselect_b32 s13, s15, s13
	s_cselect_b32 s14, s16, s14
	s_add_i32 s15, s13, 1
	s_cmp_ge_u32 s14, s3
	s_cselect_b32 s13, s15, s13
	s_mul_i32 s3, s13, s3
	s_sub_i32 s3, s8, s3
	s_mul_i32 s3, s9, s3
	s_add_i32 s2, s2, -1
	s_add_i32 s61, s3, s61
	s_add_u32 s0, s0, -4
	s_addc_u32 s1, s1, -1
	s_cmp_gt_u32 s2, 2
	s_cbranch_scc1 .LBB99_3
.LBB99_4:
	s_load_dword s2, s[4:5], 0x1a8
	s_add_u32 s0, s4, 0xd8
	s_addc_u32 s1, s5, 0
                                        ; implicit-def: $vgpr54 : SGPR spill to VGPR lane
	s_mov_b32 s63, 0
	s_mov_b32 s71, s7
	s_waitcnt lgkmcnt(0)
	s_cmp_lt_i32 s2, 2
	v_writelane_b32 v54, s13, 0
	s_cbranch_scc1 .LBB99_7
; %bb.5:
	s_add_i32 s62, s2, -1
	s_add_i32 s8, s2, 1
	s_lshl_b64 s[2:3], s[62:63], 2
	s_add_u32 s2, s2, s0
	s_addc_u32 s3, s3, s1
	s_add_u32 s2, s2, 8
	s_addc_u32 s3, s3, 0
	s_mov_b32 s71, s7
.LBB99_6:                               ; =>This Inner Loop Header: Depth=1
	s_load_dword s9, s[2:3], 0x0
	s_load_dword s14, s[2:3], 0x64
	s_mov_b32 s13, s71
	s_waitcnt lgkmcnt(0)
	v_cvt_f32_u32_e32 v1, s9
	s_sub_i32 s15, 0, s9
	v_rcp_iflag_f32_e32 v1, v1
	v_mul_f32_e32 v1, 0x4f7ffffe, v1
	v_cvt_u32_f32_e32 v1, v1
	v_readfirstlane_b32 s16, v1
	s_mul_i32 s15, s15, s16
	s_mul_hi_u32 s15, s16, s15
	s_add_i32 s16, s16, s15
	s_mul_hi_u32 s15, s71, s16
	s_mul_i32 s16, s15, s9
	s_sub_i32 s16, s71, s16
	s_add_i32 s17, s15, 1
	s_sub_i32 s18, s16, s9
	s_cmp_ge_u32 s16, s9
	s_cselect_b32 s15, s17, s15
	s_cselect_b32 s16, s18, s16
	s_add_i32 s17, s15, 1
	s_cmp_ge_u32 s16, s9
	s_cselect_b32 s71, s17, s15
	s_mul_i32 s9, s71, s9
	s_sub_i32 s9, s13, s9
	s_mul_i32 s9, s14, s9
	s_add_i32 s8, s8, -1
	s_add_i32 s63, s9, s63
	s_add_u32 s2, s2, -4
	s_addc_u32 s3, s3, -1
	s_cmp_gt_u32 s8, 2
	s_cbranch_scc1 .LBB99_6
.LBB99_7:
	s_load_dword s2, s[4:5], 0x6c
	s_add_u32 s8, s4, 0x1b0
	s_addc_u32 s9, s5, 0
	s_mov_b32 s3, 0
	s_waitcnt lgkmcnt(0)
	v_writelane_b32 v54, s2, 1
	s_load_dword s2, s[4:5], 0x280
	s_waitcnt lgkmcnt(0)
	s_cmp_lt_i32 s2, 2
	s_cbranch_scc1 .LBB99_10
; %bb.8:
	s_add_i32 s13, s2, 1
	s_add_i32 s2, s2, -1
	s_lshl_b64 s[14:15], s[2:3], 2
	s_add_u32 s2, s14, s8
	s_addc_u32 s9, s15, s9
	s_add_u32 s8, s2, 8
	s_addc_u32 s9, s9, 0
.LBB99_9:                               ; =>This Inner Loop Header: Depth=1
	s_load_dword s2, s[8:9], 0x0
	s_load_dword s15, s[8:9], 0x64
	s_mov_b32 s14, s7
	s_waitcnt lgkmcnt(0)
	v_cvt_f32_u32_e32 v1, s2
	s_sub_i32 s7, 0, s2
	v_rcp_iflag_f32_e32 v1, v1
	v_mul_f32_e32 v1, 0x4f7ffffe, v1
	v_cvt_u32_f32_e32 v1, v1
	v_readfirstlane_b32 s16, v1
	s_mul_i32 s7, s7, s16
	s_mul_hi_u32 s7, s16, s7
	s_add_i32 s16, s16, s7
	s_mul_hi_u32 s7, s14, s16
	s_mul_i32 s16, s7, s2
	s_sub_i32 s16, s14, s16
	s_add_i32 s17, s7, 1
	s_sub_i32 s18, s16, s2
	s_cmp_ge_u32 s16, s2
	s_cselect_b32 s7, s17, s7
	s_cselect_b32 s16, s18, s16
	s_add_i32 s17, s7, 1
	s_cmp_ge_u32 s16, s2
	s_cselect_b32 s7, s17, s7
	s_mul_i32 s2, s7, s2
	s_sub_i32 s2, s14, s2
	s_mul_i32 s2, s15, s2
	s_add_i32 s13, s13, -1
	s_add_i32 s3, s2, s3
	s_add_u32 s8, s8, -4
	s_addc_u32 s9, s9, -1
	s_cmp_gt_u32 s13, 2
	s_cbranch_scc1 .LBB99_9
.LBB99_10:
	s_load_dword s0, s[0:1], 0x6c
	s_waitcnt lgkmcnt(0)
	v_writelane_b32 v54, s0, 2
	v_cmp_eq_u32_e64 s[0:1], 0, v0
	s_mov_b64 s[8:9], exec
	v_writelane_b32 v54, s0, 3
	v_writelane_b32 v54, s1, 4
	s_and_b64 s[0:1], s[8:9], s[0:1]
	s_mov_b64 exec, s[0:1]
	s_cbranch_execz .LBB99_12
; %bb.11:
	v_mov_b32_e32 v2, 0
	v_mov_b32_e32 v3, v2
	ds_write_b64 v2, v[2:3] offset:4096
.LBB99_12:
	s_or_b64 exec, exec, s[8:9]
	v_mov_b32_e32 v1, 0
	s_waitcnt lgkmcnt(0)
	s_barrier
	s_barrier
	ds_read_b64 v[2:3], v1 offset:4096
	s_load_dwordx2 s[8:9], s[4:5], 0x1b0
	s_bitcmp1_b32 s59, 0
	s_cselect_b64 s[0:1], -1, 0
	s_mov_b32 s2, s56
	s_waitcnt lgkmcnt(0)
	v_cmp_gt_i64_e32 vcc, 1, v[2:3]
	s_or_b64 s[0:1], s[0:1], vcc
	s_andn2_b64 vcc, exec, s[0:1]
	s_cbranch_vccnz .LBB99_14
; %bb.13:
	v_not_b32_e32 v1, v2
	v_not_b32_e32 v2, v3
	v_add_co_u32_e32 v1, vcc, s56, v1
	v_addc_co_u32_e32 v2, vcc, 0, v2, vcc
	v_lshrrev_b32_e32 v3, 31, v2
	v_add_co_u32_e32 v1, vcc, v1, v3
	v_addc_co_u32_e32 v2, vcc, 0, v2, vcc
	v_alignbit_b32 v1, v2, v1, 1
	v_readfirstlane_b32 s0, v1
	s_add_i32 s2, s0, 1
.LBB99_14:
	s_load_dwordx2 s[0:1], s[4:5], 0x0
                                        ; kill: killed $sgpr4 killed $sgpr5
	s_waitcnt lgkmcnt(0)
	v_writelane_b32 v54, s0, 5
	v_writelane_b32 v54, s1, 6
	s_load_dwordx2 s[0:1], s[4:5], 0xd8
	s_waitcnt lgkmcnt(0)
	v_writelane_b32 v54, s0, 7
	v_writelane_b32 v54, s1, 8
	s_load_dword s0, s[4:5], 0x21c
	s_mov_b64 s[4:5], exec
	v_readlane_b32 s14, v54, 3
	v_readlane_b32 s15, v54, 4
	s_and_b64 s[14:15], s[4:5], s[14:15]
	s_mov_b64 exec, s[14:15]
	s_cbranch_execz .LBB99_16
; %bb.15:
	v_mov_b32_e32 v2, 0
	v_mov_b32_e32 v3, s56
	ds_write_b32 v2, v2 offset:4112
	ds_write_b64 v2, v[2:3] offset:4104
.LBB99_16:
	s_or_b64 exec, exec, s[4:5]
	s_waitcnt lgkmcnt(0)
	s_mul_i32 s0, s0, s7
	s_add_i32 s0, s0, s3
	s_barrier
	s_load_dword s3, s[10:11], 0xc
	s_mov_b32 s1, 0
	s_lshl_b64 s[0:1], s[0:1], 3
	s_mov_b32 s4, 0
	s_add_u32 s59, s8, s0
	v_mbcnt_lo_u32_b32 v1, -1, 0
	v_writelane_b32 v54, s4, 9
	s_addc_u32 s60, s9, s1
	s_waitcnt lgkmcnt(0)
	s_and_b32 s62, s3, 0xffff
	v_mbcnt_hi_u32_b32 v23, -1, v1
	v_writelane_b32 v54, s5, 10
	v_cmp_gt_u32_e32 vcc, 64, v0
	v_cmp_gt_i32_e64 s[4:5], 4, v23
	s_add_i32 s0, s62, -1
	s_lshl_b32 s13, s62, 2
	s_bfe_u32 s7, s3, 0xa0006
	s_and_b64 s[68:69], vcc, s[4:5]
	s_add_i32 s1, s0, s56
	s_cmpk_gt_u32 s56, 0x180
	v_writelane_b32 v54, s0, 11
	s_cselect_b64 s[4:5], -1, 0
	v_writelane_b32 v54, s4, 12
	s_cmp_gt_u32 s62, 63
	v_writelane_b32 v54, s5, 13
	s_cselect_b64 s[4:5], -1, 0
	s_cmp_lt_u32 s6, s12
	v_writelane_b32 v54, s4, 14
	s_cselect_b32 s0, 12, 18
	v_writelane_b32 v54, s5, 15
	s_add_u32 s4, s10, s0
	v_mov_b32_e32 v19, 0
	s_addc_u32 s5, s11, 0
	s_add_i32 s0, s7, -2
	s_lshr_b32 s3, s0, 1
	v_mul_lo_u32 v16, v0, s58
	v_mov_b32_e32 v17, v19
	s_add_i32 s3, s3, 1
	v_lshlrev_b64 v[2:3], 3, v[16:17]
	v_writelane_b32 v54, s4, 16
	s_cmpk_gt_u32 s62, 0x7f
	v_mov_b32_e32 v17, s60
	v_add_co_u32_e32 v20, vcc, s59, v2
	v_writelane_b32 v54, s5, 17
	s_cselect_b64 s[4:5], -1, 0
	v_addc_co_u32_e32 v21, vcc, v17, v3, vcc
	v_lshlrev_b64 v[2:3], v23, -1
	v_writelane_b32 v54, s4, 18
	v_not_b32_e32 v22, v2
	v_cvt_f32_u32_e32 v2, s13
	v_writelane_b32 v54, s5, 19
	v_cmp_gt_u32_e64 s[8:9], 2, v0
	v_writelane_b32 v54, s8, 20
	v_writelane_b32 v54, s9, 21
	s_and_b32 s6, s7, 0x3fe
	s_and_b32 s8, s3, 7
	s_cmp_gt_u32 s0, 13
	v_rcp_iflag_f32_e32 v2, v2
	s_cselect_b64 s[10:11], -1, 0
	v_writelane_b32 v54, s10, 22
	v_writelane_b32 v54, s11, 23
	s_and_b32 s0, s3, -8
	v_writelane_b32 v54, s0, 24
	s_cmp_lg_u32 s8, 0
	v_mul_f32_e32 v2, 0x4f7ffffe, v2
	v_writelane_b32 v54, s8, 25
	s_cselect_b64 s[8:9], -1, 0
	v_cvt_u32_f32_e32 v2, v2
	v_writelane_b32 v54, s8, 26
	v_writelane_b32 v54, s9, 27
	;; [unrolled: 1-line block ×3, first 2 shown]
	s_cmp_lg_u32 s6, s7
	v_writelane_b32 v54, s6, 29
	s_cselect_b64 s[6:7], -1, 0
	s_sub_i32 s0, 0, s13
	v_readfirstlane_b32 s3, v2
	s_mul_i32 s0, s0, s3
	s_mul_hi_u32 s0, s3, s0
	s_add_i32 s10, s3, s0
	s_mul_hi_u32 s0, s56, s10
	s_mul_i32 s0, s0, s13
	v_cvt_f32_u32_e32 v2, s62
	s_sub_i32 s0, s56, s0
	s_sub_i32 s3, s0, s13
	s_cmp_ge_u32 s0, s13
	s_cselect_b32 s0, s3, s0
	v_rcp_iflag_f32_e32 v5, v2
	s_sub_i32 s3, s0, s13
	s_cmp_ge_u32 s0, s13
	s_cselect_b32 s3, s3, s0
	v_lshlrev_b32_e32 v30, 2, v0
	v_writelane_b32 v54, s6, 30
	s_sub_i32 s0, s56, s3
	v_mul_f32_e32 v5, 0x4f7ffffe, v5
	v_writelane_b32 v54, s7, 31
	v_cmp_gt_u32_e64 s[6:7], s0, v30
	v_cvt_u32_f32_e32 v5, v5
	v_writelane_b32 v54, s6, 32
	v_add_u32_e32 v35, s0, v0
	v_writelane_b32 v54, s7, 33
	v_cmp_gt_u32_e64 s[6:7], s56, v35
	v_writelane_b32 v54, s6, 34
	v_writelane_b32 v54, s7, 35
	s_sub_i32 s6, 0, s62
	v_readfirstlane_b32 s7, v5
	s_mul_i32 s6, s6, s7
	s_mul_hi_u32 s6, s7, s6
	s_add_i32 s6, s7, s6
	v_writelane_b32 v54, s6, 36
	s_mul_hi_u32 s6, s1, s6
	s_mul_i32 s6, s6, s62
	s_sub_i32 s6, s1, s6
	s_sub_i32 s7, s6, s62
	s_cmp_ge_u32 s6, s62
	s_cselect_b32 s6, s7, s6
	s_sub_i32 s7, s6, s62
	s_cmp_ge_u32 s6, s62
	v_lshrrev_b32_e32 v1, 4, v0
	v_mul_lo_u32 v18, v35, s58
	s_cselect_b32 s6, s7, s6
	v_and_b32_e32 v33, 60, v1
	v_not_b32_e32 v1, v3
	v_lshlrev_b64 v[2:3], 3, v[18:19]
	s_sub_i32 s73, s1, s6
	v_add_co_u32_e32 v24, vcc, s59, v2
	v_cmp_gt_u32_e64 s[6:7], s73, v0
	v_mul_lo_u32 v2, s58, v30
	v_writelane_b32 v54, s6, 37
	v_add_u32_e32 v36, s58, v2
	v_or_b32_e32 v2, 2, v30
	v_writelane_b32 v54, s7, 38
	v_mul_lo_u32 v37, s58, v2
	v_or_b32_e32 v2, 3, v30
	s_add_i32 s6, s62, s56
	v_mul_lo_u32 v38, s58, v2
	v_add_u32_e32 v2, s6, v0
	v_cmp_eq_u32_e64 s[4:5], 0, v23
	v_lshlrev_b32_e32 v31, 3, v0
	v_lshlrev_b32_e32 v4, 2, v23
	v_mov_b32_e32 v6, s60
	s_mul_i32 s72, s58, s62
	v_subrev_u32_e32 v2, s3, v2
	v_cmp_gt_u32_e64 s[54:55], s56, v0
	v_add_u32_e32 v32, 0xc00, v31
	v_and_b32_e32 v34, 0x100, v4
	v_addc_co_u32_e32 v25, vcc, v6, v3, vcc
	s_lshl_b32 s1, s72, 2
	v_lshlrev_b32_e32 v39, 2, v16
	v_mul_lo_u32 v40, s58, v2
	v_lshlrev_b32_e32 v41, 5, v0
	s_lshl_b32 s74, s62, 5
	s_lshl_b32 s75, s62, 3
	v_or_b32_e32 v42, 0xc00, v4
	s_mov_b32 s70, 62
	s_mov_b64 s[86:87], 0
	v_pk_mov_b32 v[6:7], 0, 0
	v_mov_b32_e32 v2, 1
	v_mov_b32_e32 v43, 0xc00
	s_mov_b32 s57, 0
	s_mov_b64 s[82:83], 0
	s_mov_b64 s[80:81], 0
	v_writelane_b32 v54, s4, 39
                                        ; implicit-def: $sgpr88_sgpr89
                                        ; implicit-def: $sgpr92_sgpr93
                                        ; implicit-def: $sgpr90_sgpr91
                                        ; implicit-def: $sgpr94_sgpr95
                                        ; implicit-def: $sgpr64_sgpr65
                                        ; implicit-def: $sgpr66_sgpr67
	v_writelane_b32 v54, s5, 40
	s_branch .LBB99_21
.LBB99_17:                              ;   in Loop: Header=BB99_21 Depth=1
	s_xor_b32 s57, s57, 1
	s_add_i32 s2, s70, -2
	s_cmp_eq_u32 s70, 0
	s_mov_b64 s[16:17], 0
	s_cselect_b64 s[20:21], -1, 0
	s_mov_b32 s70, s2
.LBB99_18:                              ;   in Loop: Header=BB99_21 Depth=1
	s_andn2_b64 s[2:3], s[24:25], exec
	s_and_b64 s[6:7], s[16:17], exec
	s_or_b64 s[24:25], s[2:3], s[6:7]
	s_andn2_b64 s[26:27], s[26:27], exec
	s_andn2_b64 s[22:23], s[22:23], exec
	s_orn2_b64 s[20:21], s[20:21], exec
	s_mov_b32 s2, s39
.LBB99_19:                              ;   in Loop: Header=BB99_21 Depth=1
	s_or_b64 exec, exec, s[14:15]
	s_andn2_b64 s[6:7], s[66:67], exec
	s_and_b64 s[14:15], s[24:25], exec
	s_or_b64 s[66:67], s[6:7], s[14:15]
	s_andn2_b64 s[6:7], s[64:65], exec
	s_and_b64 s[14:15], s[26:27], exec
	s_or_b64 s[64:65], s[6:7], s[14:15]
	;; [unrolled: 3-line block ×3, first 2 shown]
	s_orn2_b64 s[20:21], s[20:21], exec
.LBB99_20:                              ;   in Loop: Header=BB99_21 Depth=1
	s_or_b64 exec, exec, s[18:19]
	s_and_b64 s[6:7], exec, s[20:21]
	s_or_b64 s[86:87], s[6:7], s[86:87]
	s_andn2_b64 s[6:7], s[90:91], exec
	s_and_b64 s[14:15], s[66:67], exec
	s_or_b64 s[90:91], s[6:7], s[14:15]
	s_andn2_b64 s[6:7], s[92:93], exec
	s_and_b64 s[14:15], s[64:65], exec
	;; [unrolled: 3-line block ×3, first 2 shown]
	s_waitcnt vmcnt(0)
	v_pk_mov_b32 v[4:5], s[82:83], s[82:83] op_sel:[0,1]
	s_or_b64 s[88:89], s[6:7], s[14:15]
	s_andn2_b64 exec, exec, s[86:87]
	s_cbranch_execz .LBB99_258
.LBB99_21:                              ; =>This Loop Header: Depth=1
                                        ;     Child Loop BB99_29 Depth 2
                                        ;     Child Loop BB99_47 Depth 2
	;; [unrolled: 1-line block ×17, first 2 shown]
	ds_read_b64 v[4:5], v19 offset:4104
	s_waitcnt lgkmcnt(0)
	v_readfirstlane_b32 s3, v4
	s_cmp_lg_u32 s3, 0
	s_cbranch_scc1 .LBB99_54
; %bb.22:                               ;   in Loop: Header=BB99_21 Depth=1
	v_readlane_b32 s6, v54, 12
	v_readlane_b32 s7, v54, 13
	s_and_b64 vcc, exec, s[6:7]
	s_cbranch_vccz .LBB99_37
; %bb.23:                               ;   in Loop: Header=BB99_21 Depth=1
	s_movk_i32 s3, 0x181
	v_cmp_gt_u32_e32 vcc, s3, v5
	s_mov_b64 s[18:19], 0
	s_mov_b64 s[14:15], 0
	s_cbranch_vccz .LBB99_38
; %bb.24:                               ;   in Loop: Header=BB99_21 Depth=1
	v_pk_mov_b32 v[4:5], 0, 0
	s_and_saveexec_b64 s[14:15], s[54:55]
	s_cbranch_execz .LBB99_26
; %bb.25:                               ;   in Loop: Header=BB99_21 Depth=1
	global_load_dwordx2 v[4:5], v[20:21], off
.LBB99_26:                              ;   in Loop: Header=BB99_21 Depth=1
	s_or_b64 exec, exec, s[14:15]
	s_and_saveexec_b64 s[20:21], s[54:55]
	s_cbranch_execz .LBB99_39
; %bb.27:                               ;   in Loop: Header=BB99_21 Depth=1
	v_readlane_b32 s6, v54, 16
	v_readlane_b32 s7, v54, 17
	s_mov_b64 s[22:23], 0
	v_mov_b32_e32 v11, v0
	s_nop 2
	global_load_ushort v3, v19, s[6:7]
	s_waitcnt vmcnt(0)
	v_add_u32_e32 v8, v0, v3
	v_mul_lo_u32 v10, s58, v3
	v_mul_lo_u32 v18, s58, v8
	s_branch .LBB99_29
.LBB99_28:                              ;   in Loop: Header=BB99_29 Depth=2
	s_or_b64 exec, exec, s[16:17]
	v_add_u32_e32 v18, v18, v10
	s_waitcnt vmcnt(0)
	v_pk_mov_b32 v[4:5], v[8:9], v[8:9] op_sel:[0,1]
	s_andn2_b64 exec, exec, s[22:23]
	s_cbranch_execz .LBB99_39
.LBB99_29:                              ;   Parent Loop BB99_21 Depth=1
                                        ; =>  This Inner Loop Header: Depth=2
	v_add_u32_e32 v11, v11, v3
	v_cmp_gt_u32_e64 s[14:15], s56, v11
	v_cmp_le_u32_e32 vcc, s56, v11
	v_pk_mov_b32 v[8:9], 0, 0
	s_and_saveexec_b64 s[16:17], s[14:15]
	s_cbranch_execz .LBB99_31
; %bb.30:                               ;   in Loop: Header=BB99_29 Depth=2
	v_lshlrev_b64 v[8:9], 3, v[18:19]
	v_add_co_u32_e64 v8, s[14:15], s59, v8
	v_addc_co_u32_e64 v9, s[14:15], v17, v9, s[14:15]
	global_load_dwordx2 v[8:9], v[8:9], off
.LBB99_31:                              ;   in Loop: Header=BB99_29 Depth=2
	s_or_b64 exec, exec, s[16:17]
	s_waitcnt lgkmcnt(0)
	v_xor_b32_e32 v12, 0x80000000, v5
	v_and_b32_e32 v13, s81, v12
	v_and_b32_e32 v12, s80, v4
	v_cmp_eq_u64_e64 s[14:15], s[82:83], v[12:13]
	s_cmp_lg_u64 s[14:15], 0
	s_cselect_b64 s[6:7], -1, 0
	s_and_b64 s[6:7], s[4:5], s[6:7]
	v_mov_b32_e32 v12, 0
	s_and_saveexec_b64 s[24:25], s[6:7]
	s_cbranch_execz .LBB99_35
; %bb.32:                               ;   in Loop: Header=BB99_29 Depth=2
	s_mov_b64 s[28:29], exec
	v_mbcnt_lo_u32_b32 v12, s28, 0
	v_mbcnt_hi_u32_b32 v12, s29, v12
	s_bcnt1_i32_b64 s3, s[14:15]
	v_cmp_eq_u32_e64 s[16:17], 0, v12
                                        ; implicit-def: $vgpr13
	s_and_saveexec_b64 s[26:27], s[16:17]
	s_cbranch_execz .LBB99_34
; %bb.33:                               ;   in Loop: Header=BB99_29 Depth=2
	s_bcnt1_i32_b64 s6, s[28:29]
	s_mul_i32 s6, s3, s6
	v_mov_b32_e32 v13, s6
	ds_add_rtn_u32 v13, v19, v13 offset:4112
.LBB99_34:                              ;   in Loop: Header=BB99_29 Depth=2
	s_or_b64 exec, exec, s[26:27]
	s_waitcnt lgkmcnt(0)
	v_readfirstlane_b32 s6, v13
	v_mov_b32_e32 v13, s6
	v_mad_u32_u24 v12, s3, v12, v13
.LBB99_35:                              ;   in Loop: Header=BB99_29 Depth=2
	s_or_b64 exec, exec, s[24:25]
	ds_bpermute_b32 v12, v34, v12
	s_and_b64 s[6:7], exec, vcc
	s_or_b64 s[22:23], s[6:7], s[22:23]
	s_and_saveexec_b64 s[16:17], s[14:15]
	s_cbranch_execz .LBB99_28
; %bb.36:                               ;   in Loop: Header=BB99_29 Depth=2
	v_and_b32_e32 v14, s14, v22
	v_and_b32_e32 v13, s15, v1
	v_bcnt_u32_b32 v14, v14, 0
	v_bcnt_u32_b32 v13, v13, v14
	v_lshlrev_b32_e32 v13, 3, v13
	s_waitcnt lgkmcnt(0)
	v_lshl_add_u32 v12, v12, 3, v13
	ds_write_b64 v12, v[4:5]
	s_branch .LBB99_28
.LBB99_37:                              ;   in Loop: Header=BB99_21 Depth=1
	s_mov_b64 s[14:15], 0
                                        ; implicit-def: $sgpr3
	s_cbranch_execnz .LBB99_42
	s_branch .LBB99_52
.LBB99_38:                              ;   in Loop: Header=BB99_21 Depth=1
	s_mov_b32 s3, 0
	s_and_b64 vcc, exec, s[18:19]
	s_cbranch_vccnz .LBB99_42
	s_branch .LBB99_52
.LBB99_39:                              ;   in Loop: Header=BB99_21 Depth=1
	s_or_b64 exec, exec, s[20:21]
	s_waitcnt lgkmcnt(0)
	s_barrier
	s_mov_b64 s[14:15], exec
	v_readlane_b32 s6, v54, 3
	v_readlane_b32 s7, v54, 4
	s_and_b64 s[6:7], s[14:15], s[6:7]
	s_mov_b64 exec, s[6:7]
	s_cbranch_execz .LBB99_41
; %bb.40:                               ;   in Loop: Header=BB99_21 Depth=1
	ds_read_b32 v3, v19 offset:4112
	s_waitcnt lgkmcnt(0)
	ds_write_b32 v19, v3 offset:4104
.LBB99_41:                              ;   in Loop: Header=BB99_21 Depth=1
	s_or_b64 exec, exec, s[14:15]
	s_waitcnt lgkmcnt(0)
	s_barrier
	s_mov_b64 s[14:15], -1
	s_mov_b32 s3, 0
	s_and_b64 vcc, exec, s[18:19]
	s_cbranch_vccz .LBB99_52
.LBB99_42:                              ;   in Loop: Header=BB99_21 Depth=1
	s_waitcnt vmcnt(0)
	v_pk_mov_b32 v[4:5], 0, 0
	s_and_saveexec_b64 s[14:15], s[54:55]
	s_cbranch_execz .LBB99_44
; %bb.43:                               ;   in Loop: Header=BB99_21 Depth=1
	global_load_dwordx2 v[4:5], v[20:21], off
.LBB99_44:                              ;   in Loop: Header=BB99_21 Depth=1
	s_or_b64 exec, exec, s[14:15]
	s_and_saveexec_b64 s[16:17], s[54:55]
	s_cbranch_execz .LBB99_49
; %bb.45:                               ;   in Loop: Header=BB99_21 Depth=1
	v_readlane_b32 s6, v54, 16
	v_readlane_b32 s7, v54, 17
	s_mov_b64 s[18:19], 0
	v_mov_b32_e32 v10, v31
	v_mov_b32_e32 v13, v0
	s_nop 1
	global_load_ushort v3, v19, s[6:7]
	s_waitcnt vmcnt(0)
	v_add_u32_e32 v8, v0, v3
	v_lshlrev_b32_e32 v11, 3, v3
	v_mul_lo_u32 v12, s58, v3
	v_mul_lo_u32 v18, s58, v8
	s_branch .LBB99_47
.LBB99_46:                              ;   in Loop: Header=BB99_47 Depth=2
	s_or_b64 exec, exec, s[20:21]
	s_and_b64 s[6:7], exec, vcc
	s_or_b64 s[18:19], s[6:7], s[18:19]
	ds_write_b64 v10, v[4:5]
	v_add_u32_e32 v10, v10, v11
	v_add_u32_e32 v18, v18, v12
	s_waitcnt vmcnt(0)
	v_pk_mov_b32 v[4:5], v[8:9], v[8:9] op_sel:[0,1]
	s_andn2_b64 exec, exec, s[18:19]
	s_cbranch_execz .LBB99_49
.LBB99_47:                              ;   Parent Loop BB99_21 Depth=1
                                        ; =>  This Inner Loop Header: Depth=2
	v_add_u32_e32 v13, v13, v3
	v_cmp_gt_u32_e64 s[14:15], s56, v13
	v_cmp_le_u32_e32 vcc, s56, v13
	v_pk_mov_b32 v[8:9], 0, 0
	s_and_saveexec_b64 s[20:21], s[14:15]
	s_cbranch_execz .LBB99_46
; %bb.48:                               ;   in Loop: Header=BB99_47 Depth=2
	v_lshlrev_b64 v[8:9], 3, v[18:19]
	v_mov_b32_e32 v14, s60
	v_add_co_u32_e64 v8, s[14:15], s59, v8
	v_addc_co_u32_e64 v9, s[14:15], v14, v9, s[14:15]
	global_load_dwordx2 v[8:9], v[8:9], off
	s_branch .LBB99_46
.LBB99_49:                              ;   in Loop: Header=BB99_21 Depth=1
	s_or_b64 exec, exec, s[16:17]
	s_waitcnt lgkmcnt(0)
	s_barrier
	s_mov_b64 s[14:15], exec
	v_readlane_b32 s6, v54, 3
	v_readlane_b32 s7, v54, 4
	s_and_b64 s[6:7], s[14:15], s[6:7]
	s_mov_b64 exec, s[6:7]
	s_cbranch_execz .LBB99_51
; %bb.50:                               ;   in Loop: Header=BB99_21 Depth=1
	v_mov_b32_e32 v3, s56
	ds_write_b32 v19, v3 offset:4104
.LBB99_51:                              ;   in Loop: Header=BB99_21 Depth=1
	s_or_b64 exec, exec, s[14:15]
	s_mov_b64 s[14:15], -1
	s_waitcnt lgkmcnt(0)
	s_barrier
                                        ; implicit-def: $sgpr3
.LBB99_52:                              ;   in Loop: Header=BB99_21 Depth=1
	s_and_b64 vcc, exec, s[14:15]
	s_cbranch_vccz .LBB99_54
; %bb.53:                               ;   in Loop: Header=BB99_21 Depth=1
	ds_read_b32 v3, v19 offset:4104
	s_waitcnt lgkmcnt(0)
	v_readfirstlane_b32 s3, v3
.LBB99_54:                              ;   in Loop: Header=BB99_21 Depth=1
	s_cmp_lt_i32 s3, 1
	s_cbranch_scc0 .LBB99_66
; %bb.55:                               ;   in Loop: Header=BB99_21 Depth=1
	v_mov_b32_e32 v8, 0
	s_mov_b32 s48, 0
	v_mov_b32_e32 v9, 0
	v_mov_b32_e32 v10, v8
	;; [unrolled: 1-line block ×3, first 2 shown]
	s_mov_b64 s[44:45], exec
	v_readlane_b32 s6, v54, 32
	v_readlane_b32 s7, v54, 33
	s_and_b64 s[6:7], s[44:45], s[6:7]
	s_mov_b64 exec, s[6:7]
	s_cbranch_execz .LBB99_59
; %bb.56:                               ;   in Loop: Header=BB99_21 Depth=1
	s_and_b32 s49, s70, 0xfe
	s_mov_b64 s[46:47], 0
	s_mov_b32 s50, 0
	s_mov_b32 s51, 0
	;; [unrolled: 1-line block ×4, first 2 shown]
	v_mov_b32_e32 v3, v30
.LBB99_57:                              ;   Parent Loop BB99_21 Depth=1
                                        ; =>  This Inner Loop Header: Depth=2
	v_add_u32_e32 v18, s48, v39
	v_lshlrev_b64 v[12:13], 3, v[18:19]
	s_waitcnt vmcnt(0)
	v_mov_b32_e32 v4, s60
	v_add_u32_e32 v18, s48, v36
	v_add_co_u32_e64 v12, s[14:15], s59, v12
	v_lshlrev_b64 v[14:15], 3, v[18:19]
	v_addc_co_u32_e64 v13, s[14:15], v4, v13, s[14:15]
	v_add_u32_e32 v18, s48, v37
	v_add_co_u32_e64 v14, s[14:15], s59, v14
	v_lshlrev_b64 v[26:27], 3, v[18:19]
	v_addc_co_u32_e64 v15, s[14:15], v4, v15, s[14:15]
	global_load_dwordx2 v[12:13], v[12:13], off
	v_add_u32_e32 v18, s48, v38
	global_load_dwordx2 v[14:15], v[14:15], off
	v_add_co_u32_e64 v26, s[14:15], s59, v26
	v_lshlrev_b64 v[28:29], 3, v[18:19]
	v_addc_co_u32_e64 v27, s[14:15], v4, v27, s[14:15]
	global_load_dwordx2 v[26:27], v[26:27], off
	v_add_co_u32_e64 v28, s[14:15], s59, v28
	v_addc_co_u32_e64 v29, s[14:15], v4, v29, s[14:15]
	global_load_dwordx2 v[28:29], v[28:29], off
	v_mov_b32_e32 v11, v19
	v_mov_b32_e32 v9, v19
	;; [unrolled: 1-line block ×3, first 2 shown]
	v_add_u32_e32 v3, s13, v3
	v_cmp_le_u32_e32 vcc, s0, v3
	s_add_i32 s48, s48, s1
	s_waitcnt vmcnt(3)
	v_xor_b32_e32 v13, 0x80000000, v13
	v_and_b32_e32 v44, s80, v12
	v_and_b32_e32 v45, s81, v13
	v_lshrrev_b64 v[12:13], s49, v[12:13]
	s_waitcnt vmcnt(2)
	v_xor_b32_e32 v15, 0x80000000, v15
	v_and_b32_e32 v18, 3, v12
	v_cmp_eq_u64_e64 s[14:15], s[82:83], v[44:45]
	v_lshrrev_b64 v[12:13], s49, v[14:15]
	v_cmp_eq_u64_e64 s[18:19], 0, v[18:19]
	s_waitcnt vmcnt(1)
	v_xor_b32_e32 v27, 0x80000000, v27
	v_and_b32_e32 v10, 3, v12
	v_cmp_eq_u64_e64 s[20:21], 1, v[18:19]
	s_and_b64 s[6:7], s[14:15], s[18:19]
	s_waitcnt vmcnt(0)
	v_xor_b32_e32 v29, 0x80000000, v29
	v_lshrrev_b64 v[12:13], s49, v[26:27]
	v_cmp_eq_u64_e64 s[22:23], 2, v[18:19]
	v_cmp_eq_u64_e64 s[28:29], 0, v[10:11]
	;; [unrolled: 1-line block ×5, first 2 shown]
	v_cndmask_b32_e64 v10, 0, 1, s[6:7]
	s_and_b64 s[6:7], s[14:15], s[20:21]
	v_and_b32_e32 v46, s80, v14
	v_and_b32_e32 v47, s81, v15
	v_cmp_eq_u64_e64 s[24:25], 3, v[18:19]
	v_and_b32_e32 v8, 3, v12
	v_lshrrev_b64 v[12:13], s49, v[28:29]
	v_cndmask_b32_e64 v11, 0, 1, s[6:7]
	s_and_b64 s[6:7], s[14:15], s[22:23]
	v_cmp_eq_u64_e64 s[16:17], s[82:83], v[46:47]
	v_cndmask_b32_e64 v13, 0, 1, s[6:7]
	s_and_b64 s[6:7], s[14:15], s[24:25]
	v_cndmask_b32_e64 v18, 0, 1, s[6:7]
	s_and_b64 s[6:7], s[16:17], s[28:29]
	v_cmp_eq_u64_e64 s[18:19], 0, v[8:9]
	v_cmp_eq_u64_e64 s[20:21], 1, v[8:9]
	;; [unrolled: 1-line block ×4, first 2 shown]
	v_cndmask_b32_e64 v8, 0, 1, s[6:7]
	s_and_b64 s[6:7], s[16:17], s[30:31]
	v_and_b32_e32 v44, s80, v26
	v_and_b32_e32 v45, s81, v27
	v_cndmask_b32_e64 v9, 0, 1, s[6:7]
	s_and_b64 s[6:7], s[16:17], s[34:35]
	v_cmp_eq_u64_e64 s[26:27], s[82:83], v[44:45]
	v_cmp_ne_u32_e64 s[38:39], 0, v10
	v_cndmask_b32_e64 v10, 0, 1, s[6:7]
	s_and_b64 s[6:7], s[16:17], s[36:37]
	v_and_b32_e32 v4, 3, v12
	v_cmp_ne_u32_e64 s[28:29], 0, v11
	v_cndmask_b32_e64 v11, 0, 1, s[6:7]
	s_and_b64 s[6:7], s[26:27], s[18:19]
	v_cmp_eq_u64_e64 s[16:17], 0, v[4:5]
	v_cmp_eq_u64_e64 s[36:37], 1, v[4:5]
	;; [unrolled: 1-line block ×4, first 2 shown]
	v_cndmask_b32_e64 v4, 0, 1, s[6:7]
	s_and_b64 s[6:7], s[26:27], s[20:21]
	v_and_b32_e32 v14, s80, v28
	v_and_b32_e32 v15, s81, v29
	v_cndmask_b32_e64 v5, 0, 1, s[6:7]
	s_and_b64 s[6:7], s[26:27], s[22:23]
	v_cmp_eq_u64_e64 s[14:15], s[82:83], v[14:15]
	s_bcnt1_i32_b64 s12, s[38:39]
	v_cmp_ne_u32_e64 s[38:39], 0, v8
	v_cndmask_b32_e64 v8, 0, 1, s[6:7]
	s_and_b64 s[6:7], s[26:27], s[24:25]
	v_cmp_ne_u32_e64 s[18:19], 0, v9
	v_cndmask_b32_e64 v9, 0, 1, s[6:7]
	s_and_b64 s[6:7], s[14:15], s[16:17]
	;; [unrolled: 3-line block ×3, first 2 shown]
	v_cmp_ne_u32_e64 s[30:31], 0, v13
	v_cmp_ne_u32_e64 s[34:35], 0, v18
	;; [unrolled: 1-line block ×3, first 2 shown]
	v_cndmask_b32_e64 v5, 0, 1, s[6:7]
	s_and_b64 s[6:7], s[14:15], s[40:41]
	s_bcnt1_i32_b64 s28, s[28:29]
	s_bcnt1_i32_b64 s29, s[30:31]
	v_cmp_ne_u32_e64 s[20:21], 0, v10
	s_bcnt1_i32_b64 s30, s[34:35]
	v_cmp_ne_u32_e64 s[22:23], 0, v11
	s_bcnt1_i32_b64 s27, s[18:19]
	v_cmp_ne_u32_e64 s[18:19], 0, v8
	v_cndmask_b32_e64 v8, 0, 1, s[6:7]
	s_and_b64 s[6:7], s[14:15], s[42:43]
	s_bcnt1_i32_b64 s26, s[38:39]
	s_add_i32 s12, s53, s12
	s_add_i32 s28, s52, s28
	s_bcnt1_i32_b64 s31, s[20:21]
	s_add_i32 s29, s51, s29
	s_bcnt1_i32_b64 s22, s[22:23]
	v_cmp_ne_u32_e64 s[20:21], 0, v9
	v_cndmask_b32_e64 v9, 0, 1, s[6:7]
	s_add_i32 s6, s50, s30
	s_bcnt1_i32_b64 s7, s[24:25]
	v_cmp_ne_u32_e64 s[14:15], 0, v4
	s_add_i32 s12, s12, s26
	s_bcnt1_i32_b64 s23, s[16:17]
	v_cmp_ne_u32_e64 s[16:17], 0, v5
	;; [unrolled: 3-line block ×4, first 2 shown]
	s_add_i32 s6, s6, s22
	s_bcnt1_i32_b64 s14, s[14:15]
	s_add_i32 s7, s12, s7
	s_bcnt1_i32_b64 s12, s[16:17]
	;; [unrolled: 2-line block ×4, first 2 shown]
	s_add_i32 s6, s6, s27
	s_add_i32 s53, s7, s14
	;; [unrolled: 1-line block ×5, first 2 shown]
	s_or_b64 s[46:47], vcc, s[46:47]
	v_mov_b32_e32 v8, s53
	v_mov_b32_e32 v9, s52
	;; [unrolled: 1-line block ×4, first 2 shown]
	s_andn2_b64 exec, exec, s[46:47]
	s_cbranch_execnz .LBB99_57
; %bb.58:                               ;   in Loop: Header=BB99_21 Depth=1
	s_or_b64 exec, exec, s[46:47]
	v_readlane_b32 s4, v54, 39
	v_readlane_b32 s5, v54, 40
.LBB99_59:                              ;   in Loop: Header=BB99_21 Depth=1
	s_or_b64 exec, exec, s[44:45]
	s_waitcnt vmcnt(0)
	v_pk_mov_b32 v[4:5], 0, 0
	s_mov_b64 s[14:15], exec
	v_readlane_b32 s6, v54, 34
	v_readlane_b32 s7, v54, 35
	s_and_b64 s[6:7], s[14:15], s[6:7]
	s_mov_b64 exec, s[6:7]
	s_cbranch_execz .LBB99_61
; %bb.60:                               ;   in Loop: Header=BB99_21 Depth=1
	global_load_dwordx2 v[4:5], v[24:25], off
.LBB99_61:                              ;   in Loop: Header=BB99_21 Depth=1
	s_or_b64 exec, exec, s[14:15]
	s_mov_b64 s[16:17], 0
	s_mov_b64 s[84:85], 0
	s_mov_b64 s[18:19], exec
	v_readlane_b32 s6, v54, 34
	v_readlane_b32 s7, v54, 35
	s_and_b64 s[6:7], s[18:19], s[6:7]
	s_mov_b64 exec, s[6:7]
	s_cbranch_execz .LBB99_68
; %bb.62:                               ;   in Loop: Header=BB99_21 Depth=1
	s_and_b32 s6, s70, 0xfe
	s_mov_b64 s[20:21], 0
	v_mov_b32_e32 v12, v40
	v_mov_b32_e32 v3, v35
	s_branch .LBB99_64
.LBB99_63:                              ;   in Loop: Header=BB99_64 Depth=2
	s_or_b64 exec, exec, s[22:23]
	s_waitcnt vmcnt(0)
	v_xor_b32_e32 v5, 0x80000000, v5
	v_and_b32_e32 v27, s81, v5
	v_and_b32_e32 v26, s80, v4
	v_lshrrev_b64 v[4:5], s6, v[4:5]
	s_and_b64 s[14:15], exec, vcc
	v_and_b32_e32 v18, 3, v4
	s_or_b64 s[20:21], s[14:15], s[20:21]
	v_cmp_eq_u64_e32 vcc, s[82:83], v[26:27]
	v_cmp_eq_u64_e64 s[14:15], 0, v[18:19]
	s_and_b64 s[14:15], vcc, s[14:15]
	v_cndmask_b32_e64 v4, 0, 1, s[14:15]
	v_cmp_ne_u32_e64 s[14:15], 0, v4
	s_bcnt1_i32_b64 s7, s[14:15]
	v_cmp_eq_u64_e64 s[14:15], 1, v[18:19]
	s_and_b64 s[14:15], vcc, s[14:15]
	v_cndmask_b32_e64 v4, 0, 1, s[14:15]
	v_cmp_ne_u32_e64 s[14:15], 0, v4
	v_add_u32_e32 v8, s7, v8
	s_bcnt1_i32_b64 s7, s[14:15]
	v_cmp_eq_u64_e64 s[14:15], 2, v[18:19]
	s_and_b64 s[14:15], vcc, s[14:15]
	v_cndmask_b32_e64 v4, 0, 1, s[14:15]
	v_cmp_ne_u32_e64 s[14:15], 0, v4
	v_add_u32_e32 v9, s7, v9
	s_bcnt1_i32_b64 s7, s[14:15]
	v_cmp_eq_u64_e64 s[14:15], 3, v[18:19]
	s_and_b64 s[14:15], vcc, s[14:15]
	v_cndmask_b32_e64 v4, 0, 1, s[14:15]
	v_cmp_ne_u32_e32 vcc, 0, v4
	v_add_u32_e32 v10, s7, v10
	s_bcnt1_i32_b64 s7, vcc
	v_add_u32_e32 v11, s7, v11
	v_add_u32_e32 v12, s72, v12
	v_pk_mov_b32 v[4:5], v[14:15], v[14:15] op_sel:[0,1]
	s_andn2_b64 exec, exec, s[20:21]
	s_cbranch_execz .LBB99_67
.LBB99_64:                              ;   Parent Loop BB99_21 Depth=1
                                        ; =>  This Inner Loop Header: Depth=2
	v_add_u32_e32 v3, s62, v3
	v_cmp_gt_u32_e64 s[14:15], s56, v3
	v_cmp_le_u32_e32 vcc, s56, v3
	v_pk_mov_b32 v[14:15], 0, 0
	s_and_saveexec_b64 s[22:23], s[14:15]
	s_cbranch_execz .LBB99_63
; %bb.65:                               ;   in Loop: Header=BB99_64 Depth=2
	v_mov_b32_e32 v13, v19
	v_lshlrev_b64 v[14:15], 3, v[12:13]
	v_mov_b32_e32 v13, s60
	v_add_co_u32_e64 v14, s[14:15], s59, v14
	v_addc_co_u32_e64 v15, s[14:15], v13, v15, s[14:15]
	global_load_dwordx2 v[14:15], v[14:15], off
	s_branch .LBB99_63
.LBB99_66:                              ;   in Loop: Header=BB99_21 Depth=1
	s_mov_b64 s[84:85], 0
                                        ; implicit-def: $vgpr11
	s_cbranch_execnz .LBB99_69
	s_branch .LBB99_78
.LBB99_67:                              ;   in Loop: Header=BB99_21 Depth=1
	s_or_b64 exec, exec, s[20:21]
	s_mov_b64 s[84:85], exec
.LBB99_68:                              ;   in Loop: Header=BB99_21 Depth=1
	s_or_b64 exec, exec, s[18:19]
	s_and_b64 vcc, exec, s[16:17]
	s_cbranch_vccz .LBB99_78
.LBB99_69:                              ;   in Loop: Header=BB99_21 Depth=1
	s_mul_hi_u32 s6, s3, s10
	s_mul_i32 s6, s6, s13
	s_sub_i32 s6, s3, s6
	s_sub_i32 s7, s6, s13
	s_cmp_ge_u32 s6, s13
	s_cselect_b32 s6, s7, s6
	s_sub_i32 s7, s6, s13
	s_cmp_ge_u32 s6, s13
	s_cselect_b32 s6, s7, s6
	s_mov_b64 s[8:9], s[68:69]
	s_sub_i32 s69, s3, s6
	v_cmp_gt_u32_e32 vcc, s69, v30
	s_mov_b32 s12, 0
	v_mov_b32_e32 v8, 0
	v_mov_b32_e32 v9, 0
	;; [unrolled: 1-line block ×4, first 2 shown]
	s_and_saveexec_b64 s[76:77], vcc
	s_cbranch_execz .LBB99_73
; %bb.70:                               ;   in Loop: Header=BB99_21 Depth=1
	s_mov_b32 s33, s10
	s_mov_b64 s[10:11], s[54:55]
	s_mov_b32 s4, s70
	s_and_b32 s68, s70, 0xfe
	s_mov_b64 s[78:79], 0
	v_mov_b32_e32 v3, v41
	s_mov_b32 s6, 0
	s_mov_b32 s7, 0
	;; [unrolled: 1-line block ×3, first 2 shown]
	v_mov_b32_e32 v44, v30
.LBB99_71:                              ;   Parent Loop BB99_21 Depth=1
                                        ; =>  This Inner Loop Header: Depth=2
	ds_read_b128 v[12:15], v3
	ds_read_b128 v[8:11], v3 offset:16
	s_waitcnt vmcnt(0)
	v_mov_b32_e32 v5, v19
	v_mov_b32_e32 v27, v19
	;; [unrolled: 1-line block ×3, first 2 shown]
	s_waitcnt lgkmcnt(1)
	v_xor_b32_e32 v13, 0x80000000, v13
	v_xor_b32_e32 v15, 0x80000000, v15
	v_and_b32_e32 v46, s80, v12
	v_and_b32_e32 v47, s81, v13
	v_lshrrev_b64 v[12:13], s68, v[12:13]
	s_waitcnt lgkmcnt(0)
	v_xor_b32_e32 v9, 0x80000000, v9
	v_and_b32_e32 v48, s80, v14
	v_and_b32_e32 v49, s81, v15
	v_lshrrev_b64 v[14:15], s68, v[14:15]
	v_and_b32_e32 v18, 3, v12
	v_xor_b32_e32 v11, 0x80000000, v11
	v_and_b32_e32 v50, s80, v8
	v_and_b32_e32 v51, s81, v9
	v_lshrrev_b64 v[8:9], s68, v[8:9]
	v_cmp_eq_u64_e64 s[14:15], s[82:83], v[46:47]
	v_and_b32_e32 v4, 3, v14
	v_cmp_eq_u64_e64 s[22:23], 0, v[18:19]
	v_and_b32_e32 v52, s80, v10
	v_and_b32_e32 v53, s81, v11
	v_lshrrev_b64 v[10:11], s68, v[10:11]
	v_cmp_eq_u64_e64 s[16:17], s[82:83], v[48:49]
	v_and_b32_e32 v26, 3, v8
	v_cmp_eq_u64_e64 s[24:25], 0, v[4:5]
	s_and_b64 s[22:23], s[14:15], s[22:23]
	v_cmp_eq_u64_e64 s[18:19], s[82:83], v[50:51]
	v_and_b32_e32 v28, 3, v10
	v_cmp_eq_u64_e64 s[26:27], 0, v[26:27]
	v_cmp_eq_u64_e64 s[34:35], 1, v[4:5]
	;; [unrolled: 1-line block ×4, first 2 shown]
	v_cndmask_b32_e64 v4, 0, 1, s[22:23]
	s_and_b64 s[22:23], s[16:17], s[24:25]
	v_cmp_eq_u64_e64 s[20:21], s[82:83], v[52:53]
	v_cmp_eq_u64_e64 s[28:29], 0, v[28:29]
	v_cndmask_b32_e64 v5, 0, 1, s[22:23]
	s_and_b64 s[22:23], s[18:19], s[26:27]
	v_cmp_eq_u64_e64 s[30:31], 1, v[18:19]
	v_cndmask_b32_e64 v8, 0, 1, s[22:23]
	s_and_b64 s[22:23], s[20:21], s[28:29]
	v_cndmask_b32_e64 v9, 0, 1, s[22:23]
	s_and_b64 s[22:23], s[14:15], s[30:31]
	v_cmp_eq_u64_e64 s[36:37], 1, v[26:27]
	v_cndmask_b32_e64 v10, 0, 1, s[22:23]
	s_and_b64 s[22:23], s[16:17], s[34:35]
	v_cmp_eq_u64_e64 s[38:39], 1, v[28:29]
	;; [unrolled: 3-line block ×3, first 2 shown]
	v_cmp_eq_u64_e64 s[48:49], 3, v[18:19]
	v_cndmask_b32_e64 v12, 0, 1, s[22:23]
	s_and_b64 s[22:23], s[20:21], s[38:39]
	v_cndmask_b32_e64 v13, 0, 1, s[22:23]
	s_and_b64 s[22:23], s[14:15], s[40:41]
	s_and_b64 s[14:15], s[14:15], s[48:49]
	v_cmp_eq_u64_e64 s[44:45], 2, v[26:27]
	v_cmp_eq_u64_e64 s[52:53], 3, v[26:27]
	v_cndmask_b32_e64 v14, 0, 1, s[22:23]
	s_and_b64 s[22:23], s[16:17], s[42:43]
	v_cndmask_b32_e64 v27, 0, 1, s[14:15]
	s_and_b64 s[14:15], s[16:17], s[50:51]
	v_cmp_eq_u64_e64 s[46:47], 2, v[28:29]
	v_cmp_eq_u64_e64 s[54:55], 3, v[28:29]
	v_cndmask_b32_e64 v15, 0, 1, s[22:23]
	s_and_b64 s[22:23], s[18:19], s[44:45]
	v_cndmask_b32_e64 v28, 0, 1, s[14:15]
	s_and_b64 s[14:15], s[18:19], s[52:53]
	;; [unrolled: 2-line block ×4, first 2 shown]
	v_cndmask_b32_e64 v26, 0, 1, s[22:23]
	v_cndmask_b32_e64 v45, 0, 1, s[14:15]
	v_cmp_ne_u32_e64 s[14:15], 0, v4
	v_cmp_ne_u32_e64 s[16:17], 0, v5
	;; [unrolled: 1-line block ×11, first 2 shown]
	s_bcnt1_i32_b64 s14, s[14:15]
	s_bcnt1_i32_b64 s15, s[16:17]
	;; [unrolled: 1-line block ×8, first 2 shown]
	v_cmp_ne_u32_e64 s[28:29], 0, v13
	v_cmp_ne_u32_e64 s[36:37], 0, v18
	;; [unrolled: 1-line block ×3, first 2 shown]
	s_bcnt1_i32_b64 s19, s[24:25]
	s_bcnt1_i32_b64 s23, s[34:35]
	;; [unrolled: 1-line block ×3, first 2 shown]
	s_add_i32 s14, s70, s14
	s_add_i32 s7, s7, s18
	;; [unrolled: 1-line block ×4, first 2 shown]
	v_cmp_ne_u32_e64 s[38:39], 0, v26
	v_cmp_ne_u32_e64 s[46:47], 0, v45
	s_bcnt1_i32_b64 s21, s[28:29]
	s_bcnt1_i32_b64 s24, s[36:37]
	;; [unrolled: 1-line block ×3, first 2 shown]
	s_add_i32 s14, s14, s15
	s_add_i32 s7, s7, s19
	;; [unrolled: 1-line block ×4, first 2 shown]
	v_add_u32_e32 v44, s13, v44
	s_bcnt1_i32_b64 s25, s[38:39]
	s_bcnt1_i32_b64 s29, s[46:47]
	s_add_i32 s14, s14, s16
	s_add_i32 s7, s7, s20
	;; [unrolled: 1-line block ×4, first 2 shown]
	v_cmp_le_u32_e32 vcc, s69, v44
	s_add_i32 s70, s14, s17
	s_add_i32 s7, s7, s21
	;; [unrolled: 1-line block ×4, first 2 shown]
	v_add_u32_e32 v3, s74, v3
	s_or_b64 s[78:79], vcc, s[78:79]
	v_mov_b32_e32 v8, s70
	v_mov_b32_e32 v9, s7
	;; [unrolled: 1-line block ×4, first 2 shown]
	s_andn2_b64 exec, exec, s[78:79]
	s_cbranch_execnz .LBB99_71
; %bb.72:                               ;   in Loop: Header=BB99_21 Depth=1
	s_or_b64 exec, exec, s[78:79]
	s_mov_b32 s70, s4
	v_readlane_b32 s4, v54, 39
	s_mov_b64 s[54:55], s[10:11]
	s_mov_b32 s10, s33
	v_readlane_b32 s5, v54, 40
.LBB99_73:                              ;   in Loop: Header=BB99_21 Depth=1
	s_or_b64 exec, exec, s[76:77]
	v_add_u32_e32 v3, s69, v0
	v_cmp_gt_u32_e32 vcc, s3, v3
	s_and_saveexec_b64 s[24:25], vcc
	s_mov_b64 s[68:69], s[8:9]
	s_cbranch_execz .LBB99_77
; %bb.74:                               ;   in Loop: Header=BB99_21 Depth=1
	s_and_b32 s6, s70, 0xfe
	s_waitcnt vmcnt(0)
	v_lshlrev_b32_e32 v4, 3, v3
	s_mov_b64 s[26:27], 0
.LBB99_75:                              ;   Parent Loop BB99_21 Depth=1
                                        ; =>  This Inner Loop Header: Depth=2
	ds_read_b64 v[12:13], v4
	v_add_u32_e32 v3, s62, v3
	v_cmp_le_u32_e32 vcc, s3, v3
	v_add_u32_e32 v4, s75, v4
	s_waitcnt lgkmcnt(0)
	v_xor_b32_e32 v13, 0x80000000, v13
	v_and_b32_e32 v14, s80, v12
	v_and_b32_e32 v15, s81, v13
	v_lshrrev_b64 v[12:13], s6, v[12:13]
	v_and_b32_e32 v18, 3, v12
	v_cmp_eq_u64_e64 s[14:15], s[82:83], v[14:15]
	v_cmp_eq_u64_e64 s[16:17], 0, v[18:19]
	;; [unrolled: 1-line block ×3, first 2 shown]
	s_and_b64 s[16:17], s[14:15], s[16:17]
	v_cmp_eq_u64_e64 s[20:21], 2, v[18:19]
	v_cmp_eq_u64_e64 s[22:23], 3, v[18:19]
	v_cndmask_b32_e64 v5, 0, 1, s[16:17]
	s_and_b64 s[16:17], s[14:15], s[18:19]
	v_cndmask_b32_e64 v12, 0, 1, s[16:17]
	s_and_b64 s[16:17], s[14:15], s[20:21]
	s_and_b64 s[14:15], s[14:15], s[22:23]
	v_cndmask_b32_e64 v13, 0, 1, s[16:17]
	v_cndmask_b32_e64 v14, 0, 1, s[14:15]
	v_cmp_ne_u32_e64 s[14:15], 0, v5
	v_cmp_ne_u32_e64 s[16:17], 0, v12
	;; [unrolled: 1-line block ×4, first 2 shown]
	s_bcnt1_i32_b64 s7, s[14:15]
	s_bcnt1_i32_b64 s12, s[16:17]
	;; [unrolled: 1-line block ×4, first 2 shown]
	v_add_u32_e32 v8, s7, v8
	v_add_u32_e32 v9, s12, v9
	;; [unrolled: 1-line block ×3, first 2 shown]
	s_or_b64 s[26:27], vcc, s[26:27]
	v_add_u32_e32 v11, s15, v11
	s_andn2_b64 exec, exec, s[26:27]
	s_cbranch_execnz .LBB99_75
; %bb.76:                               ;   in Loop: Header=BB99_21 Depth=1
	s_or_b64 exec, exec, s[26:27]
	s_or_b64 s[84:85], s[84:85], exec
.LBB99_77:                              ;   in Loop: Header=BB99_21 Depth=1
	s_or_b64 exec, exec, s[24:25]
.LBB99_78:                              ;   in Loop: Header=BB99_21 Depth=1
	s_and_saveexec_b64 s[14:15], s[84:85]
	s_or_b64 exec, exec, s[14:15]
	s_lshl_b32 s3, s57, 6
	s_and_saveexec_b64 s[14:15], s[4:5]
	s_cbranch_execz .LBB99_80
; %bb.79:                               ;   in Loop: Header=BB99_21 Depth=1
	v_or_b32_e32 v3, s3, v33
	v_lshlrev_b32_e32 v3, 2, v3
	ds_write_b128 v3, v[8:11] offset:3072
.LBB99_80:                              ;   in Loop: Header=BB99_21 Depth=1
	s_or_b64 exec, exec, s[14:15]
	s_waitcnt lgkmcnt(0)
	s_barrier
	s_and_saveexec_b64 s[14:15], s[68:69]
	s_cbranch_execz .LBB99_94
; %bb.81:                               ;   in Loop: Header=BB99_21 Depth=1
	v_readlane_b32 s6, v54, 14
	v_readlane_b32 s7, v54, 15
	v_add_u32_e32 v3, s3, v23
	s_andn2_b64 vcc, exec, s[6:7]
	s_waitcnt vmcnt(0)
	v_mov_b32_e32 v4, 0
	s_cbranch_vccnz .LBB99_93
; %bb.82:                               ;   in Loop: Header=BB99_21 Depth=1
	v_readlane_b32 s8, v54, 18
	v_readlane_b32 s9, v54, 19
	s_mov_b32 s6, 0
	s_and_b64 vcc, exec, s[8:9]
	v_mov_b32_e32 v4, 0
	s_cbranch_vccz .LBB99_86
; %bb.83:                               ;   in Loop: Header=BB99_21 Depth=1
	v_readlane_b32 s6, v54, 22
	v_readlane_b32 s16, v54, 9
	;; [unrolled: 1-line block ×3, first 2 shown]
	v_lshl_add_u32 v8, v3, 2, v43
	v_readlane_b32 s17, v54, 10
	s_andn2_b64 vcc, exec, s[6:7]
	s_cbranch_vccnz .LBB99_87
; %bb.84:                               ;   in Loop: Header=BB99_21 Depth=1
	v_writelane_b32 v54, s16, 9
	v_writelane_b32 v54, s17, 10
	s_mov_b32 s17, 1
	s_mov_b32 s16, 0
	v_mov_b32_e32 v4, 0
	v_readlane_b32 s6, v54, 24
	v_mov_b32_e32 v5, 0
.LBB99_85:                              ;   Parent Loop BB99_21 Depth=1
                                        ; =>  This Inner Loop Header: Depth=2
	v_lshl_add_u32 v9, s16, 4, v8
	v_lshl_add_u32 v18, s17, 4, v8
	ds_read2_b32 v[10:11], v9 offset1:8
	ds_read2_b32 v[12:13], v18 offset1:8
	ds_read2_b32 v[14:15], v9 offset0:16 offset1:24
	ds_read2_b32 v[26:27], v18 offset0:16 offset1:24
	;; [unrolled: 1-line block ×6, first 2 shown]
	s_waitcnt lgkmcnt(7)
	v_add3_u32 v4, v10, v4, v11
	s_waitcnt lgkmcnt(6)
	v_add3_u32 v5, v12, v5, v13
	;; [unrolled: 2-line block ×3, first 2 shown]
	v_add3_u32 v4, v14, v4, v15
	s_add_i32 s17, s17, 16
	s_add_i32 s16, s16, 16
	s_add_i32 s6, s6, -8
	s_waitcnt lgkmcnt(3)
	v_add3_u32 v4, v28, v4, v29
	s_waitcnt lgkmcnt(2)
	v_add3_u32 v5, v44, v5, v45
	s_cmp_lg_u32 s6, 0
	s_waitcnt lgkmcnt(0)
	v_add3_u32 v5, v48, v5, v49
	v_add3_u32 v4, v46, v4, v47
	s_cbranch_scc1 .LBB99_85
	s_branch .LBB99_88
.LBB99_86:                              ;   in Loop: Header=BB99_21 Depth=1
	s_cbranch_execnz .LBB99_91
	s_branch .LBB99_93
.LBB99_87:                              ;   in Loop: Header=BB99_21 Depth=1
	s_mov_b32 s6, s16
	s_mov_b32 s17, s16
	v_writelane_b32 v54, s6, 9
	v_pk_mov_b32 v[4:5], s[16:17], s[16:17] op_sel:[0,1]
	s_mov_b32 s17, 1
	v_writelane_b32 v54, s7, 10
.LBB99_88:                              ;   in Loop: Header=BB99_21 Depth=1
	v_readlane_b32 s6, v54, 26
	v_readlane_b32 s7, v54, 27
	s_andn2_b64 vcc, exec, s[6:7]
	v_readlane_b32 s6, v54, 25
	s_cbranch_vccnz .LBB99_90
.LBB99_89:                              ;   Parent Loop BB99_21 Depth=1
                                        ; =>  This Inner Loop Header: Depth=2
	v_lshl_add_u32 v9, s16, 4, v8
	v_lshl_add_u32 v10, s17, 4, v8
	ds_read_b32 v10, v10
	ds_read_b32 v9, v9
	s_add_i32 s17, s17, 2
	s_add_i32 s16, s16, 2
	s_add_i32 s6, s6, -1
	s_cmp_lg_u32 s6, 0
	s_waitcnt lgkmcnt(1)
	v_add_u32_e32 v5, v10, v5
	s_waitcnt lgkmcnt(0)
	v_add_u32_e32 v4, v9, v4
	s_cbranch_scc1 .LBB99_89
.LBB99_90:                              ;   in Loop: Header=BB99_21 Depth=1
	v_readlane_b32 s16, v54, 30
	v_add_u32_e32 v4, v4, v5
	v_readlane_b32 s6, v54, 29
	v_readlane_b32 s17, v54, 31
	s_and_b64 vcc, exec, s[16:17]
	s_cbranch_vccz .LBB99_93
.LBB99_91:                              ;   in Loop: Header=BB99_21 Depth=1
	s_lshl_b32 s7, s57, 8
	s_lshl_b32 s12, s6, 4
	s_add_i32 s7, s7, s12
	v_add_u32_e32 v5, s7, v42
	v_readlane_b32 s7, v54, 28
	s_sub_i32 s6, s7, s6
.LBB99_92:                              ;   Parent Loop BB99_21 Depth=1
                                        ; =>  This Inner Loop Header: Depth=2
	ds_read_b32 v8, v5
	s_add_i32 s6, s6, -1
	v_add_u32_e32 v5, 16, v5
	s_cmp_eq_u32 s6, 0
	s_waitcnt lgkmcnt(0)
	v_add_u32_e32 v4, v8, v4
	s_cbranch_scc0 .LBB99_92
.LBB99_93:                              ;   in Loop: Header=BB99_21 Depth=1
	v_lshlrev_b32_e32 v3, 2, v3
	ds_write_b32 v3, v4 offset:3072
.LBB99_94:                              ;   in Loop: Header=BB99_21 Depth=1
	s_or_b64 exec, exec, s[14:15]
	s_lshl_b32 s3, s3, 2
	v_mov_b32_e32 v3, s3
	s_waitcnt lgkmcnt(0)
	s_barrier
	ds_read_b128 v[8:11], v3 offset:3072
	s_and_b32 s47, s70, 0xfe
	s_lshl_b64 s[16:17], 3, s47
	s_not_b64 s[28:29], s[16:17]
	s_mov_b64 s[20:21], -1
	s_waitcnt lgkmcnt(0)
	v_readfirstlane_b32 s34, v8
	s_cmp_eq_u32 s34, 1
	s_cselect_b64 s[6:7], -1, 0
	s_cmp_eq_u32 s2, 1
	s_cselect_b64 s[14:15], -1, 0
	s_and_b64 s[22:23], s[6:7], s[14:15]
	v_readfirstlane_b32 s38, v9
	v_readfirstlane_b32 s46, v10
	;; [unrolled: 1-line block ×3, first 2 shown]
	s_and_b64 vcc, exec, s[22:23]
	s_cbranch_vccz .LBB99_106
; %bb.95:                               ;   in Loop: Header=BB99_21 Depth=1
	ds_read_b32 v3, v19 offset:4104
	v_readlane_b32 s8, v54, 20
	v_readlane_b32 s9, v54, 21
	s_waitcnt lgkmcnt(0)
	s_barrier
	v_readfirstlane_b32 s6, v3
	s_and_saveexec_b64 s[14:15], s[8:9]
	s_cbranch_execz .LBB99_97
; %bb.96:                               ;   in Loop: Header=BB99_21 Depth=1
	v_mov_b32_e32 v18, v19
	ds_write_b64 v32, v[18:19]
.LBB99_97:                              ;   in Loop: Header=BB99_21 Depth=1
	s_or_b64 exec, exec, s[14:15]
	s_and_b64 s[82:83], s[82:83], s[28:29]
	s_or_b64 s[80:81], s[80:81], s[16:17]
	s_cmp_eq_u32 s6, 0
	s_waitcnt lgkmcnt(0)
	s_barrier
	s_cbranch_scc1 .LBB99_107
; %bb.98:                               ;   in Loop: Header=BB99_21 Depth=1
	v_readlane_b32 s7, v54, 11
	s_add_i32 s7, s6, s7
	v_readlane_b32 s8, v54, 36
	s_mul_hi_u32 s12, s7, s8
	s_mul_i32 s12, s12, s62
	s_sub_i32 s12, s7, s12
	s_sub_i32 s14, s12, s62
	s_cmp_ge_u32 s12, s62
	s_cselect_b32 s12, s14, s12
	s_sub_i32 s14, s12, s62
	s_cmp_ge_u32 s12, s62
	s_cselect_b32 s12, s14, s12
	s_sub_i32 s7, s7, s12
	v_cmp_gt_u32_e32 vcc, s7, v0
	s_mov_b64 s[14:15], 0
                                        ; implicit-def: $vgpr6_vgpr7
	s_and_saveexec_b64 s[18:19], vcc
	s_cbranch_execz .LBB99_109
; %bb.99:                               ;   in Loop: Header=BB99_21 Depth=1
	s_mov_b64 s[24:25], 0
	v_mov_b32_e32 v8, v31
	v_mov_b32_e32 v9, v0
                                        ; implicit-def: $sgpr14_sgpr15
	s_branch .LBB99_101
.LBB99_100:                             ;   in Loop: Header=BB99_101 Depth=2
	s_or_b64 exec, exec, s[26:27]
	s_waitcnt lgkmcnt(0)
	s_barrier
	ds_read_b128 v[4:7], v19 offset:3072
	v_add_u32_e32 v9, s62, v9
	v_cmp_le_u32_e32 vcc, s7, v9
	v_add_u32_e32 v8, s75, v8
	s_waitcnt lgkmcnt(0)
	v_readfirstlane_b32 s27, v5
	v_readfirstlane_b32 s26, v4
	s_cmp_lg_u64 s[26:27], 0
	s_cselect_b64 s[26:27], -1, 0
	s_or_b64 s[30:31], vcc, s[26:27]
	s_and_b64 s[30:31], exec, s[30:31]
	s_or_b64 s[24:25], s[30:31], s[24:25]
	s_andn2_b64 s[14:15], s[14:15], exec
	s_and_b64 s[26:27], s[26:27], exec
	s_or_b64 s[14:15], s[14:15], s[26:27]
	s_barrier
	s_andn2_b64 exec, exec, s[24:25]
	s_cbranch_execz .LBB99_108
.LBB99_101:                             ;   Parent Loop BB99_21 Depth=1
                                        ; =>  This Inner Loop Header: Depth=2
	v_cmp_gt_u32_e32 vcc, s6, v9
	s_waitcnt vmcnt(0)
	v_pk_mov_b32 v[4:5], 0, 0
	s_and_saveexec_b64 s[26:27], vcc
	s_cbranch_execz .LBB99_103
; %bb.102:                              ;   in Loop: Header=BB99_101 Depth=2
	ds_read_b64 v[4:5], v8
.LBB99_103:                             ;   in Loop: Header=BB99_101 Depth=2
	s_or_b64 exec, exec, s[26:27]
	s_and_saveexec_b64 s[26:27], vcc
	s_cbranch_execz .LBB99_100
; %bb.104:                              ;   in Loop: Header=BB99_101 Depth=2
	s_waitcnt lgkmcnt(0)
	v_xor_b32_e32 v3, 0x80000000, v5
	v_and_b32_e32 v7, s81, v3
	v_and_b32_e32 v6, s80, v4
	v_cmp_eq_u64_e32 vcc, s[82:83], v[6:7]
	s_and_b64 exec, exec, vcc
	s_cbranch_execz .LBB99_100
; %bb.105:                              ;   in Loop: Header=BB99_101 Depth=2
	v_mov_b32_e32 v3, v19
	ds_write_b128 v19, v[2:5] offset:3072
	s_branch .LBB99_100
.LBB99_106:                             ;   in Loop: Header=BB99_21 Depth=1
	s_mov_b64 s[14:15], -1
                                        ; implicit-def: $sgpr18_sgpr19
                                        ; implicit-def: $sgpr26_sgpr27
                                        ; implicit-def: $sgpr24_sgpr25
	s_branch .LBB99_120
.LBB99_107:                             ;   in Loop: Header=BB99_21 Depth=1
	s_mov_b64 s[18:19], -1
	s_mov_b64 s[14:15], 0
                                        ; implicit-def: $sgpr24_sgpr25
                                        ; implicit-def: $vgpr6_vgpr7
	s_mov_b64 s[26:27], s[18:19]
	s_cbranch_execnz .LBB99_110
	s_branch .LBB99_120
.LBB99_108:                             ;   in Loop: Header=BB99_21 Depth=1
	s_or_b64 exec, exec, s[24:25]
	s_and_b64 s[14:15], s[14:15], exec
.LBB99_109:                             ;   in Loop: Header=BB99_21 Depth=1
	s_or_b64 exec, exec, s[18:19]
	s_mov_b64 s[24:25], -1
	s_mov_b64 s[18:19], 0
	s_mov_b64 s[26:27], s[18:19]
	s_branch .LBB99_120
.LBB99_110:                             ;   in Loop: Header=BB99_21 Depth=1
	s_mov_b64 s[14:15], 0
                                        ; implicit-def: $vgpr6_vgpr7
	s_mov_b64 s[18:19], exec
	v_readlane_b32 s6, v54, 37
	v_readlane_b32 s7, v54, 38
	s_and_b64 s[6:7], s[18:19], s[6:7]
	s_mov_b64 exec, s[6:7]
	s_cbranch_execz .LBB99_119
; %bb.111:                              ;   in Loop: Header=BB99_21 Depth=1
	s_mov_b64 s[26:27], 0
	v_mov_b32_e32 v18, v16
	v_mov_b32_e32 v8, v0
                                        ; implicit-def: $sgpr24_sgpr25
	s_branch .LBB99_113
.LBB99_112:                             ;   in Loop: Header=BB99_113 Depth=2
	s_or_b64 exec, exec, s[14:15]
	s_waitcnt lgkmcnt(0)
	s_barrier
	s_waitcnt vmcnt(0)
	ds_read_b128 v[4:7], v19 offset:3072
	v_add_u32_e32 v8, s62, v8
	v_cmp_le_u32_e32 vcc, s73, v8
	v_add_u32_e32 v18, s72, v18
	s_waitcnt lgkmcnt(0)
	v_readfirstlane_b32 s7, v5
	v_readfirstlane_b32 s6, v4
	s_cmp_lg_u64 s[6:7], 0
	s_cselect_b64 s[6:7], -1, 0
	s_or_b64 s[14:15], vcc, s[6:7]
	s_and_b64 s[14:15], exec, s[14:15]
	s_or_b64 s[26:27], s[14:15], s[26:27]
	s_andn2_b64 s[14:15], s[24:25], exec
	s_and_b64 s[6:7], s[6:7], exec
	s_or_b64 s[24:25], s[14:15], s[6:7]
	s_barrier
	s_andn2_b64 exec, exec, s[26:27]
	s_cbranch_execz .LBB99_118
.LBB99_113:                             ;   Parent Loop BB99_21 Depth=1
                                        ; =>  This Inner Loop Header: Depth=2
	v_cmp_gt_u32_e32 vcc, s56, v8
	s_waitcnt vmcnt(0)
	v_pk_mov_b32 v[4:5], 0, 0
	s_and_saveexec_b64 s[30:31], vcc
	s_cbranch_execz .LBB99_115
; %bb.114:                              ;   in Loop: Header=BB99_113 Depth=2
	v_lshlrev_b64 v[4:5], 3, v[18:19]
	v_mov_b32_e32 v3, s60
	v_add_co_u32_e64 v4, s[14:15], s59, v4
	v_addc_co_u32_e64 v5, s[14:15], v3, v5, s[14:15]
	global_load_dwordx2 v[4:5], v[4:5], off
.LBB99_115:                             ;   in Loop: Header=BB99_113 Depth=2
	s_or_b64 exec, exec, s[30:31]
	s_and_saveexec_b64 s[14:15], vcc
	s_cbranch_execz .LBB99_112
; %bb.116:                              ;   in Loop: Header=BB99_113 Depth=2
	s_waitcnt vmcnt(0)
	v_xor_b32_e32 v3, 0x80000000, v5
	v_and_b32_e32 v7, s81, v3
	v_and_b32_e32 v6, s80, v4
	v_cmp_eq_u64_e32 vcc, s[82:83], v[6:7]
	s_and_b64 exec, exec, vcc
	s_cbranch_execz .LBB99_112
; %bb.117:                              ;   in Loop: Header=BB99_113 Depth=2
	v_mov_b32_e32 v3, v19
	ds_write_b128 v19, v[2:5] offset:3072
	s_branch .LBB99_112
.LBB99_118:                             ;   in Loop: Header=BB99_21 Depth=1
	s_or_b64 exec, exec, s[26:27]
	s_and_b64 s[14:15], s[24:25], exec
.LBB99_119:                             ;   in Loop: Header=BB99_21 Depth=1
	s_or_b64 exec, exec, s[18:19]
	s_mov_b64 s[26:27], -1
	s_mov_b64 s[18:19], 0
	s_mov_b64 s[24:25], 0
.LBB99_120:                             ;   in Loop: Header=BB99_21 Depth=1
	s_andn2_b64 s[6:7], s[66:67], exec
	s_and_b64 s[18:19], s[18:19], exec
	s_or_b64 s[66:67], s[6:7], s[18:19]
	s_andn2_b64 s[6:7], s[64:65], exec
	s_and_b64 s[18:19], s[26:27], exec
	s_or_b64 s[64:65], s[6:7], s[18:19]
	;; [unrolled: 3-line block ×3, first 2 shown]
	s_and_saveexec_b64 s[18:19], s[14:15]
	s_cbranch_execz .LBB99_20
; %bb.121:                              ;   in Loop: Header=BB99_21 Depth=1
	s_xor_b64 s[6:7], s[22:23], -1
	s_mov_b64 s[14:15], 0
	s_andn2_b64 vcc, exec, s[6:7]
	s_mov_b32 s39, 1
	s_cbranch_vccnz .LBB99_132
; %bb.122:                              ;   in Loop: Header=BB99_21 Depth=1
	s_cmp_gt_u32 s2, s34
	s_mov_b64 s[14:15], -1
                                        ; implicit-def: $sgpr52
                                        ; implicit-def: $sgpr20_sgpr21
                                        ; implicit-def: $sgpr22_sgpr23
	s_cbranch_scc1 .LBB99_128
; %bb.123:                              ;   in Loop: Header=BB99_21 Depth=1
	ds_read_b32 v3, v19 offset:4104
	s_waitcnt lgkmcnt(0)
	v_cmp_ne_u32_e32 vcc, 0, v3
	s_cbranch_vccnz .LBB99_127
; %bb.124:                              ;   in Loop: Header=BB99_21 Depth=1
	s_mov_b64 s[14:15], exec
	v_readlane_b32 s6, v54, 3
	v_readlane_b32 s7, v54, 4
	s_and_b64 s[6:7], s[14:15], s[6:7]
	s_mov_b64 exec, s[6:7]
	s_cbranch_execz .LBB99_126
; %bb.125:                              ;   in Loop: Header=BB99_21 Depth=1
	v_mov_b32_e32 v3, s34
	ds_write_b32 v19, v3 offset:4108
.LBB99_126:                             ;   in Loop: Header=BB99_21 Depth=1
	s_or_b64 exec, exec, s[14:15]
	s_waitcnt lgkmcnt(0)
	s_barrier
.LBB99_127:                             ;   in Loop: Header=BB99_21 Depth=1
	s_and_b64 s[20:21], s[82:83], s[28:29]
	s_or_b64 s[22:23], s[80:81], s[16:17]
	s_mov_b64 s[14:15], 0
	s_mov_b32 s52, 8
.LBB99_128:                             ;   in Loop: Header=BB99_21 Depth=1
	s_andn2_b64 vcc, exec, s[14:15]
	s_cbranch_vccnz .LBB99_130
; %bb.129:                              ;   in Loop: Header=BB99_21 Depth=1
	s_sub_i32 s2, s2, s34
	s_mov_b64 s[14:15], -1
	s_mov_b32 s52, 0
	s_mov_b64 s[20:21], s[82:83]
	s_mov_b64 s[22:23], s[80:81]
.LBB99_130:                             ;   in Loop: Header=BB99_21 Depth=1
	s_mov_b64 s[80:81], s[22:23]
	s_mov_b64 s[82:83], s[20:21]
	s_mov_b32 s39, s2
	s_mov_b64 s[20:21], -1
	s_and_b64 vcc, exec, s[14:15]
	s_cbranch_vccnz .LBB99_133
.LBB99_131:                             ;   in Loop: Header=BB99_21 Depth=1
	s_mov_b64 s[36:37], -1
                                        ; implicit-def: $sgpr22_sgpr23
                                        ; implicit-def: $sgpr26_sgpr27
                                        ; implicit-def: $sgpr24_sgpr25
                                        ; implicit-def: $sgpr2
	s_and_saveexec_b64 s[6:7], s[36:37]
	s_xor_b64 s[14:15], exec, s[6:7]
	s_cbranch_execz .LBB99_19
	s_branch .LBB99_256
.LBB99_132:                             ;   in Loop: Header=BB99_21 Depth=1
	s_mov_b32 s52, 1
	s_mov_b64 s[20:21], -1
	s_and_b64 vcc, exec, s[14:15]
	s_cbranch_vccz .LBB99_131
.LBB99_133:                             ;   in Loop: Header=BB99_21 Depth=1
	s_cmp_eq_u32 s38, 1
	s_cselect_b64 s[6:7], -1, 0
	s_cmp_eq_u32 s39, 1
	s_cselect_b64 s[14:15], -1, 0
	s_and_b64 s[34:35], s[6:7], s[14:15]
	s_mov_b64 s[14:15], -1
	s_and_b64 vcc, exec, s[34:35]
	s_cbranch_vccz .LBB99_145
; %bb.134:                              ;   in Loop: Header=BB99_21 Depth=1
	ds_read_b32 v3, v19 offset:4104
	s_waitcnt lgkmcnt(0)
	s_barrier
	v_readfirstlane_b32 s2, v3
	s_mov_b64 s[14:15], exec
	v_readlane_b32 s6, v54, 20
	v_readlane_b32 s7, v54, 21
	s_and_b64 s[6:7], s[14:15], s[6:7]
	s_mov_b64 exec, s[6:7]
	s_cbranch_execz .LBB99_136
; %bb.135:                              ;   in Loop: Header=BB99_21 Depth=1
	v_mov_b32_e32 v18, v19
	ds_write_b64 v32, v[18:19]
.LBB99_136:                             ;   in Loop: Header=BB99_21 Depth=1
	s_or_b64 exec, exec, s[14:15]
	s_lshl_b64 s[6:7], 1, s47
	s_and_b64 s[14:15], s[82:83], s[28:29]
	s_or_b64 s[82:83], s[14:15], s[6:7]
	s_or_b64 s[80:81], s[80:81], s[16:17]
	s_cmp_eq_u32 s2, 0
	s_waitcnt lgkmcnt(0)
	s_barrier
	s_cbranch_scc1 .LBB99_146
; %bb.137:                              ;   in Loop: Header=BB99_21 Depth=1
	v_readlane_b32 s6, v54, 11
	s_add_i32 s6, s2, s6
	v_readlane_b32 s7, v54, 36
	s_mul_hi_u32 s7, s6, s7
	s_mul_i32 s7, s7, s62
	s_sub_i32 s7, s6, s7
	s_sub_i32 s12, s7, s62
	s_cmp_ge_u32 s7, s62
	s_cselect_b32 s7, s12, s7
	s_sub_i32 s12, s7, s62
	s_cmp_ge_u32 s7, s62
	s_cselect_b32 s7, s12, s7
	s_sub_i32 s6, s6, s7
	v_cmp_gt_u32_e32 vcc, s6, v0
	s_mov_b64 s[14:15], 0
                                        ; implicit-def: $vgpr6_vgpr7
	s_and_saveexec_b64 s[22:23], vcc
	s_cbranch_execz .LBB99_148
; %bb.138:                              ;   in Loop: Header=BB99_21 Depth=1
	s_mov_b64 s[24:25], 0
	v_mov_b32_e32 v8, v31
	v_mov_b32_e32 v9, v0
                                        ; implicit-def: $sgpr14_sgpr15
	s_branch .LBB99_140
.LBB99_139:                             ;   in Loop: Header=BB99_140 Depth=2
	s_or_b64 exec, exec, s[26:27]
	s_waitcnt lgkmcnt(0)
	s_barrier
	ds_read_b128 v[4:7], v19 offset:3072
	v_add_u32_e32 v9, s62, v9
	v_cmp_le_u32_e32 vcc, s6, v9
	v_add_u32_e32 v8, s75, v8
	s_waitcnt lgkmcnt(0)
	v_readfirstlane_b32 s27, v5
	v_readfirstlane_b32 s26, v4
	s_cmp_lg_u64 s[26:27], 0
	s_cselect_b64 s[26:27], -1, 0
	s_or_b64 s[30:31], vcc, s[26:27]
	s_and_b64 s[30:31], exec, s[30:31]
	s_or_b64 s[24:25], s[30:31], s[24:25]
	s_andn2_b64 s[14:15], s[14:15], exec
	s_and_b64 s[26:27], s[26:27], exec
	s_or_b64 s[14:15], s[14:15], s[26:27]
	s_barrier
	s_andn2_b64 exec, exec, s[24:25]
	s_cbranch_execz .LBB99_147
.LBB99_140:                             ;   Parent Loop BB99_21 Depth=1
                                        ; =>  This Inner Loop Header: Depth=2
	v_cmp_gt_u32_e32 vcc, s2, v9
	s_waitcnt vmcnt(0)
	v_pk_mov_b32 v[4:5], 0, 0
	s_and_saveexec_b64 s[26:27], vcc
	s_cbranch_execz .LBB99_142
; %bb.141:                              ;   in Loop: Header=BB99_140 Depth=2
	ds_read_b64 v[4:5], v8
.LBB99_142:                             ;   in Loop: Header=BB99_140 Depth=2
	s_or_b64 exec, exec, s[26:27]
	s_and_saveexec_b64 s[26:27], vcc
	s_cbranch_execz .LBB99_139
; %bb.143:                              ;   in Loop: Header=BB99_140 Depth=2
	s_waitcnt lgkmcnt(0)
	v_xor_b32_e32 v3, 0x80000000, v5
	v_and_b32_e32 v7, s81, v3
	v_and_b32_e32 v6, s80, v4
	v_cmp_eq_u64_e32 vcc, s[82:83], v[6:7]
	s_and_b64 exec, exec, vcc
	s_cbranch_execz .LBB99_139
; %bb.144:                              ;   in Loop: Header=BB99_140 Depth=2
	v_mov_b32_e32 v3, v19
	ds_write_b128 v19, v[2:5] offset:3072
	s_branch .LBB99_139
.LBB99_145:                             ;   in Loop: Header=BB99_21 Depth=1
                                        ; implicit-def: $sgpr24_sgpr25
                                        ; implicit-def: $sgpr26_sgpr27
                                        ; implicit-def: $sgpr22_sgpr23
	s_branch .LBB99_159
.LBB99_146:                             ;   in Loop: Header=BB99_21 Depth=1
	s_mov_b64 s[24:25], -1
	s_mov_b64 s[14:15], 0
                                        ; implicit-def: $sgpr22_sgpr23
                                        ; implicit-def: $vgpr6_vgpr7
	s_mov_b64 s[26:27], s[24:25]
	s_cbranch_execnz .LBB99_149
	s_branch .LBB99_159
.LBB99_147:                             ;   in Loop: Header=BB99_21 Depth=1
	s_or_b64 exec, exec, s[24:25]
	s_and_b64 s[14:15], s[14:15], exec
.LBB99_148:                             ;   in Loop: Header=BB99_21 Depth=1
	s_or_b64 exec, exec, s[22:23]
	s_mov_b64 s[22:23], -1
	s_mov_b64 s[24:25], 0
	s_mov_b64 s[26:27], s[24:25]
	s_branch .LBB99_159
.LBB99_149:                             ;   in Loop: Header=BB99_21 Depth=1
	s_mov_b64 s[14:15], 0
                                        ; implicit-def: $vgpr6_vgpr7
	s_mov_b64 s[22:23], exec
	v_readlane_b32 s6, v54, 37
	v_readlane_b32 s7, v54, 38
	s_and_b64 s[6:7], s[22:23], s[6:7]
	s_mov_b64 exec, s[6:7]
	s_cbranch_execz .LBB99_158
; %bb.150:                              ;   in Loop: Header=BB99_21 Depth=1
	s_mov_b64 s[26:27], 0
	v_mov_b32_e32 v18, v16
	v_mov_b32_e32 v8, v0
                                        ; implicit-def: $sgpr24_sgpr25
	s_branch .LBB99_152
.LBB99_151:                             ;   in Loop: Header=BB99_152 Depth=2
	s_or_b64 exec, exec, s[14:15]
	s_waitcnt lgkmcnt(0)
	s_barrier
	s_waitcnt vmcnt(0)
	ds_read_b128 v[4:7], v19 offset:3072
	v_add_u32_e32 v8, s62, v8
	v_cmp_le_u32_e32 vcc, s73, v8
	v_add_u32_e32 v18, s72, v18
	s_waitcnt lgkmcnt(0)
	v_readfirstlane_b32 s7, v5
	v_readfirstlane_b32 s6, v4
	s_cmp_lg_u64 s[6:7], 0
	s_cselect_b64 s[6:7], -1, 0
	s_or_b64 s[14:15], vcc, s[6:7]
	s_and_b64 s[14:15], exec, s[14:15]
	s_or_b64 s[26:27], s[14:15], s[26:27]
	s_andn2_b64 s[14:15], s[24:25], exec
	s_and_b64 s[6:7], s[6:7], exec
	s_or_b64 s[24:25], s[14:15], s[6:7]
	s_barrier
	s_andn2_b64 exec, exec, s[26:27]
	s_cbranch_execz .LBB99_157
.LBB99_152:                             ;   Parent Loop BB99_21 Depth=1
                                        ; =>  This Inner Loop Header: Depth=2
	v_cmp_gt_u32_e32 vcc, s56, v8
	s_waitcnt vmcnt(0)
	v_pk_mov_b32 v[4:5], 0, 0
	s_and_saveexec_b64 s[30:31], vcc
	s_cbranch_execz .LBB99_154
; %bb.153:                              ;   in Loop: Header=BB99_152 Depth=2
	v_lshlrev_b64 v[4:5], 3, v[18:19]
	v_mov_b32_e32 v3, s60
	v_add_co_u32_e64 v4, s[14:15], s59, v4
	v_addc_co_u32_e64 v5, s[14:15], v3, v5, s[14:15]
	global_load_dwordx2 v[4:5], v[4:5], off
.LBB99_154:                             ;   in Loop: Header=BB99_152 Depth=2
	s_or_b64 exec, exec, s[30:31]
	s_and_saveexec_b64 s[14:15], vcc
	s_cbranch_execz .LBB99_151
; %bb.155:                              ;   in Loop: Header=BB99_152 Depth=2
	s_waitcnt vmcnt(0)
	v_xor_b32_e32 v3, 0x80000000, v5
	v_and_b32_e32 v7, s81, v3
	v_and_b32_e32 v6, s80, v4
	v_cmp_eq_u64_e32 vcc, s[82:83], v[6:7]
	s_and_b64 exec, exec, vcc
	s_cbranch_execz .LBB99_151
; %bb.156:                              ;   in Loop: Header=BB99_152 Depth=2
	v_mov_b32_e32 v3, v19
	ds_write_b128 v19, v[2:5] offset:3072
	s_branch .LBB99_151
.LBB99_157:                             ;   in Loop: Header=BB99_21 Depth=1
	s_or_b64 exec, exec, s[26:27]
	s_and_b64 s[14:15], s[24:25], exec
.LBB99_158:                             ;   in Loop: Header=BB99_21 Depth=1
	s_or_b64 exec, exec, s[22:23]
	s_mov_b64 s[26:27], -1
	s_mov_b64 s[24:25], 0
	s_mov_b64 s[22:23], 0
.LBB99_159:                             ;   in Loop: Header=BB99_21 Depth=1
	s_mov_b64 s[36:37], 0
                                        ; implicit-def: $sgpr52
	s_and_saveexec_b64 s[30:31], s[14:15]
	s_cbranch_execz .LBB99_255
; %bb.160:                              ;   in Loop: Header=BB99_21 Depth=1
	s_xor_b64 s[6:7], s[34:35], -1
	s_mov_b64 s[14:15], 0
	s_andn2_b64 vcc, exec, s[6:7]
	s_mov_b32 s48, 1
	s_cbranch_vccnz .LBB99_171
; %bb.161:                              ;   in Loop: Header=BB99_21 Depth=1
	s_cmp_gt_u32 s39, s38
	s_mov_b64 s[14:15], -1
                                        ; implicit-def: $sgpr52
                                        ; implicit-def: $sgpr34_sgpr35
                                        ; implicit-def: $sgpr36_sgpr37
	s_cbranch_scc1 .LBB99_167
; %bb.162:                              ;   in Loop: Header=BB99_21 Depth=1
	ds_read_b32 v3, v19 offset:4104
	s_waitcnt lgkmcnt(0)
	v_cmp_ne_u32_e32 vcc, 0, v3
	s_cbranch_vccnz .LBB99_166
; %bb.163:                              ;   in Loop: Header=BB99_21 Depth=1
	s_mov_b64 s[14:15], exec
	v_readlane_b32 s6, v54, 3
	v_readlane_b32 s7, v54, 4
	s_and_b64 s[6:7], s[14:15], s[6:7]
	s_mov_b64 exec, s[6:7]
	s_cbranch_execz .LBB99_165
; %bb.164:                              ;   in Loop: Header=BB99_21 Depth=1
	v_mov_b32_e32 v3, s38
	ds_write_b32 v19, v3 offset:4108
.LBB99_165:                             ;   in Loop: Header=BB99_21 Depth=1
	s_or_b64 exec, exec, s[14:15]
	s_waitcnt lgkmcnt(0)
	s_barrier
.LBB99_166:                             ;   in Loop: Header=BB99_21 Depth=1
	s_lshl_b64 s[6:7], 1, s47
	s_and_b64 s[14:15], s[82:83], s[28:29]
	s_or_b64 s[34:35], s[14:15], s[6:7]
	s_or_b64 s[36:37], s[80:81], s[16:17]
	s_mov_b64 s[14:15], 0
	s_mov_b32 s52, 8
.LBB99_167:                             ;   in Loop: Header=BB99_21 Depth=1
	s_andn2_b64 vcc, exec, s[14:15]
	s_cbranch_vccnz .LBB99_169
; %bb.168:                              ;   in Loop: Header=BB99_21 Depth=1
	s_sub_i32 s39, s39, s38
	s_mov_b64 s[14:15], -1
	s_mov_b32 s52, 0
	s_mov_b64 s[34:35], s[82:83]
	s_mov_b64 s[36:37], s[80:81]
.LBB99_169:                             ;   in Loop: Header=BB99_21 Depth=1
	s_mov_b64 s[80:81], s[36:37]
	s_mov_b64 s[82:83], s[34:35]
	s_mov_b32 s48, s39
	s_andn2_b64 vcc, exec, s[14:15]
	s_mov_b64 s[44:45], -1
	s_cbranch_vccz .LBB99_172
.LBB99_170:                             ;   in Loop: Header=BB99_21 Depth=1
                                        ; implicit-def: $sgpr36_sgpr37
                                        ; implicit-def: $sgpr38_sgpr39
                                        ; implicit-def: $sgpr34_sgpr35
	s_branch .LBB99_254
.LBB99_171:                             ;   in Loop: Header=BB99_21 Depth=1
	s_mov_b32 s52, 1
	s_andn2_b64 vcc, exec, s[14:15]
	s_mov_b64 s[44:45], -1
	s_cbranch_vccnz .LBB99_170
.LBB99_172:                             ;   in Loop: Header=BB99_21 Depth=1
	s_cmp_eq_u32 s46, 1
	s_cselect_b64 s[6:7], -1, 0
	s_cmp_eq_u32 s48, 1
	s_cselect_b64 s[14:15], -1, 0
	s_and_b64 s[42:43], s[6:7], s[14:15]
	s_mov_b64 s[14:15], -1
	s_and_b64 vcc, exec, s[42:43]
	s_cbranch_vccz .LBB99_184
; %bb.173:                              ;   in Loop: Header=BB99_21 Depth=1
	ds_read_b32 v3, v19 offset:4104
	s_waitcnt lgkmcnt(0)
	s_barrier
	v_readfirstlane_b32 s2, v3
	s_mov_b64 s[14:15], exec
	v_readlane_b32 s6, v54, 20
	v_readlane_b32 s7, v54, 21
	s_and_b64 s[6:7], s[14:15], s[6:7]
	s_mov_b64 exec, s[6:7]
	s_cbranch_execz .LBB99_175
; %bb.174:                              ;   in Loop: Header=BB99_21 Depth=1
	v_mov_b32_e32 v18, v19
	ds_write_b64 v32, v[18:19]
.LBB99_175:                             ;   in Loop: Header=BB99_21 Depth=1
	s_or_b64 exec, exec, s[14:15]
	s_lshl_b64 s[6:7], 2, s47
	s_and_b64 s[14:15], s[82:83], s[28:29]
	s_or_b64 s[82:83], s[14:15], s[6:7]
	s_or_b64 s[80:81], s[80:81], s[16:17]
	s_cmp_eq_u32 s2, 0
	s_waitcnt lgkmcnt(0)
	s_barrier
	s_cbranch_scc1 .LBB99_185
; %bb.176:                              ;   in Loop: Header=BB99_21 Depth=1
	v_readlane_b32 s6, v54, 11
	s_add_i32 s6, s2, s6
	v_readlane_b32 s7, v54, 36
	s_mul_hi_u32 s7, s6, s7
	s_mul_i32 s7, s7, s62
	s_sub_i32 s7, s6, s7
	s_sub_i32 s12, s7, s62
	s_cmp_ge_u32 s7, s62
	s_cselect_b32 s7, s12, s7
	s_sub_i32 s12, s7, s62
	s_cmp_ge_u32 s7, s62
	s_cselect_b32 s7, s12, s7
	s_sub_i32 s6, s6, s7
	v_cmp_gt_u32_e32 vcc, s6, v0
	s_mov_b64 s[14:15], 0
                                        ; implicit-def: $vgpr6_vgpr7
	s_and_saveexec_b64 s[34:35], vcc
	s_cbranch_execz .LBB99_187
; %bb.177:                              ;   in Loop: Header=BB99_21 Depth=1
	s_mov_b64 s[36:37], 0
	v_mov_b32_e32 v8, v31
	v_mov_b32_e32 v9, v0
                                        ; implicit-def: $sgpr14_sgpr15
	s_branch .LBB99_179
.LBB99_178:                             ;   in Loop: Header=BB99_179 Depth=2
	s_or_b64 exec, exec, s[38:39]
	s_waitcnt lgkmcnt(0)
	s_barrier
	ds_read_b128 v[4:7], v19 offset:3072
	v_add_u32_e32 v9, s62, v9
	v_cmp_le_u32_e32 vcc, s6, v9
	v_add_u32_e32 v8, s75, v8
	s_waitcnt lgkmcnt(0)
	v_readfirstlane_b32 s39, v5
	v_readfirstlane_b32 s38, v4
	s_cmp_lg_u64 s[38:39], 0
	s_cselect_b64 s[38:39], -1, 0
	s_or_b64 s[40:41], vcc, s[38:39]
	s_and_b64 s[40:41], exec, s[40:41]
	s_or_b64 s[36:37], s[40:41], s[36:37]
	s_andn2_b64 s[14:15], s[14:15], exec
	s_and_b64 s[38:39], s[38:39], exec
	s_or_b64 s[14:15], s[14:15], s[38:39]
	s_barrier
	s_andn2_b64 exec, exec, s[36:37]
	s_cbranch_execz .LBB99_186
.LBB99_179:                             ;   Parent Loop BB99_21 Depth=1
                                        ; =>  This Inner Loop Header: Depth=2
	v_cmp_gt_u32_e32 vcc, s2, v9
	s_waitcnt vmcnt(0)
	v_pk_mov_b32 v[4:5], 0, 0
	s_and_saveexec_b64 s[38:39], vcc
	s_cbranch_execz .LBB99_181
; %bb.180:                              ;   in Loop: Header=BB99_179 Depth=2
	ds_read_b64 v[4:5], v8
.LBB99_181:                             ;   in Loop: Header=BB99_179 Depth=2
	s_or_b64 exec, exec, s[38:39]
	s_and_saveexec_b64 s[38:39], vcc
	s_cbranch_execz .LBB99_178
; %bb.182:                              ;   in Loop: Header=BB99_179 Depth=2
	s_waitcnt lgkmcnt(0)
	v_xor_b32_e32 v3, 0x80000000, v5
	v_and_b32_e32 v7, s81, v3
	v_and_b32_e32 v6, s80, v4
	v_cmp_eq_u64_e32 vcc, s[82:83], v[6:7]
	s_and_b64 exec, exec, vcc
	s_cbranch_execz .LBB99_178
; %bb.183:                              ;   in Loop: Header=BB99_179 Depth=2
	v_mov_b32_e32 v3, v19
	ds_write_b128 v19, v[2:5] offset:3072
	s_branch .LBB99_178
.LBB99_184:                             ;   in Loop: Header=BB99_21 Depth=1
                                        ; implicit-def: $sgpr34_sgpr35
                                        ; implicit-def: $sgpr38_sgpr39
                                        ; implicit-def: $sgpr36_sgpr37
	s_branch .LBB99_198
.LBB99_185:                             ;   in Loop: Header=BB99_21 Depth=1
	s_mov_b64 s[34:35], -1
	s_mov_b64 s[14:15], 0
                                        ; implicit-def: $sgpr36_sgpr37
                                        ; implicit-def: $vgpr6_vgpr7
	s_mov_b64 s[38:39], s[34:35]
	s_cbranch_execnz .LBB99_188
	s_branch .LBB99_198
.LBB99_186:                             ;   in Loop: Header=BB99_21 Depth=1
	s_or_b64 exec, exec, s[36:37]
	s_and_b64 s[14:15], s[14:15], exec
.LBB99_187:                             ;   in Loop: Header=BB99_21 Depth=1
	s_or_b64 exec, exec, s[34:35]
	s_mov_b64 s[36:37], -1
	s_mov_b64 s[34:35], 0
	s_mov_b64 s[38:39], s[34:35]
	s_branch .LBB99_198
.LBB99_188:                             ;   in Loop: Header=BB99_21 Depth=1
	s_mov_b64 s[14:15], 0
                                        ; implicit-def: $vgpr6_vgpr7
	s_mov_b64 s[34:35], exec
	v_readlane_b32 s6, v54, 37
	v_readlane_b32 s7, v54, 38
	s_and_b64 s[6:7], s[34:35], s[6:7]
	s_mov_b64 exec, s[6:7]
	s_cbranch_execz .LBB99_197
; %bb.189:                              ;   in Loop: Header=BB99_21 Depth=1
	s_mov_b64 s[38:39], 0
	v_mov_b32_e32 v18, v16
	v_mov_b32_e32 v8, v0
                                        ; implicit-def: $sgpr36_sgpr37
	s_branch .LBB99_191
.LBB99_190:                             ;   in Loop: Header=BB99_191 Depth=2
	s_or_b64 exec, exec, s[14:15]
	s_waitcnt lgkmcnt(0)
	s_barrier
	s_waitcnt vmcnt(0)
	ds_read_b128 v[4:7], v19 offset:3072
	v_add_u32_e32 v8, s62, v8
	v_cmp_le_u32_e32 vcc, s73, v8
	v_add_u32_e32 v18, s72, v18
	s_waitcnt lgkmcnt(0)
	v_readfirstlane_b32 s7, v5
	v_readfirstlane_b32 s6, v4
	s_cmp_lg_u64 s[6:7], 0
	s_cselect_b64 s[6:7], -1, 0
	s_or_b64 s[14:15], vcc, s[6:7]
	s_and_b64 s[14:15], exec, s[14:15]
	s_or_b64 s[38:39], s[14:15], s[38:39]
	s_andn2_b64 s[14:15], s[36:37], exec
	s_and_b64 s[6:7], s[6:7], exec
	s_or_b64 s[36:37], s[14:15], s[6:7]
	s_barrier
	s_andn2_b64 exec, exec, s[38:39]
	s_cbranch_execz .LBB99_196
.LBB99_191:                             ;   Parent Loop BB99_21 Depth=1
                                        ; =>  This Inner Loop Header: Depth=2
	v_cmp_gt_u32_e32 vcc, s56, v8
	s_waitcnt vmcnt(0)
	v_pk_mov_b32 v[4:5], 0, 0
	s_and_saveexec_b64 s[40:41], vcc
	s_cbranch_execz .LBB99_193
; %bb.192:                              ;   in Loop: Header=BB99_191 Depth=2
	v_lshlrev_b64 v[4:5], 3, v[18:19]
	v_mov_b32_e32 v3, s60
	v_add_co_u32_e64 v4, s[14:15], s59, v4
	v_addc_co_u32_e64 v5, s[14:15], v3, v5, s[14:15]
	global_load_dwordx2 v[4:5], v[4:5], off
.LBB99_193:                             ;   in Loop: Header=BB99_191 Depth=2
	s_or_b64 exec, exec, s[40:41]
	s_and_saveexec_b64 s[14:15], vcc
	s_cbranch_execz .LBB99_190
; %bb.194:                              ;   in Loop: Header=BB99_191 Depth=2
	s_waitcnt vmcnt(0)
	v_xor_b32_e32 v3, 0x80000000, v5
	v_and_b32_e32 v7, s81, v3
	v_and_b32_e32 v6, s80, v4
	v_cmp_eq_u64_e32 vcc, s[82:83], v[6:7]
	s_and_b64 exec, exec, vcc
	s_cbranch_execz .LBB99_190
; %bb.195:                              ;   in Loop: Header=BB99_191 Depth=2
	v_mov_b32_e32 v3, v19
	ds_write_b128 v19, v[2:5] offset:3072
	s_branch .LBB99_190
.LBB99_196:                             ;   in Loop: Header=BB99_21 Depth=1
	s_or_b64 exec, exec, s[38:39]
	s_and_b64 s[14:15], s[36:37], exec
.LBB99_197:                             ;   in Loop: Header=BB99_21 Depth=1
	s_or_b64 exec, exec, s[34:35]
	s_mov_b64 s[38:39], -1
	s_mov_b64 s[34:35], 0
	s_mov_b64 s[36:37], 0
.LBB99_198:                             ;   in Loop: Header=BB99_21 Depth=1
	s_mov_b64 s[44:45], 0
                                        ; implicit-def: $sgpr52
	s_and_saveexec_b64 s[40:41], s[14:15]
	s_cbranch_execz .LBB99_253
; %bb.199:                              ;   in Loop: Header=BB99_21 Depth=1
	s_xor_b64 s[6:7], s[42:43], -1
	s_mov_b64 s[14:15], 0
	s_andn2_b64 vcc, exec, s[6:7]
	s_mov_b32 s2, 1
	s_cbranch_vccnz .LBB99_210
; %bb.200:                              ;   in Loop: Header=BB99_21 Depth=1
	s_cmp_gt_u32 s48, s46
	s_mov_b64 s[14:15], -1
                                        ; implicit-def: $sgpr52
                                        ; implicit-def: $sgpr42_sgpr43
                                        ; implicit-def: $sgpr44_sgpr45
	s_cbranch_scc1 .LBB99_206
; %bb.201:                              ;   in Loop: Header=BB99_21 Depth=1
	ds_read_b32 v3, v19 offset:4104
	s_waitcnt lgkmcnt(0)
	v_cmp_ne_u32_e32 vcc, 0, v3
	s_cbranch_vccnz .LBB99_205
; %bb.202:                              ;   in Loop: Header=BB99_21 Depth=1
	s_mov_b64 s[14:15], exec
	v_readlane_b32 s6, v54, 3
	v_readlane_b32 s7, v54, 4
	s_and_b64 s[6:7], s[14:15], s[6:7]
	s_mov_b64 exec, s[6:7]
	s_cbranch_execz .LBB99_204
; %bb.203:                              ;   in Loop: Header=BB99_21 Depth=1
	v_mov_b32_e32 v3, s46
	ds_write_b32 v19, v3 offset:4108
.LBB99_204:                             ;   in Loop: Header=BB99_21 Depth=1
	s_or_b64 exec, exec, s[14:15]
	s_waitcnt lgkmcnt(0)
	s_barrier
.LBB99_205:                             ;   in Loop: Header=BB99_21 Depth=1
	s_lshl_b64 s[6:7], 2, s47
	s_and_b64 s[14:15], s[82:83], s[28:29]
	s_or_b64 s[42:43], s[14:15], s[6:7]
	s_or_b64 s[44:45], s[80:81], s[16:17]
	s_mov_b64 s[14:15], 0
	s_mov_b32 s52, 8
.LBB99_206:                             ;   in Loop: Header=BB99_21 Depth=1
	s_andn2_b64 vcc, exec, s[14:15]
	s_cbranch_vccnz .LBB99_208
; %bb.207:                              ;   in Loop: Header=BB99_21 Depth=1
	s_sub_i32 s48, s48, s46
	s_mov_b64 s[14:15], -1
	s_mov_b32 s52, 0
	s_mov_b64 s[42:43], s[82:83]
	s_mov_b64 s[44:45], s[80:81]
.LBB99_208:                             ;   in Loop: Header=BB99_21 Depth=1
	s_mov_b64 s[80:81], s[44:45]
	s_mov_b64 s[82:83], s[42:43]
	s_mov_b32 s2, s48
	s_andn2_b64 vcc, exec, s[14:15]
	s_mov_b64 s[50:51], -1
	s_cbranch_vccz .LBB99_211
.LBB99_209:                             ;   in Loop: Header=BB99_21 Depth=1
                                        ; implicit-def: $sgpr14_sgpr15
                                        ; implicit-def: $sgpr44_sgpr45
                                        ; implicit-def: $sgpr42_sgpr43
	s_branch .LBB99_252
.LBB99_210:                             ;   in Loop: Header=BB99_21 Depth=1
	s_mov_b32 s52, 1
	s_andn2_b64 vcc, exec, s[14:15]
	s_mov_b64 s[50:51], -1
	s_cbranch_vccnz .LBB99_209
.LBB99_211:                             ;   in Loop: Header=BB99_21 Depth=1
	s_cmp_eq_u32 s3, 1
	s_cselect_b64 s[6:7], -1, 0
	s_cmp_eq_u32 s2, 1
	s_cselect_b64 s[14:15], -1, 0
	s_and_b64 s[28:29], s[6:7], s[14:15]
	s_mov_b64 s[46:47], -1
	s_and_b64 vcc, exec, s[28:29]
	s_cbranch_vccz .LBB99_223
; %bb.212:                              ;   in Loop: Header=BB99_21 Depth=1
	ds_read_b32 v3, v19 offset:4104
	v_readlane_b32 s8, v54, 20
	v_readlane_b32 s9, v54, 21
	s_waitcnt lgkmcnt(0)
	s_barrier
	v_readfirstlane_b32 s6, v3
	s_and_saveexec_b64 s[14:15], s[8:9]
	s_cbranch_execz .LBB99_214
; %bb.213:                              ;   in Loop: Header=BB99_21 Depth=1
	v_mov_b32_e32 v18, v19
	ds_write_b64 v32, v[18:19]
.LBB99_214:                             ;   in Loop: Header=BB99_21 Depth=1
	s_or_b64 exec, exec, s[14:15]
	s_or_b64 s[82:83], s[82:83], s[16:17]
	s_or_b64 s[80:81], s[80:81], s[16:17]
	s_cmp_eq_u32 s6, 0
	s_waitcnt lgkmcnt(0)
	s_barrier
	s_cbranch_scc1 .LBB99_224
; %bb.215:                              ;   in Loop: Header=BB99_21 Depth=1
	v_readlane_b32 s7, v54, 11
	s_add_i32 s7, s6, s7
	v_readlane_b32 s8, v54, 36
	s_mul_hi_u32 s12, s7, s8
	s_mul_i32 s12, s12, s62
	s_sub_i32 s12, s7, s12
	s_sub_i32 s14, s12, s62
	s_cmp_ge_u32 s12, s62
	s_cselect_b32 s12, s14, s12
	s_sub_i32 s14, s12, s62
	s_cmp_ge_u32 s12, s62
	s_cselect_b32 s12, s14, s12
	s_sub_i32 s7, s7, s12
	v_cmp_gt_u32_e32 vcc, s7, v0
	s_mov_b64 s[46:47], 0
                                        ; implicit-def: $vgpr6_vgpr7
	s_and_saveexec_b64 s[14:15], vcc
	s_cbranch_execz .LBB99_226
; %bb.216:                              ;   in Loop: Header=BB99_21 Depth=1
	s_mov_b64 s[44:45], 0
	v_mov_b32_e32 v8, v31
	v_mov_b32_e32 v9, v0
                                        ; implicit-def: $sgpr42_sgpr43
	s_branch .LBB99_218
.LBB99_217:                             ;   in Loop: Header=BB99_218 Depth=2
	s_or_b64 exec, exec, s[46:47]
	s_waitcnt lgkmcnt(0)
	s_barrier
	ds_read_b128 v[4:7], v19 offset:3072
	v_add_u32_e32 v9, s62, v9
	v_cmp_le_u32_e32 vcc, s7, v9
	v_add_u32_e32 v8, s75, v8
	s_waitcnt lgkmcnt(0)
	v_readfirstlane_b32 s47, v5
	v_readfirstlane_b32 s46, v4
	s_cmp_lg_u64 s[46:47], 0
	s_cselect_b64 s[46:47], -1, 0
	s_or_b64 s[48:49], vcc, s[46:47]
	s_and_b64 s[48:49], exec, s[48:49]
	s_or_b64 s[44:45], s[48:49], s[44:45]
	s_andn2_b64 s[42:43], s[42:43], exec
	s_and_b64 s[46:47], s[46:47], exec
	s_or_b64 s[42:43], s[42:43], s[46:47]
	s_barrier
	s_andn2_b64 exec, exec, s[44:45]
	s_cbranch_execz .LBB99_225
.LBB99_218:                             ;   Parent Loop BB99_21 Depth=1
                                        ; =>  This Inner Loop Header: Depth=2
	v_cmp_gt_u32_e32 vcc, s6, v9
	s_waitcnt vmcnt(0)
	v_pk_mov_b32 v[4:5], 0, 0
	s_and_saveexec_b64 s[46:47], vcc
	s_cbranch_execz .LBB99_220
; %bb.219:                              ;   in Loop: Header=BB99_218 Depth=2
	ds_read_b64 v[4:5], v8
.LBB99_220:                             ;   in Loop: Header=BB99_218 Depth=2
	s_or_b64 exec, exec, s[46:47]
	s_and_saveexec_b64 s[46:47], vcc
	s_cbranch_execz .LBB99_217
; %bb.221:                              ;   in Loop: Header=BB99_218 Depth=2
	s_waitcnt lgkmcnt(0)
	v_xor_b32_e32 v3, 0x80000000, v5
	v_and_b32_e32 v7, s81, v3
	v_and_b32_e32 v6, s80, v4
	v_cmp_eq_u64_e32 vcc, s[82:83], v[6:7]
	s_and_b64 exec, exec, vcc
	s_cbranch_execz .LBB99_217
; %bb.222:                              ;   in Loop: Header=BB99_218 Depth=2
	v_mov_b32_e32 v3, v19
	ds_write_b128 v19, v[2:5] offset:3072
	s_branch .LBB99_217
.LBB99_223:                             ;   in Loop: Header=BB99_21 Depth=1
                                        ; implicit-def: $sgpr14_sgpr15
                                        ; implicit-def: $sgpr44_sgpr45
                                        ; implicit-def: $sgpr42_sgpr43
	s_branch .LBB99_237
.LBB99_224:                             ;   in Loop: Header=BB99_21 Depth=1
	s_mov_b64 s[14:15], -1
	s_mov_b64 s[46:47], 0
                                        ; implicit-def: $sgpr42_sgpr43
                                        ; implicit-def: $vgpr6_vgpr7
	s_mov_b64 s[44:45], s[14:15]
	s_cbranch_execnz .LBB99_227
	s_branch .LBB99_237
.LBB99_225:                             ;   in Loop: Header=BB99_21 Depth=1
	s_or_b64 exec, exec, s[44:45]
	s_and_b64 s[46:47], s[42:43], exec
.LBB99_226:                             ;   in Loop: Header=BB99_21 Depth=1
	s_or_b64 exec, exec, s[14:15]
	s_mov_b64 s[42:43], -1
	s_mov_b64 s[14:15], 0
	s_mov_b64 s[44:45], s[14:15]
	s_branch .LBB99_237
.LBB99_227:                             ;   in Loop: Header=BB99_21 Depth=1
	s_mov_b64 s[46:47], 0
                                        ; implicit-def: $vgpr6_vgpr7
	s_mov_b64 s[42:43], exec
	v_readlane_b32 s6, v54, 37
	v_readlane_b32 s7, v54, 38
	s_and_b64 s[6:7], s[42:43], s[6:7]
	s_mov_b64 exec, s[6:7]
	s_cbranch_execz .LBB99_236
; %bb.228:                              ;   in Loop: Header=BB99_21 Depth=1
	v_mov_b32_e32 v18, v16
	v_mov_b32_e32 v8, v0
                                        ; implicit-def: $sgpr44_sgpr45
	s_branch .LBB99_230
.LBB99_229:                             ;   in Loop: Header=BB99_230 Depth=2
	s_or_b64 exec, exec, s[14:15]
	s_waitcnt lgkmcnt(0)
	s_barrier
	s_waitcnt vmcnt(0)
	ds_read_b128 v[4:7], v19 offset:3072
	v_add_u32_e32 v8, s62, v8
	v_cmp_le_u32_e32 vcc, s73, v8
	v_add_u32_e32 v18, s72, v18
	s_waitcnt lgkmcnt(0)
	v_readfirstlane_b32 s7, v5
	v_readfirstlane_b32 s6, v4
	s_cmp_lg_u64 s[6:7], 0
	s_cselect_b64 s[6:7], -1, 0
	s_or_b64 s[14:15], vcc, s[6:7]
	s_and_b64 s[14:15], exec, s[14:15]
	s_or_b64 s[46:47], s[14:15], s[46:47]
	s_andn2_b64 s[14:15], s[44:45], exec
	s_and_b64 s[6:7], s[6:7], exec
	s_or_b64 s[44:45], s[14:15], s[6:7]
	s_barrier
	s_andn2_b64 exec, exec, s[46:47]
	s_cbranch_execz .LBB99_235
.LBB99_230:                             ;   Parent Loop BB99_21 Depth=1
                                        ; =>  This Inner Loop Header: Depth=2
	v_cmp_gt_u32_e32 vcc, s56, v8
	s_waitcnt vmcnt(0)
	v_pk_mov_b32 v[4:5], 0, 0
	s_and_saveexec_b64 s[48:49], vcc
	s_cbranch_execz .LBB99_232
; %bb.231:                              ;   in Loop: Header=BB99_230 Depth=2
	v_lshlrev_b64 v[4:5], 3, v[18:19]
	v_mov_b32_e32 v3, s60
	v_add_co_u32_e64 v4, s[14:15], s59, v4
	v_addc_co_u32_e64 v5, s[14:15], v3, v5, s[14:15]
	global_load_dwordx2 v[4:5], v[4:5], off
.LBB99_232:                             ;   in Loop: Header=BB99_230 Depth=2
	s_or_b64 exec, exec, s[48:49]
	s_and_saveexec_b64 s[14:15], vcc
	s_cbranch_execz .LBB99_229
; %bb.233:                              ;   in Loop: Header=BB99_230 Depth=2
	s_waitcnt vmcnt(0)
	v_xor_b32_e32 v3, 0x80000000, v5
	v_and_b32_e32 v7, s81, v3
	v_and_b32_e32 v6, s80, v4
	v_cmp_eq_u64_e32 vcc, s[82:83], v[6:7]
	s_and_b64 exec, exec, vcc
	s_cbranch_execz .LBB99_229
; %bb.234:                              ;   in Loop: Header=BB99_230 Depth=2
	v_mov_b32_e32 v3, v19
	ds_write_b128 v19, v[2:5] offset:3072
	s_branch .LBB99_229
.LBB99_235:                             ;   in Loop: Header=BB99_21 Depth=1
	s_or_b64 exec, exec, s[46:47]
	s_and_b64 s[46:47], s[44:45], exec
.LBB99_236:                             ;   in Loop: Header=BB99_21 Depth=1
	s_or_b64 exec, exec, s[42:43]
	s_mov_b64 s[44:45], -1
	s_mov_b64 s[14:15], 0
	s_mov_b64 s[42:43], 0
.LBB99_237:                             ;   in Loop: Header=BB99_21 Depth=1
	s_mov_b64 s[50:51], 0
                                        ; implicit-def: $sgpr52
	s_and_saveexec_b64 s[48:49], s[46:47]
	s_cbranch_execz .LBB99_251
; %bb.238:                              ;   in Loop: Header=BB99_21 Depth=1
	s_xor_b64 s[6:7], s[28:29], -1
	s_andn2_b64 vcc, exec, s[6:7]
	s_mov_b32 s52, 1
	s_cbranch_vccnz .LBB99_245
; %bb.239:                              ;   in Loop: Header=BB99_21 Depth=1
	s_cmp_gt_u32 s2, s3
	s_cbranch_scc1 .LBB99_246
; %bb.240:                              ;   in Loop: Header=BB99_21 Depth=1
	ds_read_b32 v3, v19 offset:4104
	s_waitcnt lgkmcnt(0)
	v_cmp_ne_u32_e32 vcc, 0, v3
	s_cbranch_vccnz .LBB99_244
; %bb.241:                              ;   in Loop: Header=BB99_21 Depth=1
	s_mov_b64 s[28:29], exec
	v_readlane_b32 s6, v54, 3
	v_readlane_b32 s7, v54, 4
	s_and_b64 s[6:7], s[28:29], s[6:7]
	s_mov_b64 exec, s[6:7]
	s_cbranch_execz .LBB99_243
; %bb.242:                              ;   in Loop: Header=BB99_21 Depth=1
	v_mov_b32_e32 v3, s3
	ds_write_b32 v19, v3 offset:4108
.LBB99_243:                             ;   in Loop: Header=BB99_21 Depth=1
	s_or_b64 exec, exec, s[28:29]
	s_waitcnt lgkmcnt(0)
	s_barrier
.LBB99_244:                             ;   in Loop: Header=BB99_21 Depth=1
	s_or_b64 s[28:29], s[82:83], s[16:17]
	s_or_b64 s[16:17], s[80:81], s[16:17]
	s_mov_b64 s[46:47], 0
	s_mov_b32 s52, 8
	s_branch .LBB99_247
.LBB99_245:                             ;   in Loop: Header=BB99_21 Depth=1
	s_mov_b32 s2, 1
	s_branch .LBB99_250
.LBB99_246:                             ;   in Loop: Header=BB99_21 Depth=1
	s_mov_b64 s[46:47], -1
                                        ; implicit-def: $sgpr52
                                        ; implicit-def: $sgpr28_sgpr29
                                        ; implicit-def: $sgpr16_sgpr17
.LBB99_247:                             ;   in Loop: Header=BB99_21 Depth=1
	s_andn2_b64 vcc, exec, s[46:47]
	s_cbranch_vccnz .LBB99_249
; %bb.248:                              ;   in Loop: Header=BB99_21 Depth=1
	s_sub_i32 s2, s2, s3
	s_mov_b32 s52, 8
	s_mov_b64 s[28:29], s[82:83]
	s_mov_b64 s[16:17], s[80:81]
.LBB99_249:                             ;   in Loop: Header=BB99_21 Depth=1
	s_mov_b64 s[82:83], s[28:29]
	s_mov_b64 s[80:81], s[16:17]
.LBB99_250:                             ;   in Loop: Header=BB99_21 Depth=1
	s_mov_b64 s[50:51], exec
.LBB99_251:                             ;   in Loop: Header=BB99_21 Depth=1
	s_or_b64 exec, exec, s[48:49]
.LBB99_252:                             ;   in Loop: Header=BB99_21 Depth=1
	s_andn2_b64 s[6:7], s[34:35], exec
	s_and_b64 s[14:15], s[14:15], exec
	s_or_b64 s[34:35], s[6:7], s[14:15]
	s_andn2_b64 s[6:7], s[38:39], exec
	s_and_b64 s[14:15], s[44:45], exec
	s_or_b64 s[38:39], s[6:7], s[14:15]
	s_andn2_b64 s[6:7], s[36:37], exec
	s_and_b64 s[14:15], s[42:43], exec
	v_readlane_b32 s4, v54, 39
	s_or_b64 s[36:37], s[6:7], s[14:15]
	s_and_b64 s[44:45], s[50:51], exec
	s_mov_b32 s48, s2
	v_readlane_b32 s5, v54, 40
.LBB99_253:                             ;   in Loop: Header=BB99_21 Depth=1
	s_or_b64 exec, exec, s[40:41]
.LBB99_254:                             ;   in Loop: Header=BB99_21 Depth=1
	s_andn2_b64 s[2:3], s[24:25], exec
	s_and_b64 s[6:7], s[34:35], exec
	s_or_b64 s[24:25], s[2:3], s[6:7]
	s_andn2_b64 s[2:3], s[26:27], exec
	s_and_b64 s[6:7], s[38:39], exec
	s_or_b64 s[26:27], s[2:3], s[6:7]
	;; [unrolled: 3-line block ×3, first 2 shown]
	s_and_b64 s[36:37], s[44:45], exec
	s_mov_b32 s39, s48
.LBB99_255:                             ;   in Loop: Header=BB99_21 Depth=1
	s_or_b64 exec, exec, s[30:31]
                                        ; implicit-def: $sgpr2
	s_and_saveexec_b64 s[6:7], s[36:37]
	s_xor_b64 s[14:15], exec, s[6:7]
	s_cbranch_execz .LBB99_19
.LBB99_256:                             ;   in Loop: Header=BB99_21 Depth=1
	s_and_b32 s2, s52, -9
	s_cmp_eq_u32 s2, 0
	s_cbranch_scc1 .LBB99_17
; %bb.257:                              ;   in Loop: Header=BB99_21 Depth=1
	s_mov_b64 s[16:17], -1
                                        ; implicit-def: $sgpr80_sgpr81
                                        ; implicit-def: $sgpr39
                                        ; implicit-def: $sgpr70
                                        ; implicit-def: $sgpr57
	s_mov_b64 s[20:21], -1
	s_branch .LBB99_18
.LBB99_258:
	s_or_b64 exec, exec, s[86:87]
	s_xor_b64 s[8:9], s[92:93], -1
	s_xor_b64 s[0:1], s[88:89], -1
	;; [unrolled: 1-line block ×3, first 2 shown]
	s_mov_b64 s[4:5], 0
	s_and_saveexec_b64 s[2:3], s[0:1]
	s_xor_b64 s[0:1], exec, s[2:3]
	s_cbranch_execnz .LBB99_263
; %bb.259:
	s_andn2_saveexec_b64 s[0:1], s[0:1]
	s_cbranch_execnz .LBB99_276
.LBB99_260:
	s_or_b64 exec, exec, s[0:1]
	s_and_saveexec_b64 s[0:1], s[4:5]
.LBB99_261:
	; divergent unreachable
.LBB99_262:
	s_endpgm
.LBB99_263:
	s_and_saveexec_b64 s[2:3], s[8:9]
	s_xor_b64 s[4:5], exec, s[2:3]
	s_cbranch_execz .LBB99_274
; %bb.264:
	s_and_saveexec_b64 s[2:3], s[6:7]
	s_xor_b64 s[6:7], exec, s[2:3]
; %bb.265:
	v_xor_b32_e32 v5, 0x80000000, v5
	v_pk_mov_b32 v[6:7], v[4:5], v[4:5] op_sel:[0,1]
; %bb.266:
	s_or_b64 exec, exec, s[6:7]
	v_readlane_b32 s2, v54, 1
	v_readlane_b32 s3, v54, 0
	s_mul_i32 s2, s2, s3
	s_add_i32 s2, s2, s61
	s_mov_b32 s3, 0
	s_lshl_b64 s[2:3], s[2:3], 3
	v_readlane_b32 s6, v54, 5
	v_readlane_b32 s7, v54, 6
	s_add_u32 s2, s6, s2
	s_addc_u32 s3, s7, s3
	v_mov_b32_e32 v17, 0
	global_store_dwordx2 v17, v[6:7], s[2:3]
	s_and_saveexec_b64 s[6:7], s[54:55]
	s_cbranch_execz .LBB99_273
; %bb.267:
	s_mov_b64 s[2:3], 0
	v_mov_b32_e32 v1, s60
                                        ; implicit-def: $sgpr8_sgpr9
                                        ; implicit-def: $sgpr12_sgpr13
                                        ; implicit-def: $sgpr10_sgpr11
	s_branch .LBB99_269
.LBB99_268:                             ;   in Loop: Header=BB99_269 Depth=1
	s_or_b64 exec, exec, s[14:15]
	s_and_b64 s[14:15], exec, s[12:13]
	s_or_b64 s[2:3], s[14:15], s[2:3]
	s_andn2_b64 s[8:9], s[8:9], exec
	s_and_b64 s[14:15], s[10:11], exec
	s_or_b64 s[8:9], s[8:9], s[14:15]
	s_andn2_b64 exec, exec, s[2:3]
	s_cbranch_execz .LBB99_271
.LBB99_269:                             ; =>This Inner Loop Header: Depth=1
	v_lshlrev_b64 v[2:3], 3, v[16:17]
	v_add_co_u32_e32 v2, vcc, s59, v2
	v_addc_co_u32_e32 v3, vcc, v1, v3, vcc
	global_load_dwordx2 v[4:5], v[2:3], off
	v_mov_b32_e32 v2, v0
	s_or_b64 s[10:11], s[10:11], exec
	s_or_b64 s[12:13], s[12:13], exec
                                        ; implicit-def: $vgpr0
	s_waitcnt vmcnt(0)
	v_cmp_ne_u64_e32 vcc, v[4:5], v[6:7]
	s_and_saveexec_b64 s[14:15], vcc
	s_cbranch_execz .LBB99_268
; %bb.270:                              ;   in Loop: Header=BB99_269 Depth=1
	v_add_u32_e32 v0, s62, v2
	v_cmp_le_u32_e32 vcc, s56, v0
	s_andn2_b64 s[12:13], s[12:13], exec
	s_and_b64 s[16:17], vcc, exec
	v_add_u32_e32 v16, s72, v16
	s_andn2_b64 s[10:11], s[10:11], exec
	s_or_b64 s[12:13], s[12:13], s[16:17]
	s_branch .LBB99_268
.LBB99_271:
	s_or_b64 exec, exec, s[2:3]
	s_and_saveexec_b64 s[2:3], s[8:9]
	s_xor_b64 s[2:3], exec, s[2:3]
	s_cbranch_execz .LBB99_273
; %bb.272:
	v_readlane_b32 s2, v54, 2
	s_mul_i32 s2, s2, s71
	s_add_i32 s2, s2, s63
	s_mov_b32 s3, 0
	s_lshl_b64 s[2:3], s[2:3], 3
	v_readlane_b32 s8, v54, 7
	v_readlane_b32 s9, v54, 8
	s_add_u32 s2, s8, s2
	s_addc_u32 s3, s9, s3
	v_mov_b32_e32 v3, 0
	global_store_dwordx2 v3, v[2:3], s[2:3]
.LBB99_273:
	s_or_b64 exec, exec, s[6:7]
.LBB99_274:
	s_or_saveexec_b64 s[2:3], s[4:5]
	s_mov_b64 s[4:5], 0
	s_xor_b64 exec, exec, s[2:3]
	s_cbranch_execnz .LBB99_277
.LBB99_275:
	s_or_b64 exec, exec, s[2:3]
	s_and_b64 s[4:5], s[4:5], exec
	s_andn2_saveexec_b64 s[0:1], s[0:1]
	s_cbranch_execz .LBB99_260
.LBB99_276:
	s_or_b64 s[4:5], s[4:5], exec
	s_trap 2
	s_or_b64 exec, exec, s[0:1]
	s_and_saveexec_b64 s[0:1], s[4:5]
	s_cbranch_execnz .LBB99_261
	s_branch .LBB99_262
.LBB99_277:
	s_mov_b64 s[4:5], exec
	s_trap 2
	s_branch .LBB99_275
	.section	.rodata,"a",@progbits
	.p2align	6, 0x0
	.amdhsa_kernel _ZN2at6native12_GLOBAL__N_112gatherMedianIljLin1EEEvNS_4cuda6detail10TensorInfoIT_T0_EENS5_IlS7_EENS5_IKS6_S7_EES7_S7_S7_b
		.amdhsa_group_segment_fixed_size 4120
		.amdhsa_private_segment_fixed_size 0
		.amdhsa_kernarg_size 920
		.amdhsa_user_sgpr_count 6
		.amdhsa_user_sgpr_private_segment_buffer 1
		.amdhsa_user_sgpr_dispatch_ptr 0
		.amdhsa_user_sgpr_queue_ptr 0
		.amdhsa_user_sgpr_kernarg_segment_ptr 1
		.amdhsa_user_sgpr_dispatch_id 0
		.amdhsa_user_sgpr_flat_scratch_init 0
		.amdhsa_user_sgpr_kernarg_preload_length 0
		.amdhsa_user_sgpr_kernarg_preload_offset 0
		.amdhsa_user_sgpr_private_segment_size 0
		.amdhsa_uses_dynamic_stack 0
		.amdhsa_system_sgpr_private_segment_wavefront_offset 0
		.amdhsa_system_sgpr_workgroup_id_x 1
		.amdhsa_system_sgpr_workgroup_id_y 1
		.amdhsa_system_sgpr_workgroup_id_z 1
		.amdhsa_system_sgpr_workgroup_info 0
		.amdhsa_system_vgpr_workitem_id 0
		.amdhsa_next_free_vgpr 55
		.amdhsa_next_free_sgpr 96
		.amdhsa_accum_offset 56
		.amdhsa_reserve_vcc 1
		.amdhsa_reserve_flat_scratch 0
		.amdhsa_float_round_mode_32 0
		.amdhsa_float_round_mode_16_64 0
		.amdhsa_float_denorm_mode_32 3
		.amdhsa_float_denorm_mode_16_64 3
		.amdhsa_dx10_clamp 1
		.amdhsa_ieee_mode 1
		.amdhsa_fp16_overflow 0
		.amdhsa_tg_split 0
		.amdhsa_exception_fp_ieee_invalid_op 0
		.amdhsa_exception_fp_denorm_src 0
		.amdhsa_exception_fp_ieee_div_zero 0
		.amdhsa_exception_fp_ieee_overflow 0
		.amdhsa_exception_fp_ieee_underflow 0
		.amdhsa_exception_fp_ieee_inexact 0
		.amdhsa_exception_int_div_zero 0
	.end_amdhsa_kernel
	.section	.text._ZN2at6native12_GLOBAL__N_112gatherMedianIljLin1EEEvNS_4cuda6detail10TensorInfoIT_T0_EENS5_IlS7_EENS5_IKS6_S7_EES7_S7_S7_b,"axG",@progbits,_ZN2at6native12_GLOBAL__N_112gatherMedianIljLin1EEEvNS_4cuda6detail10TensorInfoIT_T0_EENS5_IlS7_EENS5_IKS6_S7_EES7_S7_S7_b,comdat
.Lfunc_end99:
	.size	_ZN2at6native12_GLOBAL__N_112gatherMedianIljLin1EEEvNS_4cuda6detail10TensorInfoIT_T0_EENS5_IlS7_EENS5_IKS6_S7_EES7_S7_S7_b, .Lfunc_end99-_ZN2at6native12_GLOBAL__N_112gatherMedianIljLin1EEEvNS_4cuda6detail10TensorInfoIT_T0_EENS5_IlS7_EENS5_IKS6_S7_EES7_S7_S7_b
                                        ; -- End function
	.section	.AMDGPU.csdata,"",@progbits
; Kernel info:
; codeLenInByte = 10876
; NumSgprs: 100
; NumVgprs: 55
; NumAgprs: 0
; TotalNumVgprs: 55
; ScratchSize: 0
; MemoryBound: 0
; FloatMode: 240
; IeeeMode: 1
; LDSByteSize: 4120 bytes/workgroup (compile time only)
; SGPRBlocks: 12
; VGPRBlocks: 6
; NumSGPRsForWavesPerEU: 100
; NumVGPRsForWavesPerEU: 55
; AccumOffset: 56
; Occupancy: 8
; WaveLimiterHint : 1
; COMPUTE_PGM_RSRC2:SCRATCH_EN: 0
; COMPUTE_PGM_RSRC2:USER_SGPR: 6
; COMPUTE_PGM_RSRC2:TRAP_HANDLER: 0
; COMPUTE_PGM_RSRC2:TGID_X_EN: 1
; COMPUTE_PGM_RSRC2:TGID_Y_EN: 1
; COMPUTE_PGM_RSRC2:TGID_Z_EN: 1
; COMPUTE_PGM_RSRC2:TIDIG_COMP_CNT: 0
; COMPUTE_PGM_RSRC3_GFX90A:ACCUM_OFFSET: 13
; COMPUTE_PGM_RSRC3_GFX90A:TG_SPLIT: 0
	.section	.text._ZN2at6native12_GLOBAL__N_112gatherMedianIlmLi1EEEvNS_4cuda6detail10TensorInfoIT_T0_EENS5_IlS7_EENS5_IKS6_S7_EES7_S7_S7_b,"axG",@progbits,_ZN2at6native12_GLOBAL__N_112gatherMedianIlmLi1EEEvNS_4cuda6detail10TensorInfoIT_T0_EENS5_IlS7_EENS5_IKS6_S7_EES7_S7_S7_b,comdat
	.globl	_ZN2at6native12_GLOBAL__N_112gatherMedianIlmLi1EEEvNS_4cuda6detail10TensorInfoIT_T0_EENS5_IlS7_EENS5_IKS6_S7_EES7_S7_S7_b ; -- Begin function _ZN2at6native12_GLOBAL__N_112gatherMedianIlmLi1EEEvNS_4cuda6detail10TensorInfoIT_T0_EENS5_IlS7_EENS5_IKS6_S7_EES7_S7_S7_b
	.p2align	8
	.type	_ZN2at6native12_GLOBAL__N_112gatherMedianIlmLi1EEEvNS_4cuda6detail10TensorInfoIT_T0_EENS5_IlS7_EENS5_IKS6_S7_EES7_S7_S7_b,@function
_ZN2at6native12_GLOBAL__N_112gatherMedianIlmLi1EEEvNS_4cuda6detail10TensorInfoIT_T0_EENS5_IlS7_EENS5_IKS6_S7_EES7_S7_S7_b: ; @_ZN2at6native12_GLOBAL__N_112gatherMedianIlmLi1EEEvNS_4cuda6detail10TensorInfoIT_T0_EENS5_IlS7_EENS5_IKS6_S7_EES7_S7_S7_b
; %bb.0:
	s_load_dwordx4 s[52:55], s[4:5], 0x4e0
	s_load_dwordx2 s[0:1], s[4:5], 0x500
	s_add_u32 s2, s4, 0x500
	s_addc_u32 s3, s5, 0
	s_mov_b32 s19, 0
	s_waitcnt lgkmcnt(0)
	v_mov_b32_e32 v2, s54
	s_mul_i32 s1, s1, s8
	s_add_i32 s1, s1, s7
	s_mul_i32 s1, s1, s0
	v_mov_b32_e32 v3, s55
	s_add_i32 s18, s1, s6
	v_cmp_ge_u64_e32 vcc, s[18:19], v[2:3]
	s_cbranch_vccnz .LBB100_284
; %bb.1:
	s_load_dwordx2 s[58:59], s[4:5], 0x4f0
	s_load_dwordx2 s[10:11], s[4:5], 0x410
	;; [unrolled: 1-line block ×3, first 2 shown]
	v_cmp_eq_u32_e64 s[14:15], 0, v0
	s_mov_b64 s[12:13], exec
                                        ; implicit-def: $vgpr56 : SGPR spill to VGPR lane
	v_writelane_b32 v56, s14, 0
	v_writelane_b32 v56, s15, 1
	s_and_b64 s[14:15], s[12:13], s[14:15]
	s_mov_b64 exec, s[14:15]
	s_cbranch_execz .LBB100_3
; %bb.2:
	v_mov_b32_e32 v2, 0
	v_mov_b32_e32 v3, v2
	ds_write_b64 v2, v[2:3] offset:5136
.LBB100_3:
	s_or_b64 exec, exec, s[12:13]
	s_load_dwordx2 s[12:13], s[4:5], 0x270
	v_mov_b32_e32 v3, 0
	s_waitcnt lgkmcnt(0)
	s_barrier
	v_writelane_b32 v56, s12, 2
	v_writelane_b32 v56, s13, 3
	s_load_dwordx2 s[12:13], s[4:5], 0x1a0
	s_waitcnt lgkmcnt(0)
	s_barrier
	ds_read_b64 v[4:5], v3 offset:5136
	v_writelane_b32 v56, s12, 4
	v_writelane_b32 v56, s13, 5
	s_load_dwordx2 s[12:13], s[4:5], 0xd0
	s_waitcnt lgkmcnt(0)
	v_writelane_b32 v56, s12, 6
	v_writelane_b32 v56, s13, 7
	s_load_dwordx2 s[12:13], s[4:5], 0x0
	s_waitcnt lgkmcnt(0)
	v_writelane_b32 v56, s12, 8
	v_writelane_b32 v56, s13, 9
	v_readfirstlane_b32 s12, v4
	v_readfirstlane_b32 s13, v5
	s_mov_b64 s[14:15], exec
	v_readlane_b32 s16, v56, 0
	v_readlane_b32 s17, v56, 1
	s_and_b64 s[16:17], s[14:15], s[16:17]
	s_mov_b64 exec, s[16:17]
	s_cbranch_execz .LBB100_5
; %bb.4:
	v_mov_b32_e32 v4, s52
	v_mov_b32_e32 v5, s53
	;; [unrolled: 1-line block ×3, first 2 shown]
	ds_write_b32 v3, v3 offset:5144
	ds_write_b128 v3, v[2:5] offset:5120
.LBB100_5:
	s_or_b64 exec, exec, s[14:15]
	s_load_dword s1, s[4:5], 0x4f8
	v_cmp_lt_i64_e64 s[4:5], s[12:13], 1
	s_mul_i32 s7, s11, s18
	v_mbcnt_lo_u32_b32 v2, -1, 0
	s_waitcnt lgkmcnt(0)
	s_bitcmp1_b32 s1, 0
	s_cselect_b64 s[14:15], -1, 0
	s_not_b64 s[12:13], s[12:13]
	s_or_b64 s[4:5], s[14:15], s[4:5]
	s_add_u32 s12, s12, s52
	s_addc_u32 s13, s13, s53
	s_lshr_b64 s[12:13], s[12:13], 1
	s_add_u32 s1, s12, 1
	s_addc_u32 s11, s13, 0
	s_and_b64 s[4:5], s[4:5], exec
	s_cselect_b32 s92, s1, s52
	s_mul_hi_u32 s1, s10, s18
	s_cselect_b32 s93, s11, s53
	s_add_i32 s5, s1, s7
	s_mov_b32 s4, s18
	v_writelane_b32 v56, s4, 10
	v_writelane_b32 v56, s5, 11
	s_mul_i32 s4, s10, s18
	s_lshl_b64 s[4:5], s[4:5], 3
	s_add_u32 s76, s8, s4
	s_barrier
	v_mbcnt_hi_u32_b32 v38, -1, v2
	v_mov_b32_e32 v4, 0x180
	s_load_dword s1, s[2:3], 0xc
	s_addc_u32 s77, s9, s5
	v_cmp_gt_u32_e32 vcc, 64, v0
	v_cmp_gt_i32_e64 s[8:9], 4, v38
	v_mov_b32_e32 v5, 0
	s_and_b64 s[74:75], vcc, s[8:9]
	v_cmp_gt_u64_e64 s[8:9], s[52:53], v[4:5]
	v_writelane_b32 v56, s8, 12
	v_writelane_b32 v56, s9, 13
	v_mad_u64_u32 v[4:5], s[8:9], v0, s58, 0
	v_mov_b32_e32 v2, v5
	s_waitcnt lgkmcnt(0)
	s_and_b32 s33, s1, 0xffff
	s_bfe_u32 s7, s1, 0xa0006
	v_mad_u64_u32 v[6:7], s[8:9], v0, s59, v[2:3]
	v_cmp_gt_u16_e64 s[94:95], s1, 63
	s_add_u32 s1, s33, -1
	s_addc_u32 s8, 0, -1
	v_writelane_b32 v56, s1, 14
	s_add_u32 s1, s1, s52
	s_addc_u32 s45, s8, s53
	s_cmp_lt_u32 s6, s0
	s_cselect_b32 s0, 12, 18
	s_add_u32 s46, s2, s0
	s_addc_u32 s47, s3, 0
	s_add_i32 s0, s7, -1
	s_bfe_u32 s2, s33, 0x30006
	v_writelane_b32 v56, s1, 15
	s_cmp_gt_u32 s0, 6
	v_writelane_b32 v56, s8, 16
	s_cselect_b64 s[0:1], -1, 0
	v_writelane_b32 v56, s0, 17
	s_and_b32 s29, s7, 0x3f8
	v_mov_b32_e32 v5, v6
	v_writelane_b32 v56, s1, 18
	s_cmp_lg_u32 s2, 0
	v_lshlrev_b64 v[6:7], 3, v[4:5]
	v_writelane_b32 v56, s2, 19
	s_cselect_b64 s[0:1], -1, 0
	v_mov_b32_e32 v2, s77
	v_add_co_u32_e32 v18, vcc, s76, v6
	v_writelane_b32 v56, s0, 20
	v_addc_co_u32_e32 v19, vcc, v2, v7, vcc
	v_lshlrev_b64 v[6:7], v38, -1
	v_writelane_b32 v56, s1, 21
	s_lshl_b64 s[0:1], s[58:59], 3
	v_lshlrev_b32_e32 v43, 5, v0
	v_lshrrev_b32_e32 v2, 4, v0
	v_not_b32_e32 v22, v6
	v_writelane_b32 v56, s0, 22
	v_or_b32_e32 v6, 24, v43
	v_and_b32_e32 v41, 60, v2
	v_lshlrev_b32_e32 v2, 2, v38
	v_writelane_b32 v56, s1, 23
	v_mad_u64_u32 v[24:25], s[0:1], s58, v6, 0
	v_and_b32_e32 v42, 0x100, v2
	v_mov_b32_e32 v2, v25
	v_not_b32_e32 v23, v7
	v_mad_u64_u32 v[6:7], s[0:1], s59, v6, v[2:3]
	s_lshl_b64 s[0:1], s[58:59], 5
	v_mov_b32_e32 v25, v6
	v_writelane_b32 v56, s0, 24
	v_or_b32_e32 v6, 16, v43
	v_writelane_b32 v56, s1, 25
	v_mad_u64_u32 v[26:27], s[0:1], s58, v6, 0
	v_mov_b32_e32 v2, v27
	v_mad_u64_u32 v[6:7], s[0:1], s59, v6, v[2:3]
	v_mov_b32_e32 v27, v6
	v_or_b32_e32 v6, 8, v43
	v_mad_u64_u32 v[28:29], s[0:1], s58, v6, 0
	v_mov_b32_e32 v2, v29
	v_mad_u64_u32 v[6:7], s[0:1], s59, v6, v[2:3]
	s_mul_i32 s0, s59, s33
	s_mul_hi_u32 s1, s58, s33
	s_add_i32 s1, s1, s0
	s_mul_i32 s0, s58, s33
	s_lshl_b64 s[66:67], s[0:1], 3
	s_mov_b32 s0, 0
	v_writelane_b32 v56, s0, 26
	v_writelane_b32 v56, s46, 27
	;; [unrolled: 1-line block ×5, first 2 shown]
	s_lshl_b32 s34, s33, 3
	v_writelane_b32 v56, s29, 31
	s_mov_b32 s71, 0
	v_mov_b32_e32 v1, v3
	v_lshlrev_b32_e32 v39, 3, v0
	v_mov_b32_e32 v2, 0xc00
	v_writelane_b32 v56, s34, 32
	v_cmp_gt_u64_e64 s[78:79], s[52:53], v[0:1]
	v_cmp_eq_u32_e64 s[4:5], 0, v38
	v_cmp_gt_u32_e64 s[60:61], 2, v0
	v_add_u32_e32 v40, 0xc00, v39
	v_lshlrev_b32_e32 v20, 2, v0
	v_mov_b32_e32 v21, v3
	s_mov_b32 s72, s71
	v_mov_b32_e32 v29, v6
	v_lshlrev_b64 v[30:31], 5, v[4:5]
	v_lshl_or_b32 v44, v38, 3, v2
	s_mov_b32 s68, 62
	s_mov_b64 s[90:91], 0
	v_pk_mov_b32 v[8:9], 0, 0
	v_mov_b32_e32 v4, 1
	v_mov_b32_e32 v45, 0x4f800000
	s_mov_b64 s[84:85], 0
	s_mov_b64 s[82:83], 0
	v_writelane_b32 v56, s94, 33
                                        ; implicit-def: $sgpr48_sgpr49
                                        ; implicit-def: $sgpr64_sgpr65
                                        ; implicit-def: $sgpr50_sgpr51
                                        ; implicit-def: $sgpr38_sgpr39
                                        ; implicit-def: $sgpr88_sgpr89
                                        ; implicit-def: $sgpr36_sgpr37
	v_writelane_b32 v56, s95, 34
	s_branch .LBB100_10
.LBB100_6:                              ;   in Loop: Header=BB100_10 Depth=1
	v_readlane_b32 s2, v56, 26
	s_xor_b32 s2, s2, 1
	s_add_i32 s8, s68, -2
	s_cmp_eq_u32 s68, 0
	v_writelane_b32 v56, s2, 26
	s_mov_b64 s[2:3], 0
	s_cselect_b64 s[6:7], -1, 0
	s_mov_b32 s68, s8
.LBB100_7:                              ;   in Loop: Header=BB100_10 Depth=1
	s_andn2_b64 s[8:9], s[22:23], exec
	s_and_b64 s[2:3], s[2:3], exec
	s_or_b64 s[22:23], s[8:9], s[2:3]
	s_andn2_b64 s[24:25], s[24:25], exec
	s_andn2_b64 s[20:21], s[20:21], exec
	s_orn2_b64 s[14:15], s[6:7], exec
.LBB100_8:                              ;   in Loop: Header=BB100_10 Depth=1
	s_or_b64 exec, exec, s[0:1]
	s_andn2_b64 s[0:1], s[36:37], exec
	s_and_b64 s[2:3], s[22:23], exec
	s_or_b64 s[36:37], s[0:1], s[2:3]
	s_andn2_b64 s[0:1], s[88:89], exec
	s_and_b64 s[2:3], s[24:25], exec
	s_or_b64 s[88:89], s[0:1], s[2:3]
	;; [unrolled: 3-line block ×3, first 2 shown]
	s_orn2_b64 s[20:21], s[14:15], exec
	v_readlane_b32 s34, v56, 32
.LBB100_9:                              ;   in Loop: Header=BB100_10 Depth=1
	s_or_b64 exec, exec, s[12:13]
	s_and_b64 s[0:1], exec, s[20:21]
	s_or_b64 s[90:91], s[0:1], s[90:91]
	s_andn2_b64 s[0:1], s[50:51], exec
	s_and_b64 s[2:3], s[36:37], exec
	s_or_b64 s[50:51], s[0:1], s[2:3]
	s_andn2_b64 s[0:1], s[64:65], exec
	s_and_b64 s[2:3], s[88:89], exec
	;; [unrolled: 3-line block ×3, first 2 shown]
	s_waitcnt vmcnt(0)
	v_pk_mov_b32 v[6:7], s[84:85], s[84:85] op_sel:[0,1]
	s_or_b64 s[48:49], s[0:1], s[2:3]
	s_andn2_b64 exec, exec, s[90:91]
	s_cbranch_execz .LBB100_280
.LBB100_10:                             ; =>This Loop Header: Depth=1
                                        ;     Child Loop BB100_18 Depth 2
                                        ;     Child Loop BB100_33 Depth 2
	;; [unrolled: 1-line block ×16, first 2 shown]
	ds_read_b128 v[10:13], v3 offset:5120
	s_waitcnt lgkmcnt(0)
	v_readfirstlane_b32 s55, v11
	v_readfirstlane_b32 s54, v10
	s_cmp_lg_u64 s[54:55], 0
	s_cbranch_scc1 .LBB100_40
; %bb.11:                               ;   in Loop: Header=BB100_10 Depth=1
	v_readlane_b32 s0, v56, 12
	v_readlane_b32 s1, v56, 13
	s_and_b64 vcc, exec, s[0:1]
	s_cbranch_vccz .LBB100_26
; %bb.12:                               ;   in Loop: Header=BB100_10 Depth=1
	s_mov_b64 s[0:1], 0x181
	v_cmp_gt_u64_e32 vcc, s[0:1], v[12:13]
	s_mov_b64 s[54:55], 0
	s_mov_b64 s[0:1], 0
	s_cbranch_vccz .LBB100_27
; %bb.13:                               ;   in Loop: Header=BB100_10 Depth=1
	v_pk_mov_b32 v[6:7], 0, 0
	s_and_saveexec_b64 s[0:1], s[78:79]
	s_cbranch_execz .LBB100_15
; %bb.14:                               ;   in Loop: Header=BB100_10 Depth=1
	global_load_dwordx2 v[6:7], v[18:19], off
.LBB100_15:                             ;   in Loop: Header=BB100_10 Depth=1
	s_or_b64 exec, exec, s[0:1]
	s_and_saveexec_b64 s[0:1], s[78:79]
	s_cbranch_execz .LBB100_103
; %bb.16:                               ;   in Loop: Header=BB100_10 Depth=1
	global_load_ushort v2, v3, s[46:47]
	v_readlane_b32 s10, v56, 22
	v_pk_mov_b32 v[10:11], s[76:77], s[76:77] op_sel:[0,1]
	v_readlane_b32 s11, v56, 23
	s_mov_b64 s[2:3], 0
	s_waitcnt vmcnt(0)
	v_readfirstlane_b32 s6, v2
	s_and_b32 s6, 0xffff, s6
	v_add_u32_e32 v5, s6, v0
	s_mul_i32 s8, s11, s6
	s_mul_hi_u32 s9, s10, s6
	s_mul_i32 s16, s10, s6
	v_mad_u64_u32 v[10:11], s[6:7], s10, v5, v[10:11]
	v_mov_b32_e32 v12, v11
	v_mad_u64_u32 v[12:13], s[6:7], s11, v5, v[12:13]
	s_add_i32 s17, s9, s8
	v_mov_b32_e32 v11, v12
	v_pk_mov_b32 v[12:13], v[0:1], v[0:1] op_sel:[0,1]
	s_branch .LBB100_18
.LBB100_17:                             ;   in Loop: Header=BB100_18 Depth=2
	s_or_b64 exec, exec, s[6:7]
	s_waitcnt lgkmcnt(0)
	v_mov_b32_e32 v5, s17
	v_add_co_u32_e32 v10, vcc, s16, v10
	v_addc_co_u32_e32 v11, vcc, v11, v5, vcc
	s_waitcnt vmcnt(0)
	v_pk_mov_b32 v[6:7], v[14:15], v[14:15] op_sel:[0,1]
	s_andn2_b64 exec, exec, s[2:3]
	s_cbranch_execz .LBB100_103
.LBB100_18:                             ;   Parent Loop BB100_10 Depth=1
                                        ; =>  This Inner Loop Header: Depth=2
	v_add_co_u32_sdwa v12, vcc, v12, v2 dst_sel:DWORD dst_unused:UNUSED_PAD src0_sel:DWORD src1_sel:WORD_0
	v_addc_co_u32_e32 v13, vcc, 0, v13, vcc
	v_cmp_gt_u64_e64 s[6:7], s[52:53], v[12:13]
	v_cmp_le_u64_e32 vcc, s[52:53], v[12:13]
	v_pk_mov_b32 v[14:15], 0, 0
	s_and_saveexec_b64 s[8:9], s[6:7]
	s_cbranch_execz .LBB100_20
; %bb.19:                               ;   in Loop: Header=BB100_18 Depth=2
	global_load_dwordx2 v[14:15], v[10:11], off
.LBB100_20:                             ;   in Loop: Header=BB100_18 Depth=2
	s_or_b64 exec, exec, s[8:9]
	v_xor_b32_e32 v5, 0x80000000, v7
	v_and_b32_e32 v17, s83, v5
	v_and_b32_e32 v16, s82, v6
	v_cmp_eq_u64_e64 s[10:11], s[84:85], v[16:17]
	s_cmp_lg_u64 s[10:11], 0
	s_cselect_b64 s[6:7], -1, 0
	s_and_b64 s[6:7], s[4:5], s[6:7]
	v_mov_b32_e32 v5, 0
	s_and_saveexec_b64 s[8:9], s[6:7]
	s_cbranch_execz .LBB100_24
; %bb.21:                               ;   in Loop: Header=BB100_18 Depth=2
	s_mov_b64 s[14:15], exec
	v_mbcnt_lo_u32_b32 v5, s14, 0
	v_mbcnt_hi_u32_b32 v5, s15, v5
	s_bcnt1_i32_b64 s18, s[10:11]
	v_cmp_eq_u32_e64 s[6:7], 0, v5
                                        ; implicit-def: $vgpr16
	s_and_saveexec_b64 s[12:13], s[6:7]
	s_cbranch_execz .LBB100_23
; %bb.22:                               ;   in Loop: Header=BB100_18 Depth=2
	s_bcnt1_i32_b64 s6, s[14:15]
	s_mul_i32 s6, s18, s6
	v_mov_b32_e32 v16, s6
	ds_add_rtn_u32 v16, v3, v16 offset:5144
.LBB100_23:                             ;   in Loop: Header=BB100_18 Depth=2
	s_or_b64 exec, exec, s[12:13]
	s_waitcnt lgkmcnt(0)
	v_readfirstlane_b32 s6, v16
	v_mov_b32_e32 v16, s6
	v_mad_u32_u24 v5, s18, v5, v16
.LBB100_24:                             ;   in Loop: Header=BB100_18 Depth=2
	s_or_b64 exec, exec, s[8:9]
	ds_bpermute_b32 v5, v42, v5
	s_and_b64 s[6:7], exec, vcc
	s_or_b64 s[2:3], s[6:7], s[2:3]
	s_and_saveexec_b64 s[6:7], s[10:11]
	s_cbranch_execz .LBB100_17
; %bb.25:                               ;   in Loop: Header=BB100_18 Depth=2
	v_and_b32_e32 v17, s10, v22
	v_and_b32_e32 v16, s11, v23
	v_bcnt_u32_b32 v17, v17, 0
	v_bcnt_u32_b32 v16, v16, v17
	v_lshlrev_b32_e32 v16, 3, v16
	s_waitcnt lgkmcnt(0)
	v_lshl_add_u32 v5, v5, 3, v16
	ds_write_b64 v5, v[6:7]
	s_branch .LBB100_17
.LBB100_26:                             ;   in Loop: Header=BB100_10 Depth=1
	s_mov_b64 s[54:55], -1
	s_mov_b64 s[0:1], 0
.LBB100_27:                             ;   in Loop: Header=BB100_10 Depth=1
	s_and_b64 vcc, exec, s[54:55]
	s_cbranch_vccz .LBB100_38
.LBB100_28:                             ;   in Loop: Header=BB100_10 Depth=1
	s_waitcnt vmcnt(0)
	v_pk_mov_b32 v[6:7], 0, 0
	s_and_saveexec_b64 s[0:1], s[78:79]
	s_cbranch_execz .LBB100_30
; %bb.29:                               ;   in Loop: Header=BB100_10 Depth=1
	global_load_dwordx2 v[6:7], v[18:19], off
.LBB100_30:                             ;   in Loop: Header=BB100_10 Depth=1
	s_or_b64 exec, exec, s[0:1]
	s_and_saveexec_b64 s[0:1], s[78:79]
	s_cbranch_execz .LBB100_35
; %bb.31:                               ;   in Loop: Header=BB100_10 Depth=1
	global_load_ushort v2, v3, s[46:47]
	v_readlane_b32 s12, v56, 22
	v_pk_mov_b32 v[10:11], s[76:77], s[76:77] op_sel:[0,1]
	v_readlane_b32 s13, v56, 23
	s_mov_b64 s[2:3], 0
	v_mov_b32_e32 v5, v39
	s_waitcnt vmcnt(0)
	v_readfirstlane_b32 s6, v2
	s_and_b32 s6, 0xffff, s6
	v_add_u32_e32 v13, s6, v0
	s_lshl_b32 s10, s6, 3
	s_mul_i32 s8, s13, s6
	s_mul_hi_u32 s9, s12, s6
	s_mul_i32 s11, s12, s6
	v_mad_u64_u32 v[10:11], s[6:7], s12, v13, v[10:11]
	v_mov_b32_e32 v12, v11
	v_mad_u64_u32 v[12:13], s[6:7], s13, v13, v[12:13]
	s_add_i32 s12, s9, s8
	v_mov_b32_e32 v11, v12
	v_pk_mov_b32 v[12:13], v[0:1], v[0:1] op_sel:[0,1]
	s_branch .LBB100_33
.LBB100_32:                             ;   in Loop: Header=BB100_33 Depth=2
	s_or_b64 exec, exec, s[8:9]
	s_and_b64 s[6:7], exec, vcc
	ds_write_b64 v5, v[6:7]
	v_mov_b32_e32 v6, s12
	v_add_co_u32_e32 v10, vcc, s11, v10
	s_or_b64 s[2:3], s[6:7], s[2:3]
	v_add_u32_e32 v5, s10, v5
	v_addc_co_u32_e32 v11, vcc, v11, v6, vcc
	s_waitcnt vmcnt(0)
	v_pk_mov_b32 v[6:7], v[14:15], v[14:15] op_sel:[0,1]
	s_andn2_b64 exec, exec, s[2:3]
	s_cbranch_execz .LBB100_35
.LBB100_33:                             ;   Parent Loop BB100_10 Depth=1
                                        ; =>  This Inner Loop Header: Depth=2
	v_add_co_u32_sdwa v12, vcc, v12, v2 dst_sel:DWORD dst_unused:UNUSED_PAD src0_sel:DWORD src1_sel:WORD_0
	v_addc_co_u32_e32 v13, vcc, 0, v13, vcc
	v_cmp_gt_u64_e64 s[6:7], s[52:53], v[12:13]
	v_cmp_le_u64_e32 vcc, s[52:53], v[12:13]
	v_pk_mov_b32 v[14:15], 0, 0
	s_and_saveexec_b64 s[8:9], s[6:7]
	s_cbranch_execz .LBB100_32
; %bb.34:                               ;   in Loop: Header=BB100_33 Depth=2
	global_load_dwordx2 v[14:15], v[10:11], off
	s_branch .LBB100_32
.LBB100_35:                             ;   in Loop: Header=BB100_10 Depth=1
	s_or_b64 exec, exec, s[0:1]
	s_waitcnt lgkmcnt(0)
	s_barrier
	s_mov_b64 s[0:1], exec
	v_readlane_b32 s2, v56, 0
	v_readlane_b32 s3, v56, 1
	s_and_b64 s[2:3], s[0:1], s[2:3]
	s_mov_b64 exec, s[2:3]
	s_cbranch_execz .LBB100_37
; %bb.36:                               ;   in Loop: Header=BB100_10 Depth=1
	s_waitcnt vmcnt(0)
	v_pk_mov_b32 v[6:7], s[52:53], s[52:53] op_sel:[0,1]
	ds_write_b64 v3, v[6:7] offset:5120
.LBB100_37:                             ;   in Loop: Header=BB100_10 Depth=1
	s_or_b64 exec, exec, s[0:1]
	s_mov_b64 s[0:1], -1
	s_waitcnt lgkmcnt(0)
	s_barrier
                                        ; implicit-def: $sgpr54_sgpr55
.LBB100_38:                             ;   in Loop: Header=BB100_10 Depth=1
	s_and_b64 vcc, exec, s[0:1]
	s_cbranch_vccz .LBB100_40
; %bb.39:                               ;   in Loop: Header=BB100_10 Depth=1
	s_waitcnt vmcnt(0)
	ds_read_b64 v[6:7], v3 offset:5120
	s_waitcnt lgkmcnt(0)
	v_readfirstlane_b32 s54, v6
.LBB100_40:                             ;   in Loop: Header=BB100_10 Depth=1
	s_cmp_lt_i32 s54, 1
	s_cbranch_scc0 .LBB100_55
; %bb.41:                               ;   in Loop: Header=BB100_10 Depth=1
	global_load_ushort v2, v3, s[46:47]
	s_mov_b32 s0, s71
	s_waitcnt vmcnt(0)
	v_readfirstlane_b32 s1, v2
	s_and_b32 s55, s1, 0xffff
	s_lshl_b32 s70, s55, 2
	s_mov_b32 s1, s53
	s_cmp_lg_u64 s[0:1], 0
	s_cbranch_scc0 .LBB100_75
; %bb.42:                               ;   in Loop: Header=BB100_10 Depth=1
	v_cvt_f32_u32_e32 v2, s70
	s_sub_u32 s0, 0, s70
	s_subb_u32 s1, 0, 0
	v_mac_f32_e32 v2, 0, v45
	v_rcp_f32_e32 v2, v2
	v_mul_f32_e32 v2, 0x5f7ffffc, v2
	v_mul_f32_e32 v5, 0x2f800000, v2
	v_trunc_f32_e32 v5, v5
	v_mac_f32_e32 v2, 0xcf800000, v5
	v_cvt_u32_f32_e32 v5, v5
	v_cvt_u32_f32_e32 v2, v2
	v_readfirstlane_b32 s2, v5
	v_readfirstlane_b32 s3, v2
	s_mul_i32 s6, s0, s2
	s_mul_hi_u32 s8, s0, s3
	s_mul_i32 s7, s1, s3
	s_add_i32 s6, s8, s6
	s_mul_i32 s9, s0, s3
	s_add_i32 s6, s6, s7
	s_mul_hi_u32 s8, s3, s9
	s_mul_hi_u32 s7, s3, s6
	s_mul_i32 s3, s3, s6
	s_add_u32 s3, s8, s3
	s_addc_u32 s7, 0, s7
	s_mul_hi_u32 s10, s2, s9
	s_mul_i32 s9, s2, s9
	s_add_u32 s3, s3, s9
	s_mul_hi_u32 s8, s2, s6
	s_addc_u32 s3, s7, s10
	s_addc_u32 s7, s8, 0
	s_mul_i32 s6, s2, s6
	s_add_u32 s3, s3, s6
	s_addc_u32 s6, 0, s7
	v_add_co_u32_e32 v2, vcc, s3, v2
	s_cmp_lg_u64 vcc, 0
	s_addc_u32 s2, s2, s6
	v_readfirstlane_b32 s6, v2
	s_mul_i32 s3, s0, s2
	s_mul_hi_u32 s7, s0, s6
	s_add_i32 s3, s7, s3
	s_mul_i32 s1, s1, s6
	s_add_i32 s3, s3, s1
	s_mul_i32 s0, s0, s6
	s_mul_hi_u32 s7, s2, s0
	s_mul_i32 s8, s2, s0
	s_mul_i32 s10, s6, s3
	s_mul_hi_u32 s0, s6, s0
	s_mul_hi_u32 s9, s6, s3
	s_add_u32 s0, s0, s10
	s_addc_u32 s6, 0, s9
	s_add_u32 s0, s0, s8
	s_mul_hi_u32 s1, s2, s3
	s_addc_u32 s0, s6, s7
	s_addc_u32 s1, s1, 0
	s_mul_i32 s3, s2, s3
	s_add_u32 s0, s0, s3
	s_addc_u32 s1, 0, s1
	v_add_co_u32_e32 v2, vcc, s0, v2
	s_cmp_lg_u64 vcc, 0
	s_addc_u32 s0, s2, s1
	v_readfirstlane_b32 s3, v2
	s_mul_i32 s2, s52, s0
	s_mul_hi_u32 s6, s52, s3
	s_mul_hi_u32 s1, s52, s0
	s_add_u32 s2, s6, s2
	s_addc_u32 s1, 0, s1
	s_mul_hi_u32 s7, s53, s3
	s_mul_i32 s3, s53, s3
	s_add_u32 s2, s2, s3
	s_mul_hi_u32 s6, s53, s0
	s_addc_u32 s1, s1, s7
	s_addc_u32 s2, s6, 0
	s_mul_i32 s0, s53, s0
	s_add_u32 s0, s1, s0
	s_addc_u32 s1, 0, s2
	s_mul_hi_u32 s2, s70, s0
	s_mul_i32 s0, s70, s0
	s_mul_i32 s1, s70, s1
	v_mov_b32_e32 v2, s0
	s_add_i32 s2, s2, s1
	v_sub_co_u32_e32 v2, vcc, s52, v2
	s_cmp_lg_u64 vcc, 0
	s_subb_u32 s0, s53, s2
	v_subrev_co_u32_e32 v5, vcc, s70, v2
	s_cmp_lg_u64 vcc, 0
	s_subb_u32 s1, s0, 0
	v_subrev_co_u32_e32 v6, vcc, s70, v5
	s_cmp_lg_u64 vcc, 0
	s_subb_u32 s2, s1, 0
	v_cmp_le_u32_e32 vcc, s70, v5
	s_cmp_eq_u32 s1, 0
	v_cndmask_b32_e64 v7, 0, -1, vcc
	s_cselect_b64 vcc, -1, 0
	v_cndmask_b32_e32 v7, -1, v7, vcc
	v_mov_b32_e32 v10, s1
	v_mov_b32_e32 v11, s2
	v_cmp_ne_u32_e32 vcc, 0, v7
	v_cndmask_b32_e32 v7, v10, v11, vcc
	v_cndmask_b32_e32 v5, v5, v6, vcc
	v_cmp_le_u32_e32 vcc, s70, v2
	s_cmp_eq_u32 s0, 0
	v_cndmask_b32_e64 v6, 0, -1, vcc
	s_cselect_b64 vcc, -1, 0
	v_cndmask_b32_e32 v6, -1, v6, vcc
	v_mov_b32_e32 v10, s0
	v_cmp_ne_u32_e32 vcc, 0, v6
	v_cndmask_b32_e32 v7, v10, v7, vcc
	v_cndmask_b32_e32 v6, v2, v5, vcc
	s_cbranch_execnz .LBB100_44
.LBB100_43:                             ;   in Loop: Header=BB100_10 Depth=1
	v_cvt_f32_u32_e32 v2, s70
	s_sub_i32 s0, 0, s70
	v_rcp_iflag_f32_e32 v2, v2
	v_mul_f32_e32 v2, 0x4f7ffffe, v2
	v_cvt_u32_f32_e32 v2, v2
	v_mul_lo_u32 v5, s0, v2
	v_mul_hi_u32 v5, v2, v5
	v_add_u32_e32 v2, v2, v5
	v_mul_hi_u32 v2, s52, v2
	v_mul_lo_u32 v2, v2, s70
	v_sub_u32_e32 v2, s52, v2
	v_subrev_u32_e32 v5, s70, v2
	v_cmp_le_u32_e32 vcc, s70, v2
	v_cndmask_b32_e32 v2, v2, v5, vcc
	v_subrev_u32_e32 v5, s70, v2
	v_cmp_le_u32_e32 vcc, s70, v2
	v_cndmask_b32_e32 v2, v2, v5, vcc
	v_pk_mov_b32 v[6:7], v[2:3], v[2:3] op_sel:[0,1]
.LBB100_44:                             ;   in Loop: Header=BB100_10 Depth=1
	v_mov_b32_e32 v2, s53
	v_sub_co_u32_e32 v6, vcc, s52, v6
	v_subb_co_u32_e32 v7, vcc, v2, v7, vcc
	v_pk_mov_b32 v[10:11], 0, 0
	v_cmp_gt_u64_e32 vcc, v[6:7], v[20:21]
	s_mov_b64 s[0:1], 0
	v_pk_mov_b32 v[12:13], v[10:11], v[10:11] op_sel:[0,1]
	v_pk_mov_b32 v[14:15], v[10:11], v[10:11] op_sel:[0,1]
	;; [unrolled: 1-line block ×3, first 2 shown]
	s_and_saveexec_b64 s[8:9], vcc
	s_cbranch_execz .LBB100_48
; %bb.45:                               ;   in Loop: Header=BB100_10 Depth=1
	v_writelane_b32 v56, s36, 35
	v_writelane_b32 v56, s37, 36
	;; [unrolled: 1-line block ×8, first 2 shown]
	v_readlane_b32 s6, v56, 24
	v_readlane_b32 s7, v56, 25
	s_mul_i32 s2, s7, s55
	s_mul_hi_u32 s3, s6, s55
	s_mov_b64 s[64:65], s[50:51]
	s_mov_b64 s[58:59], s[48:49]
	s_mov_b32 s57, s45
	s_mov_b64 s[62:63], s[60:61]
	s_mov_b64 s[60:61], s[74:75]
	;; [unrolled: 1-line block ×4, first 2 shown]
	s_mov_b32 s56, s68
	s_and_b32 s78, s68, 0xfe
	s_add_i32 s73, s3, s2
	s_mul_i32 s79, s6, s55
	s_mov_b64 s[68:69], s[76:77]
	s_mov_b64 s[2:3], 0
	;; [unrolled: 1-line block ×5, first 2 shown]
	v_pk_mov_b32 v[32:33], v[20:21], v[20:21] op_sel:[0,1]
.LBB100_46:                             ;   Parent Loop BB100_10 Depth=1
                                        ; =>  This Inner Loop Header: Depth=2
	v_add_co_u32_e64 v32, s[6:7], s70, v32
	v_addc_co_u32_e64 v33, s[6:7], 0, v33, s[6:7]
	v_mov_b32_e32 v2, s69
	v_add_co_u32_e32 v10, vcc, s68, v28
	v_add_co_u32_e64 v12, s[10:11], s68, v26
	v_add_co_u32_e64 v14, s[12:13], s68, v24
	;; [unrolled: 1-line block ×3, first 2 shown]
	v_addc_co_u32_e64 v47, s[6:7], v2, v31, s[6:7]
	v_addc_co_u32_e32 v11, vcc, v2, v29, vcc
	v_addc_co_u32_e64 v13, vcc, v2, v27, s[10:11]
	v_addc_co_u32_e64 v15, vcc, v2, v25, s[12:13]
	global_load_dwordx2 v[46:47], v[46:47], off
	s_nop 0
	global_load_dwordx2 v[10:11], v[10:11], off
	s_nop 0
	;; [unrolled: 2-line block ×3, first 2 shown]
	global_load_dwordx2 v[14:15], v[14:15], off
	v_mov_b32_e32 v17, v3
	v_mov_b32_e32 v35, v3
	v_mov_b32_e32 v37, v3
	v_cmp_ge_u64_e32 vcc, v[32:33], v[6:7]
	s_waitcnt vmcnt(3)
	v_xor_b32_e32 v47, 0x80000000, v47
	s_waitcnt vmcnt(2)
	v_xor_b32_e32 v11, 0x80000000, v11
	v_and_b32_e32 v48, s82, v46
	v_and_b32_e32 v49, s83, v47
	v_lshrrev_b64 v[46:47], s78, v[46:47]
	s_waitcnt vmcnt(1)
	v_xor_b32_e32 v13, 0x80000000, v13
	v_and_b32_e32 v50, s82, v10
	v_and_b32_e32 v51, s83, v11
	v_lshrrev_b64 v[10:11], s78, v[10:11]
	v_and_b32_e32 v2, 3, v46
	s_waitcnt vmcnt(0)
	v_xor_b32_e32 v15, 0x80000000, v15
	v_and_b32_e32 v52, s82, v12
	v_and_b32_e32 v53, s83, v13
	v_lshrrev_b64 v[12:13], s78, v[12:13]
	v_cmp_eq_u64_e64 s[16:17], s[84:85], v[48:49]
	v_and_b32_e32 v16, 3, v10
	v_cmp_eq_u64_e64 s[6:7], 0, v[2:3]
	v_and_b32_e32 v54, s82, v14
	v_and_b32_e32 v55, s83, v15
	v_lshrrev_b64 v[14:15], s78, v[14:15]
	v_cmp_eq_u64_e64 s[14:15], s[84:85], v[50:51]
	v_and_b32_e32 v34, 3, v12
	v_cmp_eq_u64_e64 s[28:29], 0, v[16:17]
	s_and_b64 s[6:7], s[16:17], s[6:7]
	v_cmp_eq_u64_e64 s[12:13], s[84:85], v[52:53]
	v_and_b32_e32 v36, 3, v14
	v_cmp_eq_u64_e64 s[30:31], 0, v[34:35]
	v_cmp_eq_u64_e64 s[36:37], 1, v[2:3]
	;; [unrolled: 1-line block ×4, first 2 shown]
	v_cndmask_b32_e64 v2, 0, 1, s[6:7]
	s_and_b64 s[6:7], s[14:15], s[28:29]
	v_cmp_eq_u64_e64 s[10:11], s[84:85], v[54:55]
	v_cmp_eq_u64_e64 s[34:35], 0, v[36:37]
	v_cndmask_b32_e64 v5, 0, 1, s[6:7]
	s_and_b64 s[6:7], s[12:13], s[30:31]
	v_cndmask_b32_e64 v10, 0, 1, s[6:7]
	s_and_b64 s[6:7], s[10:11], s[34:35]
	v_cndmask_b32_e64 v11, 0, 1, s[6:7]
	v_cmp_ne_u32_e64 s[6:7], 0, v2
	v_cmp_ne_u32_e64 s[28:29], 0, v5
	v_cmp_ne_u32_e64 s[30:31], 0, v10
	v_cmp_ne_u32_e64 s[34:35], 0, v11
	s_bcnt1_i32_b64 s6, s[6:7]
	s_bcnt1_i32_b64 s7, s[28:29]
	s_bcnt1_i32_b64 s28, s[30:31]
	s_bcnt1_i32_b64 s29, s[34:35]
	s_add_u32 s6, s6, s88
	s_addc_u32 s30, 0, s89
	s_add_u32 s6, s6, s7
	s_addc_u32 s7, s30, 0
	s_add_u32 s6, s6, s28
	s_addc_u32 s7, s7, 0
	s_add_u32 s88, s6, s29
	v_cmp_eq_u64_e64 s[38:39], 1, v[16:17]
	s_addc_u32 s89, s7, 0
	s_and_b64 s[6:7], s[16:17], s[36:37]
	v_cmp_eq_u64_e64 s[40:41], 1, v[34:35]
	v_cndmask_b32_e64 v2, 0, 1, s[6:7]
	s_and_b64 s[6:7], s[14:15], s[38:39]
	v_cmp_eq_u64_e64 s[42:43], 1, v[36:37]
	v_cndmask_b32_e64 v5, 0, 1, s[6:7]
	s_and_b64 s[6:7], s[12:13], s[40:41]
	v_cndmask_b32_e64 v12, 0, 1, s[6:7]
	s_and_b64 s[6:7], s[10:11], s[42:43]
	v_cndmask_b32_e64 v13, 0, 1, s[6:7]
	v_cmp_ne_u32_e64 s[6:7], 0, v2
	v_cmp_ne_u32_e64 s[28:29], 0, v5
	v_cmp_ne_u32_e64 s[30:31], 0, v12
	v_cmp_ne_u32_e64 s[34:35], 0, v13
	s_bcnt1_i32_b64 s6, s[6:7]
	s_bcnt1_i32_b64 s7, s[28:29]
	s_bcnt1_i32_b64 s28, s[30:31]
	s_bcnt1_i32_b64 s29, s[34:35]
	s_add_u32 s6, s6, s86
	s_addc_u32 s30, 0, s87
	s_add_u32 s6, s6, s7
	s_addc_u32 s7, s30, 0
	s_add_u32 s6, s6, s28
	s_addc_u32 s7, s7, 0
	s_add_u32 s86, s6, s29
	v_cmp_eq_u64_e64 s[46:47], 2, v[16:17]
	s_addc_u32 s87, s7, 0
	s_and_b64 s[6:7], s[16:17], s[44:45]
	v_cmp_eq_u64_e64 s[48:49], 2, v[34:35]
	v_cndmask_b32_e64 v2, 0, 1, s[6:7]
	s_and_b64 s[6:7], s[14:15], s[46:47]
	;; [unrolled: 27-line block ×3, first 2 shown]
	v_cmp_eq_u64_e64 s[18:19], 3, v[36:37]
	v_cndmask_b32_e64 v5, 0, 1, s[6:7]
	s_and_b64 s[6:7], s[12:13], s[20:21]
	v_cndmask_b32_e64 v16, 0, 1, s[6:7]
	s_and_b64 s[6:7], s[10:11], s[18:19]
	v_cndmask_b32_e64 v17, 0, 1, s[6:7]
	v_cmp_ne_u32_e64 s[6:7], 0, v2
	v_cmp_ne_u32_e64 s[10:11], 0, v5
	;; [unrolled: 1-line block ×4, first 2 shown]
	s_bcnt1_i32_b64 s6, s[6:7]
	s_bcnt1_i32_b64 s7, s[10:11]
	;; [unrolled: 1-line block ×4, first 2 shown]
	s_add_u32 s2, s6, s2
	s_addc_u32 s3, 0, s3
	s_add_u32 s2, s2, s7
	s_addc_u32 s3, s3, 0
	;; [unrolled: 2-line block ×5, first 2 shown]
	v_pk_mov_b32 v[10:11], s[88:89], s[88:89] op_sel:[0,1]
	v_pk_mov_b32 v[12:13], s[86:87], s[86:87] op_sel:[0,1]
	;; [unrolled: 1-line block ×3, first 2 shown]
	s_or_b64 s[0:1], vcc, s[0:1]
	v_pk_mov_b32 v[16:17], s[2:3], s[2:3] op_sel:[0,1]
	s_andn2_b64 exec, exec, s[0:1]
	s_cbranch_execnz .LBB100_46
; %bb.47:                               ;   in Loop: Header=BB100_10 Depth=1
	s_or_b64 exec, exec, s[0:1]
	v_readlane_b32 s46, v56, 27
	s_mov_b64 s[48:49], s[58:59]
	s_mov_b64 s[50:51], s[64:65]
	v_readlane_b32 s58, v56, 29
	v_readlane_b32 s64, v56, 41
	v_readlane_b32 s38, v56, 39
	v_readlane_b32 s88, v56, 37
	v_readlane_b32 s36, v56, 35
	s_mov_b64 s[78:79], s[4:5]
	s_mov_b64 s[4:5], s[74:75]
	;; [unrolled: 1-line block ×4, first 2 shown]
	s_mov_b32 s45, s57
	v_readlane_b32 s47, v56, 28
	v_readlane_b32 s59, v56, 30
	;; [unrolled: 1-line block ×3, first 2 shown]
	s_mov_b32 s68, s56
	v_readlane_b32 s39, v56, 40
	v_readlane_b32 s89, v56, 38
	;; [unrolled: 1-line block ×5, first 2 shown]
.LBB100_48:                             ;   in Loop: Header=BB100_10 Depth=1
	s_or_b64 exec, exec, s[8:9]
	v_add_co_u32_e32 v6, vcc, v6, v0
	v_addc_co_u32_e32 v7, vcc, 0, v7, vcc
	v_cmp_gt_u64_e32 vcc, s[52:53], v[6:7]
	v_pk_mov_b32 v[32:33], 0, 0
	s_and_saveexec_b64 s[0:1], vcc
	s_cbranch_execz .LBB100_50
; %bb.49:                               ;   in Loop: Header=BB100_10 Depth=1
	v_mul_lo_u32 v2, v7, s58
	v_mul_lo_u32 v5, v6, s59
	v_mad_u64_u32 v[32:33], s[2:3], v6, s58, 0
	v_add3_u32 v33, v33, v5, v2
	v_lshlrev_b64 v[32:33], 3, v[32:33]
	v_mov_b32_e32 v2, s77
	v_add_co_u32_e64 v32, s[6:7], s76, v32
	v_addc_co_u32_e64 v33, s[6:7], v2, v33, s[6:7]
	global_load_dwordx2 v[32:33], v[32:33], off
.LBB100_50:                             ;   in Loop: Header=BB100_10 Depth=1
	s_or_b64 exec, exec, s[0:1]
	s_and_saveexec_b64 s[0:1], vcc
	s_cbranch_execz .LBB100_57
; %bb.51:                               ;   in Loop: Header=BB100_10 Depth=1
	s_and_b32 s10, s68, 0xfe
	s_mov_b64 s[2:3], 0
	s_branch .LBB100_53
.LBB100_52:                             ;   in Loop: Header=BB100_53 Depth=2
	s_or_b64 exec, exec, s[8:9]
	s_waitcnt vmcnt(0)
	v_xor_b32_e32 v33, 0x80000000, v33
	v_and_b32_e32 v37, s83, v33
	v_and_b32_e32 v36, s82, v32
	v_lshrrev_b64 v[32:33], s10, v[32:33]
	s_and_b64 s[6:7], exec, vcc
	v_and_b32_e32 v2, 3, v32
	s_or_b64 s[2:3], s[6:7], s[2:3]
	v_cmp_eq_u64_e32 vcc, s[84:85], v[36:37]
	v_cmp_eq_u64_e64 s[6:7], 0, v[2:3]
	s_and_b64 s[6:7], vcc, s[6:7]
	v_cndmask_b32_e64 v5, 0, 1, s[6:7]
	v_cmp_ne_u32_e64 s[6:7], 0, v5
	s_bcnt1_i32_b64 s6, s[6:7]
	v_add_co_u32_e64 v10, s[6:7], s6, v10
	v_addc_co_u32_e64 v11, s[6:7], 0, v11, s[6:7]
	v_cmp_eq_u64_e64 s[6:7], 1, v[2:3]
	s_and_b64 s[6:7], vcc, s[6:7]
	v_cndmask_b32_e64 v5, 0, 1, s[6:7]
	v_cmp_ne_u32_e64 s[6:7], 0, v5
	s_bcnt1_i32_b64 s6, s[6:7]
	v_add_co_u32_e64 v12, s[6:7], s6, v12
	v_addc_co_u32_e64 v13, s[6:7], 0, v13, s[6:7]
	;; [unrolled: 7-line block ×3, first 2 shown]
	v_cmp_eq_u64_e64 s[6:7], 3, v[2:3]
	s_and_b64 s[6:7], vcc, s[6:7]
	v_cndmask_b32_e64 v2, 0, 1, s[6:7]
	v_cmp_ne_u32_e32 vcc, 0, v2
	s_bcnt1_i32_b64 s6, vcc
	v_add_co_u32_e32 v16, vcc, s6, v16
	v_addc_co_u32_e32 v17, vcc, 0, v17, vcc
	v_pk_mov_b32 v[32:33], v[34:35], v[34:35] op_sel:[0,1]
	s_andn2_b64 exec, exec, s[2:3]
	s_cbranch_execz .LBB100_56
.LBB100_53:                             ;   Parent Loop BB100_10 Depth=1
                                        ; =>  This Inner Loop Header: Depth=2
	v_mov_b32_e32 v2, s71
	v_add_co_u32_e32 v6, vcc, s55, v6
	v_addc_co_u32_e32 v7, vcc, v7, v2, vcc
	v_cmp_gt_u64_e64 s[6:7], s[52:53], v[6:7]
	v_cmp_le_u64_e32 vcc, s[52:53], v[6:7]
	v_pk_mov_b32 v[34:35], 0, 0
	s_and_saveexec_b64 s[8:9], s[6:7]
	s_cbranch_execz .LBB100_52
; %bb.54:                               ;   in Loop: Header=BB100_53 Depth=2
	v_mul_lo_u32 v2, v7, s58
	v_mul_lo_u32 v5, v6, s59
	v_mad_u64_u32 v[34:35], s[6:7], v6, s58, 0
	v_add3_u32 v35, v35, v5, v2
	v_lshlrev_b64 v[34:35], 3, v[34:35]
	v_mov_b32_e32 v2, s77
	v_add_co_u32_e64 v34, s[6:7], s76, v34
	v_addc_co_u32_e64 v35, s[6:7], v2, v35, s[6:7]
	global_load_dwordx2 v[34:35], v[34:35], off
	s_branch .LBB100_52
.LBB100_55:                             ;   in Loop: Header=BB100_10 Depth=1
                                        ; implicit-def: $vgpr16_vgpr17
                                        ; implicit-def: $vgpr12_vgpr13
	s_cbranch_execnz .LBB100_58
	s_branch .LBB100_67
.LBB100_56:                             ;   in Loop: Header=BB100_10 Depth=1
	s_or_b64 exec, exec, s[2:3]
.LBB100_57:                             ;   in Loop: Header=BB100_10 Depth=1
	s_or_b64 exec, exec, s[0:1]
	s_branch .LBB100_67
.LBB100_58:                             ;   in Loop: Header=BB100_10 Depth=1
	global_load_ushort v2, v3, s[46:47]
	v_pk_mov_b32 v[10:11], 0, 0
	v_pk_mov_b32 v[12:13], v[10:11], v[10:11] op_sel:[0,1]
	v_pk_mov_b32 v[14:15], v[10:11], v[10:11] op_sel:[0,1]
	;; [unrolled: 1-line block ×3, first 2 shown]
	s_waitcnt vmcnt(0)
	v_readfirstlane_b32 s0, v2
	s_and_b32 s0, 0xffff, s0
	s_lshl_b32 s55, s0, 2
	v_cvt_f32_u32_e32 v5, s55
	s_sub_i32 s2, 0, s55
	s_mov_b64 s[0:1], 0
	v_rcp_iflag_f32_e32 v5, v5
	v_mul_f32_e32 v5, 0x4f7ffffe, v5
	v_cvt_u32_f32_e32 v6, v5
	v_and_b32_e32 v5, 0xffff, v2
	v_readfirstlane_b32 s3, v6
	s_mul_i32 s2, s2, s3
	s_mul_hi_u32 s2, s3, s2
	s_add_i32 s3, s3, s2
	s_mul_hi_u32 s2, s54, s3
	s_mul_i32 s2, s2, s55
	s_sub_i32 s2, s54, s2
	s_sub_i32 s3, s2, s55
	s_cmp_ge_u32 s2, s55
	s_cselect_b32 s2, s3, s2
	s_sub_i32 s3, s2, s55
	s_cmp_ge_u32 s2, s55
	s_cselect_b32 s2, s3, s2
	s_sub_i32 s70, s54, s2
	v_cmp_gt_u32_e32 vcc, s70, v20
	s_and_saveexec_b64 s[2:3], vcc
	s_cbranch_execz .LBB100_62
; %bb.59:                               ;   in Loop: Header=BB100_10 Depth=1
	s_mov_b64 s[80:81], s[92:93]
	s_mov_b64 s[62:63], s[4:5]
	;; [unrolled: 1-line block ×10, first 2 shown]
	s_mov_b32 s57, s45
	s_mov_b32 s56, s68
	s_and_b32 s73, s68, 0xfe
	v_lshlrev_b32_e32 v46, 5, v5
	v_mov_b32_e32 v47, v43
	s_mov_b64 s[8:9], 0
	s_mov_b64 s[26:27], 0
	;; [unrolled: 1-line block ×4, first 2 shown]
	v_pk_mov_b32 v[6:7], v[20:21], v[20:21] op_sel:[0,1]
.LBB100_60:                             ;   Parent Loop BB100_10 Depth=1
                                        ; =>  This Inner Loop Header: Depth=2
	ds_read_b128 v[14:17], v47
	ds_read_b128 v[10:13], v47 offset:16
	v_mov_b32_e32 v33, v3
	v_mov_b32_e32 v35, v3
	;; [unrolled: 1-line block ×3, first 2 shown]
	s_waitcnt lgkmcnt(1)
	v_xor_b32_e32 v15, 0x80000000, v15
	v_xor_b32_e32 v17, 0x80000000, v17
	v_and_b32_e32 v48, s82, v14
	v_and_b32_e32 v49, s83, v15
	v_lshrrev_b64 v[14:15], s73, v[14:15]
	s_waitcnt lgkmcnt(0)
	v_xor_b32_e32 v11, 0x80000000, v11
	v_and_b32_e32 v50, s82, v16
	v_and_b32_e32 v51, s83, v17
	v_lshrrev_b64 v[16:17], s73, v[16:17]
	v_and_b32_e32 v2, 3, v14
	v_xor_b32_e32 v13, 0x80000000, v13
	v_and_b32_e32 v52, s82, v10
	v_and_b32_e32 v53, s83, v11
	v_lshrrev_b64 v[10:11], s73, v[10:11]
	v_cmp_eq_u64_e64 s[16:17], s[84:85], v[48:49]
	v_and_b32_e32 v32, 3, v16
	v_cmp_eq_u64_e64 s[6:7], 0, v[2:3]
	v_and_b32_e32 v54, s82, v12
	v_and_b32_e32 v55, s83, v13
	v_lshrrev_b64 v[12:13], s73, v[12:13]
	v_cmp_eq_u64_e64 s[14:15], s[84:85], v[50:51]
	v_and_b32_e32 v34, 3, v10
	v_cmp_eq_u64_e64 s[28:29], 0, v[32:33]
	s_and_b64 s[6:7], s[16:17], s[6:7]
	v_cmp_eq_u64_e64 s[12:13], s[84:85], v[52:53]
	v_and_b32_e32 v36, 3, v12
	v_cmp_eq_u64_e64 s[30:31], 0, v[34:35]
	v_cmp_eq_u64_e64 s[36:37], 1, v[2:3]
	;; [unrolled: 1-line block ×4, first 2 shown]
	v_cndmask_b32_e64 v2, 0, 1, s[6:7]
	s_and_b64 s[6:7], s[14:15], s[28:29]
	v_cmp_eq_u64_e64 s[10:11], s[84:85], v[54:55]
	v_cmp_eq_u64_e64 s[34:35], 0, v[36:37]
	v_cndmask_b32_e64 v10, 0, 1, s[6:7]
	s_and_b64 s[6:7], s[12:13], s[30:31]
	v_cndmask_b32_e64 v11, 0, 1, s[6:7]
	s_and_b64 s[6:7], s[10:11], s[34:35]
	v_cndmask_b32_e64 v12, 0, 1, s[6:7]
	v_cmp_ne_u32_e64 s[6:7], 0, v2
	v_cmp_ne_u32_e64 s[28:29], 0, v10
	v_cmp_ne_u32_e64 s[30:31], 0, v11
	v_cmp_ne_u32_e64 s[34:35], 0, v12
	s_bcnt1_i32_b64 s6, s[6:7]
	s_bcnt1_i32_b64 s7, s[28:29]
	s_bcnt1_i32_b64 s28, s[30:31]
	s_bcnt1_i32_b64 s29, s[34:35]
	s_add_u32 s6, s6, s86
	s_addc_u32 s30, 0, s87
	s_add_u32 s6, s6, s7
	s_addc_u32 s7, s30, 0
	s_add_u32 s6, s6, s28
	s_addc_u32 s7, s7, 0
	s_add_u32 s86, s6, s29
	v_cmp_eq_u64_e64 s[38:39], 1, v[32:33]
	s_addc_u32 s87, s7, 0
	s_and_b64 s[6:7], s[16:17], s[36:37]
	v_cmp_eq_u64_e64 s[40:41], 1, v[34:35]
	v_cndmask_b32_e64 v2, 0, 1, s[6:7]
	s_and_b64 s[6:7], s[14:15], s[38:39]
	v_cmp_eq_u64_e64 s[42:43], 1, v[36:37]
	v_cndmask_b32_e64 v12, 0, 1, s[6:7]
	s_and_b64 s[6:7], s[12:13], s[40:41]
	v_cndmask_b32_e64 v13, 0, 1, s[6:7]
	s_and_b64 s[6:7], s[10:11], s[42:43]
	v_cndmask_b32_e64 v14, 0, 1, s[6:7]
	v_cmp_ne_u32_e64 s[6:7], 0, v2
	v_cmp_ne_u32_e64 s[28:29], 0, v12
	v_cmp_ne_u32_e64 s[30:31], 0, v13
	v_cmp_ne_u32_e64 s[34:35], 0, v14
	s_bcnt1_i32_b64 s6, s[6:7]
	s_bcnt1_i32_b64 s7, s[28:29]
	s_bcnt1_i32_b64 s28, s[30:31]
	s_bcnt1_i32_b64 s29, s[34:35]
	s_add_u32 s6, s6, s68
	s_addc_u32 s30, 0, s69
	s_add_u32 s6, s6, s7
	s_addc_u32 s7, s30, 0
	s_add_u32 s6, s6, s28
	s_addc_u32 s7, s7, 0
	s_add_u32 s68, s6, s29
	v_cmp_eq_u64_e64 s[46:47], 2, v[32:33]
	s_addc_u32 s69, s7, 0
	s_and_b64 s[6:7], s[16:17], s[44:45]
	v_cmp_eq_u64_e64 s[48:49], 2, v[34:35]
	v_cndmask_b32_e64 v2, 0, 1, s[6:7]
	s_and_b64 s[6:7], s[14:15], s[46:47]
	;; [unrolled: 27-line block ×3, first 2 shown]
	v_cmp_eq_u64_e64 s[18:19], 3, v[36:37]
	v_cndmask_b32_e64 v16, 0, 1, s[6:7]
	s_and_b64 s[6:7], s[12:13], s[20:21]
	v_cndmask_b32_e64 v17, 0, 1, s[6:7]
	s_and_b64 s[6:7], s[10:11], s[18:19]
	v_cndmask_b32_e64 v32, 0, 1, s[6:7]
	v_cmp_ne_u32_e64 s[6:7], 0, v2
	v_cmp_ne_u32_e64 s[10:11], 0, v16
	;; [unrolled: 1-line block ×4, first 2 shown]
	s_bcnt1_i32_b64 s6, s[6:7]
	s_bcnt1_i32_b64 s7, s[10:11]
	;; [unrolled: 1-line block ×4, first 2 shown]
	s_add_u32 s6, s6, s8
	s_addc_u32 s8, 0, s9
	s_add_u32 s6, s6, s7
	s_addc_u32 s7, s8, 0
	s_add_u32 s6, s6, s10
	v_add_co_u32_e32 v6, vcc, s55, v6
	s_addc_u32 s7, s7, 0
	v_addc_co_u32_e32 v7, vcc, 0, v7, vcc
	s_add_u32 s8, s6, s11
	v_cmp_le_u64_e32 vcc, s[70:71], v[6:7]
	s_addc_u32 s9, s7, 0
	v_add_u32_e32 v47, v47, v46
	v_pk_mov_b32 v[10:11], s[86:87], s[86:87] op_sel:[0,1]
	v_pk_mov_b32 v[12:13], s[68:69], s[68:69] op_sel:[0,1]
	;; [unrolled: 1-line block ×3, first 2 shown]
	s_or_b64 s[0:1], vcc, s[0:1]
	v_pk_mov_b32 v[16:17], s[8:9], s[8:9] op_sel:[0,1]
	s_andn2_b64 exec, exec, s[0:1]
	s_cbranch_execnz .LBB100_60
; %bb.61:                               ;   in Loop: Header=BB100_10 Depth=1
	s_or_b64 exec, exec, s[0:1]
	v_readlane_b32 s46, v56, 27
	s_mov_b64 s[48:49], s[58:59]
	v_readlane_b32 s58, v56, 29
	s_mov_b64 s[38:39], s[94:95]
	v_readlane_b32 s94, v56, 33
	s_mov_b32 s45, s57
	v_readlane_b32 s47, v56, 28
	s_mov_b64 s[50:51], s[64:65]
	v_readlane_b32 s59, v56, 30
	s_mov_b64 s[64:65], s[92:93]
	s_mov_b32 s68, s56
	s_mov_b64 s[36:37], s[78:79]
	s_mov_b64 s[78:79], s[60:61]
	;; [unrolled: 1-line block ×6, first 2 shown]
	v_readlane_b32 s29, v56, 31
	v_readlane_b32 s34, v56, 32
	;; [unrolled: 1-line block ×3, first 2 shown]
.LBB100_62:                             ;   in Loop: Header=BB100_10 Depth=1
	s_or_b64 exec, exec, s[2:3]
	v_add_u32_e32 v2, s70, v0
	v_cmp_gt_u32_e32 vcc, s54, v2
	s_and_saveexec_b64 s[0:1], vcc
	s_cbranch_execz .LBB100_66
; %bb.63:                               ;   in Loop: Header=BB100_10 Depth=1
	s_and_b32 s70, s54, 0x7fffffff
	s_and_b32 s8, s68, 0xfe
	v_lshlrev_b32_e32 v32, 3, v2
	v_lshlrev_b32_e32 v33, 3, v5
	s_mov_b64 s[2:3], 0
	v_pk_mov_b32 v[6:7], v[2:3], v[2:3] op_sel:[0,1]
.LBB100_64:                             ;   Parent Loop BB100_10 Depth=1
                                        ; =>  This Inner Loop Header: Depth=2
	ds_read_b64 v[34:35], v32
	v_add_co_u32_e32 v6, vcc, v6, v5
	v_addc_co_u32_e32 v7, vcc, 0, v7, vcc
	s_waitcnt lgkmcnt(0)
	v_xor_b32_e32 v35, 0x80000000, v35
	v_and_b32_e32 v36, s82, v34
	v_and_b32_e32 v37, s83, v35
	v_lshrrev_b64 v[34:35], s8, v[34:35]
	v_and_b32_e32 v2, 3, v34
	v_cmp_eq_u64_e64 s[6:7], s[84:85], v[36:37]
	v_cmp_eq_u64_e64 s[10:11], 0, v[2:3]
	;; [unrolled: 1-line block ×3, first 2 shown]
	s_and_b64 s[10:11], s[6:7], s[10:11]
	v_cmp_eq_u64_e64 s[14:15], 2, v[2:3]
	v_cmp_eq_u64_e64 s[16:17], 3, v[2:3]
	v_cndmask_b32_e64 v2, 0, 1, s[10:11]
	s_and_b64 s[10:11], s[6:7], s[12:13]
	v_cndmask_b32_e64 v34, 0, 1, s[10:11]
	s_and_b64 s[10:11], s[6:7], s[14:15]
	s_and_b64 s[6:7], s[6:7], s[16:17]
	v_cndmask_b32_e64 v36, 0, 1, s[6:7]
	v_cmp_ne_u32_e64 s[6:7], 0, v2
	s_bcnt1_i32_b64 s6, s[6:7]
	v_cndmask_b32_e64 v35, 0, 1, s[10:11]
	v_cmp_ne_u32_e64 s[10:11], 0, v34
	v_add_co_u32_e64 v10, s[6:7], s6, v10
	s_bcnt1_i32_b64 s9, s[10:11]
	v_addc_co_u32_e64 v11, s[6:7], 0, v11, s[6:7]
	v_cmp_ne_u32_e64 s[12:13], 0, v35
	v_cmp_ne_u32_e64 s[14:15], 0, v36
	v_add_co_u32_e64 v12, s[6:7], s9, v12
	v_cmp_le_u64_e32 vcc, s[70:71], v[6:7]
	s_bcnt1_i32_b64 s10, s[12:13]
	s_bcnt1_i32_b64 s11, s[14:15]
	v_addc_co_u32_e64 v13, s[6:7], 0, v13, s[6:7]
	v_add_co_u32_e64 v14, s[6:7], s10, v14
	s_or_b64 s[2:3], vcc, s[2:3]
	v_add_co_u32_e32 v16, vcc, s11, v16
	v_add_u32_e32 v32, v32, v33
	v_addc_co_u32_e64 v15, s[6:7], 0, v15, s[6:7]
	v_addc_co_u32_e32 v17, vcc, 0, v17, vcc
	s_andn2_b64 exec, exec, s[2:3]
	s_cbranch_execnz .LBB100_64
; %bb.65:                               ;   in Loop: Header=BB100_10 Depth=1
	s_or_b64 exec, exec, s[2:3]
.LBB100_66:                             ;   in Loop: Header=BB100_10 Depth=1
	s_or_b64 exec, exec, s[0:1]
.LBB100_67:                             ;   in Loop: Header=BB100_10 Depth=1
	v_readlane_b32 s0, v56, 26
	s_lshl_b32 s2, s0, 6
	s_and_saveexec_b64 s[0:1], s[4:5]
	s_cbranch_execz .LBB100_69
; %bb.68:                               ;   in Loop: Header=BB100_10 Depth=1
	v_or_b32_e32 v2, s2, v41
	v_lshlrev_b32_e32 v2, 3, v2
	ds_write_b128 v2, v[10:13] offset:3072
	ds_write_b128 v2, v[14:17] offset:3088
.LBB100_69:                             ;   in Loop: Header=BB100_10 Depth=1
	s_or_b64 exec, exec, s[0:1]
	s_waitcnt lgkmcnt(0)
	s_barrier
	s_and_saveexec_b64 s[0:1], s[74:75]
	s_cbranch_execz .LBB100_81
; %bb.70:                               ;   in Loop: Header=BB100_10 Depth=1
	s_andn2_b64 vcc, exec, s[94:95]
	s_waitcnt vmcnt(0)
	v_pk_mov_b32 v[6:7], 0, 0
	s_cbranch_vccnz .LBB100_80
; %bb.71:                               ;   in Loop: Header=BB100_10 Depth=1
	v_readlane_b32 s6, v56, 17
	v_readlane_b32 s7, v56, 18
	s_andn2_b64 vcc, exec, s[6:7]
	s_cbranch_vccnz .LBB100_76
; %bb.72:                               ;   in Loop: Header=BB100_10 Depth=1
	v_readlane_b32 s3, v56, 26
	v_lshl_add_u32 v2, s3, 9, v44
	s_mov_b32 s3, 0
	v_pk_mov_b32 v[6:7], 0, 0
.LBB100_73:                             ;   Parent Loop BB100_10 Depth=1
                                        ; =>  This Inner Loop Header: Depth=2
	ds_read2_b64 v[10:13], v2 offset1:4
	ds_read2_b64 v[14:17], v2 offset0:8 offset1:12
	ds_read2_b64 v[32:35], v2 offset0:16 offset1:20
	;; [unrolled: 1-line block ×3, first 2 shown]
	s_add_i32 s3, s3, 8
	s_waitcnt lgkmcnt(3)
	v_add_co_u32_e32 v5, vcc, v10, v6
	v_addc_co_u32_e32 v6, vcc, v11, v7, vcc
	v_add_co_u32_e32 v5, vcc, v12, v5
	v_addc_co_u32_e32 v6, vcc, v13, v6, vcc
	s_waitcnt lgkmcnt(2)
	v_add_co_u32_e32 v5, vcc, v14, v5
	v_addc_co_u32_e32 v6, vcc, v15, v6, vcc
	v_add_co_u32_e32 v5, vcc, v16, v5
	v_addc_co_u32_e32 v6, vcc, v17, v6, vcc
	;; [unrolled: 5-line block ×3, first 2 shown]
	s_waitcnt lgkmcnt(0)
	v_add_co_u32_e32 v5, vcc, v46, v5
	v_addc_co_u32_e32 v7, vcc, v47, v6, vcc
	v_add_co_u32_e32 v6, vcc, v48, v5
	v_add_u32_e32 v2, 0x100, v2
	s_cmp_eq_u32 s29, s3
	v_addc_co_u32_e32 v7, vcc, v49, v7, vcc
	s_cbranch_scc0 .LBB100_73
; %bb.74:                               ;   in Loop: Header=BB100_10 Depth=1
	s_mov_b32 s3, s29
	s_branch .LBB100_77
.LBB100_75:                             ;   in Loop: Header=BB100_10 Depth=1
                                        ; implicit-def: $vgpr6_vgpr7
	s_branch .LBB100_43
.LBB100_76:                             ;   in Loop: Header=BB100_10 Depth=1
	s_mov_b32 s3, 0
	v_pk_mov_b32 v[6:7], 0, 0
.LBB100_77:                             ;   in Loop: Header=BB100_10 Depth=1
	v_readlane_b32 s6, v56, 20
	v_readlane_b32 s7, v56, 21
	s_andn2_b64 vcc, exec, s[6:7]
	s_cbranch_vccnz .LBB100_80
; %bb.78:                               ;   in Loop: Header=BB100_10 Depth=1
	v_readlane_b32 s6, v56, 26
	s_lshl_b32 s6, s6, 9
	s_lshl_b32 s3, s3, 5
	s_add_i32 s6, s6, s3
	v_add_u32_e32 v2, s6, v44
	v_readlane_b32 s3, v56, 19
.LBB100_79:                             ;   Parent Loop BB100_10 Depth=1
                                        ; =>  This Inner Loop Header: Depth=2
	ds_read_b64 v[10:11], v2
	s_add_i32 s3, s3, -1
	v_add_u32_e32 v2, 32, v2
	s_cmp_lg_u32 s3, 0
	s_waitcnt lgkmcnt(0)
	v_add_co_u32_e32 v6, vcc, v10, v6
	v_addc_co_u32_e32 v7, vcc, v11, v7, vcc
	s_cbranch_scc1 .LBB100_79
.LBB100_80:                             ;   in Loop: Header=BB100_10 Depth=1
	v_add_lshl_u32 v2, s2, v38, 3
	ds_write_b64 v2, v[6:7] offset:3072
.LBB100_81:                             ;   in Loop: Header=BB100_10 Depth=1
	s_or_b64 exec, exec, s[0:1]
	s_lshl_b32 s0, s2, 3
	v_mov_b32_e32 v2, s0
	s_waitcnt lgkmcnt(0)
	s_barrier
	ds_read_b128 v[10:13], v2 offset:3072
	ds_read_b128 v[14:17], v2 offset:3088
	s_and_b32 s42, s68, 0xfe
	s_lshl_b64 s[10:11], 3, s42
	s_not_b64 s[18:19], s[10:11]
	s_waitcnt lgkmcnt(1)
	v_readfirstlane_b32 s15, v11
	v_readfirstlane_b32 s14, v10
	s_cmp_eq_u64 s[14:15], 1
	s_cselect_b64 s[0:1], -1, 0
	s_cmp_eq_u64 s[92:93], 1
	s_cselect_b64 s[2:3], -1, 0
	s_and_b64 s[22:23], s[0:1], s[2:3]
	v_readfirstlane_b32 s30, v12
	v_readfirstlane_b32 s31, v13
	s_waitcnt lgkmcnt(0)
	v_readfirstlane_b32 s16, v14
	v_readfirstlane_b32 s17, v15
	;; [unrolled: 1-line block ×4, first 2 shown]
	s_mov_b64 s[20:21], -1
	s_and_b64 vcc, exec, s[22:23]
	s_cbranch_vccz .LBB100_96
; %bb.82:                               ;   in Loop: Header=BB100_10 Depth=1
	s_waitcnt vmcnt(0)
	ds_read_b64 v[6:7], v3 offset:5120
	s_waitcnt lgkmcnt(0)
	s_barrier
	v_readfirstlane_b32 s0, v6
	v_readfirstlane_b32 s1, v7
	s_and_saveexec_b64 s[2:3], s[60:61]
	s_cbranch_execz .LBB100_84
; %bb.83:                               ;   in Loop: Header=BB100_10 Depth=1
	v_mov_b32_e32 v2, v3
	ds_write_b64 v40, v[2:3]
.LBB100_84:                             ;   in Loop: Header=BB100_10 Depth=1
	s_or_b64 exec, exec, s[2:3]
	s_and_b64 s[84:85], s[84:85], s[18:19]
	s_or_b64 s[82:83], s[82:83], s[10:11]
	s_cmp_eq_u64 s[0:1], 0
	s_waitcnt lgkmcnt(0)
	s_barrier
	s_cbranch_scc1 .LBB100_97
; %bb.85:                               ;   in Loop: Header=BB100_10 Depth=1
	v_readlane_b32 s2, v56, 14
	s_add_u32 s12, s2, s0
	v_readlane_b32 s2, v56, 16
	s_addc_u32 s3, s2, s1
	s_mov_b32 s2, s71
	s_cmp_lg_u64 s[2:3], 0
	s_cbranch_scc0 .LBB100_102
; %bb.86:                               ;   in Loop: Header=BB100_10 Depth=1
	v_cvt_f32_u32_e32 v2, s33
	s_sub_u32 s2, 0, s33
	s_subb_u32 s8, 0, 0
	v_mac_f32_e32 v2, 0, v45
	v_rcp_f32_e32 v2, v2
	v_mul_f32_e32 v2, 0x5f7ffffc, v2
	v_mul_f32_e32 v5, 0x2f800000, v2
	v_trunc_f32_e32 v5, v5
	v_mac_f32_e32 v2, 0xcf800000, v5
	v_cvt_u32_f32_e32 v5, v5
	v_cvt_u32_f32_e32 v2, v2
	v_readfirstlane_b32 s9, v5
	v_readfirstlane_b32 s13, v2
	s_mul_i32 s24, s2, s9
	s_mul_hi_u32 s26, s2, s13
	s_mul_i32 s25, s8, s13
	s_add_i32 s24, s26, s24
	s_mul_i32 s27, s2, s13
	s_add_i32 s24, s24, s25
	s_mul_hi_u32 s26, s13, s27
	s_mul_hi_u32 s25, s13, s24
	s_mul_i32 s13, s13, s24
	s_add_u32 s13, s26, s13
	s_addc_u32 s25, 0, s25
	s_mul_hi_u32 s28, s9, s27
	s_mul_i32 s27, s9, s27
	s_add_u32 s13, s13, s27
	s_mul_hi_u32 s26, s9, s24
	s_addc_u32 s13, s25, s28
	s_addc_u32 s25, s26, 0
	s_mul_i32 s24, s9, s24
	s_add_u32 s13, s13, s24
	s_addc_u32 s24, 0, s25
	v_add_co_u32_e32 v2, vcc, s13, v2
	s_cmp_lg_u64 vcc, 0
	s_addc_u32 s9, s9, s24
	v_readfirstlane_b32 s24, v2
	s_mul_i32 s13, s2, s9
	s_mul_hi_u32 s25, s2, s24
	s_add_i32 s13, s25, s13
	s_mul_i32 s8, s8, s24
	s_add_i32 s13, s13, s8
	s_mul_i32 s2, s2, s24
	s_mul_hi_u32 s25, s9, s2
	s_mul_i32 s26, s9, s2
	s_mul_i32 s28, s24, s13
	s_mul_hi_u32 s2, s24, s2
	s_mul_hi_u32 s27, s24, s13
	s_add_u32 s2, s2, s28
	s_addc_u32 s24, 0, s27
	s_add_u32 s2, s2, s26
	s_mul_hi_u32 s8, s9, s13
	s_addc_u32 s2, s24, s25
	s_addc_u32 s8, s8, 0
	s_mul_i32 s13, s9, s13
	s_add_u32 s2, s2, s13
	s_addc_u32 s8, 0, s8
	v_add_co_u32_e32 v2, vcc, s2, v2
	s_cmp_lg_u64 vcc, 0
	s_addc_u32 s2, s9, s8
	v_readfirstlane_b32 s13, v2
	s_mul_i32 s9, s12, s2
	s_mul_hi_u32 s24, s12, s13
	s_mul_hi_u32 s8, s12, s2
	s_add_u32 s9, s24, s9
	s_addc_u32 s8, 0, s8
	s_mul_hi_u32 s25, s3, s13
	s_mul_i32 s13, s3, s13
	s_add_u32 s9, s9, s13
	s_mul_hi_u32 s24, s3, s2
	s_addc_u32 s8, s8, s25
	s_addc_u32 s9, s24, 0
	s_mul_i32 s2, s3, s2
	s_add_u32 s2, s8, s2
	s_addc_u32 s8, 0, s9
	s_mul_hi_u32 s9, s33, s2
	s_mul_i32 s2, s33, s2
	s_mul_i32 s8, s33, s8
	v_mov_b32_e32 v2, s2
	s_add_i32 s9, s9, s8
	v_sub_co_u32_e32 v2, vcc, s12, v2
	s_cmp_lg_u64 vcc, 0
	s_subb_u32 s2, s3, s9
	v_subrev_co_u32_e32 v5, vcc, s33, v2
	s_cmp_lg_u64 vcc, 0
	s_subb_u32 s8, s2, 0
	v_subrev_co_u32_e32 v6, vcc, s33, v5
	s_cmp_lg_u64 vcc, 0
	s_subb_u32 s9, s8, 0
	v_cmp_le_u32_e32 vcc, s33, v5
	s_cmp_eq_u32 s8, 0
	v_cndmask_b32_e64 v7, 0, -1, vcc
	s_cselect_b64 vcc, -1, 0
	v_cndmask_b32_e32 v7, -1, v7, vcc
	v_mov_b32_e32 v8, s8
	v_mov_b32_e32 v9, s9
	v_cmp_ne_u32_e32 vcc, 0, v7
	v_cndmask_b32_e32 v7, v8, v9, vcc
	v_cndmask_b32_e32 v5, v5, v6, vcc
	v_cmp_le_u32_e32 vcc, s33, v2
	s_cmp_eq_u32 s2, 0
	v_cndmask_b32_e64 v6, 0, -1, vcc
	s_cselect_b64 vcc, -1, 0
	v_cndmask_b32_e32 v6, -1, v6, vcc
	v_mov_b32_e32 v8, s2
	v_cmp_ne_u32_e32 vcc, 0, v6
	v_cndmask_b32_e32 v7, v8, v7, vcc
	v_cndmask_b32_e32 v6, v2, v5, vcc
	s_cbranch_execnz .LBB100_88
.LBB100_87:                             ;   in Loop: Header=BB100_10 Depth=1
	v_cvt_f32_u32_e32 v2, s33
	s_sub_i32 s2, 0, s33
	v_rcp_iflag_f32_e32 v2, v2
	v_mul_f32_e32 v2, 0x4f7ffffe, v2
	v_cvt_u32_f32_e32 v2, v2
	v_mul_lo_u32 v5, s2, v2
	v_mul_hi_u32 v5, v2, v5
	v_add_u32_e32 v2, v2, v5
	v_mul_hi_u32 v2, s12, v2
	v_mul_lo_u32 v2, v2, s33
	v_sub_u32_e32 v2, s12, v2
	v_subrev_u32_e32 v5, s33, v2
	v_cmp_le_u32_e32 vcc, s33, v2
	v_cndmask_b32_e32 v2, v2, v5, vcc
	v_subrev_u32_e32 v5, s33, v2
	v_cmp_le_u32_e32 vcc, s33, v2
	v_cndmask_b32_e32 v2, v2, v5, vcc
	v_pk_mov_b32 v[6:7], v[2:3], v[2:3] op_sel:[0,1]
.LBB100_88:                             ;   in Loop: Header=BB100_10 Depth=1
	v_mov_b32_e32 v2, s3
	v_sub_co_u32_e32 v10, vcc, s12, v6
	v_subb_co_u32_e32 v11, vcc, v2, v7, vcc
	v_cmp_gt_u64_e32 vcc, v[10:11], v[0:1]
	s_mov_b64 s[2:3], 0
                                        ; implicit-def: $vgpr8_vgpr9
	s_and_saveexec_b64 s[8:9], vcc
	s_cbranch_execz .LBB100_99
; %bb.89:                               ;   in Loop: Header=BB100_10 Depth=1
	s_mov_b64 s[12:13], 0
	v_mov_b32_e32 v2, v39
	v_pk_mov_b32 v[12:13], v[0:1], v[0:1] op_sel:[0,1]
                                        ; implicit-def: $sgpr2_sgpr3
	s_branch .LBB100_91
.LBB100_90:                             ;   in Loop: Header=BB100_91 Depth=2
	s_or_b64 exec, exec, s[24:25]
	s_waitcnt lgkmcnt(0)
	s_barrier
	ds_read_b128 v[6:9], v3 offset:3072
	v_mov_b32_e32 v5, s72
	v_add_co_u32_e32 v12, vcc, s33, v12
	v_addc_co_u32_e32 v13, vcc, v13, v5, vcc
	s_waitcnt lgkmcnt(0)
	v_readfirstlane_b32 s25, v7
	v_readfirstlane_b32 s24, v6
	s_cmp_lg_u64 s[24:25], 0
	s_cselect_b64 s[24:25], -1, 0
	v_cmp_ge_u64_e32 vcc, v[12:13], v[10:11]
	s_or_b64 s[26:27], vcc, s[24:25]
	s_and_b64 s[26:27], exec, s[26:27]
	s_or_b64 s[12:13], s[26:27], s[12:13]
	s_andn2_b64 s[2:3], s[2:3], exec
	s_and_b64 s[24:25], s[24:25], exec
	v_add_u32_e32 v2, s34, v2
	s_or_b64 s[2:3], s[2:3], s[24:25]
	s_barrier
	s_andn2_b64 exec, exec, s[12:13]
	s_cbranch_execz .LBB100_98
.LBB100_91:                             ;   Parent Loop BB100_10 Depth=1
                                        ; =>  This Inner Loop Header: Depth=2
	v_cmp_gt_u64_e32 vcc, s[0:1], v[12:13]
	v_pk_mov_b32 v[6:7], 0, 0
	s_and_saveexec_b64 s[24:25], vcc
	s_cbranch_execz .LBB100_93
; %bb.92:                               ;   in Loop: Header=BB100_91 Depth=2
	ds_read_b64 v[6:7], v2
.LBB100_93:                             ;   in Loop: Header=BB100_91 Depth=2
	s_or_b64 exec, exec, s[24:25]
	s_and_saveexec_b64 s[24:25], vcc
	s_cbranch_execz .LBB100_90
; %bb.94:                               ;   in Loop: Header=BB100_91 Depth=2
	s_waitcnt lgkmcnt(0)
	v_xor_b32_e32 v5, 0x80000000, v7
	v_and_b32_e32 v9, s83, v5
	v_and_b32_e32 v8, s82, v6
	v_cmp_eq_u64_e32 vcc, s[84:85], v[8:9]
	s_and_b64 exec, exec, vcc
	s_cbranch_execz .LBB100_90
; %bb.95:                               ;   in Loop: Header=BB100_91 Depth=2
	v_mov_b32_e32 v5, v3
	ds_write_b128 v3, v[4:7] offset:3072
	s_branch .LBB100_90
.LBB100_96:                             ;   in Loop: Header=BB100_10 Depth=1
	s_mov_b64 s[2:3], -1
                                        ; implicit-def: $sgpr0_sgpr1
                                        ; implicit-def: $sgpr12_sgpr13
                                        ; implicit-def: $sgpr8_sgpr9
	s_branch .LBB100_119
.LBB100_97:                             ;   in Loop: Header=BB100_10 Depth=1
	s_mov_b64 s[0:1], -1
	s_mov_b64 s[2:3], 0
                                        ; implicit-def: $sgpr8_sgpr9
                                        ; implicit-def: $vgpr8_vgpr9
	s_mov_b64 s[12:13], s[0:1]
	s_cbranch_execnz .LBB100_100
	s_branch .LBB100_119
.LBB100_98:                             ;   in Loop: Header=BB100_10 Depth=1
	s_or_b64 exec, exec, s[12:13]
	s_and_b64 s[2:3], s[2:3], exec
.LBB100_99:                             ;   in Loop: Header=BB100_10 Depth=1
	s_or_b64 exec, exec, s[8:9]
	s_mov_b64 s[8:9], -1
	s_mov_b64 s[0:1], 0
	s_mov_b64 s[12:13], s[0:1]
	s_branch .LBB100_119
.LBB100_100:                            ;   in Loop: Header=BB100_10 Depth=1
	s_mov_b32 s44, s71
	s_cmp_lg_u64 s[44:45], 0
	s_cbranch_scc0 .LBB100_106
; %bb.101:                              ;   in Loop: Header=BB100_10 Depth=1
	v_cvt_f32_u32_e32 v2, s33
	s_sub_u32 s0, 0, s33
	s_subb_u32 s1, 0, 0
	v_mac_f32_e32 v2, 0, v45
	v_rcp_f32_e32 v2, v2
	v_mul_f32_e32 v2, 0x5f7ffffc, v2
	v_mul_f32_e32 v5, 0x2f800000, v2
	v_trunc_f32_e32 v5, v5
	v_mac_f32_e32 v2, 0xcf800000, v5
	v_cvt_u32_f32_e32 v5, v5
	v_cvt_u32_f32_e32 v2, v2
	v_readfirstlane_b32 s2, v5
	v_readfirstlane_b32 s3, v2
	s_mul_i32 s8, s0, s2
	s_mul_hi_u32 s12, s0, s3
	s_mul_i32 s9, s1, s3
	s_add_i32 s8, s12, s8
	s_mul_i32 s13, s0, s3
	s_add_i32 s8, s8, s9
	s_mul_hi_u32 s12, s3, s13
	s_mul_hi_u32 s9, s3, s8
	s_mul_i32 s3, s3, s8
	s_add_u32 s3, s12, s3
	s_addc_u32 s9, 0, s9
	s_mul_hi_u32 s24, s2, s13
	s_mul_i32 s13, s2, s13
	s_add_u32 s3, s3, s13
	s_mul_hi_u32 s12, s2, s8
	s_addc_u32 s3, s9, s24
	s_addc_u32 s9, s12, 0
	s_mul_i32 s8, s2, s8
	s_add_u32 s3, s3, s8
	s_addc_u32 s8, 0, s9
	v_add_co_u32_e32 v2, vcc, s3, v2
	s_cmp_lg_u64 vcc, 0
	s_addc_u32 s2, s2, s8
	v_readfirstlane_b32 s8, v2
	s_mul_i32 s3, s0, s2
	s_mul_hi_u32 s9, s0, s8
	s_add_i32 s3, s9, s3
	s_mul_i32 s1, s1, s8
	s_add_i32 s3, s3, s1
	s_mul_i32 s0, s0, s8
	s_mul_hi_u32 s9, s2, s0
	s_mul_i32 s12, s2, s0
	s_mul_i32 s24, s8, s3
	s_mul_hi_u32 s0, s8, s0
	s_mul_hi_u32 s13, s8, s3
	s_add_u32 s0, s0, s24
	s_addc_u32 s8, 0, s13
	s_add_u32 s0, s0, s12
	s_mul_hi_u32 s1, s2, s3
	s_addc_u32 s0, s8, s9
	s_addc_u32 s1, s1, 0
	s_mul_i32 s3, s2, s3
	s_add_u32 s0, s0, s3
	s_addc_u32 s1, 0, s1
	v_add_co_u32_e32 v2, vcc, s0, v2
	s_cmp_lg_u64 vcc, 0
	s_addc_u32 s0, s2, s1
	v_readlane_b32 s12, v56, 15
	v_readfirstlane_b32 s3, v2
	s_mul_i32 s2, s12, s0
	s_mul_hi_u32 s8, s12, s3
	s_mul_hi_u32 s1, s12, s0
	s_add_u32 s2, s8, s2
	s_addc_u32 s1, 0, s1
	s_mul_hi_u32 s9, s45, s3
	s_mul_i32 s3, s45, s3
	s_add_u32 s2, s2, s3
	s_mul_hi_u32 s8, s45, s0
	s_addc_u32 s1, s1, s9
	s_addc_u32 s2, s8, 0
	s_mul_i32 s0, s45, s0
	s_add_u32 s0, s1, s0
	s_addc_u32 s1, 0, s2
	s_mul_hi_u32 s2, s33, s0
	s_mul_i32 s0, s33, s0
	s_mul_i32 s1, s33, s1
	v_mov_b32_e32 v2, s0
	s_add_i32 s2, s2, s1
	v_sub_co_u32_e32 v2, vcc, s12, v2
	s_cmp_lg_u64 vcc, 0
	s_subb_u32 s0, s45, s2
	v_subrev_co_u32_e32 v5, vcc, s33, v2
	s_cmp_lg_u64 vcc, 0
	s_subb_u32 s1, s0, 0
	v_subrev_co_u32_e32 v6, vcc, s33, v5
	s_cmp_lg_u64 vcc, 0
	s_subb_u32 s2, s1, 0
	v_cmp_le_u32_e32 vcc, s33, v5
	s_cmp_eq_u32 s1, 0
	v_cndmask_b32_e64 v7, 0, -1, vcc
	s_cselect_b64 vcc, -1, 0
	v_cndmask_b32_e32 v7, -1, v7, vcc
	v_mov_b32_e32 v8, s1
	v_mov_b32_e32 v9, s2
	v_cmp_ne_u32_e32 vcc, 0, v7
	v_cndmask_b32_e32 v7, v8, v9, vcc
	v_cndmask_b32_e32 v5, v5, v6, vcc
	v_cmp_le_u32_e32 vcc, s33, v2
	s_cmp_eq_u32 s0, 0
	v_cndmask_b32_e64 v6, 0, -1, vcc
	s_cselect_b64 vcc, -1, 0
	v_cndmask_b32_e32 v6, -1, v6, vcc
	v_mov_b32_e32 v8, s0
	v_cmp_ne_u32_e32 vcc, 0, v6
	v_cndmask_b32_e32 v7, v8, v7, vcc
	v_cndmask_b32_e32 v6, v2, v5, vcc
	s_mov_b64 s[0:1], 0
	s_branch .LBB100_107
.LBB100_102:                            ;   in Loop: Header=BB100_10 Depth=1
                                        ; implicit-def: $vgpr6_vgpr7
	s_branch .LBB100_87
.LBB100_103:                            ;   in Loop: Header=BB100_10 Depth=1
	s_or_b64 exec, exec, s[0:1]
	s_barrier
	s_mov_b64 s[0:1], exec
	v_readlane_b32 s2, v56, 0
	v_readlane_b32 s3, v56, 1
	s_and_b64 s[2:3], s[0:1], s[2:3]
	s_mov_b64 exec, s[2:3]
	s_cbranch_execz .LBB100_105
; %bb.104:                              ;   in Loop: Header=BB100_10 Depth=1
	s_waitcnt vmcnt(0)
	ds_read_b32 v6, v3 offset:5144
	s_waitcnt lgkmcnt(0)
	v_ashrrev_i32_e32 v7, 31, v6
	ds_write_b64 v3, v[6:7] offset:5120
.LBB100_105:                            ;   in Loop: Header=BB100_10 Depth=1
	s_or_b64 exec, exec, s[0:1]
	s_waitcnt lgkmcnt(0)
	s_barrier
	s_mov_b64 s[0:1], -1
	s_and_b64 vcc, exec, s[54:55]
	s_cbranch_vccnz .LBB100_28
	s_branch .LBB100_38
.LBB100_106:                            ;   in Loop: Header=BB100_10 Depth=1
	s_mov_b64 s[0:1], -1
                                        ; implicit-def: $vgpr6_vgpr7
.LBB100_107:                            ;   in Loop: Header=BB100_10 Depth=1
	s_andn2_b64 vcc, exec, s[0:1]
	v_readlane_b32 s34, v56, 32
	s_cbranch_vccnz .LBB100_109
; %bb.108:                              ;   in Loop: Header=BB100_10 Depth=1
	v_cvt_f32_u32_e32 v2, s33
	s_sub_i32 s0, 0, s33
	v_rcp_iflag_f32_e32 v2, v2
	v_mul_f32_e32 v2, 0x4f7ffffe, v2
	v_cvt_u32_f32_e32 v2, v2
	v_mul_lo_u32 v5, s0, v2
	v_mul_hi_u32 v5, v2, v5
	v_add_u32_e32 v2, v2, v5
	v_readlane_b32 s0, v56, 15
	v_mul_hi_u32 v2, s0, v2
	v_mul_lo_u32 v2, v2, s33
	v_sub_u32_e32 v2, s0, v2
	v_subrev_u32_e32 v5, s33, v2
	v_cmp_le_u32_e32 vcc, s33, v2
	v_cndmask_b32_e32 v2, v2, v5, vcc
	v_subrev_u32_e32 v5, s33, v2
	v_cmp_le_u32_e32 vcc, s33, v2
	v_cndmask_b32_e32 v2, v2, v5, vcc
	v_pk_mov_b32 v[6:7], v[2:3], v[2:3] op_sel:[0,1]
.LBB100_109:                            ;   in Loop: Header=BB100_10 Depth=1
	v_readlane_b32 s0, v56, 15
	v_mov_b32_e32 v2, s45
	v_sub_co_u32_e32 v10, vcc, s0, v6
	v_subb_co_u32_e32 v11, vcc, v2, v7, vcc
	v_cmp_gt_u64_e32 vcc, v[10:11], v[0:1]
	s_mov_b64 s[2:3], 0
                                        ; implicit-def: $vgpr8_vgpr9
	s_and_saveexec_b64 s[0:1], vcc
	s_cbranch_execz .LBB100_118
; %bb.110:                              ;   in Loop: Header=BB100_10 Depth=1
	s_mov_b64 s[8:9], 0
	v_pk_mov_b32 v[12:13], v[18:19], v[18:19] op_sel:[0,1]
	v_pk_mov_b32 v[14:15], v[0:1], v[0:1] op_sel:[0,1]
                                        ; implicit-def: $sgpr2_sgpr3
	s_branch .LBB100_112
.LBB100_111:                            ;   in Loop: Header=BB100_112 Depth=2
	s_or_b64 exec, exec, s[12:13]
	s_waitcnt lgkmcnt(0)
	s_barrier
	s_waitcnt vmcnt(0)
	ds_read_b128 v[6:9], v3 offset:3072
	v_mov_b32_e32 v2, s72
	v_add_co_u32_e32 v14, vcc, s33, v14
	v_addc_co_u32_e32 v15, vcc, v15, v2, vcc
	s_waitcnt lgkmcnt(0)
	v_readfirstlane_b32 s13, v7
	v_readfirstlane_b32 s12, v6
	s_cmp_lg_u64 s[12:13], 0
	s_cselect_b64 s[12:13], -1, 0
	v_cmp_ge_u64_e32 vcc, v[14:15], v[10:11]
	s_or_b64 s[24:25], vcc, s[12:13]
	s_and_b64 s[24:25], exec, s[24:25]
	s_or_b64 s[8:9], s[24:25], s[8:9]
	v_mov_b32_e32 v2, s67
	v_add_co_u32_e32 v12, vcc, s66, v12
	s_andn2_b64 s[2:3], s[2:3], exec
	s_and_b64 s[12:13], s[12:13], exec
	v_addc_co_u32_e32 v13, vcc, v13, v2, vcc
	s_or_b64 s[2:3], s[2:3], s[12:13]
	s_barrier
	s_andn2_b64 exec, exec, s[8:9]
	s_cbranch_execz .LBB100_117
.LBB100_112:                            ;   Parent Loop BB100_10 Depth=1
                                        ; =>  This Inner Loop Header: Depth=2
	v_cmp_gt_u64_e32 vcc, s[52:53], v[14:15]
	v_pk_mov_b32 v[6:7], 0, 0
	s_and_saveexec_b64 s[12:13], vcc
	s_cbranch_execz .LBB100_114
; %bb.113:                              ;   in Loop: Header=BB100_112 Depth=2
	global_load_dwordx2 v[6:7], v[12:13], off
.LBB100_114:                            ;   in Loop: Header=BB100_112 Depth=2
	s_or_b64 exec, exec, s[12:13]
	s_and_saveexec_b64 s[12:13], vcc
	s_cbranch_execz .LBB100_111
; %bb.115:                              ;   in Loop: Header=BB100_112 Depth=2
	s_waitcnt vmcnt(0)
	v_xor_b32_e32 v2, 0x80000000, v7
	v_and_b32_e32 v9, s83, v2
	v_and_b32_e32 v8, s82, v6
	v_cmp_eq_u64_e32 vcc, s[84:85], v[8:9]
	s_and_b64 exec, exec, vcc
	s_cbranch_execz .LBB100_111
; %bb.116:                              ;   in Loop: Header=BB100_112 Depth=2
	v_mov_b32_e32 v5, v3
	ds_write_b128 v3, v[4:7] offset:3072
	s_branch .LBB100_111
.LBB100_117:                            ;   in Loop: Header=BB100_10 Depth=1
	s_or_b64 exec, exec, s[8:9]
	s_and_b64 s[2:3], s[2:3], exec
.LBB100_118:                            ;   in Loop: Header=BB100_10 Depth=1
	s_or_b64 exec, exec, s[0:1]
	s_mov_b64 s[12:13], -1
	s_mov_b64 s[0:1], 0
	s_mov_b64 s[8:9], 0
.LBB100_119:                            ;   in Loop: Header=BB100_10 Depth=1
	s_andn2_b64 s[24:25], s[36:37], exec
	s_and_b64 s[0:1], s[0:1], exec
	s_or_b64 s[36:37], s[24:25], s[0:1]
	s_andn2_b64 s[0:1], s[88:89], exec
	s_and_b64 s[12:13], s[12:13], exec
	s_or_b64 s[88:89], s[0:1], s[12:13]
	;; [unrolled: 3-line block ×3, first 2 shown]
	s_and_saveexec_b64 s[12:13], s[2:3]
	s_cbranch_execz .LBB100_9
; %bb.120:                              ;   in Loop: Header=BB100_10 Depth=1
	s_xor_b64 s[0:1], s[22:23], -1
	s_andn2_b64 vcc, exec, s[0:1]
	s_mov_b32 s44, 1
	s_cbranch_vccnz .LBB100_131
; %bb.121:                              ;   in Loop: Header=BB100_10 Depth=1
	s_waitcnt vmcnt(0)
	v_pk_mov_b32 v[6:7], s[14:15], s[14:15] op_sel:[0,1]
	v_cmp_gt_u64_e32 vcc, s[92:93], v[6:7]
	s_mov_b64 s[0:1], -1
                                        ; implicit-def: $sgpr44
                                        ; implicit-def: $sgpr2_sgpr3
                                        ; implicit-def: $sgpr8_sgpr9
	s_cbranch_vccnz .LBB100_127
; %bb.122:                              ;   in Loop: Header=BB100_10 Depth=1
	ds_read_b64 v[6:7], v3 offset:5120
	s_waitcnt lgkmcnt(0)
	v_cmp_ne_u64_e32 vcc, 0, v[6:7]
	s_cbranch_vccnz .LBB100_126
; %bb.123:                              ;   in Loop: Header=BB100_10 Depth=1
	s_mov_b64 s[0:1], exec
	v_readlane_b32 s2, v56, 0
	v_readlane_b32 s3, v56, 1
	s_and_b64 s[2:3], s[0:1], s[2:3]
	s_mov_b64 exec, s[2:3]
	s_cbranch_execz .LBB100_125
; %bb.124:                              ;   in Loop: Header=BB100_10 Depth=1
	v_pk_mov_b32 v[6:7], s[14:15], s[14:15] op_sel:[0,1]
	ds_write_b64 v3, v[6:7] offset:5128
.LBB100_125:                            ;   in Loop: Header=BB100_10 Depth=1
	s_or_b64 exec, exec, s[0:1]
	s_waitcnt lgkmcnt(0)
	s_barrier
.LBB100_126:                            ;   in Loop: Header=BB100_10 Depth=1
	s_and_b64 s[2:3], s[84:85], s[18:19]
	s_or_b64 s[8:9], s[82:83], s[10:11]
	s_mov_b64 s[0:1], 0
	s_mov_b32 s44, 8
.LBB100_127:                            ;   in Loop: Header=BB100_10 Depth=1
	s_andn2_b64 vcc, exec, s[0:1]
	s_cbranch_vccnz .LBB100_129
; %bb.128:                              ;   in Loop: Header=BB100_10 Depth=1
	s_sub_u32 s92, s92, s14
	s_subb_u32 s93, s93, s15
	s_mov_b64 s[0:1], -1
	s_mov_b32 s44, 0
	s_mov_b64 s[2:3], s[84:85]
	s_mov_b64 s[8:9], s[82:83]
.LBB100_129:                            ;   in Loop: Header=BB100_10 Depth=1
	s_mov_b64 s[82:83], s[8:9]
	s_mov_b64 s[84:85], s[2:3]
	s_mov_b64 s[14:15], -1
	s_and_b64 vcc, exec, s[0:1]
	s_cbranch_vccnz .LBB100_132
.LBB100_130:                            ;   in Loop: Header=BB100_10 Depth=1
	s_mov_b64 s[0:1], -1
                                        ; implicit-def: $sgpr20_sgpr21
                                        ; implicit-def: $sgpr24_sgpr25
                                        ; implicit-def: $sgpr22_sgpr23
	s_and_saveexec_b64 s[2:3], s[0:1]
	s_xor_b64 s[0:1], exec, s[2:3]
	s_cbranch_execz .LBB100_8
	s_branch .LBB100_276
.LBB100_131:                            ;   in Loop: Header=BB100_10 Depth=1
	s_mov_b64 s[92:93], 1
	s_mov_b64 s[14:15], -1
	s_branch .LBB100_130
.LBB100_132:                            ;   in Loop: Header=BB100_10 Depth=1
	s_cmp_eq_u64 s[30:31], 1
	s_cselect_b64 s[0:1], -1, 0
	s_cmp_eq_u64 s[92:93], 1
	s_cselect_b64 s[2:3], -1, 0
	s_and_b64 s[34:35], s[0:1], s[2:3]
	s_mov_b64 s[2:3], -1
	s_and_b64 vcc, exec, s[34:35]
	s_cbranch_vccz .LBB100_147
; %bb.133:                              ;   in Loop: Header=BB100_10 Depth=1
	s_waitcnt vmcnt(0)
	ds_read_b64 v[6:7], v3 offset:5120
	s_waitcnt lgkmcnt(0)
	s_barrier
	v_readfirstlane_b32 s0, v6
	v_readfirstlane_b32 s1, v7
	s_and_saveexec_b64 s[2:3], s[60:61]
	v_readlane_b32 s27, v56, 32
	s_cbranch_execz .LBB100_135
; %bb.134:                              ;   in Loop: Header=BB100_10 Depth=1
	v_mov_b32_e32 v2, v3
	ds_write_b64 v40, v[2:3]
.LBB100_135:                            ;   in Loop: Header=BB100_10 Depth=1
	s_or_b64 exec, exec, s[2:3]
	s_lshl_b64 s[2:3], 1, s42
	s_and_b64 s[8:9], s[84:85], s[18:19]
	s_or_b64 s[84:85], s[8:9], s[2:3]
	s_or_b64 s[82:83], s[82:83], s[10:11]
	s_cmp_eq_u64 s[0:1], 0
	s_waitcnt lgkmcnt(0)
	s_barrier
	s_cbranch_scc1 .LBB100_148
; %bb.136:                              ;   in Loop: Header=BB100_10 Depth=1
	v_readlane_b32 s2, v56, 14
	s_add_u32 s20, s2, s0
	v_readlane_b32 s2, v56, 16
	s_addc_u32 s3, s2, s1
	s_mov_b32 s2, s71
	s_cmp_lg_u64 s[2:3], 0
	s_cbranch_scc0 .LBB100_193
; %bb.137:                              ;   in Loop: Header=BB100_10 Depth=1
	v_cvt_f32_u32_e32 v2, s33
	s_sub_u32 s2, 0, s33
	s_subb_u32 s8, 0, 0
	v_mac_f32_e32 v2, 0, v45
	v_rcp_f32_e32 v2, v2
	v_mul_f32_e32 v2, 0x5f7ffffc, v2
	v_mul_f32_e32 v5, 0x2f800000, v2
	v_trunc_f32_e32 v5, v5
	v_mac_f32_e32 v2, 0xcf800000, v5
	v_cvt_u32_f32_e32 v5, v5
	v_cvt_u32_f32_e32 v2, v2
	v_readfirstlane_b32 s9, v5
	v_readfirstlane_b32 s21, v2
	s_mul_i32 s22, s2, s9
	s_mul_hi_u32 s24, s2, s21
	s_mul_i32 s23, s8, s21
	s_add_i32 s22, s24, s22
	s_mul_i32 s25, s2, s21
	s_add_i32 s22, s22, s23
	s_mul_hi_u32 s24, s21, s25
	s_mul_hi_u32 s23, s21, s22
	s_mul_i32 s21, s21, s22
	s_add_u32 s21, s24, s21
	s_addc_u32 s23, 0, s23
	s_mul_hi_u32 s26, s9, s25
	s_mul_i32 s25, s9, s25
	s_add_u32 s21, s21, s25
	s_mul_hi_u32 s24, s9, s22
	s_addc_u32 s21, s23, s26
	s_addc_u32 s23, s24, 0
	s_mul_i32 s22, s9, s22
	s_add_u32 s21, s21, s22
	s_addc_u32 s22, 0, s23
	v_add_co_u32_e32 v2, vcc, s21, v2
	s_cmp_lg_u64 vcc, 0
	s_addc_u32 s9, s9, s22
	v_readfirstlane_b32 s22, v2
	s_mul_i32 s21, s2, s9
	s_mul_hi_u32 s23, s2, s22
	s_add_i32 s21, s23, s21
	s_mul_i32 s8, s8, s22
	s_add_i32 s21, s21, s8
	s_mul_i32 s2, s2, s22
	s_mul_hi_u32 s23, s9, s2
	s_mul_i32 s24, s9, s2
	s_mul_i32 s26, s22, s21
	s_mul_hi_u32 s2, s22, s2
	s_mul_hi_u32 s25, s22, s21
	s_add_u32 s2, s2, s26
	s_addc_u32 s22, 0, s25
	s_add_u32 s2, s2, s24
	s_mul_hi_u32 s8, s9, s21
	s_addc_u32 s2, s22, s23
	s_addc_u32 s8, s8, 0
	s_mul_i32 s21, s9, s21
	s_add_u32 s2, s2, s21
	s_addc_u32 s8, 0, s8
	v_add_co_u32_e32 v2, vcc, s2, v2
	s_cmp_lg_u64 vcc, 0
	s_addc_u32 s2, s9, s8
	v_readfirstlane_b32 s21, v2
	s_mul_i32 s9, s20, s2
	s_mul_hi_u32 s22, s20, s21
	s_mul_hi_u32 s8, s20, s2
	s_add_u32 s9, s22, s9
	s_addc_u32 s8, 0, s8
	s_mul_hi_u32 s23, s3, s21
	s_mul_i32 s21, s3, s21
	s_add_u32 s9, s9, s21
	s_mul_hi_u32 s22, s3, s2
	s_addc_u32 s8, s8, s23
	s_addc_u32 s9, s22, 0
	s_mul_i32 s2, s3, s2
	s_add_u32 s2, s8, s2
	s_addc_u32 s8, 0, s9
	s_mul_hi_u32 s9, s33, s2
	s_mul_i32 s2, s33, s2
	s_mul_i32 s8, s33, s8
	v_mov_b32_e32 v2, s2
	s_add_i32 s9, s9, s8
	v_sub_co_u32_e32 v2, vcc, s20, v2
	s_cmp_lg_u64 vcc, 0
	s_subb_u32 s2, s3, s9
	v_subrev_co_u32_e32 v5, vcc, s33, v2
	s_cmp_lg_u64 vcc, 0
	s_subb_u32 s8, s2, 0
	v_subrev_co_u32_e32 v6, vcc, s33, v5
	s_cmp_lg_u64 vcc, 0
	s_subb_u32 s9, s8, 0
	v_cmp_le_u32_e32 vcc, s33, v5
	s_cmp_eq_u32 s8, 0
	v_cndmask_b32_e64 v7, 0, -1, vcc
	s_cselect_b64 vcc, -1, 0
	v_cndmask_b32_e32 v7, -1, v7, vcc
	v_mov_b32_e32 v8, s8
	v_mov_b32_e32 v9, s9
	v_cmp_ne_u32_e32 vcc, 0, v7
	v_cndmask_b32_e32 v7, v8, v9, vcc
	v_cndmask_b32_e32 v5, v5, v6, vcc
	v_cmp_le_u32_e32 vcc, s33, v2
	s_cmp_eq_u32 s2, 0
	v_cndmask_b32_e64 v6, 0, -1, vcc
	s_cselect_b64 vcc, -1, 0
	v_cndmask_b32_e32 v6, -1, v6, vcc
	v_mov_b32_e32 v8, s2
	v_cmp_ne_u32_e32 vcc, 0, v6
	v_cndmask_b32_e32 v7, v8, v7, vcc
	v_cndmask_b32_e32 v6, v2, v5, vcc
	s_cbranch_execnz .LBB100_139
.LBB100_138:                            ;   in Loop: Header=BB100_10 Depth=1
	v_cvt_f32_u32_e32 v2, s33
	s_sub_i32 s2, 0, s33
	v_rcp_iflag_f32_e32 v2, v2
	v_mul_f32_e32 v2, 0x4f7ffffe, v2
	v_cvt_u32_f32_e32 v2, v2
	v_mul_lo_u32 v5, s2, v2
	v_mul_hi_u32 v5, v2, v5
	v_add_u32_e32 v2, v2, v5
	v_mul_hi_u32 v2, s20, v2
	v_mul_lo_u32 v2, v2, s33
	v_sub_u32_e32 v2, s20, v2
	v_subrev_u32_e32 v5, s33, v2
	v_cmp_le_u32_e32 vcc, s33, v2
	v_cndmask_b32_e32 v2, v2, v5, vcc
	v_subrev_u32_e32 v5, s33, v2
	v_cmp_le_u32_e32 vcc, s33, v2
	v_cndmask_b32_e32 v2, v2, v5, vcc
	v_pk_mov_b32 v[6:7], v[2:3], v[2:3] op_sel:[0,1]
.LBB100_139:                            ;   in Loop: Header=BB100_10 Depth=1
	v_mov_b32_e32 v2, s3
	v_sub_co_u32_e32 v10, vcc, s20, v6
	v_subb_co_u32_e32 v11, vcc, v2, v7, vcc
	v_cmp_gt_u64_e32 vcc, v[10:11], v[0:1]
	s_mov_b64 s[2:3], 0
                                        ; implicit-def: $vgpr8_vgpr9
	s_and_saveexec_b64 s[8:9], vcc
	s_cbranch_execz .LBB100_150
; %bb.140:                              ;   in Loop: Header=BB100_10 Depth=1
	s_mov_b64 s[20:21], 0
	v_mov_b32_e32 v2, v39
	v_pk_mov_b32 v[12:13], v[0:1], v[0:1] op_sel:[0,1]
                                        ; implicit-def: $sgpr2_sgpr3
	s_branch .LBB100_142
.LBB100_141:                            ;   in Loop: Header=BB100_142 Depth=2
	s_or_b64 exec, exec, s[22:23]
	s_waitcnt lgkmcnt(0)
	s_barrier
	ds_read_b128 v[6:9], v3 offset:3072
	v_mov_b32_e32 v5, s72
	v_add_co_u32_e32 v12, vcc, s33, v12
	v_addc_co_u32_e32 v13, vcc, v13, v5, vcc
	s_waitcnt lgkmcnt(0)
	v_readfirstlane_b32 s23, v7
	v_readfirstlane_b32 s22, v6
	s_cmp_lg_u64 s[22:23], 0
	s_cselect_b64 s[22:23], -1, 0
	v_cmp_ge_u64_e32 vcc, v[12:13], v[10:11]
	s_or_b64 s[24:25], vcc, s[22:23]
	s_and_b64 s[24:25], exec, s[24:25]
	s_or_b64 s[20:21], s[24:25], s[20:21]
	s_andn2_b64 s[2:3], s[2:3], exec
	s_and_b64 s[22:23], s[22:23], exec
	v_add_u32_e32 v2, s27, v2
	s_or_b64 s[2:3], s[2:3], s[22:23]
	s_barrier
	s_andn2_b64 exec, exec, s[20:21]
	s_cbranch_execz .LBB100_149
.LBB100_142:                            ;   Parent Loop BB100_10 Depth=1
                                        ; =>  This Inner Loop Header: Depth=2
	v_cmp_gt_u64_e32 vcc, s[0:1], v[12:13]
	v_pk_mov_b32 v[6:7], 0, 0
	s_and_saveexec_b64 s[22:23], vcc
	s_cbranch_execz .LBB100_144
; %bb.143:                              ;   in Loop: Header=BB100_142 Depth=2
	ds_read_b64 v[6:7], v2
.LBB100_144:                            ;   in Loop: Header=BB100_142 Depth=2
	s_or_b64 exec, exec, s[22:23]
	s_and_saveexec_b64 s[22:23], vcc
	s_cbranch_execz .LBB100_141
; %bb.145:                              ;   in Loop: Header=BB100_142 Depth=2
	s_waitcnt lgkmcnt(0)
	v_xor_b32_e32 v5, 0x80000000, v7
	v_and_b32_e32 v9, s83, v5
	v_and_b32_e32 v8, s82, v6
	v_cmp_eq_u64_e32 vcc, s[84:85], v[8:9]
	s_and_b64 exec, exec, vcc
	s_cbranch_execz .LBB100_141
; %bb.146:                              ;   in Loop: Header=BB100_142 Depth=2
	v_mov_b32_e32 v5, v3
	ds_write_b128 v3, v[4:7] offset:3072
	s_branch .LBB100_141
.LBB100_147:                            ;   in Loop: Header=BB100_10 Depth=1
                                        ; implicit-def: $sgpr22_sgpr23
                                        ; implicit-def: $sgpr24_sgpr25
                                        ; implicit-def: $sgpr20_sgpr21
	s_branch .LBB100_164
.LBB100_148:                            ;   in Loop: Header=BB100_10 Depth=1
	s_mov_b64 s[22:23], -1
	s_mov_b64 s[2:3], 0
                                        ; implicit-def: $sgpr20_sgpr21
                                        ; implicit-def: $vgpr8_vgpr9
	s_mov_b64 s[24:25], s[22:23]
	s_cbranch_execnz .LBB100_151
	s_branch .LBB100_164
.LBB100_149:                            ;   in Loop: Header=BB100_10 Depth=1
	s_or_b64 exec, exec, s[20:21]
	s_and_b64 s[2:3], s[2:3], exec
.LBB100_150:                            ;   in Loop: Header=BB100_10 Depth=1
	s_or_b64 exec, exec, s[8:9]
	s_mov_b64 s[20:21], -1
	s_mov_b64 s[22:23], 0
	s_mov_b64 s[24:25], s[22:23]
	s_branch .LBB100_164
.LBB100_151:                            ;   in Loop: Header=BB100_10 Depth=1
	s_mov_b32 s44, s71
	s_cmp_lg_u64 s[44:45], 0
	s_cbranch_scc0 .LBB100_194
; %bb.152:                              ;   in Loop: Header=BB100_10 Depth=1
	v_cvt_f32_u32_e32 v2, s33
	s_sub_u32 s0, 0, s33
	s_subb_u32 s1, 0, 0
	v_mac_f32_e32 v2, 0, v45
	v_rcp_f32_e32 v2, v2
	v_mul_f32_e32 v2, 0x5f7ffffc, v2
	v_mul_f32_e32 v5, 0x2f800000, v2
	v_trunc_f32_e32 v5, v5
	v_mac_f32_e32 v2, 0xcf800000, v5
	v_cvt_u32_f32_e32 v5, v5
	v_cvt_u32_f32_e32 v2, v2
	v_readfirstlane_b32 s2, v5
	v_readfirstlane_b32 s3, v2
	s_mul_i32 s8, s0, s2
	s_mul_hi_u32 s20, s0, s3
	s_mul_i32 s9, s1, s3
	s_add_i32 s8, s20, s8
	s_mul_i32 s21, s0, s3
	s_add_i32 s8, s8, s9
	s_mul_hi_u32 s20, s3, s21
	s_mul_hi_u32 s9, s3, s8
	s_mul_i32 s3, s3, s8
	s_add_u32 s3, s20, s3
	s_addc_u32 s9, 0, s9
	s_mul_hi_u32 s22, s2, s21
	s_mul_i32 s21, s2, s21
	s_add_u32 s3, s3, s21
	s_mul_hi_u32 s20, s2, s8
	s_addc_u32 s3, s9, s22
	s_addc_u32 s9, s20, 0
	s_mul_i32 s8, s2, s8
	s_add_u32 s3, s3, s8
	s_addc_u32 s8, 0, s9
	v_add_co_u32_e32 v2, vcc, s3, v2
	s_cmp_lg_u64 vcc, 0
	s_addc_u32 s2, s2, s8
	v_readfirstlane_b32 s8, v2
	s_mul_i32 s3, s0, s2
	s_mul_hi_u32 s9, s0, s8
	s_add_i32 s3, s9, s3
	s_mul_i32 s1, s1, s8
	s_add_i32 s3, s3, s1
	s_mul_i32 s0, s0, s8
	s_mul_hi_u32 s9, s2, s0
	s_mul_i32 s20, s2, s0
	s_mul_i32 s22, s8, s3
	s_mul_hi_u32 s0, s8, s0
	s_mul_hi_u32 s21, s8, s3
	s_add_u32 s0, s0, s22
	s_addc_u32 s8, 0, s21
	s_add_u32 s0, s0, s20
	s_mul_hi_u32 s1, s2, s3
	s_addc_u32 s0, s8, s9
	s_addc_u32 s1, s1, 0
	s_mul_i32 s3, s2, s3
	s_add_u32 s0, s0, s3
	s_addc_u32 s1, 0, s1
	v_add_co_u32_e32 v2, vcc, s0, v2
	s_cmp_lg_u64 vcc, 0
	s_addc_u32 s0, s2, s1
	v_readlane_b32 s20, v56, 15
	v_readfirstlane_b32 s3, v2
	s_mul_i32 s2, s20, s0
	s_mul_hi_u32 s8, s20, s3
	s_mul_hi_u32 s1, s20, s0
	s_add_u32 s2, s8, s2
	s_addc_u32 s1, 0, s1
	s_mul_hi_u32 s9, s45, s3
	s_mul_i32 s3, s45, s3
	s_add_u32 s2, s2, s3
	s_mul_hi_u32 s8, s45, s0
	s_addc_u32 s1, s1, s9
	s_addc_u32 s2, s8, 0
	s_mul_i32 s0, s45, s0
	s_add_u32 s0, s1, s0
	s_addc_u32 s1, 0, s2
	s_mul_hi_u32 s2, s33, s0
	s_mul_i32 s0, s33, s0
	s_mul_i32 s1, s33, s1
	v_mov_b32_e32 v2, s0
	s_add_i32 s2, s2, s1
	v_sub_co_u32_e32 v2, vcc, s20, v2
	s_cmp_lg_u64 vcc, 0
	s_subb_u32 s0, s45, s2
	v_subrev_co_u32_e32 v5, vcc, s33, v2
	s_cmp_lg_u64 vcc, 0
	s_subb_u32 s1, s0, 0
	v_subrev_co_u32_e32 v6, vcc, s33, v5
	s_cmp_lg_u64 vcc, 0
	s_subb_u32 s2, s1, 0
	v_cmp_le_u32_e32 vcc, s33, v5
	s_cmp_eq_u32 s1, 0
	v_cndmask_b32_e64 v7, 0, -1, vcc
	s_cselect_b64 vcc, -1, 0
	v_cndmask_b32_e32 v7, -1, v7, vcc
	v_mov_b32_e32 v8, s1
	v_mov_b32_e32 v9, s2
	v_cmp_ne_u32_e32 vcc, 0, v7
	v_cndmask_b32_e32 v7, v8, v9, vcc
	v_cndmask_b32_e32 v5, v5, v6, vcc
	v_cmp_le_u32_e32 vcc, s33, v2
	s_cmp_eq_u32 s0, 0
	v_cndmask_b32_e64 v6, 0, -1, vcc
	s_cselect_b64 vcc, -1, 0
	v_cndmask_b32_e32 v6, -1, v6, vcc
	v_mov_b32_e32 v8, s0
	v_cmp_ne_u32_e32 vcc, 0, v6
	v_cndmask_b32_e32 v7, v8, v7, vcc
	v_cndmask_b32_e32 v6, v2, v5, vcc
	s_cbranch_execnz .LBB100_154
.LBB100_153:                            ;   in Loop: Header=BB100_10 Depth=1
	v_cvt_f32_u32_e32 v2, s33
	s_sub_i32 s0, 0, s33
	v_rcp_iflag_f32_e32 v2, v2
	v_mul_f32_e32 v2, 0x4f7ffffe, v2
	v_cvt_u32_f32_e32 v2, v2
	v_mul_lo_u32 v5, s0, v2
	v_mul_hi_u32 v5, v2, v5
	v_add_u32_e32 v2, v2, v5
	v_readlane_b32 s0, v56, 15
	v_mul_hi_u32 v2, s0, v2
	v_mul_lo_u32 v2, v2, s33
	v_sub_u32_e32 v2, s0, v2
	v_subrev_u32_e32 v5, s33, v2
	v_cmp_le_u32_e32 vcc, s33, v2
	v_cndmask_b32_e32 v2, v2, v5, vcc
	v_subrev_u32_e32 v5, s33, v2
	v_cmp_le_u32_e32 vcc, s33, v2
	v_cndmask_b32_e32 v2, v2, v5, vcc
	v_pk_mov_b32 v[6:7], v[2:3], v[2:3] op_sel:[0,1]
.LBB100_154:                            ;   in Loop: Header=BB100_10 Depth=1
	v_readlane_b32 s0, v56, 15
	v_mov_b32_e32 v2, s45
	v_sub_co_u32_e32 v10, vcc, s0, v6
	v_subb_co_u32_e32 v11, vcc, v2, v7, vcc
	v_cmp_gt_u64_e32 vcc, v[10:11], v[0:1]
	s_mov_b64 s[2:3], 0
                                        ; implicit-def: $vgpr8_vgpr9
	s_and_saveexec_b64 s[0:1], vcc
	s_cbranch_execz .LBB100_163
; %bb.155:                              ;   in Loop: Header=BB100_10 Depth=1
	s_mov_b64 s[8:9], 0
	v_pk_mov_b32 v[12:13], v[18:19], v[18:19] op_sel:[0,1]
	v_pk_mov_b32 v[14:15], v[0:1], v[0:1] op_sel:[0,1]
                                        ; implicit-def: $sgpr2_sgpr3
	s_branch .LBB100_157
.LBB100_156:                            ;   in Loop: Header=BB100_157 Depth=2
	s_or_b64 exec, exec, s[20:21]
	s_waitcnt lgkmcnt(0)
	s_barrier
	s_waitcnt vmcnt(0)
	ds_read_b128 v[6:9], v3 offset:3072
	v_mov_b32_e32 v2, s72
	v_add_co_u32_e32 v14, vcc, s33, v14
	v_addc_co_u32_e32 v15, vcc, v15, v2, vcc
	s_waitcnt lgkmcnt(0)
	v_readfirstlane_b32 s21, v7
	v_readfirstlane_b32 s20, v6
	s_cmp_lg_u64 s[20:21], 0
	s_cselect_b64 s[20:21], -1, 0
	v_cmp_ge_u64_e32 vcc, v[14:15], v[10:11]
	s_or_b64 s[22:23], vcc, s[20:21]
	s_and_b64 s[22:23], exec, s[22:23]
	s_or_b64 s[8:9], s[22:23], s[8:9]
	v_mov_b32_e32 v2, s67
	v_add_co_u32_e32 v12, vcc, s66, v12
	s_andn2_b64 s[2:3], s[2:3], exec
	s_and_b64 s[20:21], s[20:21], exec
	v_addc_co_u32_e32 v13, vcc, v13, v2, vcc
	s_or_b64 s[2:3], s[2:3], s[20:21]
	s_barrier
	s_andn2_b64 exec, exec, s[8:9]
	s_cbranch_execz .LBB100_162
.LBB100_157:                            ;   Parent Loop BB100_10 Depth=1
                                        ; =>  This Inner Loop Header: Depth=2
	v_cmp_gt_u64_e32 vcc, s[52:53], v[14:15]
	v_pk_mov_b32 v[6:7], 0, 0
	s_and_saveexec_b64 s[20:21], vcc
	s_cbranch_execz .LBB100_159
; %bb.158:                              ;   in Loop: Header=BB100_157 Depth=2
	global_load_dwordx2 v[6:7], v[12:13], off
.LBB100_159:                            ;   in Loop: Header=BB100_157 Depth=2
	s_or_b64 exec, exec, s[20:21]
	s_and_saveexec_b64 s[20:21], vcc
	s_cbranch_execz .LBB100_156
; %bb.160:                              ;   in Loop: Header=BB100_157 Depth=2
	s_waitcnt vmcnt(0)
	v_xor_b32_e32 v2, 0x80000000, v7
	v_and_b32_e32 v9, s83, v2
	v_and_b32_e32 v8, s82, v6
	v_cmp_eq_u64_e32 vcc, s[84:85], v[8:9]
	s_and_b64 exec, exec, vcc
	s_cbranch_execz .LBB100_156
; %bb.161:                              ;   in Loop: Header=BB100_157 Depth=2
	v_mov_b32_e32 v5, v3
	ds_write_b128 v3, v[4:7] offset:3072
	s_branch .LBB100_156
.LBB100_162:                            ;   in Loop: Header=BB100_10 Depth=1
	s_or_b64 exec, exec, s[8:9]
	s_and_b64 s[2:3], s[2:3], exec
.LBB100_163:                            ;   in Loop: Header=BB100_10 Depth=1
	s_or_b64 exec, exec, s[0:1]
	s_mov_b64 s[24:25], -1
	s_mov_b64 s[22:23], 0
	s_mov_b64 s[20:21], 0
.LBB100_164:                            ;   in Loop: Header=BB100_10 Depth=1
	s_mov_b64 s[0:1], 0
                                        ; implicit-def: $sgpr44
	s_and_saveexec_b64 s[28:29], s[2:3]
	s_cbranch_execz .LBB100_275
; %bb.165:                              ;   in Loop: Header=BB100_10 Depth=1
	s_xor_b64 s[0:1], s[34:35], -1
	s_andn2_b64 vcc, exec, s[0:1]
	s_mov_b32 s44, 1
	s_cbranch_vccnz .LBB100_176
; %bb.166:                              ;   in Loop: Header=BB100_10 Depth=1
	s_waitcnt vmcnt(0)
	v_pk_mov_b32 v[6:7], s[30:31], s[30:31] op_sel:[0,1]
	v_cmp_gt_u64_e32 vcc, s[92:93], v[6:7]
	s_mov_b64 s[0:1], -1
                                        ; implicit-def: $sgpr44
                                        ; implicit-def: $sgpr2_sgpr3
                                        ; implicit-def: $sgpr8_sgpr9
	s_cbranch_vccnz .LBB100_172
; %bb.167:                              ;   in Loop: Header=BB100_10 Depth=1
	ds_read_b64 v[6:7], v3 offset:5120
	s_waitcnt lgkmcnt(0)
	v_cmp_ne_u64_e32 vcc, 0, v[6:7]
	s_cbranch_vccnz .LBB100_171
; %bb.168:                              ;   in Loop: Header=BB100_10 Depth=1
	s_mov_b64 s[0:1], exec
	v_readlane_b32 s2, v56, 0
	v_readlane_b32 s3, v56, 1
	s_and_b64 s[2:3], s[0:1], s[2:3]
	s_mov_b64 exec, s[2:3]
	s_cbranch_execz .LBB100_170
; %bb.169:                              ;   in Loop: Header=BB100_10 Depth=1
	v_pk_mov_b32 v[6:7], s[30:31], s[30:31] op_sel:[0,1]
	ds_write_b64 v3, v[6:7] offset:5128
.LBB100_170:                            ;   in Loop: Header=BB100_10 Depth=1
	s_or_b64 exec, exec, s[0:1]
	s_waitcnt lgkmcnt(0)
	s_barrier
.LBB100_171:                            ;   in Loop: Header=BB100_10 Depth=1
	s_lshl_b64 s[0:1], 1, s42
	s_and_b64 s[2:3], s[84:85], s[18:19]
	s_or_b64 s[2:3], s[2:3], s[0:1]
	s_or_b64 s[8:9], s[82:83], s[10:11]
	s_mov_b64 s[0:1], 0
	s_mov_b32 s44, 8
.LBB100_172:                            ;   in Loop: Header=BB100_10 Depth=1
	s_andn2_b64 vcc, exec, s[0:1]
	s_cbranch_vccnz .LBB100_174
; %bb.173:                              ;   in Loop: Header=BB100_10 Depth=1
	s_sub_u32 s92, s92, s30
	s_subb_u32 s93, s93, s31
	s_mov_b64 s[0:1], -1
	s_mov_b32 s44, 0
	s_mov_b64 s[2:3], s[84:85]
	s_mov_b64 s[8:9], s[82:83]
.LBB100_174:                            ;   in Loop: Header=BB100_10 Depth=1
	s_mov_b64 s[82:83], s[8:9]
	s_mov_b64 s[84:85], s[2:3]
	s_andn2_b64 vcc, exec, s[0:1]
	s_mov_b64 s[0:1], -1
	s_cbranch_vccz .LBB100_177
.LBB100_175:                            ;   in Loop: Header=BB100_10 Depth=1
	s_mov_b64 s[86:87], s[36:37]
                                        ; implicit-def: $sgpr34_sgpr35
                                        ; implicit-def: $sgpr36_sgpr37
                                        ; implicit-def: $sgpr30_sgpr31
	s_branch .LBB100_274
.LBB100_176:                            ;   in Loop: Header=BB100_10 Depth=1
	s_mov_b64 s[92:93], 1
	s_mov_b64 s[0:1], -1
	s_cbranch_execnz .LBB100_175
.LBB100_177:                            ;   in Loop: Header=BB100_10 Depth=1
	s_cmp_eq_u64 s[16:17], 1
	s_cselect_b64 s[0:1], -1, 0
	s_cmp_eq_u64 s[92:93], 1
	s_cselect_b64 s[2:3], -1, 0
	s_and_b64 s[40:41], s[0:1], s[2:3]
	s_mov_b64 s[54:55], s[38:39]
	s_mov_b64 s[2:3], -1
	s_and_b64 vcc, exec, s[40:41]
	s_cbranch_vccz .LBB100_192
; %bb.178:                              ;   in Loop: Header=BB100_10 Depth=1
	s_waitcnt vmcnt(0)
	ds_read_b64 v[6:7], v3 offset:5120
	s_waitcnt lgkmcnt(0)
	s_barrier
	v_readfirstlane_b32 s0, v6
	v_readfirstlane_b32 s1, v7
	s_and_saveexec_b64 s[2:3], s[60:61]
	v_readlane_b32 s38, v56, 32
	s_cbranch_execz .LBB100_180
; %bb.179:                              ;   in Loop: Header=BB100_10 Depth=1
	v_mov_b32_e32 v2, v3
	ds_write_b64 v40, v[2:3]
.LBB100_180:                            ;   in Loop: Header=BB100_10 Depth=1
	s_or_b64 exec, exec, s[2:3]
	s_lshl_b64 s[2:3], 2, s42
	s_and_b64 s[8:9], s[84:85], s[18:19]
	s_or_b64 s[84:85], s[8:9], s[2:3]
	s_or_b64 s[82:83], s[82:83], s[10:11]
	s_cmp_eq_u64 s[0:1], 0
	s_mov_b64 s[86:87], s[36:37]
	s_waitcnt lgkmcnt(0)
	s_barrier
	s_cbranch_scc1 .LBB100_195
; %bb.181:                              ;   in Loop: Header=BB100_10 Depth=1
	v_readlane_b32 s2, v56, 14
	s_add_u32 s26, s2, s0
	v_readlane_b32 s2, v56, 16
	s_addc_u32 s3, s2, s1
	s_mov_b32 s2, s71
	s_cmp_lg_u64 s[2:3], 0
	s_cbranch_scc0 .LBB100_240
; %bb.182:                              ;   in Loop: Header=BB100_10 Depth=1
	v_cvt_f32_u32_e32 v2, s33
	s_sub_u32 s2, 0, s33
	s_subb_u32 s8, 0, 0
	v_mac_f32_e32 v2, 0, v45
	v_rcp_f32_e32 v2, v2
	v_mul_f32_e32 v2, 0x5f7ffffc, v2
	v_mul_f32_e32 v5, 0x2f800000, v2
	v_trunc_f32_e32 v5, v5
	v_mac_f32_e32 v2, 0xcf800000, v5
	v_cvt_u32_f32_e32 v5, v5
	v_cvt_u32_f32_e32 v2, v2
	v_readfirstlane_b32 s9, v5
	v_readfirstlane_b32 s27, v2
	s_mul_i32 s30, s2, s9
	s_mul_hi_u32 s34, s2, s27
	s_mul_i32 s31, s8, s27
	s_add_i32 s30, s34, s30
	s_mul_i32 s35, s2, s27
	s_add_i32 s30, s30, s31
	s_mul_hi_u32 s34, s27, s35
	s_mul_hi_u32 s31, s27, s30
	s_mul_i32 s27, s27, s30
	s_add_u32 s27, s34, s27
	s_addc_u32 s31, 0, s31
	s_mul_hi_u32 s36, s9, s35
	s_mul_i32 s35, s9, s35
	s_add_u32 s27, s27, s35
	s_mul_hi_u32 s34, s9, s30
	s_addc_u32 s27, s31, s36
	s_addc_u32 s31, s34, 0
	s_mul_i32 s30, s9, s30
	s_add_u32 s27, s27, s30
	s_addc_u32 s30, 0, s31
	v_add_co_u32_e32 v2, vcc, s27, v2
	s_cmp_lg_u64 vcc, 0
	s_addc_u32 s9, s9, s30
	v_readfirstlane_b32 s30, v2
	s_mul_i32 s27, s2, s9
	s_mul_hi_u32 s31, s2, s30
	s_add_i32 s27, s31, s27
	s_mul_i32 s8, s8, s30
	s_add_i32 s27, s27, s8
	s_mul_i32 s2, s2, s30
	s_mul_hi_u32 s31, s9, s2
	s_mul_i32 s34, s9, s2
	s_mul_i32 s36, s30, s27
	s_mul_hi_u32 s2, s30, s2
	s_mul_hi_u32 s35, s30, s27
	s_add_u32 s2, s2, s36
	s_addc_u32 s30, 0, s35
	s_add_u32 s2, s2, s34
	s_mul_hi_u32 s8, s9, s27
	s_addc_u32 s2, s30, s31
	s_addc_u32 s8, s8, 0
	s_mul_i32 s27, s9, s27
	s_add_u32 s2, s2, s27
	s_addc_u32 s8, 0, s8
	v_add_co_u32_e32 v2, vcc, s2, v2
	s_cmp_lg_u64 vcc, 0
	s_addc_u32 s2, s9, s8
	v_readfirstlane_b32 s27, v2
	s_mul_i32 s9, s26, s2
	s_mul_hi_u32 s30, s26, s27
	s_mul_hi_u32 s8, s26, s2
	s_add_u32 s9, s30, s9
	s_addc_u32 s8, 0, s8
	s_mul_hi_u32 s31, s3, s27
	s_mul_i32 s27, s3, s27
	s_add_u32 s9, s9, s27
	s_mul_hi_u32 s30, s3, s2
	s_addc_u32 s8, s8, s31
	s_addc_u32 s9, s30, 0
	s_mul_i32 s2, s3, s2
	s_add_u32 s2, s8, s2
	s_addc_u32 s8, 0, s9
	s_mul_hi_u32 s9, s33, s2
	s_mul_i32 s2, s33, s2
	s_mul_i32 s8, s33, s8
	v_mov_b32_e32 v2, s2
	s_add_i32 s9, s9, s8
	v_sub_co_u32_e32 v2, vcc, s26, v2
	s_cmp_lg_u64 vcc, 0
	s_subb_u32 s2, s3, s9
	v_subrev_co_u32_e32 v5, vcc, s33, v2
	s_cmp_lg_u64 vcc, 0
	s_subb_u32 s8, s2, 0
	v_subrev_co_u32_e32 v6, vcc, s33, v5
	s_cmp_lg_u64 vcc, 0
	s_subb_u32 s9, s8, 0
	v_cmp_le_u32_e32 vcc, s33, v5
	s_cmp_eq_u32 s8, 0
	v_cndmask_b32_e64 v7, 0, -1, vcc
	s_cselect_b64 vcc, -1, 0
	v_cndmask_b32_e32 v7, -1, v7, vcc
	v_mov_b32_e32 v8, s8
	v_mov_b32_e32 v9, s9
	v_cmp_ne_u32_e32 vcc, 0, v7
	v_cndmask_b32_e32 v7, v8, v9, vcc
	v_cndmask_b32_e32 v5, v5, v6, vcc
	v_cmp_le_u32_e32 vcc, s33, v2
	s_cmp_eq_u32 s2, 0
	v_cndmask_b32_e64 v6, 0, -1, vcc
	s_cselect_b64 vcc, -1, 0
	v_cndmask_b32_e32 v6, -1, v6, vcc
	v_mov_b32_e32 v8, s2
	v_cmp_ne_u32_e32 vcc, 0, v6
	v_cndmask_b32_e32 v7, v8, v7, vcc
	v_cndmask_b32_e32 v6, v2, v5, vcc
	s_cbranch_execnz .LBB100_184
.LBB100_183:                            ;   in Loop: Header=BB100_10 Depth=1
	v_cvt_f32_u32_e32 v2, s33
	s_sub_i32 s2, 0, s33
	v_rcp_iflag_f32_e32 v2, v2
	v_mul_f32_e32 v2, 0x4f7ffffe, v2
	v_cvt_u32_f32_e32 v2, v2
	v_mul_lo_u32 v5, s2, v2
	v_mul_hi_u32 v5, v2, v5
	v_add_u32_e32 v2, v2, v5
	v_mul_hi_u32 v2, s26, v2
	v_mul_lo_u32 v2, v2, s33
	v_sub_u32_e32 v2, s26, v2
	v_subrev_u32_e32 v5, s33, v2
	v_cmp_le_u32_e32 vcc, s33, v2
	v_cndmask_b32_e32 v2, v2, v5, vcc
	v_subrev_u32_e32 v5, s33, v2
	v_cmp_le_u32_e32 vcc, s33, v2
	v_cndmask_b32_e32 v2, v2, v5, vcc
	v_pk_mov_b32 v[6:7], v[2:3], v[2:3] op_sel:[0,1]
.LBB100_184:                            ;   in Loop: Header=BB100_10 Depth=1
	v_mov_b32_e32 v2, s3
	v_sub_co_u32_e32 v10, vcc, s26, v6
	v_subb_co_u32_e32 v11, vcc, v2, v7, vcc
	v_cmp_gt_u64_e32 vcc, v[10:11], v[0:1]
	s_mov_b64 s[2:3], 0
                                        ; implicit-def: $vgpr8_vgpr9
	s_and_saveexec_b64 s[8:9], vcc
	s_cbranch_execz .LBB100_197
; %bb.185:                              ;   in Loop: Header=BB100_10 Depth=1
	s_mov_b64 s[26:27], 0
	v_mov_b32_e32 v2, v39
	v_pk_mov_b32 v[12:13], v[0:1], v[0:1] op_sel:[0,1]
                                        ; implicit-def: $sgpr2_sgpr3
	s_branch .LBB100_187
.LBB100_186:                            ;   in Loop: Header=BB100_187 Depth=2
	s_or_b64 exec, exec, s[30:31]
	s_waitcnt lgkmcnt(0)
	s_barrier
	ds_read_b128 v[6:9], v3 offset:3072
	v_mov_b32_e32 v5, s72
	v_add_co_u32_e32 v12, vcc, s33, v12
	v_addc_co_u32_e32 v13, vcc, v13, v5, vcc
	s_waitcnt lgkmcnt(0)
	v_readfirstlane_b32 s31, v7
	v_readfirstlane_b32 s30, v6
	s_cmp_lg_u64 s[30:31], 0
	s_cselect_b64 s[30:31], -1, 0
	v_cmp_ge_u64_e32 vcc, v[12:13], v[10:11]
	s_or_b64 s[34:35], vcc, s[30:31]
	s_and_b64 s[34:35], exec, s[34:35]
	s_or_b64 s[26:27], s[34:35], s[26:27]
	s_andn2_b64 s[2:3], s[2:3], exec
	s_and_b64 s[30:31], s[30:31], exec
	v_add_u32_e32 v2, s38, v2
	s_or_b64 s[2:3], s[2:3], s[30:31]
	s_barrier
	s_andn2_b64 exec, exec, s[26:27]
	s_cbranch_execz .LBB100_196
.LBB100_187:                            ;   Parent Loop BB100_10 Depth=1
                                        ; =>  This Inner Loop Header: Depth=2
	v_cmp_gt_u64_e32 vcc, s[0:1], v[12:13]
	v_pk_mov_b32 v[6:7], 0, 0
	s_and_saveexec_b64 s[30:31], vcc
	s_cbranch_execz .LBB100_189
; %bb.188:                              ;   in Loop: Header=BB100_187 Depth=2
	ds_read_b64 v[6:7], v2
.LBB100_189:                            ;   in Loop: Header=BB100_187 Depth=2
	s_or_b64 exec, exec, s[30:31]
	s_and_saveexec_b64 s[30:31], vcc
	s_cbranch_execz .LBB100_186
; %bb.190:                              ;   in Loop: Header=BB100_187 Depth=2
	s_waitcnt lgkmcnt(0)
	v_xor_b32_e32 v5, 0x80000000, v7
	v_and_b32_e32 v9, s83, v5
	v_and_b32_e32 v8, s82, v6
	v_cmp_eq_u64_e32 vcc, s[84:85], v[8:9]
	s_and_b64 exec, exec, vcc
	s_cbranch_execz .LBB100_186
; %bb.191:                              ;   in Loop: Header=BB100_187 Depth=2
	v_mov_b32_e32 v5, v3
	ds_write_b128 v3, v[4:7] offset:3072
	s_branch .LBB100_186
.LBB100_192:                            ;   in Loop: Header=BB100_10 Depth=1
	s_mov_b64 s[86:87], s[36:37]
                                        ; implicit-def: $sgpr30_sgpr31
                                        ; implicit-def: $sgpr36_sgpr37
                                        ; implicit-def: $sgpr34_sgpr35
	s_branch .LBB100_211
.LBB100_193:                            ;   in Loop: Header=BB100_10 Depth=1
                                        ; implicit-def: $vgpr6_vgpr7
	s_branch .LBB100_138
.LBB100_194:                            ;   in Loop: Header=BB100_10 Depth=1
                                        ; implicit-def: $vgpr6_vgpr7
	s_branch .LBB100_153
.LBB100_195:                            ;   in Loop: Header=BB100_10 Depth=1
	s_mov_b64 s[30:31], -1
	s_mov_b64 s[2:3], 0
                                        ; implicit-def: $sgpr34_sgpr35
                                        ; implicit-def: $vgpr8_vgpr9
	s_mov_b64 s[36:37], s[30:31]
	s_cbranch_execnz .LBB100_198
	s_branch .LBB100_211
.LBB100_196:                            ;   in Loop: Header=BB100_10 Depth=1
	s_or_b64 exec, exec, s[26:27]
	s_and_b64 s[2:3], s[2:3], exec
.LBB100_197:                            ;   in Loop: Header=BB100_10 Depth=1
	s_or_b64 exec, exec, s[8:9]
	s_mov_b64 s[34:35], -1
	s_mov_b64 s[30:31], 0
	s_mov_b64 s[36:37], s[30:31]
	s_branch .LBB100_211
.LBB100_198:                            ;   in Loop: Header=BB100_10 Depth=1
	s_mov_b32 s44, s71
	s_cmp_lg_u64 s[44:45], 0
	s_cbranch_scc0 .LBB100_241
; %bb.199:                              ;   in Loop: Header=BB100_10 Depth=1
	v_cvt_f32_u32_e32 v2, s33
	s_sub_u32 s0, 0, s33
	s_subb_u32 s1, 0, 0
	v_mac_f32_e32 v2, 0, v45
	v_rcp_f32_e32 v2, v2
	v_mul_f32_e32 v2, 0x5f7ffffc, v2
	v_mul_f32_e32 v5, 0x2f800000, v2
	v_trunc_f32_e32 v5, v5
	v_mac_f32_e32 v2, 0xcf800000, v5
	v_cvt_u32_f32_e32 v5, v5
	v_cvt_u32_f32_e32 v2, v2
	v_readfirstlane_b32 s2, v5
	v_readfirstlane_b32 s3, v2
	s_mul_i32 s8, s0, s2
	s_mul_hi_u32 s26, s0, s3
	s_mul_i32 s9, s1, s3
	s_add_i32 s8, s26, s8
	s_mul_i32 s27, s0, s3
	s_add_i32 s8, s8, s9
	s_mul_hi_u32 s26, s3, s27
	s_mul_hi_u32 s9, s3, s8
	s_mul_i32 s3, s3, s8
	s_add_u32 s3, s26, s3
	s_addc_u32 s9, 0, s9
	s_mul_hi_u32 s30, s2, s27
	s_mul_i32 s27, s2, s27
	s_add_u32 s3, s3, s27
	s_mul_hi_u32 s26, s2, s8
	s_addc_u32 s3, s9, s30
	s_addc_u32 s9, s26, 0
	s_mul_i32 s8, s2, s8
	s_add_u32 s3, s3, s8
	s_addc_u32 s8, 0, s9
	v_add_co_u32_e32 v2, vcc, s3, v2
	s_cmp_lg_u64 vcc, 0
	s_addc_u32 s2, s2, s8
	v_readfirstlane_b32 s8, v2
	s_mul_i32 s3, s0, s2
	s_mul_hi_u32 s9, s0, s8
	s_add_i32 s3, s9, s3
	s_mul_i32 s1, s1, s8
	s_add_i32 s3, s3, s1
	s_mul_i32 s0, s0, s8
	s_mul_hi_u32 s9, s2, s0
	s_mul_i32 s26, s2, s0
	s_mul_i32 s30, s8, s3
	s_mul_hi_u32 s0, s8, s0
	s_mul_hi_u32 s27, s8, s3
	s_add_u32 s0, s0, s30
	s_addc_u32 s8, 0, s27
	s_add_u32 s0, s0, s26
	s_mul_hi_u32 s1, s2, s3
	s_addc_u32 s0, s8, s9
	s_addc_u32 s1, s1, 0
	s_mul_i32 s3, s2, s3
	s_add_u32 s0, s0, s3
	s_addc_u32 s1, 0, s1
	v_add_co_u32_e32 v2, vcc, s0, v2
	s_cmp_lg_u64 vcc, 0
	s_addc_u32 s0, s2, s1
	v_readlane_b32 s26, v56, 15
	v_readfirstlane_b32 s3, v2
	s_mul_i32 s2, s26, s0
	s_mul_hi_u32 s8, s26, s3
	s_mul_hi_u32 s1, s26, s0
	s_add_u32 s2, s8, s2
	s_addc_u32 s1, 0, s1
	s_mul_hi_u32 s9, s45, s3
	s_mul_i32 s3, s45, s3
	s_add_u32 s2, s2, s3
	s_mul_hi_u32 s8, s45, s0
	s_addc_u32 s1, s1, s9
	s_addc_u32 s2, s8, 0
	s_mul_i32 s0, s45, s0
	s_add_u32 s0, s1, s0
	s_addc_u32 s1, 0, s2
	s_mul_hi_u32 s2, s33, s0
	s_mul_i32 s0, s33, s0
	s_mul_i32 s1, s33, s1
	v_mov_b32_e32 v2, s0
	s_add_i32 s2, s2, s1
	v_sub_co_u32_e32 v2, vcc, s26, v2
	s_cmp_lg_u64 vcc, 0
	s_subb_u32 s0, s45, s2
	v_subrev_co_u32_e32 v5, vcc, s33, v2
	s_cmp_lg_u64 vcc, 0
	s_subb_u32 s1, s0, 0
	v_subrev_co_u32_e32 v6, vcc, s33, v5
	s_cmp_lg_u64 vcc, 0
	s_subb_u32 s2, s1, 0
	v_cmp_le_u32_e32 vcc, s33, v5
	s_cmp_eq_u32 s1, 0
	v_cndmask_b32_e64 v7, 0, -1, vcc
	s_cselect_b64 vcc, -1, 0
	v_cndmask_b32_e32 v7, -1, v7, vcc
	v_mov_b32_e32 v8, s1
	v_mov_b32_e32 v9, s2
	v_cmp_ne_u32_e32 vcc, 0, v7
	v_cndmask_b32_e32 v7, v8, v9, vcc
	v_cndmask_b32_e32 v5, v5, v6, vcc
	v_cmp_le_u32_e32 vcc, s33, v2
	s_cmp_eq_u32 s0, 0
	v_cndmask_b32_e64 v6, 0, -1, vcc
	s_cselect_b64 vcc, -1, 0
	v_cndmask_b32_e32 v6, -1, v6, vcc
	v_mov_b32_e32 v8, s0
	v_cmp_ne_u32_e32 vcc, 0, v6
	v_cndmask_b32_e32 v7, v8, v7, vcc
	v_cndmask_b32_e32 v6, v2, v5, vcc
	s_cbranch_execnz .LBB100_201
.LBB100_200:                            ;   in Loop: Header=BB100_10 Depth=1
	v_cvt_f32_u32_e32 v2, s33
	s_sub_i32 s0, 0, s33
	v_rcp_iflag_f32_e32 v2, v2
	v_mul_f32_e32 v2, 0x4f7ffffe, v2
	v_cvt_u32_f32_e32 v2, v2
	v_mul_lo_u32 v5, s0, v2
	v_mul_hi_u32 v5, v2, v5
	v_add_u32_e32 v2, v2, v5
	v_readlane_b32 s0, v56, 15
	v_mul_hi_u32 v2, s0, v2
	v_mul_lo_u32 v2, v2, s33
	v_sub_u32_e32 v2, s0, v2
	v_subrev_u32_e32 v5, s33, v2
	v_cmp_le_u32_e32 vcc, s33, v2
	v_cndmask_b32_e32 v2, v2, v5, vcc
	v_subrev_u32_e32 v5, s33, v2
	v_cmp_le_u32_e32 vcc, s33, v2
	v_cndmask_b32_e32 v2, v2, v5, vcc
	v_pk_mov_b32 v[6:7], v[2:3], v[2:3] op_sel:[0,1]
.LBB100_201:                            ;   in Loop: Header=BB100_10 Depth=1
	v_readlane_b32 s0, v56, 15
	v_mov_b32_e32 v2, s45
	v_sub_co_u32_e32 v10, vcc, s0, v6
	v_subb_co_u32_e32 v11, vcc, v2, v7, vcc
	v_cmp_gt_u64_e32 vcc, v[10:11], v[0:1]
	s_mov_b64 s[2:3], 0
                                        ; implicit-def: $vgpr8_vgpr9
	s_and_saveexec_b64 s[0:1], vcc
	s_cbranch_execz .LBB100_210
; %bb.202:                              ;   in Loop: Header=BB100_10 Depth=1
	s_mov_b64 s[8:9], 0
	v_pk_mov_b32 v[12:13], v[18:19], v[18:19] op_sel:[0,1]
	v_pk_mov_b32 v[14:15], v[0:1], v[0:1] op_sel:[0,1]
                                        ; implicit-def: $sgpr2_sgpr3
	s_branch .LBB100_204
.LBB100_203:                            ;   in Loop: Header=BB100_204 Depth=2
	s_or_b64 exec, exec, s[26:27]
	s_waitcnt lgkmcnt(0)
	s_barrier
	s_waitcnt vmcnt(0)
	ds_read_b128 v[6:9], v3 offset:3072
	v_mov_b32_e32 v2, s72
	v_add_co_u32_e32 v14, vcc, s33, v14
	v_addc_co_u32_e32 v15, vcc, v15, v2, vcc
	s_waitcnt lgkmcnt(0)
	v_readfirstlane_b32 s27, v7
	v_readfirstlane_b32 s26, v6
	s_cmp_lg_u64 s[26:27], 0
	s_cselect_b64 s[26:27], -1, 0
	v_cmp_ge_u64_e32 vcc, v[14:15], v[10:11]
	s_or_b64 s[30:31], vcc, s[26:27]
	s_and_b64 s[30:31], exec, s[30:31]
	s_or_b64 s[8:9], s[30:31], s[8:9]
	v_mov_b32_e32 v2, s67
	v_add_co_u32_e32 v12, vcc, s66, v12
	s_andn2_b64 s[2:3], s[2:3], exec
	s_and_b64 s[26:27], s[26:27], exec
	v_addc_co_u32_e32 v13, vcc, v13, v2, vcc
	s_or_b64 s[2:3], s[2:3], s[26:27]
	s_barrier
	s_andn2_b64 exec, exec, s[8:9]
	s_cbranch_execz .LBB100_209
.LBB100_204:                            ;   Parent Loop BB100_10 Depth=1
                                        ; =>  This Inner Loop Header: Depth=2
	v_cmp_gt_u64_e32 vcc, s[52:53], v[14:15]
	v_pk_mov_b32 v[6:7], 0, 0
	s_and_saveexec_b64 s[26:27], vcc
	s_cbranch_execz .LBB100_206
; %bb.205:                              ;   in Loop: Header=BB100_204 Depth=2
	global_load_dwordx2 v[6:7], v[12:13], off
.LBB100_206:                            ;   in Loop: Header=BB100_204 Depth=2
	s_or_b64 exec, exec, s[26:27]
	s_and_saveexec_b64 s[26:27], vcc
	s_cbranch_execz .LBB100_203
; %bb.207:                              ;   in Loop: Header=BB100_204 Depth=2
	s_waitcnt vmcnt(0)
	v_xor_b32_e32 v2, 0x80000000, v7
	v_and_b32_e32 v9, s83, v2
	v_and_b32_e32 v8, s82, v6
	v_cmp_eq_u64_e32 vcc, s[84:85], v[8:9]
	s_and_b64 exec, exec, vcc
	s_cbranch_execz .LBB100_203
; %bb.208:                              ;   in Loop: Header=BB100_204 Depth=2
	v_mov_b32_e32 v5, v3
	ds_write_b128 v3, v[4:7] offset:3072
	s_branch .LBB100_203
.LBB100_209:                            ;   in Loop: Header=BB100_10 Depth=1
	s_or_b64 exec, exec, s[8:9]
	s_and_b64 s[2:3], s[2:3], exec
.LBB100_210:                            ;   in Loop: Header=BB100_10 Depth=1
	s_or_b64 exec, exec, s[0:1]
	s_mov_b64 s[36:37], -1
	s_mov_b64 s[30:31], 0
	s_mov_b64 s[34:35], 0
.LBB100_211:                            ;   in Loop: Header=BB100_10 Depth=1
	s_mov_b64 s[0:1], 0
                                        ; implicit-def: $sgpr44
	s_and_saveexec_b64 s[38:39], s[2:3]
	s_cbranch_execz .LBB100_273
; %bb.212:                              ;   in Loop: Header=BB100_10 Depth=1
	s_xor_b64 s[0:1], s[40:41], -1
	s_andn2_b64 vcc, exec, s[0:1]
	s_mov_b32 s44, 1
	s_cbranch_vccnz .LBB100_223
; %bb.213:                              ;   in Loop: Header=BB100_10 Depth=1
	s_waitcnt vmcnt(0)
	v_pk_mov_b32 v[6:7], s[16:17], s[16:17] op_sel:[0,1]
	v_cmp_gt_u64_e32 vcc, s[92:93], v[6:7]
	s_mov_b64 s[0:1], -1
                                        ; implicit-def: $sgpr44
                                        ; implicit-def: $sgpr2_sgpr3
                                        ; implicit-def: $sgpr8_sgpr9
	s_cbranch_vccnz .LBB100_219
; %bb.214:                              ;   in Loop: Header=BB100_10 Depth=1
	ds_read_b64 v[6:7], v3 offset:5120
	s_waitcnt lgkmcnt(0)
	v_cmp_ne_u64_e32 vcc, 0, v[6:7]
	s_cbranch_vccnz .LBB100_218
; %bb.215:                              ;   in Loop: Header=BB100_10 Depth=1
	s_mov_b64 s[0:1], exec
	v_readlane_b32 s2, v56, 0
	v_readlane_b32 s3, v56, 1
	s_and_b64 s[2:3], s[0:1], s[2:3]
	s_mov_b64 exec, s[2:3]
	s_cbranch_execz .LBB100_217
; %bb.216:                              ;   in Loop: Header=BB100_10 Depth=1
	v_pk_mov_b32 v[6:7], s[16:17], s[16:17] op_sel:[0,1]
	ds_write_b64 v3, v[6:7] offset:5128
.LBB100_217:                            ;   in Loop: Header=BB100_10 Depth=1
	s_or_b64 exec, exec, s[0:1]
	s_waitcnt lgkmcnt(0)
	s_barrier
.LBB100_218:                            ;   in Loop: Header=BB100_10 Depth=1
	s_lshl_b64 s[0:1], 2, s42
	s_and_b64 s[2:3], s[84:85], s[18:19]
	s_or_b64 s[2:3], s[2:3], s[0:1]
	s_or_b64 s[8:9], s[82:83], s[10:11]
	s_mov_b64 s[0:1], 0
	s_mov_b32 s44, 8
.LBB100_219:                            ;   in Loop: Header=BB100_10 Depth=1
	s_andn2_b64 vcc, exec, s[0:1]
	s_cbranch_vccnz .LBB100_221
; %bb.220:                              ;   in Loop: Header=BB100_10 Depth=1
	s_sub_u32 s92, s92, s16
	s_subb_u32 s93, s93, s17
	s_mov_b64 s[0:1], -1
	s_mov_b32 s44, 0
	s_mov_b64 s[2:3], s[84:85]
	s_mov_b64 s[8:9], s[82:83]
.LBB100_221:                            ;   in Loop: Header=BB100_10 Depth=1
	s_mov_b64 s[82:83], s[8:9]
	s_mov_b64 s[84:85], s[2:3]
	s_andn2_b64 vcc, exec, s[0:1]
	s_mov_b64 s[40:41], -1
	s_cbranch_vccz .LBB100_224
.LBB100_222:                            ;   in Loop: Header=BB100_10 Depth=1
                                        ; implicit-def: $sgpr0_sgpr1
                                        ; implicit-def: $sgpr8_sgpr9
                                        ; implicit-def: $sgpr2_sgpr3
	s_branch .LBB100_272
.LBB100_223:                            ;   in Loop: Header=BB100_10 Depth=1
	s_mov_b64 s[92:93], 1
	s_mov_b64 s[40:41], -1
	s_cbranch_execnz .LBB100_222
.LBB100_224:                            ;   in Loop: Header=BB100_10 Depth=1
	s_cmp_eq_u64 s[6:7], 1
	s_cselect_b64 s[0:1], -1, 0
	s_cmp_eq_u64 s[92:93], 1
	s_cselect_b64 s[2:3], -1, 0
	s_and_b64 s[16:17], s[0:1], s[2:3]
	s_mov_b64 s[18:19], -1
	s_and_b64 vcc, exec, s[16:17]
	s_cbranch_vccz .LBB100_239
; %bb.225:                              ;   in Loop: Header=BB100_10 Depth=1
	s_waitcnt vmcnt(0)
	ds_read_b64 v[6:7], v3 offset:5120
	s_waitcnt lgkmcnt(0)
	s_barrier
	v_readfirstlane_b32 s0, v6
	v_readfirstlane_b32 s1, v7
	s_and_saveexec_b64 s[2:3], s[60:61]
	v_readlane_b32 s43, v56, 32
	s_cbranch_execz .LBB100_227
; %bb.226:                              ;   in Loop: Header=BB100_10 Depth=1
	v_mov_b32_e32 v2, v3
	ds_write_b64 v40, v[2:3]
.LBB100_227:                            ;   in Loop: Header=BB100_10 Depth=1
	s_or_b64 exec, exec, s[2:3]
	s_or_b64 s[84:85], s[84:85], s[10:11]
	s_or_b64 s[82:83], s[82:83], s[10:11]
	s_cmp_eq_u64 s[0:1], 0
	s_waitcnt lgkmcnt(0)
	s_barrier
	s_cbranch_scc1 .LBB100_242
; %bb.228:                              ;   in Loop: Header=BB100_10 Depth=1
	v_readlane_b32 s2, v56, 14
	s_add_u32 s18, s2, s0
	v_readlane_b32 s2, v56, 16
	s_addc_u32 s3, s2, s1
	s_mov_b32 s2, s71
	s_cmp_lg_u64 s[2:3], 0
	s_cbranch_scc0 .LBB100_278
; %bb.229:                              ;   in Loop: Header=BB100_10 Depth=1
	v_cvt_f32_u32_e32 v2, s33
	s_sub_u32 s2, 0, s33
	s_subb_u32 s8, 0, 0
	v_mac_f32_e32 v2, 0, v45
	v_rcp_f32_e32 v2, v2
	v_mul_f32_e32 v2, 0x5f7ffffc, v2
	v_mul_f32_e32 v5, 0x2f800000, v2
	v_trunc_f32_e32 v5, v5
	v_mac_f32_e32 v2, 0xcf800000, v5
	v_cvt_u32_f32_e32 v5, v5
	v_cvt_u32_f32_e32 v2, v2
	v_readfirstlane_b32 s9, v5
	v_readfirstlane_b32 s19, v2
	s_mul_i32 s26, s2, s9
	s_mul_hi_u32 s40, s2, s19
	s_mul_i32 s27, s8, s19
	s_add_i32 s26, s40, s26
	s_mul_i32 s41, s2, s19
	s_add_i32 s26, s26, s27
	s_mul_hi_u32 s40, s19, s41
	s_mul_hi_u32 s27, s19, s26
	s_mul_i32 s19, s19, s26
	s_add_u32 s19, s40, s19
	s_addc_u32 s27, 0, s27
	s_mul_hi_u32 s42, s9, s41
	s_mul_i32 s41, s9, s41
	s_add_u32 s19, s19, s41
	s_mul_hi_u32 s40, s9, s26
	s_addc_u32 s19, s27, s42
	s_addc_u32 s27, s40, 0
	s_mul_i32 s26, s9, s26
	s_add_u32 s19, s19, s26
	s_addc_u32 s26, 0, s27
	v_add_co_u32_e32 v2, vcc, s19, v2
	s_cmp_lg_u64 vcc, 0
	s_addc_u32 s9, s9, s26
	v_readfirstlane_b32 s26, v2
	s_mul_i32 s19, s2, s9
	s_mul_hi_u32 s27, s2, s26
	s_add_i32 s19, s27, s19
	s_mul_i32 s8, s8, s26
	s_add_i32 s19, s19, s8
	s_mul_i32 s2, s2, s26
	s_mul_hi_u32 s27, s9, s2
	s_mul_i32 s40, s9, s2
	s_mul_i32 s42, s26, s19
	s_mul_hi_u32 s2, s26, s2
	s_mul_hi_u32 s41, s26, s19
	s_add_u32 s2, s2, s42
	s_addc_u32 s26, 0, s41
	s_add_u32 s2, s2, s40
	s_mul_hi_u32 s8, s9, s19
	s_addc_u32 s2, s26, s27
	s_addc_u32 s8, s8, 0
	s_mul_i32 s19, s9, s19
	s_add_u32 s2, s2, s19
	s_addc_u32 s8, 0, s8
	v_add_co_u32_e32 v2, vcc, s2, v2
	s_cmp_lg_u64 vcc, 0
	s_addc_u32 s2, s9, s8
	v_readfirstlane_b32 s19, v2
	s_mul_i32 s9, s18, s2
	s_mul_hi_u32 s26, s18, s19
	s_mul_hi_u32 s8, s18, s2
	s_add_u32 s9, s26, s9
	s_addc_u32 s8, 0, s8
	s_mul_hi_u32 s27, s3, s19
	s_mul_i32 s19, s3, s19
	s_add_u32 s9, s9, s19
	s_mul_hi_u32 s26, s3, s2
	s_addc_u32 s8, s8, s27
	s_addc_u32 s9, s26, 0
	s_mul_i32 s2, s3, s2
	s_add_u32 s2, s8, s2
	s_addc_u32 s8, 0, s9
	s_mul_hi_u32 s9, s33, s2
	s_mul_i32 s2, s33, s2
	s_mul_i32 s8, s33, s8
	v_mov_b32_e32 v2, s2
	s_add_i32 s9, s9, s8
	v_sub_co_u32_e32 v2, vcc, s18, v2
	s_cmp_lg_u64 vcc, 0
	s_subb_u32 s2, s3, s9
	v_subrev_co_u32_e32 v5, vcc, s33, v2
	s_cmp_lg_u64 vcc, 0
	s_subb_u32 s8, s2, 0
	v_subrev_co_u32_e32 v6, vcc, s33, v5
	s_cmp_lg_u64 vcc, 0
	s_subb_u32 s9, s8, 0
	v_cmp_le_u32_e32 vcc, s33, v5
	s_cmp_eq_u32 s8, 0
	v_cndmask_b32_e64 v7, 0, -1, vcc
	s_cselect_b64 vcc, -1, 0
	v_cndmask_b32_e32 v7, -1, v7, vcc
	v_mov_b32_e32 v8, s8
	v_mov_b32_e32 v9, s9
	v_cmp_ne_u32_e32 vcc, 0, v7
	v_cndmask_b32_e32 v7, v8, v9, vcc
	v_cndmask_b32_e32 v5, v5, v6, vcc
	v_cmp_le_u32_e32 vcc, s33, v2
	s_cmp_eq_u32 s2, 0
	v_cndmask_b32_e64 v6, 0, -1, vcc
	s_cselect_b64 vcc, -1, 0
	v_cndmask_b32_e32 v6, -1, v6, vcc
	v_mov_b32_e32 v8, s2
	v_cmp_ne_u32_e32 vcc, 0, v6
	v_cndmask_b32_e32 v7, v8, v7, vcc
	v_cndmask_b32_e32 v6, v2, v5, vcc
	s_cbranch_execnz .LBB100_231
.LBB100_230:                            ;   in Loop: Header=BB100_10 Depth=1
	v_cvt_f32_u32_e32 v2, s33
	s_sub_i32 s2, 0, s33
	v_rcp_iflag_f32_e32 v2, v2
	v_mul_f32_e32 v2, 0x4f7ffffe, v2
	v_cvt_u32_f32_e32 v2, v2
	v_mul_lo_u32 v5, s2, v2
	v_mul_hi_u32 v5, v2, v5
	v_add_u32_e32 v2, v2, v5
	v_mul_hi_u32 v2, s18, v2
	v_mul_lo_u32 v2, v2, s33
	v_sub_u32_e32 v2, s18, v2
	v_subrev_u32_e32 v5, s33, v2
	v_cmp_le_u32_e32 vcc, s33, v2
	v_cndmask_b32_e32 v2, v2, v5, vcc
	v_subrev_u32_e32 v5, s33, v2
	v_cmp_le_u32_e32 vcc, s33, v2
	v_cndmask_b32_e32 v2, v2, v5, vcc
	v_pk_mov_b32 v[6:7], v[2:3], v[2:3] op_sel:[0,1]
.LBB100_231:                            ;   in Loop: Header=BB100_10 Depth=1
	v_mov_b32_e32 v2, s3
	v_sub_co_u32_e32 v10, vcc, s18, v6
	v_subb_co_u32_e32 v11, vcc, v2, v7, vcc
	v_cmp_gt_u64_e32 vcc, v[10:11], v[0:1]
	s_mov_b64 s[18:19], 0
                                        ; implicit-def: $vgpr8_vgpr9
	s_and_saveexec_b64 s[2:3], vcc
	s_cbranch_execz .LBB100_244
; %bb.232:                              ;   in Loop: Header=BB100_10 Depth=1
	v_mov_b32_e32 v2, v39
	v_pk_mov_b32 v[12:13], v[0:1], v[0:1] op_sel:[0,1]
                                        ; implicit-def: $sgpr8_sgpr9
	s_branch .LBB100_234
.LBB100_233:                            ;   in Loop: Header=BB100_234 Depth=2
	s_or_b64 exec, exec, s[26:27]
	s_waitcnt lgkmcnt(0)
	s_barrier
	ds_read_b128 v[6:9], v3 offset:3072
	v_mov_b32_e32 v5, s72
	v_add_co_u32_e32 v12, vcc, s33, v12
	v_addc_co_u32_e32 v13, vcc, v13, v5, vcc
	s_waitcnt lgkmcnt(0)
	v_readfirstlane_b32 s27, v7
	v_readfirstlane_b32 s26, v6
	s_cmp_lg_u64 s[26:27], 0
	s_cselect_b64 s[26:27], -1, 0
	v_cmp_ge_u64_e32 vcc, v[12:13], v[10:11]
	s_or_b64 s[40:41], vcc, s[26:27]
	s_and_b64 s[40:41], exec, s[40:41]
	s_or_b64 s[18:19], s[40:41], s[18:19]
	s_andn2_b64 s[8:9], s[8:9], exec
	s_and_b64 s[26:27], s[26:27], exec
	v_add_u32_e32 v2, s43, v2
	s_or_b64 s[8:9], s[8:9], s[26:27]
	s_barrier
	s_andn2_b64 exec, exec, s[18:19]
	s_cbranch_execz .LBB100_243
.LBB100_234:                            ;   Parent Loop BB100_10 Depth=1
                                        ; =>  This Inner Loop Header: Depth=2
	v_cmp_gt_u64_e32 vcc, s[0:1], v[12:13]
	v_pk_mov_b32 v[6:7], 0, 0
	s_and_saveexec_b64 s[26:27], vcc
	s_cbranch_execz .LBB100_236
; %bb.235:                              ;   in Loop: Header=BB100_234 Depth=2
	ds_read_b64 v[6:7], v2
.LBB100_236:                            ;   in Loop: Header=BB100_234 Depth=2
	s_or_b64 exec, exec, s[26:27]
	s_and_saveexec_b64 s[26:27], vcc
	s_cbranch_execz .LBB100_233
; %bb.237:                              ;   in Loop: Header=BB100_234 Depth=2
	s_waitcnt lgkmcnt(0)
	v_xor_b32_e32 v5, 0x80000000, v7
	v_and_b32_e32 v9, s83, v5
	v_and_b32_e32 v8, s82, v6
	v_cmp_eq_u64_e32 vcc, s[84:85], v[8:9]
	s_and_b64 exec, exec, vcc
	s_cbranch_execz .LBB100_233
; %bb.238:                              ;   in Loop: Header=BB100_234 Depth=2
	v_mov_b32_e32 v5, v3
	ds_write_b128 v3, v[4:7] offset:3072
	s_branch .LBB100_233
.LBB100_239:                            ;   in Loop: Header=BB100_10 Depth=1
                                        ; implicit-def: $sgpr0_sgpr1
                                        ; implicit-def: $sgpr8_sgpr9
                                        ; implicit-def: $sgpr2_sgpr3
	s_branch .LBB100_258
.LBB100_240:                            ;   in Loop: Header=BB100_10 Depth=1
                                        ; implicit-def: $vgpr6_vgpr7
	s_branch .LBB100_183
.LBB100_241:                            ;   in Loop: Header=BB100_10 Depth=1
                                        ; implicit-def: $vgpr6_vgpr7
	s_branch .LBB100_200
.LBB100_242:                            ;   in Loop: Header=BB100_10 Depth=1
	s_mov_b64 s[0:1], -1
	s_mov_b64 s[18:19], 0
                                        ; implicit-def: $sgpr2_sgpr3
                                        ; implicit-def: $vgpr8_vgpr9
	s_mov_b64 s[8:9], s[0:1]
	s_cbranch_execnz .LBB100_245
	s_branch .LBB100_258
.LBB100_243:                            ;   in Loop: Header=BB100_10 Depth=1
	s_or_b64 exec, exec, s[18:19]
	s_and_b64 s[18:19], s[8:9], exec
.LBB100_244:                            ;   in Loop: Header=BB100_10 Depth=1
	s_or_b64 exec, exec, s[2:3]
	s_mov_b64 s[2:3], -1
	s_mov_b64 s[0:1], 0
	s_mov_b64 s[8:9], s[0:1]
	s_branch .LBB100_258
.LBB100_245:                            ;   in Loop: Header=BB100_10 Depth=1
	s_mov_b32 s44, s71
	s_cmp_lg_u64 s[44:45], 0
	s_cbranch_scc0 .LBB100_279
; %bb.246:                              ;   in Loop: Header=BB100_10 Depth=1
	v_cvt_f32_u32_e32 v2, s33
	s_sub_u32 s0, 0, s33
	s_subb_u32 s1, 0, 0
	v_mac_f32_e32 v2, 0, v45
	v_rcp_f32_e32 v2, v2
	v_mul_f32_e32 v2, 0x5f7ffffc, v2
	v_mul_f32_e32 v5, 0x2f800000, v2
	v_trunc_f32_e32 v5, v5
	v_mac_f32_e32 v2, 0xcf800000, v5
	v_cvt_u32_f32_e32 v5, v5
	v_cvt_u32_f32_e32 v2, v2
	v_readfirstlane_b32 s2, v5
	v_readfirstlane_b32 s3, v2
	s_mul_i32 s8, s0, s2
	s_mul_hi_u32 s18, s0, s3
	s_mul_i32 s9, s1, s3
	s_add_i32 s8, s18, s8
	s_mul_i32 s19, s0, s3
	s_add_i32 s8, s8, s9
	s_mul_hi_u32 s18, s3, s19
	s_mul_hi_u32 s9, s3, s8
	s_mul_i32 s3, s3, s8
	s_add_u32 s3, s18, s3
	s_addc_u32 s9, 0, s9
	s_mul_hi_u32 s26, s2, s19
	s_mul_i32 s19, s2, s19
	s_add_u32 s3, s3, s19
	s_mul_hi_u32 s18, s2, s8
	s_addc_u32 s3, s9, s26
	s_addc_u32 s9, s18, 0
	s_mul_i32 s8, s2, s8
	s_add_u32 s3, s3, s8
	s_addc_u32 s8, 0, s9
	v_add_co_u32_e32 v2, vcc, s3, v2
	s_cmp_lg_u64 vcc, 0
	s_addc_u32 s2, s2, s8
	v_readfirstlane_b32 s8, v2
	s_mul_i32 s3, s0, s2
	s_mul_hi_u32 s9, s0, s8
	s_add_i32 s3, s9, s3
	s_mul_i32 s1, s1, s8
	s_add_i32 s3, s3, s1
	s_mul_i32 s0, s0, s8
	s_mul_hi_u32 s9, s2, s0
	s_mul_i32 s18, s2, s0
	s_mul_i32 s26, s8, s3
	s_mul_hi_u32 s0, s8, s0
	s_mul_hi_u32 s19, s8, s3
	s_add_u32 s0, s0, s26
	s_addc_u32 s8, 0, s19
	s_add_u32 s0, s0, s18
	s_mul_hi_u32 s1, s2, s3
	s_addc_u32 s0, s8, s9
	s_addc_u32 s1, s1, 0
	s_mul_i32 s3, s2, s3
	s_add_u32 s0, s0, s3
	s_addc_u32 s1, 0, s1
	v_add_co_u32_e32 v2, vcc, s0, v2
	s_cmp_lg_u64 vcc, 0
	s_addc_u32 s0, s2, s1
	v_readlane_b32 s18, v56, 15
	v_readfirstlane_b32 s3, v2
	s_mul_i32 s2, s18, s0
	s_mul_hi_u32 s8, s18, s3
	s_mul_hi_u32 s1, s18, s0
	s_add_u32 s2, s8, s2
	s_addc_u32 s1, 0, s1
	s_mul_hi_u32 s9, s45, s3
	s_mul_i32 s3, s45, s3
	s_add_u32 s2, s2, s3
	s_mul_hi_u32 s8, s45, s0
	s_addc_u32 s1, s1, s9
	s_addc_u32 s2, s8, 0
	s_mul_i32 s0, s45, s0
	s_add_u32 s0, s1, s0
	s_addc_u32 s1, 0, s2
	s_mul_hi_u32 s2, s33, s0
	s_mul_i32 s0, s33, s0
	s_mul_i32 s1, s33, s1
	v_mov_b32_e32 v2, s0
	s_add_i32 s2, s2, s1
	v_sub_co_u32_e32 v2, vcc, s18, v2
	s_cmp_lg_u64 vcc, 0
	s_subb_u32 s0, s45, s2
	v_subrev_co_u32_e32 v5, vcc, s33, v2
	s_cmp_lg_u64 vcc, 0
	s_subb_u32 s1, s0, 0
	v_subrev_co_u32_e32 v6, vcc, s33, v5
	s_cmp_lg_u64 vcc, 0
	s_subb_u32 s2, s1, 0
	v_cmp_le_u32_e32 vcc, s33, v5
	s_cmp_eq_u32 s1, 0
	v_cndmask_b32_e64 v7, 0, -1, vcc
	s_cselect_b64 vcc, -1, 0
	v_cndmask_b32_e32 v7, -1, v7, vcc
	v_mov_b32_e32 v8, s1
	v_mov_b32_e32 v9, s2
	v_cmp_ne_u32_e32 vcc, 0, v7
	v_cndmask_b32_e32 v7, v8, v9, vcc
	v_cndmask_b32_e32 v5, v5, v6, vcc
	v_cmp_le_u32_e32 vcc, s33, v2
	s_cmp_eq_u32 s0, 0
	v_cndmask_b32_e64 v6, 0, -1, vcc
	s_cselect_b64 vcc, -1, 0
	v_cndmask_b32_e32 v6, -1, v6, vcc
	v_mov_b32_e32 v8, s0
	v_cmp_ne_u32_e32 vcc, 0, v6
	v_cndmask_b32_e32 v7, v8, v7, vcc
	v_cndmask_b32_e32 v6, v2, v5, vcc
	s_cbranch_execnz .LBB100_248
.LBB100_247:                            ;   in Loop: Header=BB100_10 Depth=1
	v_cvt_f32_u32_e32 v2, s33
	s_sub_i32 s0, 0, s33
	v_rcp_iflag_f32_e32 v2, v2
	v_mul_f32_e32 v2, 0x4f7ffffe, v2
	v_cvt_u32_f32_e32 v2, v2
	v_mul_lo_u32 v5, s0, v2
	v_mul_hi_u32 v5, v2, v5
	v_add_u32_e32 v2, v2, v5
	v_readlane_b32 s0, v56, 15
	v_mul_hi_u32 v2, s0, v2
	v_mul_lo_u32 v2, v2, s33
	v_sub_u32_e32 v2, s0, v2
	v_subrev_u32_e32 v5, s33, v2
	v_cmp_le_u32_e32 vcc, s33, v2
	v_cndmask_b32_e32 v2, v2, v5, vcc
	v_subrev_u32_e32 v5, s33, v2
	v_cmp_le_u32_e32 vcc, s33, v2
	v_cndmask_b32_e32 v2, v2, v5, vcc
	v_pk_mov_b32 v[6:7], v[2:3], v[2:3] op_sel:[0,1]
.LBB100_248:                            ;   in Loop: Header=BB100_10 Depth=1
	v_readlane_b32 s0, v56, 15
	v_mov_b32_e32 v2, s45
	v_sub_co_u32_e32 v10, vcc, s0, v6
	v_subb_co_u32_e32 v11, vcc, v2, v7, vcc
	v_cmp_gt_u64_e32 vcc, v[10:11], v[0:1]
	s_mov_b64 s[18:19], 0
                                        ; implicit-def: $vgpr8_vgpr9
	s_and_saveexec_b64 s[0:1], vcc
	s_cbranch_execz .LBB100_257
; %bb.249:                              ;   in Loop: Header=BB100_10 Depth=1
	s_mov_b64 s[8:9], 0
	v_pk_mov_b32 v[12:13], v[18:19], v[18:19] op_sel:[0,1]
	v_pk_mov_b32 v[14:15], v[0:1], v[0:1] op_sel:[0,1]
                                        ; implicit-def: $sgpr2_sgpr3
	s_branch .LBB100_251
.LBB100_250:                            ;   in Loop: Header=BB100_251 Depth=2
	s_or_b64 exec, exec, s[18:19]
	s_waitcnt lgkmcnt(0)
	s_barrier
	s_waitcnt vmcnt(0)
	ds_read_b128 v[6:9], v3 offset:3072
	v_mov_b32_e32 v2, s72
	v_add_co_u32_e32 v14, vcc, s33, v14
	v_addc_co_u32_e32 v15, vcc, v15, v2, vcc
	s_waitcnt lgkmcnt(0)
	v_readfirstlane_b32 s19, v7
	v_readfirstlane_b32 s18, v6
	s_cmp_lg_u64 s[18:19], 0
	s_cselect_b64 s[18:19], -1, 0
	v_cmp_ge_u64_e32 vcc, v[14:15], v[10:11]
	s_or_b64 s[26:27], vcc, s[18:19]
	s_and_b64 s[26:27], exec, s[26:27]
	s_or_b64 s[8:9], s[26:27], s[8:9]
	v_mov_b32_e32 v2, s67
	v_add_co_u32_e32 v12, vcc, s66, v12
	s_andn2_b64 s[2:3], s[2:3], exec
	s_and_b64 s[18:19], s[18:19], exec
	v_addc_co_u32_e32 v13, vcc, v13, v2, vcc
	s_or_b64 s[2:3], s[2:3], s[18:19]
	s_barrier
	s_andn2_b64 exec, exec, s[8:9]
	s_cbranch_execz .LBB100_256
.LBB100_251:                            ;   Parent Loop BB100_10 Depth=1
                                        ; =>  This Inner Loop Header: Depth=2
	v_cmp_gt_u64_e32 vcc, s[52:53], v[14:15]
	v_pk_mov_b32 v[6:7], 0, 0
	s_and_saveexec_b64 s[18:19], vcc
	s_cbranch_execz .LBB100_253
; %bb.252:                              ;   in Loop: Header=BB100_251 Depth=2
	global_load_dwordx2 v[6:7], v[12:13], off
.LBB100_253:                            ;   in Loop: Header=BB100_251 Depth=2
	s_or_b64 exec, exec, s[18:19]
	s_and_saveexec_b64 s[18:19], vcc
	s_cbranch_execz .LBB100_250
; %bb.254:                              ;   in Loop: Header=BB100_251 Depth=2
	s_waitcnt vmcnt(0)
	v_xor_b32_e32 v2, 0x80000000, v7
	v_and_b32_e32 v9, s83, v2
	v_and_b32_e32 v8, s82, v6
	v_cmp_eq_u64_e32 vcc, s[84:85], v[8:9]
	s_and_b64 exec, exec, vcc
	s_cbranch_execz .LBB100_250
; %bb.255:                              ;   in Loop: Header=BB100_251 Depth=2
	v_mov_b32_e32 v5, v3
	ds_write_b128 v3, v[4:7] offset:3072
	s_branch .LBB100_250
.LBB100_256:                            ;   in Loop: Header=BB100_10 Depth=1
	s_or_b64 exec, exec, s[8:9]
	s_and_b64 s[18:19], s[2:3], exec
.LBB100_257:                            ;   in Loop: Header=BB100_10 Depth=1
	s_or_b64 exec, exec, s[0:1]
	s_mov_b64 s[8:9], -1
	s_mov_b64 s[0:1], 0
	s_mov_b64 s[2:3], 0
.LBB100_258:                            ;   in Loop: Header=BB100_10 Depth=1
	s_mov_b64 s[40:41], 0
                                        ; implicit-def: $sgpr44
                                        ; implicit-def: $sgpr42_sgpr43
	s_and_saveexec_b64 s[26:27], s[18:19]
	s_cbranch_execz .LBB100_271
; %bb.259:                              ;   in Loop: Header=BB100_10 Depth=1
	s_xor_b64 s[16:17], s[16:17], -1
	s_mov_b64 s[42:43], 1
	s_andn2_b64 vcc, exec, s[16:17]
	s_mov_b32 s44, 1
	s_cbranch_vccnz .LBB100_270
; %bb.260:                              ;   in Loop: Header=BB100_10 Depth=1
	s_waitcnt vmcnt(0)
	v_pk_mov_b32 v[6:7], s[6:7], s[6:7] op_sel:[0,1]
	v_cmp_gt_u64_e32 vcc, s[92:93], v[6:7]
	s_cbranch_vccnz .LBB100_266
; %bb.261:                              ;   in Loop: Header=BB100_10 Depth=1
	ds_read_b64 v[6:7], v3 offset:5120
	s_waitcnt lgkmcnt(0)
	v_cmp_ne_u64_e32 vcc, 0, v[6:7]
	s_cbranch_vccnz .LBB100_265
; %bb.262:                              ;   in Loop: Header=BB100_10 Depth=1
	s_mov_b64 s[16:17], exec
	v_readlane_b32 s18, v56, 0
	v_readlane_b32 s19, v56, 1
	s_and_b64 s[18:19], s[16:17], s[18:19]
	s_mov_b64 exec, s[18:19]
	s_cbranch_execz .LBB100_264
; %bb.263:                              ;   in Loop: Header=BB100_10 Depth=1
	v_pk_mov_b32 v[6:7], s[6:7], s[6:7] op_sel:[0,1]
	ds_write_b64 v3, v[6:7] offset:5128
.LBB100_264:                            ;   in Loop: Header=BB100_10 Depth=1
	s_or_b64 exec, exec, s[16:17]
	s_waitcnt lgkmcnt(0)
	s_barrier
.LBB100_265:                            ;   in Loop: Header=BB100_10 Depth=1
	s_or_b64 s[16:17], s[84:85], s[10:11]
	s_or_b64 s[10:11], s[82:83], s[10:11]
	s_mov_b64 s[18:19], 0
	s_mov_b32 s44, 8
	s_branch .LBB100_267
.LBB100_266:                            ;   in Loop: Header=BB100_10 Depth=1
	s_mov_b64 s[18:19], -1
                                        ; implicit-def: $sgpr44
                                        ; implicit-def: $sgpr16_sgpr17
                                        ; implicit-def: $sgpr10_sgpr11
.LBB100_267:                            ;   in Loop: Header=BB100_10 Depth=1
	s_andn2_b64 vcc, exec, s[18:19]
	s_cbranch_vccnz .LBB100_269
; %bb.268:                              ;   in Loop: Header=BB100_10 Depth=1
	s_sub_u32 s92, s92, s6
	s_subb_u32 s93, s93, s7
	s_mov_b32 s44, 8
	s_mov_b64 s[16:17], s[84:85]
	s_mov_b64 s[10:11], s[82:83]
.LBB100_269:                            ;   in Loop: Header=BB100_10 Depth=1
	s_mov_b64 s[42:43], s[92:93]
	s_mov_b64 s[84:85], s[16:17]
	;; [unrolled: 1-line block ×3, first 2 shown]
.LBB100_270:                            ;   in Loop: Header=BB100_10 Depth=1
	s_mov_b64 s[40:41], exec
.LBB100_271:                            ;   in Loop: Header=BB100_10 Depth=1
	s_or_b64 exec, exec, s[26:27]
	s_mov_b64 s[92:93], s[42:43]
.LBB100_272:                            ;   in Loop: Header=BB100_10 Depth=1
	s_andn2_b64 s[6:7], s[30:31], exec
	s_and_b64 s[0:1], s[0:1], exec
	s_or_b64 s[30:31], s[6:7], s[0:1]
	s_andn2_b64 s[0:1], s[36:37], exec
	s_and_b64 s[6:7], s[8:9], exec
	s_or_b64 s[36:37], s[0:1], s[6:7]
	;; [unrolled: 3-line block ×3, first 2 shown]
	s_and_b64 s[0:1], s[40:41], exec
.LBB100_273:                            ;   in Loop: Header=BB100_10 Depth=1
	s_or_b64 exec, exec, s[38:39]
	s_mov_b64 s[38:39], s[54:55]
.LBB100_274:                            ;   in Loop: Header=BB100_10 Depth=1
	s_andn2_b64 s[2:3], s[22:23], exec
	s_and_b64 s[6:7], s[30:31], exec
	s_or_b64 s[22:23], s[2:3], s[6:7]
	s_andn2_b64 s[2:3], s[24:25], exec
	s_and_b64 s[6:7], s[36:37], exec
	s_or_b64 s[24:25], s[2:3], s[6:7]
	;; [unrolled: 3-line block ×3, first 2 shown]
	s_and_b64 s[0:1], s[0:1], exec
	s_mov_b64 s[36:37], s[86:87]
.LBB100_275:                            ;   in Loop: Header=BB100_10 Depth=1
	s_or_b64 exec, exec, s[28:29]
	v_readlane_b32 s29, v56, 31
	s_and_saveexec_b64 s[2:3], s[0:1]
	s_xor_b64 s[0:1], exec, s[2:3]
	s_cbranch_execz .LBB100_8
.LBB100_276:                            ;   in Loop: Header=BB100_10 Depth=1
	s_and_b32 s2, s44, -9
	s_cmp_eq_u32 s2, 0
	s_cbranch_scc1 .LBB100_6
; %bb.277:                              ;   in Loop: Header=BB100_10 Depth=1
                                        ; implicit-def: $sgpr6
	s_mov_b64 s[2:3], -1
                                        ; implicit-def: $sgpr82_sgpr83
                                        ; implicit-def: $sgpr92_sgpr93
                                        ; implicit-def: $sgpr68
                                        ; kill: killed $sgpr6
	s_mov_b64 s[6:7], -1
	s_branch .LBB100_7
.LBB100_278:                            ;   in Loop: Header=BB100_10 Depth=1
                                        ; implicit-def: $vgpr6_vgpr7
	s_branch .LBB100_230
.LBB100_279:                            ;   in Loop: Header=BB100_10 Depth=1
                                        ; implicit-def: $vgpr6_vgpr7
	s_branch .LBB100_247
.LBB100_280:
	s_or_b64 exec, exec, s[90:91]
	s_xor_b64 s[6:7], s[64:65], -1
	s_xor_b64 s[0:1], s[48:49], -1
	;; [unrolled: 1-line block ×3, first 2 shown]
	s_mov_b64 s[2:3], 0
	s_and_saveexec_b64 s[8:9], s[0:1]
	s_xor_b64 s[0:1], exec, s[8:9]
	s_cbranch_execnz .LBB100_285
; %bb.281:
	s_andn2_saveexec_b64 s[0:1], s[0:1]
	s_cbranch_execnz .LBB100_298
.LBB100_282:
	s_or_b64 exec, exec, s[0:1]
	s_and_saveexec_b64 s[0:1], s[2:3]
.LBB100_283:
	; divergent unreachable
.LBB100_284:
	s_endpgm
.LBB100_285:
	s_and_saveexec_b64 s[2:3], s[6:7]
	s_xor_b64 s[2:3], exec, s[2:3]
	s_cbranch_execz .LBB100_296
; %bb.286:
	s_and_saveexec_b64 s[6:7], s[4:5]
	s_xor_b64 s[4:5], exec, s[6:7]
; %bb.287:
	v_xor_b32_e32 v7, 0x80000000, v7
	v_pk_mov_b32 v[8:9], v[6:7], v[6:7] op_sel:[0,1]
; %bb.288:
	s_or_b64 exec, exec, s[4:5]
	v_readlane_b32 s6, v56, 6
	v_readlane_b32 s18, v56, 10
	;; [unrolled: 1-line block ×3, first 2 shown]
	s_mul_i32 s4, s7, s18
	s_mul_hi_u32 s5, s6, s18
	s_add_i32 s5, s5, s4
	s_mul_i32 s4, s6, s18
	s_lshl_b64 s[4:5], s[4:5], 3
	v_readlane_b32 s6, v56, 8
	v_readlane_b32 s7, v56, 9
	s_add_u32 s4, s6, s4
	s_addc_u32 s5, s7, s5
	v_mov_b32_e32 v2, 0
	v_readlane_b32 s19, v56, 11
	global_store_dwordx2 v2, v[8:9], s[4:5]
	s_and_saveexec_b64 s[4:5], s[78:79]
	s_cbranch_execz .LBB100_295
; %bb.289:
	s_mov_b64 s[6:7], 0
                                        ; implicit-def: $sgpr8_sgpr9
                                        ; implicit-def: $sgpr12_sgpr13
                                        ; implicit-def: $sgpr10_sgpr11
	s_branch .LBB100_291
.LBB100_290:                            ;   in Loop: Header=BB100_291 Depth=1
	s_or_b64 exec, exec, s[14:15]
	s_and_b64 s[14:15], exec, s[12:13]
	s_or_b64 s[6:7], s[14:15], s[6:7]
	s_andn2_b64 s[8:9], s[8:9], exec
	s_and_b64 s[14:15], s[10:11], exec
	s_or_b64 s[8:9], s[8:9], s[14:15]
	s_andn2_b64 exec, exec, s[6:7]
	s_cbranch_execz .LBB100_293
.LBB100_291:                            ; =>This Inner Loop Header: Depth=1
	global_load_dwordx2 v[4:5], v[18:19], off
	v_pk_mov_b32 v[2:3], v[0:1], v[0:1] op_sel:[0,1]
	s_or_b64 s[10:11], s[10:11], exec
	s_or_b64 s[12:13], s[12:13], exec
                                        ; implicit-def: $vgpr0_vgpr1
	s_waitcnt vmcnt(0)
	v_cmp_ne_u64_e32 vcc, v[4:5], v[8:9]
	s_and_saveexec_b64 s[14:15], vcc
	s_cbranch_execz .LBB100_290
; %bb.292:                              ;   in Loop: Header=BB100_291 Depth=1
	v_mov_b32_e32 v1, s72
	v_add_co_u32_e32 v0, vcc, s33, v2
	v_addc_co_u32_e32 v1, vcc, v3, v1, vcc
	v_mov_b32_e32 v4, s67
	v_add_co_u32_e32 v18, vcc, s66, v18
	v_addc_co_u32_e32 v19, vcc, v19, v4, vcc
	v_cmp_le_u64_e32 vcc, s[52:53], v[0:1]
	s_andn2_b64 s[12:13], s[12:13], exec
	s_and_b64 s[16:17], vcc, exec
	s_andn2_b64 s[10:11], s[10:11], exec
	s_or_b64 s[12:13], s[12:13], s[16:17]
	s_branch .LBB100_290
.LBB100_293:
	s_or_b64 exec, exec, s[6:7]
	s_and_saveexec_b64 s[6:7], s[8:9]
	s_xor_b64 s[6:7], exec, s[6:7]
	s_cbranch_execz .LBB100_295
; %bb.294:
	v_readlane_b32 s8, v56, 2
	v_readlane_b32 s9, v56, 3
	s_mul_i32 s6, s9, s18
	s_mul_hi_u32 s7, s8, s18
	s_add_i32 s7, s7, s6
	s_mul_i32 s6, s8, s18
	s_lshl_b64 s[6:7], s[6:7], 3
	v_readlane_b32 s8, v56, 4
	v_readlane_b32 s9, v56, 5
	s_add_u32 s6, s8, s6
	s_addc_u32 s7, s9, s7
	v_mov_b32_e32 v0, 0
	global_store_dwordx2 v0, v[2:3], s[6:7]
.LBB100_295:
	s_or_b64 exec, exec, s[4:5]
.LBB100_296:
	s_or_saveexec_b64 s[2:3], s[2:3]
	s_mov_b64 s[4:5], 0
	s_xor_b64 exec, exec, s[2:3]
	s_cbranch_execnz .LBB100_299
.LBB100_297:
	s_or_b64 exec, exec, s[2:3]
	s_and_b64 s[2:3], s[4:5], exec
	s_andn2_saveexec_b64 s[0:1], s[0:1]
	s_cbranch_execz .LBB100_282
.LBB100_298:
	s_or_b64 s[2:3], s[2:3], exec
	s_trap 2
	s_or_b64 exec, exec, s[0:1]
	s_and_saveexec_b64 s[0:1], s[2:3]
	s_cbranch_execnz .LBB100_283
	s_branch .LBB100_284
.LBB100_299:
	s_mov_b64 s[4:5], exec
	s_trap 2
	s_branch .LBB100_297
	.section	.rodata,"a",@progbits
	.p2align	6, 0x0
	.amdhsa_kernel _ZN2at6native12_GLOBAL__N_112gatherMedianIlmLi1EEEvNS_4cuda6detail10TensorInfoIT_T0_EENS5_IlS7_EENS5_IKS6_S7_EES7_S7_S7_b
		.amdhsa_group_segment_fixed_size 5152
		.amdhsa_private_segment_fixed_size 0
		.amdhsa_kernarg_size 1536
		.amdhsa_user_sgpr_count 6
		.amdhsa_user_sgpr_private_segment_buffer 1
		.amdhsa_user_sgpr_dispatch_ptr 0
		.amdhsa_user_sgpr_queue_ptr 0
		.amdhsa_user_sgpr_kernarg_segment_ptr 1
		.amdhsa_user_sgpr_dispatch_id 0
		.amdhsa_user_sgpr_flat_scratch_init 0
		.amdhsa_user_sgpr_kernarg_preload_length 0
		.amdhsa_user_sgpr_kernarg_preload_offset 0
		.amdhsa_user_sgpr_private_segment_size 0
		.amdhsa_uses_dynamic_stack 0
		.amdhsa_system_sgpr_private_segment_wavefront_offset 0
		.amdhsa_system_sgpr_workgroup_id_x 1
		.amdhsa_system_sgpr_workgroup_id_y 1
		.amdhsa_system_sgpr_workgroup_id_z 1
		.amdhsa_system_sgpr_workgroup_info 0
		.amdhsa_system_vgpr_workitem_id 0
		.amdhsa_next_free_vgpr 57
		.amdhsa_next_free_sgpr 96
		.amdhsa_accum_offset 60
		.amdhsa_reserve_vcc 1
		.amdhsa_reserve_flat_scratch 0
		.amdhsa_float_round_mode_32 0
		.amdhsa_float_round_mode_16_64 0
		.amdhsa_float_denorm_mode_32 3
		.amdhsa_float_denorm_mode_16_64 3
		.amdhsa_dx10_clamp 1
		.amdhsa_ieee_mode 1
		.amdhsa_fp16_overflow 0
		.amdhsa_tg_split 0
		.amdhsa_exception_fp_ieee_invalid_op 0
		.amdhsa_exception_fp_denorm_src 0
		.amdhsa_exception_fp_ieee_div_zero 0
		.amdhsa_exception_fp_ieee_overflow 0
		.amdhsa_exception_fp_ieee_underflow 0
		.amdhsa_exception_fp_ieee_inexact 0
		.amdhsa_exception_int_div_zero 0
	.end_amdhsa_kernel
	.section	.text._ZN2at6native12_GLOBAL__N_112gatherMedianIlmLi1EEEvNS_4cuda6detail10TensorInfoIT_T0_EENS5_IlS7_EENS5_IKS6_S7_EES7_S7_S7_b,"axG",@progbits,_ZN2at6native12_GLOBAL__N_112gatherMedianIlmLi1EEEvNS_4cuda6detail10TensorInfoIT_T0_EENS5_IlS7_EENS5_IKS6_S7_EES7_S7_S7_b,comdat
.Lfunc_end100:
	.size	_ZN2at6native12_GLOBAL__N_112gatherMedianIlmLi1EEEvNS_4cuda6detail10TensorInfoIT_T0_EENS5_IlS7_EENS5_IKS6_S7_EES7_S7_S7_b, .Lfunc_end100-_ZN2at6native12_GLOBAL__N_112gatherMedianIlmLi1EEEvNS_4cuda6detail10TensorInfoIT_T0_EENS5_IlS7_EENS5_IKS6_S7_EES7_S7_S7_b
                                        ; -- End function
	.section	.AMDGPU.csdata,"",@progbits
; Kernel info:
; codeLenInByte = 15868
; NumSgprs: 100
; NumVgprs: 57
; NumAgprs: 0
; TotalNumVgprs: 57
; ScratchSize: 0
; MemoryBound: 0
; FloatMode: 240
; IeeeMode: 1
; LDSByteSize: 5152 bytes/workgroup (compile time only)
; SGPRBlocks: 12
; VGPRBlocks: 7
; NumSGPRsForWavesPerEU: 100
; NumVGPRsForWavesPerEU: 57
; AccumOffset: 60
; Occupancy: 8
; WaveLimiterHint : 1
; COMPUTE_PGM_RSRC2:SCRATCH_EN: 0
; COMPUTE_PGM_RSRC2:USER_SGPR: 6
; COMPUTE_PGM_RSRC2:TRAP_HANDLER: 0
; COMPUTE_PGM_RSRC2:TGID_X_EN: 1
; COMPUTE_PGM_RSRC2:TGID_Y_EN: 1
; COMPUTE_PGM_RSRC2:TGID_Z_EN: 1
; COMPUTE_PGM_RSRC2:TIDIG_COMP_CNT: 0
; COMPUTE_PGM_RSRC3_GFX90A:ACCUM_OFFSET: 14
; COMPUTE_PGM_RSRC3_GFX90A:TG_SPLIT: 0
	.section	.text._ZN2at6native12_GLOBAL__N_112gatherMedianIlmLi2EEEvNS_4cuda6detail10TensorInfoIT_T0_EENS5_IlS7_EENS5_IKS6_S7_EES7_S7_S7_b,"axG",@progbits,_ZN2at6native12_GLOBAL__N_112gatherMedianIlmLi2EEEvNS_4cuda6detail10TensorInfoIT_T0_EENS5_IlS7_EENS5_IKS6_S7_EES7_S7_S7_b,comdat
	.globl	_ZN2at6native12_GLOBAL__N_112gatherMedianIlmLi2EEEvNS_4cuda6detail10TensorInfoIT_T0_EENS5_IlS7_EENS5_IKS6_S7_EES7_S7_S7_b ; -- Begin function _ZN2at6native12_GLOBAL__N_112gatherMedianIlmLi2EEEvNS_4cuda6detail10TensorInfoIT_T0_EENS5_IlS7_EENS5_IKS6_S7_EES7_S7_S7_b
	.p2align	8
	.type	_ZN2at6native12_GLOBAL__N_112gatherMedianIlmLi2EEEvNS_4cuda6detail10TensorInfoIT_T0_EENS5_IlS7_EENS5_IKS6_S7_EES7_S7_S7_b,@function
_ZN2at6native12_GLOBAL__N_112gatherMedianIlmLi2EEEvNS_4cuda6detail10TensorInfoIT_T0_EENS5_IlS7_EENS5_IKS6_S7_EES7_S7_S7_b: ; @_ZN2at6native12_GLOBAL__N_112gatherMedianIlmLi2EEEvNS_4cuda6detail10TensorInfoIT_T0_EENS5_IlS7_EENS5_IKS6_S7_EES7_S7_S7_b
; %bb.0:
	s_load_dwordx4 s[52:55], s[4:5], 0x4e0
	s_load_dwordx2 s[0:1], s[4:5], 0x500
	s_add_u32 s12, s4, 0x500
	s_addc_u32 s13, s5, 0
	s_mov_b32 s25, 0
	s_waitcnt lgkmcnt(0)
	v_mov_b32_e32 v2, s54
	s_mul_i32 s1, s1, s8
	s_add_i32 s1, s1, s7
	s_mul_i32 s1, s1, s0
	v_mov_b32_e32 v3, s55
	s_add_i32 s24, s1, s6
	v_cmp_ge_u64_e32 vcc, s[24:25], v[2:3]
	s_cbranch_vccnz .LBB101_289
; %bb.1:
	s_load_dwordx2 s[10:11], s[4:5], 0x10
	s_load_dwordx2 s[2:3], s[4:5], 0x350
	;; [unrolled: 1-line block ×3, first 2 shown]
                                        ; implicit-def: $vgpr50 : SGPR spill to VGPR lane
	s_waitcnt lgkmcnt(0)
	v_pk_mov_b32 v[2:3], s[10:11], s[10:11] op_sel:[0,1]
	v_cmp_lt_u64_e32 vcc, s[24:25], v[2:3]
	v_writelane_b32 v50, s8, 0
	v_writelane_b32 v50, s9, 1
	s_mov_b64 s[8:9], 0
	v_writelane_b32 v50, s8, 2
	v_writelane_b32 v50, s9, 3
	s_mov_b64 s[8:9], 0
	v_writelane_b32 v50, s8, 4
	v_writelane_b32 v50, s9, 5
	s_cbranch_vccnz .LBB101_3
; %bb.2:
	v_cvt_f32_u32_e32 v1, s10
	s_sub_i32 s1, 0, s10
	v_rcp_iflag_f32_e32 v1, v1
	v_mul_f32_e32 v1, 0x4f7ffffe, v1
	v_cvt_u32_f32_e32 v1, v1
	v_readfirstlane_b32 s7, v1
	s_mul_i32 s1, s1, s7
	s_mul_hi_u32 s1, s7, s1
	s_add_i32 s7, s7, s1
	s_mul_hi_u32 s1, s24, s7
	s_mul_i32 s8, s1, s10
	s_sub_i32 s8, s24, s8
	s_add_i32 s7, s1, 1
	s_sub_i32 s9, s8, s10
	s_cmp_ge_u32 s8, s10
	s_cselect_b32 s1, s7, s1
	s_cselect_b32 s8, s9, s8
	s_add_i32 s7, s1, 1
	s_cmp_ge_u32 s8, s10
	s_cselect_b32 s8, s7, s1
	v_writelane_b32 v50, s8, 4
	v_writelane_b32 v50, s9, 5
.LBB101_3:
	s_load_dwordx2 s[68:69], s[4:5], 0x4f0
	s_load_dwordx2 s[8:9], s[4:5], 0x1b0
	v_writelane_b32 v50, s10, 6
	v_writelane_b32 v50, s11, 7
	s_waitcnt lgkmcnt(0)
	v_pk_mov_b32 v[2:3], s[8:9], s[8:9] op_sel:[0,1]
	v_cmp_lt_u64_e32 vcc, s[24:25], v[2:3]
	s_cbranch_vccnz .LBB101_5
; %bb.4:
	s_load_dwordx2 s[10:11], s[4:5], 0x1b0
	s_waitcnt lgkmcnt(0)
	v_cvt_f32_u32_e32 v1, s10
	s_sub_i32 s1, 0, s10
	v_rcp_iflag_f32_e32 v1, v1
	v_mul_f32_e32 v1, 0x4f7ffffe, v1
	v_cvt_u32_f32_e32 v1, v1
	v_readfirstlane_b32 s7, v1
	s_mul_i32 s1, s1, s7
	s_mul_hi_u32 s1, s7, s1
	s_add_i32 s7, s7, s1
	s_mul_hi_u32 s1, s24, s7
	s_mul_i32 s8, s1, s10
	s_sub_i32 s8, s24, s8
	s_add_i32 s7, s1, 1
	s_sub_i32 s9, s8, s10
	s_cmp_ge_u32 s8, s10
	s_cselect_b32 s1, s7, s1
	s_cselect_b32 s8, s9, s8
	s_add_i32 s7, s1, 1
	s_cmp_ge_u32 s8, s10
	s_cselect_b32 s8, s7, s1
	v_writelane_b32 v50, s8, 2
	v_writelane_b32 v50, s9, 3
.LBB101_5:
	v_pk_mov_b32 v[2:3], s[2:3], s[2:3] op_sel:[0,1]
	v_cmp_lt_u64_e32 vcc, s[24:25], v[2:3]
	s_mov_b64 s[14:15], 0
	s_cbranch_vccnz .LBB101_7
; %bb.6:
	v_cvt_f32_u32_e32 v1, s2
	s_sub_i32 s1, 0, s2
	v_rcp_iflag_f32_e32 v1, v1
	v_mul_f32_e32 v1, 0x4f7ffffe, v1
	v_cvt_u32_f32_e32 v1, v1
	v_readfirstlane_b32 s7, v1
	s_mul_i32 s1, s1, s7
	s_mul_hi_u32 s1, s7, s1
	s_add_i32 s7, s7, s1
	s_mul_hi_u32 s1, s24, s7
	s_mul_i32 s8, s1, s2
	s_sub_i32 s8, s24, s8
	s_add_i32 s7, s1, 1
	s_sub_i32 s9, s8, s2
	s_cmp_ge_u32 s8, s2
	s_cselect_b32 s1, s7, s1
	s_cselect_b32 s8, s9, s8
	s_add_i32 s7, s1, 1
	s_cmp_ge_u32 s8, s2
	s_cselect_b32 s14, s7, s1
.LBB101_7:
	s_load_dwordx2 s[16:17], s[4:5], 0x340
	v_cmp_eq_u32_e64 s[10:11], 0, v0
	s_mov_b64 s[8:9], exec
	v_writelane_b32 v50, s10, 8
	v_writelane_b32 v50, s11, 9
	s_and_b64 s[10:11], s[8:9], s[10:11]
	s_mov_b64 exec, s[10:11]
	s_cbranch_execz .LBB101_9
; %bb.8:
	v_mov_b32_e32 v2, 0
	v_mov_b32_e32 v3, v2
	ds_write_b64 v2, v[2:3] offset:5136
.LBB101_9:
	s_or_b64 exec, exec, s[8:9]
	s_load_dwordx2 s[8:9], s[4:5], 0x1a0
	v_mov_b32_e32 v3, 0
	s_waitcnt lgkmcnt(0)
	s_barrier
	v_writelane_b32 v50, s8, 10
	v_writelane_b32 v50, s9, 11
	s_load_dwordx2 s[8:9], s[4:5], 0x0
	s_waitcnt lgkmcnt(0)
	s_barrier
	ds_read_b64 v[4:5], v3 offset:5136
	v_writelane_b32 v50, s8, 12
	v_writelane_b32 v50, s9, 13
	s_load_dwordx4 s[8:11], s[4:5], 0x410
	s_waitcnt lgkmcnt(0)
	v_readfirstlane_b32 s18, v4
	v_readfirstlane_b32 s19, v5
	s_mov_b64 s[20:21], exec
	v_readlane_b32 s22, v50, 8
	v_readlane_b32 s23, v50, 9
	s_and_b64 s[22:23], s[20:21], s[22:23]
	s_mov_b64 exec, s[22:23]
	s_cbranch_execz .LBB101_11
; %bb.10:
	v_mov_b32_e32 v4, s52
	v_mov_b32_e32 v5, s53
	;; [unrolled: 1-line block ×3, first 2 shown]
	ds_write_b32 v3, v3 offset:5144
	ds_write_b128 v3, v[2:5] offset:5120
.LBB101_11:
	s_or_b64 exec, exec, s[20:21]
	s_load_dword s1, s[4:5], 0x4f8
	s_load_dwordx4 s[20:23], s[4:5], 0x270
                                        ; kill: killed $sgpr4 killed $sgpr5
	v_mov_b32_e32 v1, v3
	v_mov_b32_e32 v4, 0x180
	;; [unrolled: 1-line block ×3, first 2 shown]
	s_waitcnt lgkmcnt(0)
	s_bitcmp1_b32 s1, 0
	v_writelane_b32 v50, s20, 14
	v_writelane_b32 v50, s21, 15
	v_writelane_b32 v50, s22, 16
	v_writelane_b32 v50, s23, 17
	s_load_dwordx4 s[20:23], s[4:5], 0xd0
	v_cmp_lt_i64_e64 s[4:5], s[18:19], 1
	s_waitcnt lgkmcnt(0)
	s_barrier
	v_writelane_b32 v50, s20, 18
	v_writelane_b32 v50, s21, 19
	;; [unrolled: 1-line block ×4, first 2 shown]
	s_cselect_b64 s[20:21], -1, 0
	s_not_b64 s[18:19], s[18:19]
	s_or_b64 s[4:5], s[20:21], s[4:5]
	s_add_u32 s18, s18, s52
	s_addc_u32 s19, s19, s53
	s_lshr_b64 s[18:19], s[18:19], 1
	s_add_u32 s1, s18, 1
	s_addc_u32 s7, s19, 0
	s_and_b64 s[4:5], s[4:5], exec
	s_cselect_b32 s82, s1, s52
	s_mul_i32 s1, s14, s3
	s_mul_hi_u32 s3, s14, s2
	s_cselect_b32 s83, s7, s53
	s_add_i32 s3, s3, s1
	s_mul_i32 s1, s14, s2
	s_mov_b32 s2, s24
	v_writelane_b32 v50, s2, 22
	s_sub_u32 s1, s24, s1
	v_writelane_b32 v50, s3, 23
	s_subb_u32 s2, 0, s3
	s_mul_i32 s3, s1, s11
	s_mul_hi_u32 s4, s1, s10
	s_add_i32 s3, s4, s3
	s_mul_i32 s2, s2, s10
	s_add_i32 s3, s3, s2
	s_mul_i32 s2, s1, s10
	s_mul_i32 s1, s14, s9
	s_mul_hi_u32 s4, s14, s8
	s_add_i32 s5, s4, s1
	s_mul_i32 s4, s14, s8
	s_lshl_b64 s[4:5], s[4:5], 3
	s_add_u32 s1, s16, s4
	s_addc_u32 s4, s17, s5
	s_lshl_b64 s[2:3], s[2:3], 3
	s_add_u32 s33, s1, s2
	s_addc_u32 s26, s4, s3
	v_cmp_gt_u64_e64 s[2:3], s[52:53], v[0:1]
	v_writelane_b32 v50, s2, 24
	v_writelane_b32 v50, s3, 25
	v_cmp_gt_u32_e64 s[2:3], 2, v0
	v_writelane_b32 v50, s2, 26
	v_writelane_b32 v50, s3, 27
	v_cmp_gt_u64_e64 s[2:3], s[52:53], v[4:5]
	s_load_dword s1, s[12:13], 0xc
	v_writelane_b32 v50, s2, 28
	v_mbcnt_lo_u32_b32 v2, -1, 0
	v_writelane_b32 v50, s3, 29
	v_mad_u64_u32 v[4:5], s[2:3], v0, s68, 0
	v_mbcnt_hi_u32_b32 v30, -1, v2
	v_mov_b32_e32 v2, v5
	v_cmp_gt_u32_e32 vcc, 64, v0
	v_cmp_gt_i32_e64 s[8:9], 4, v30
	v_mad_u64_u32 v[6:7], s[2:3], v0, s69, v[2:3]
	s_and_b64 s[90:91], vcc, s[8:9]
	s_waitcnt lgkmcnt(0)
	s_and_b32 s84, s1, 0xffff
	s_bfe_u32 s2, s1, 0xa0006
	v_cmp_gt_u16_e64 s[8:9], s1, 63
	s_add_u32 s1, s84, -1
	s_addc_u32 s3, 0, -1
	s_add_u32 s27, s1, s52
	s_addc_u32 s87, s3, s53
	s_cmp_lt_u32 s6, s0
	v_writelane_b32 v50, s8, 30
	s_cselect_b32 s0, 12, 18
	v_writelane_b32 v50, s9, 31
	s_add_u32 s88, s12, s0
	v_writelane_b32 v50, s1, 32
	s_addc_u32 s89, s13, 0
	s_add_i32 s0, s2, -1
	s_bfe_u32 s1, s84, 0x30006
	s_cmp_gt_u32 s0, 6
	v_writelane_b32 v50, s3, 33
	s_cselect_b64 s[6:7], -1, 0
	v_writelane_b32 v50, s6, 34
	s_and_b32 s2, s2, 0x3f8
	v_mov_b32_e32 v5, v6
	v_writelane_b32 v50, s7, 35
	s_cmp_lg_u32 s1, 0
	v_lshlrev_b64 v[4:5], 3, v[4:5]
	v_lshrrev_b32_e32 v2, 4, v0
	v_writelane_b32 v50, s1, 36
	s_cselect_b64 s[0:1], -1, 0
	v_mov_b32_e32 v33, s26
	v_add_co_u32_e32 v18, vcc, s33, v4
	v_and_b32_e32 v34, 60, v2
	v_lshlrev_b32_e32 v2, 2, v30
	v_writelane_b32 v50, s0, 37
	s_mov_b32 s79, 0
	v_lshlrev_b32_e32 v31, 3, v0
	v_addc_co_u32_e32 v19, vcc, v33, v5, vcc
	v_and_b32_e32 v35, 0x100, v2
	v_lshlrev_b64 v[4:5], v30, -1
	v_writelane_b32 v50, s1, 38
	v_mov_b32_e32 v2, 0xc00
	v_cmp_eq_u32_e64 s[4:5], 0, v30
	v_add_u32_e32 v32, 0xc00, v31
	v_lshlrev_b32_e32 v20, 2, v0
	v_mov_b32_e32 v21, v3
	v_not_b32_e32 v23, v5
	v_not_b32_e32 v22, v4
	s_mov_b32 s85, s79
	v_lshlrev_b32_e32 v36, 5, v0
	v_lshl_or_b32 v37, v30, 3, v2
	s_lshl_b32 s3, s84, 3
	s_mov_b32 s80, 62
	s_mov_b64 s[94:95], 0
	v_pk_mov_b32 v[8:9], 0, 0
	v_mov_b32_e32 v4, 1
	v_mov_b32_e32 v38, 0x4f800000
	s_mov_b32 s81, 0
	s_mov_b64 s[70:71], 0
	s_mov_b64 s[64:65], 0
	v_writelane_b32 v50, s90, 39
                                        ; implicit-def: $sgpr56_sgpr57
                                        ; implicit-def: $sgpr76_sgpr77
                                        ; implicit-def: $sgpr58_sgpr59
                                        ; implicit-def: $sgpr60_sgpr61
                                        ; implicit-def: $sgpr62_sgpr63
                                        ; implicit-def: $sgpr66_sgpr67
	v_writelane_b32 v50, s91, 40
	s_branch .LBB101_16
.LBB101_12:                             ;   in Loop: Header=BB101_16 Depth=1
	s_xor_b32 s81, s81, 1
	s_add_i32 s10, s80, -2
	s_cmp_eq_u32 s80, 0
	s_mov_b64 s[6:7], 0
	s_cselect_b64 s[8:9], -1, 0
	s_mov_b32 s80, s10
.LBB101_13:                             ;   in Loop: Header=BB101_16 Depth=1
	s_andn2_b64 s[10:11], s[24:25], exec
	s_and_b64 s[6:7], s[6:7], exec
	s_or_b64 s[24:25], s[10:11], s[6:7]
	s_andn2_b64 s[28:29], s[28:29], exec
	s_andn2_b64 s[22:23], s[22:23], exec
	s_orn2_b64 s[16:17], s[8:9], exec
.LBB101_14:                             ;   in Loop: Header=BB101_16 Depth=1
	s_or_b64 exec, exec, s[0:1]
	s_andn2_b64 s[0:1], s[66:67], exec
	s_and_b64 s[6:7], s[24:25], exec
	s_or_b64 s[66:67], s[0:1], s[6:7]
	s_andn2_b64 s[0:1], s[62:63], exec
	s_and_b64 s[6:7], s[28:29], exec
	s_or_b64 s[62:63], s[0:1], s[6:7]
	;; [unrolled: 3-line block ×3, first 2 shown]
	s_orn2_b64 s[22:23], s[16:17], exec
.LBB101_15:                             ;   in Loop: Header=BB101_16 Depth=1
	s_or_b64 exec, exec, s[14:15]
	s_and_b64 s[0:1], exec, s[22:23]
	s_or_b64 s[94:95], s[0:1], s[94:95]
	s_andn2_b64 s[0:1], s[58:59], exec
	s_and_b64 s[6:7], s[66:67], exec
	s_or_b64 s[58:59], s[0:1], s[6:7]
	s_andn2_b64 s[0:1], s[76:77], exec
	s_and_b64 s[6:7], s[62:63], exec
	;; [unrolled: 3-line block ×3, first 2 shown]
	s_waitcnt vmcnt(0)
	v_pk_mov_b32 v[6:7], s[70:71], s[70:71] op_sel:[0,1]
	s_or_b64 s[56:57], s[0:1], s[6:7]
	s_andn2_b64 exec, exec, s[94:95]
	s_cbranch_execz .LBB101_285
.LBB101_16:                             ; =>This Loop Header: Depth=1
                                        ;     Child Loop BB101_24 Depth 2
                                        ;     Child Loop BB101_39 Depth 2
	;; [unrolled: 1-line block ×16, first 2 shown]
	ds_read_b128 v[10:13], v3 offset:5120
	s_waitcnt lgkmcnt(0)
	v_readfirstlane_b32 s75, v11
	v_readfirstlane_b32 s74, v10
	s_cmp_lg_u64 s[74:75], 0
	s_cbranch_scc1 .LBB101_46
; %bb.17:                               ;   in Loop: Header=BB101_16 Depth=1
	v_readlane_b32 s0, v50, 28
	v_readlane_b32 s1, v50, 29
	s_and_b64 vcc, exec, s[0:1]
	s_cbranch_vccz .LBB101_32
; %bb.18:                               ;   in Loop: Header=BB101_16 Depth=1
	s_mov_b64 s[0:1], 0x181
	v_cmp_gt_u64_e32 vcc, s[0:1], v[12:13]
	s_mov_b64 s[74:75], 0
	s_mov_b64 s[0:1], 0
	s_cbranch_vccz .LBB101_33
; %bb.19:                               ;   in Loop: Header=BB101_16 Depth=1
	v_pk_mov_b32 v[6:7], 0, 0
	s_mov_b64 s[0:1], exec
	v_readlane_b32 s6, v50, 24
	v_readlane_b32 s7, v50, 25
	s_and_b64 s[6:7], s[0:1], s[6:7]
	s_mov_b64 exec, s[6:7]
	s_cbranch_execz .LBB101_21
; %bb.20:                               ;   in Loop: Header=BB101_16 Depth=1
	global_load_dwordx2 v[6:7], v[18:19], off
.LBB101_21:                             ;   in Loop: Header=BB101_16 Depth=1
	s_or_b64 exec, exec, s[0:1]
	s_mov_b64 s[0:1], exec
	v_readlane_b32 s6, v50, 24
	v_readlane_b32 s7, v50, 25
	s_and_b64 s[6:7], s[0:1], s[6:7]
	s_mov_b64 exec, s[6:7]
	s_cbranch_execz .LBB101_149
; %bb.22:                               ;   in Loop: Header=BB101_16 Depth=1
	global_load_ushort v2, v3, s[88:89]
	s_mov_b64 s[8:9], 0
	v_pk_mov_b32 v[10:11], v[0:1], v[0:1] op_sel:[0,1]
	s_branch .LBB101_24
.LBB101_23:                             ;   in Loop: Header=BB101_24 Depth=2
	s_or_b64 exec, exec, s[6:7]
	s_waitcnt vmcnt(0)
	v_pk_mov_b32 v[6:7], v[12:13], v[12:13] op_sel:[0,1]
	s_andn2_b64 exec, exec, s[8:9]
	s_cbranch_execz .LBB101_149
.LBB101_24:                             ;   Parent Loop BB101_16 Depth=1
                                        ; =>  This Inner Loop Header: Depth=2
	s_waitcnt vmcnt(0)
	v_add_co_u32_sdwa v10, vcc, v10, v2 dst_sel:DWORD dst_unused:UNUSED_PAD src0_sel:DWORD src1_sel:WORD_0
	v_addc_co_u32_e32 v11, vcc, 0, v11, vcc
	v_cmp_gt_u64_e64 s[6:7], s[52:53], v[10:11]
	v_cmp_le_u64_e32 vcc, s[52:53], v[10:11]
	v_pk_mov_b32 v[12:13], 0, 0
	s_and_saveexec_b64 s[10:11], s[6:7]
	s_cbranch_execz .LBB101_26
; %bb.25:                               ;   in Loop: Header=BB101_24 Depth=2
	s_waitcnt lgkmcnt(0)
	v_mul_lo_u32 v5, v11, s68
	v_mul_lo_u32 v14, v10, s69
	v_mad_u64_u32 v[12:13], s[6:7], v10, s68, 0
	v_add3_u32 v13, v13, v14, v5
	v_lshlrev_b64 v[12:13], 3, v[12:13]
	v_add_co_u32_e64 v12, s[6:7], s33, v12
	v_addc_co_u32_e64 v13, s[6:7], v33, v13, s[6:7]
	global_load_dwordx2 v[12:13], v[12:13], off
.LBB101_26:                             ;   in Loop: Header=BB101_24 Depth=2
	s_or_b64 exec, exec, s[10:11]
	s_waitcnt lgkmcnt(0)
	v_xor_b32_e32 v5, 0x80000000, v7
	v_and_b32_e32 v15, s65, v5
	v_and_b32_e32 v14, s64, v6
	v_cmp_eq_u64_e64 s[10:11], s[70:71], v[14:15]
	s_cmp_lg_u64 s[10:11], 0
	s_cselect_b64 s[6:7], -1, 0
	s_and_b64 s[6:7], s[4:5], s[6:7]
	v_mov_b32_e32 v5, 0
	s_and_saveexec_b64 s[12:13], s[6:7]
	s_cbranch_execz .LBB101_30
; %bb.27:                               ;   in Loop: Header=BB101_24 Depth=2
	s_mov_b64 s[16:17], exec
	v_mbcnt_lo_u32_b32 v5, s16, 0
	v_mbcnt_hi_u32_b32 v5, s17, v5
	s_bcnt1_i32_b64 s18, s[10:11]
	v_cmp_eq_u32_e64 s[6:7], 0, v5
                                        ; implicit-def: $vgpr14
	s_and_saveexec_b64 s[14:15], s[6:7]
	s_cbranch_execz .LBB101_29
; %bb.28:                               ;   in Loop: Header=BB101_24 Depth=2
	s_bcnt1_i32_b64 s6, s[16:17]
	s_mul_i32 s6, s18, s6
	v_mov_b32_e32 v14, s6
	ds_add_rtn_u32 v14, v3, v14 offset:5144
.LBB101_29:                             ;   in Loop: Header=BB101_24 Depth=2
	s_or_b64 exec, exec, s[14:15]
	s_waitcnt lgkmcnt(0)
	v_readfirstlane_b32 s6, v14
	v_mov_b32_e32 v14, s6
	v_mad_u32_u24 v5, s18, v5, v14
.LBB101_30:                             ;   in Loop: Header=BB101_24 Depth=2
	s_or_b64 exec, exec, s[12:13]
	ds_bpermute_b32 v5, v35, v5
	s_and_b64 s[6:7], exec, vcc
	s_or_b64 s[8:9], s[6:7], s[8:9]
	s_and_saveexec_b64 s[6:7], s[10:11]
	s_cbranch_execz .LBB101_23
; %bb.31:                               ;   in Loop: Header=BB101_24 Depth=2
	v_and_b32_e32 v15, s10, v22
	v_and_b32_e32 v14, s11, v23
	v_bcnt_u32_b32 v15, v15, 0
	v_bcnt_u32_b32 v14, v14, v15
	v_lshlrev_b32_e32 v14, 3, v14
	s_waitcnt lgkmcnt(0)
	v_lshl_add_u32 v5, v5, 3, v14
	ds_write_b64 v5, v[6:7]
	s_branch .LBB101_23
.LBB101_32:                             ;   in Loop: Header=BB101_16 Depth=1
	s_mov_b64 s[74:75], -1
	s_mov_b64 s[0:1], 0
.LBB101_33:                             ;   in Loop: Header=BB101_16 Depth=1
	s_and_b64 vcc, exec, s[74:75]
	s_cbranch_vccz .LBB101_44
.LBB101_34:                             ;   in Loop: Header=BB101_16 Depth=1
	s_waitcnt vmcnt(0)
	v_pk_mov_b32 v[6:7], 0, 0
	s_mov_b64 s[0:1], exec
	v_readlane_b32 s6, v50, 24
	v_readlane_b32 s7, v50, 25
	s_and_b64 s[6:7], s[0:1], s[6:7]
	s_mov_b64 exec, s[6:7]
	s_cbranch_execz .LBB101_36
; %bb.35:                               ;   in Loop: Header=BB101_16 Depth=1
	global_load_dwordx2 v[6:7], v[18:19], off
.LBB101_36:                             ;   in Loop: Header=BB101_16 Depth=1
	s_or_b64 exec, exec, s[0:1]
	s_mov_b64 s[0:1], exec
	v_readlane_b32 s6, v50, 24
	v_readlane_b32 s7, v50, 25
	s_and_b64 s[6:7], s[0:1], s[6:7]
	s_mov_b64 exec, s[6:7]
	s_cbranch_execz .LBB101_41
; %bb.37:                               ;   in Loop: Header=BB101_16 Depth=1
	global_load_ushort v5, v3, s[88:89]
	s_mov_b64 s[8:9], 0
	v_mov_b32_e32 v2, v31
	v_pk_mov_b32 v[10:11], v[0:1], v[0:1] op_sel:[0,1]
	s_waitcnt vmcnt(0)
	v_and_b32_e32 v5, 0xffff, v5
	v_lshlrev_b32_e32 v14, 3, v5
	s_branch .LBB101_39
.LBB101_38:                             ;   in Loop: Header=BB101_39 Depth=2
	s_or_b64 exec, exec, s[10:11]
	s_and_b64 s[6:7], exec, vcc
	s_or_b64 s[8:9], s[6:7], s[8:9]
	ds_write_b64 v2, v[6:7]
	v_add_u32_e32 v2, v2, v14
	s_waitcnt vmcnt(0)
	v_pk_mov_b32 v[6:7], v[12:13], v[12:13] op_sel:[0,1]
	s_andn2_b64 exec, exec, s[8:9]
	s_cbranch_execz .LBB101_41
.LBB101_39:                             ;   Parent Loop BB101_16 Depth=1
                                        ; =>  This Inner Loop Header: Depth=2
	v_add_co_u32_e32 v10, vcc, v10, v5
	v_addc_co_u32_e32 v11, vcc, 0, v11, vcc
	v_cmp_gt_u64_e64 s[6:7], s[52:53], v[10:11]
	v_cmp_le_u64_e32 vcc, s[52:53], v[10:11]
	v_pk_mov_b32 v[12:13], 0, 0
	s_and_saveexec_b64 s[10:11], s[6:7]
	s_cbranch_execz .LBB101_38
; %bb.40:                               ;   in Loop: Header=BB101_39 Depth=2
	v_mul_lo_u32 v15, v11, s68
	v_mul_lo_u32 v16, v10, s69
	v_mad_u64_u32 v[12:13], s[6:7], v10, s68, 0
	v_add3_u32 v13, v13, v16, v15
	v_lshlrev_b64 v[12:13], 3, v[12:13]
	v_mov_b32_e32 v15, s26
	v_add_co_u32_e64 v12, s[6:7], s33, v12
	v_addc_co_u32_e64 v13, s[6:7], v15, v13, s[6:7]
	global_load_dwordx2 v[12:13], v[12:13], off
	s_branch .LBB101_38
.LBB101_41:                             ;   in Loop: Header=BB101_16 Depth=1
	s_or_b64 exec, exec, s[0:1]
	s_waitcnt lgkmcnt(0)
	s_barrier
	s_mov_b64 s[0:1], exec
	v_readlane_b32 s6, v50, 8
	v_readlane_b32 s7, v50, 9
	s_and_b64 s[6:7], s[0:1], s[6:7]
	s_mov_b64 exec, s[6:7]
	s_cbranch_execz .LBB101_43
; %bb.42:                               ;   in Loop: Header=BB101_16 Depth=1
	s_waitcnt vmcnt(0)
	v_pk_mov_b32 v[6:7], s[52:53], s[52:53] op_sel:[0,1]
	ds_write_b64 v3, v[6:7] offset:5120
.LBB101_43:                             ;   in Loop: Header=BB101_16 Depth=1
	s_or_b64 exec, exec, s[0:1]
	s_mov_b64 s[0:1], -1
	s_waitcnt lgkmcnt(0)
	s_barrier
                                        ; implicit-def: $sgpr74_sgpr75
.LBB101_44:                             ;   in Loop: Header=BB101_16 Depth=1
	s_and_b64 vcc, exec, s[0:1]
	s_cbranch_vccz .LBB101_46
; %bb.45:                               ;   in Loop: Header=BB101_16 Depth=1
	s_waitcnt vmcnt(0)
	ds_read_b64 v[6:7], v3 offset:5120
	s_waitcnt lgkmcnt(0)
	v_readfirstlane_b32 s74, v6
.LBB101_46:                             ;   in Loop: Header=BB101_16 Depth=1
	s_cmp_lt_i32 s74, 1
	s_cbranch_scc0 .LBB101_61
; %bb.47:                               ;   in Loop: Header=BB101_16 Depth=1
	global_load_ushort v5, v3, s[88:89]
	s_mov_b32 s0, s79
	s_waitcnt vmcnt(0)
	v_readfirstlane_b32 s1, v5
	s_and_b32 s1, 0xffff, s1
	s_lshl_b32 s54, s1, 2
	s_mov_b32 s1, s53
	s_cmp_lg_u64 s[0:1], 0
	s_cbranch_scc0 .LBB101_81
; %bb.48:                               ;   in Loop: Header=BB101_16 Depth=1
	v_cvt_f32_u32_e32 v2, s54
	s_sub_u32 s0, 0, s54
	s_subb_u32 s1, 0, 0
	v_mac_f32_e32 v2, 0, v38
	v_rcp_f32_e32 v2, v2
	v_mul_f32_e32 v2, 0x5f7ffffc, v2
	v_mul_f32_e32 v6, 0x2f800000, v2
	v_trunc_f32_e32 v6, v6
	v_mac_f32_e32 v2, 0xcf800000, v6
	v_cvt_u32_f32_e32 v6, v6
	v_cvt_u32_f32_e32 v2, v2
	v_readfirstlane_b32 s6, v6
	v_readfirstlane_b32 s7, v2
	s_mul_i32 s8, s0, s6
	s_mul_hi_u32 s10, s0, s7
	s_mul_i32 s9, s1, s7
	s_add_i32 s8, s10, s8
	s_mul_i32 s11, s0, s7
	s_add_i32 s8, s8, s9
	s_mul_hi_u32 s10, s7, s11
	s_mul_hi_u32 s9, s7, s8
	s_mul_i32 s7, s7, s8
	s_add_u32 s7, s10, s7
	s_addc_u32 s9, 0, s9
	s_mul_hi_u32 s12, s6, s11
	s_mul_i32 s11, s6, s11
	s_add_u32 s7, s7, s11
	s_mul_hi_u32 s10, s6, s8
	s_addc_u32 s7, s9, s12
	s_addc_u32 s9, s10, 0
	s_mul_i32 s8, s6, s8
	s_add_u32 s7, s7, s8
	s_addc_u32 s8, 0, s9
	v_add_co_u32_e32 v2, vcc, s7, v2
	s_cmp_lg_u64 vcc, 0
	s_addc_u32 s6, s6, s8
	v_readfirstlane_b32 s8, v2
	s_mul_i32 s7, s0, s6
	s_mul_hi_u32 s9, s0, s8
	s_add_i32 s7, s9, s7
	s_mul_i32 s1, s1, s8
	s_add_i32 s7, s7, s1
	s_mul_i32 s0, s0, s8
	s_mul_hi_u32 s9, s6, s0
	s_mul_i32 s10, s6, s0
	s_mul_i32 s12, s8, s7
	s_mul_hi_u32 s0, s8, s0
	s_mul_hi_u32 s11, s8, s7
	s_add_u32 s0, s0, s12
	s_addc_u32 s8, 0, s11
	s_add_u32 s0, s0, s10
	s_mul_hi_u32 s1, s6, s7
	s_addc_u32 s0, s8, s9
	s_addc_u32 s1, s1, 0
	s_mul_i32 s7, s6, s7
	s_add_u32 s0, s0, s7
	s_addc_u32 s1, 0, s1
	v_add_co_u32_e32 v2, vcc, s0, v2
	s_cmp_lg_u64 vcc, 0
	s_addc_u32 s0, s6, s1
	v_readfirstlane_b32 s7, v2
	s_mul_i32 s6, s52, s0
	s_mul_hi_u32 s8, s52, s7
	s_mul_hi_u32 s1, s52, s0
	s_add_u32 s6, s8, s6
	s_addc_u32 s1, 0, s1
	s_mul_hi_u32 s9, s53, s7
	s_mul_i32 s7, s53, s7
	s_add_u32 s6, s6, s7
	s_mul_hi_u32 s8, s53, s0
	s_addc_u32 s1, s1, s9
	s_addc_u32 s6, s8, 0
	s_mul_i32 s0, s53, s0
	s_add_u32 s0, s1, s0
	s_addc_u32 s1, 0, s6
	s_mul_hi_u32 s6, s54, s0
	s_mul_i32 s0, s54, s0
	s_mul_i32 s1, s54, s1
	v_mov_b32_e32 v2, s0
	s_add_i32 s6, s6, s1
	v_sub_co_u32_e32 v2, vcc, s52, v2
	s_cmp_lg_u64 vcc, 0
	s_subb_u32 s0, s53, s6
	v_subrev_co_u32_e32 v6, vcc, s54, v2
	s_cmp_lg_u64 vcc, 0
	s_subb_u32 s1, s0, 0
	v_subrev_co_u32_e32 v7, vcc, s54, v6
	s_cmp_lg_u64 vcc, 0
	s_subb_u32 s6, s1, 0
	v_cmp_le_u32_e32 vcc, s54, v6
	s_cmp_eq_u32 s1, 0
	v_cndmask_b32_e64 v10, 0, -1, vcc
	s_cselect_b64 vcc, -1, 0
	v_cndmask_b32_e32 v10, -1, v10, vcc
	v_mov_b32_e32 v11, s1
	v_mov_b32_e32 v12, s6
	v_cmp_ne_u32_e32 vcc, 0, v10
	v_cndmask_b32_e32 v10, v11, v12, vcc
	v_cndmask_b32_e32 v6, v6, v7, vcc
	v_cmp_le_u32_e32 vcc, s54, v2
	s_cmp_eq_u32 s0, 0
	v_cndmask_b32_e64 v7, 0, -1, vcc
	s_cselect_b64 vcc, -1, 0
	v_cndmask_b32_e32 v7, -1, v7, vcc
	v_mov_b32_e32 v11, s0
	v_cmp_ne_u32_e32 vcc, 0, v7
	v_cndmask_b32_e32 v7, v11, v10, vcc
	v_cndmask_b32_e32 v6, v2, v6, vcc
	s_cbranch_execnz .LBB101_50
.LBB101_49:                             ;   in Loop: Header=BB101_16 Depth=1
	v_cvt_f32_u32_e32 v2, s54
	s_sub_i32 s0, 0, s54
	v_rcp_iflag_f32_e32 v2, v2
	v_mul_f32_e32 v2, 0x4f7ffffe, v2
	v_cvt_u32_f32_e32 v2, v2
	v_mul_lo_u32 v6, s0, v2
	v_mul_hi_u32 v6, v2, v6
	v_add_u32_e32 v2, v2, v6
	v_mul_hi_u32 v2, s52, v2
	v_mul_lo_u32 v2, v2, s54
	v_sub_u32_e32 v2, s52, v2
	v_subrev_u32_e32 v6, s54, v2
	v_cmp_le_u32_e32 vcc, s54, v2
	v_cndmask_b32_e32 v2, v2, v6, vcc
	v_subrev_u32_e32 v6, s54, v2
	v_cmp_le_u32_e32 vcc, s54, v2
	v_cndmask_b32_e32 v2, v2, v6, vcc
	v_pk_mov_b32 v[6:7], v[2:3], v[2:3] op_sel:[0,1]
.LBB101_50:                             ;   in Loop: Header=BB101_16 Depth=1
	v_mov_b32_e32 v2, s53
	v_sub_co_u32_e32 v6, vcc, s52, v6
	v_subb_co_u32_e32 v7, vcc, v2, v7, vcc
	v_pk_mov_b32 v[10:11], 0, 0
	v_cmp_gt_u64_e32 vcc, v[6:7], v[20:21]
	s_mov_b64 s[72:73], 0
	v_pk_mov_b32 v[12:13], v[10:11], v[10:11] op_sel:[0,1]
	v_pk_mov_b32 v[14:15], v[10:11], v[10:11] op_sel:[0,1]
	;; [unrolled: 1-line block ×3, first 2 shown]
	s_and_saveexec_b64 s[50:51], vcc
	s_cbranch_execz .LBB101_54
; %bb.51:                               ;   in Loop: Header=BB101_16 Depth=1
	s_and_b32 s55, s80, 0xfe
	s_mov_b64 s[90:91], 0
	s_mov_b64 s[92:93], 0
	;; [unrolled: 1-line block ×4, first 2 shown]
	v_pk_mov_b32 v[24:25], v[20:21], v[20:21] op_sel:[0,1]
.LBB101_52:                             ;   Parent Loop BB101_16 Depth=1
                                        ; =>  This Inner Loop Header: Depth=2
	v_mul_lo_u32 v2, v25, s68
	v_mul_lo_u32 v12, v24, s69
	v_mad_u64_u32 v[10:11], s[6:7], v24, s68, 0
	v_add3_u32 v11, v11, v12, v2
	v_lshlrev_b64 v[10:11], 3, v[10:11]
	v_mov_b32_e32 v14, s26
	v_add_co_u32_e64 v10, s[6:7], s33, v10
	s_lshl_b64 s[10:11], s[68:69], 3
	v_addc_co_u32_e64 v11, s[6:7], v14, v11, s[6:7]
	v_mov_b32_e32 v2, s11
	v_add_co_u32_e64 v26, s[6:7], s10, v10
	v_addc_co_u32_e64 v27, s[6:7], v11, v2, s[6:7]
	global_load_dwordx2 v[10:11], v[10:11], off
	s_nop 0
	global_load_dwordx2 v[28:29], v[26:27], off
	v_add_co_u32_e64 v26, s[6:7], s10, v26
	v_addc_co_u32_e64 v27, s[6:7], v27, v2, s[6:7]
	global_load_dwordx2 v[40:41], v[26:27], off
	v_add_co_u32_e64 v26, s[6:7], s10, v26
	v_addc_co_u32_e64 v27, s[6:7], v27, v2, s[6:7]
	global_load_dwordx2 v[26:27], v[26:27], off
	v_mov_b32_e32 v17, v3
	v_mov_b32_e32 v15, v3
	;; [unrolled: 1-line block ×3, first 2 shown]
	v_add_co_u32_e32 v24, vcc, s54, v24
	v_addc_co_u32_e32 v25, vcc, 0, v25, vcc
	v_cmp_ge_u64_e32 vcc, v[24:25], v[6:7]
	s_waitcnt vmcnt(3)
	v_xor_b32_e32 v11, 0x80000000, v11
	v_and_b32_e32 v42, s64, v10
	s_waitcnt vmcnt(2)
	v_xor_b32_e32 v29, 0x80000000, v29
	v_and_b32_e32 v43, s65, v11
	v_lshrrev_b64 v[10:11], s55, v[10:11]
	v_and_b32_e32 v2, 3, v10
	v_lshrrev_b64 v[10:11], s55, v[28:29]
	v_and_b32_e32 v44, s64, v28
	s_waitcnt vmcnt(1)
	v_xor_b32_e32 v41, 0x80000000, v41
	v_cmp_eq_u64_e64 s[12:13], s[70:71], v[42:43]
	v_and_b32_e32 v45, s65, v29
	v_and_b32_e32 v16, 3, v10
	v_cmp_eq_u64_e64 s[6:7], 0, v[2:3]
	s_waitcnt vmcnt(0)
	v_xor_b32_e32 v27, 0x80000000, v27
	v_cmp_eq_u64_e64 s[10:11], s[70:71], v[44:45]
	v_lshrrev_b64 v[10:11], s55, v[40:41]
	v_cmp_eq_u64_e64 s[24:25], 0, v[16:17]
	s_and_b64 s[6:7], s[12:13], s[6:7]
	v_and_b32_e32 v42, s64, v40
	v_and_b32_e32 v43, s65, v41
	v_cmp_eq_u64_e64 s[28:29], 1, v[2:3]
	v_cmp_eq_u64_e64 s[30:31], 2, v[2:3]
	;; [unrolled: 1-line block ×3, first 2 shown]
	v_and_b32_e32 v14, 3, v10
	v_lshrrev_b64 v[10:11], s55, v[26:27]
	v_cndmask_b32_e64 v2, 0, 1, s[6:7]
	s_and_b64 s[24:25], s[10:11], s[24:25]
	v_and_b32_e32 v28, s64, v26
	v_cmp_eq_u64_e64 s[14:15], s[70:71], v[42:43]
	v_and_b32_e32 v29, s65, v27
	v_and_b32_e32 v12, 3, v10
	v_cmp_eq_u64_e64 s[6:7], 0, v[14:15]
	v_cmp_ne_u32_e64 s[42:43], 0, v2
	v_cndmask_b32_e64 v2, 0, 1, s[24:25]
	v_cmp_eq_u64_e64 s[18:19], s[70:71], v[28:29]
	v_cmp_eq_u64_e64 s[44:45], 0, v[12:13]
	s_bcnt1_i32_b64 s75, s[42:43]
	v_cmp_ne_u32_e64 s[42:43], 0, v2
	s_and_b64 s[6:7], s[14:15], s[6:7]
	v_cndmask_b32_e64 v2, 0, 1, s[6:7]
	s_bcnt1_i32_b64 s78, s[42:43]
	s_and_b64 s[42:43], s[18:19], s[44:45]
	v_cmp_ne_u32_e64 s[6:7], 0, v2
	v_cndmask_b32_e64 v2, 0, 1, s[42:43]
	s_bcnt1_i32_b64 s42, s[6:7]
	v_cmp_ne_u32_e64 s[6:7], 0, v2
	s_bcnt1_i32_b64 s6, s[6:7]
	s_add_u32 s0, s75, s0
	s_addc_u32 s1, 0, s1
	s_add_u32 s0, s0, s78
	s_addc_u32 s1, s1, 0
	;; [unrolled: 2-line block ×3, first 2 shown]
	s_add_u32 s0, s0, s6
	v_cmp_eq_u64_e64 s[34:35], 1, v[16:17]
	s_addc_u32 s1, s1, 0
	s_and_b64 s[6:7], s[12:13], s[28:29]
	v_cmp_eq_u64_e64 s[38:39], 1, v[14:15]
	v_cndmask_b32_e64 v2, 0, 1, s[6:7]
	s_and_b64 s[6:7], s[10:11], s[34:35]
	v_cmp_eq_u64_e64 s[46:47], 1, v[12:13]
	v_cmp_eq_u64_e64 s[48:49], 2, v[12:13]
	;; [unrolled: 1-line block ×3, first 2 shown]
	v_cndmask_b32_e64 v12, 0, 1, s[6:7]
	s_and_b64 s[6:7], s[14:15], s[38:39]
	v_cndmask_b32_e64 v13, 0, 1, s[6:7]
	s_and_b64 s[6:7], s[18:19], s[46:47]
	v_cmp_eq_u64_e64 s[40:41], 2, v[14:15]
	v_cmp_eq_u64_e64 s[22:23], 3, v[14:15]
	v_cndmask_b32_e64 v14, 0, 1, s[6:7]
	v_cmp_ne_u32_e64 s[6:7], 0, v2
	v_cmp_ne_u32_e64 s[28:29], 0, v12
	;; [unrolled: 1-line block ×4, first 2 shown]
	s_bcnt1_i32_b64 s6, s[6:7]
	s_bcnt1_i32_b64 s7, s[28:29]
	;; [unrolled: 1-line block ×4, first 2 shown]
	s_add_u32 s6, s6, s8
	s_addc_u32 s8, 0, s9
	s_add_u32 s6, s6, s7
	s_addc_u32 s7, s8, 0
	;; [unrolled: 2-line block ×3, first 2 shown]
	s_add_u32 s8, s6, s29
	v_cmp_eq_u64_e64 s[36:37], 2, v[16:17]
	s_addc_u32 s9, s7, 0
	s_and_b64 s[6:7], s[12:13], s[30:31]
	v_cndmask_b32_e64 v2, 0, 1, s[6:7]
	s_and_b64 s[6:7], s[10:11], s[36:37]
	v_cndmask_b32_e64 v14, 0, 1, s[6:7]
	;; [unrolled: 2-line block ×3, first 2 shown]
	s_and_b64 s[6:7], s[18:19], s[48:49]
	v_cmp_eq_u64_e64 s[20:21], 3, v[16:17]
	v_cndmask_b32_e64 v16, 0, 1, s[6:7]
	v_cmp_ne_u32_e64 s[6:7], 0, v2
	v_cmp_ne_u32_e64 s[28:29], 0, v14
	;; [unrolled: 1-line block ×4, first 2 shown]
	s_bcnt1_i32_b64 s6, s[6:7]
	s_bcnt1_i32_b64 s7, s[28:29]
	s_bcnt1_i32_b64 s28, s[30:31]
	s_bcnt1_i32_b64 s29, s[34:35]
	s_add_u32 s6, s6, s92
	s_addc_u32 s30, 0, s93
	s_add_u32 s6, s6, s7
	s_addc_u32 s7, s30, 0
	;; [unrolled: 2-line block ×4, first 2 shown]
	s_and_b64 s[6:7], s[12:13], s[16:17]
	v_cndmask_b32_e64 v2, 0, 1, s[6:7]
	s_and_b64 s[6:7], s[10:11], s[20:21]
	v_cndmask_b32_e64 v16, 0, 1, s[6:7]
	;; [unrolled: 2-line block ×4, first 2 shown]
	v_cmp_ne_u32_e64 s[6:7], 0, v2
	v_cmp_ne_u32_e64 s[10:11], 0, v16
	;; [unrolled: 1-line block ×4, first 2 shown]
	s_bcnt1_i32_b64 s6, s[6:7]
	s_bcnt1_i32_b64 s7, s[10:11]
	;; [unrolled: 1-line block ×4, first 2 shown]
	s_add_u32 s6, s6, s90
	s_addc_u32 s12, 0, s91
	s_add_u32 s6, s6, s7
	s_addc_u32 s7, s12, 0
	;; [unrolled: 2-line block ×4, first 2 shown]
	v_pk_mov_b32 v[10:11], s[0:1], s[0:1] op_sel:[0,1]
	v_pk_mov_b32 v[12:13], s[8:9], s[8:9] op_sel:[0,1]
	;; [unrolled: 1-line block ×3, first 2 shown]
	s_or_b64 s[72:73], vcc, s[72:73]
	v_pk_mov_b32 v[16:17], s[90:91], s[90:91] op_sel:[0,1]
	s_andn2_b64 exec, exec, s[72:73]
	s_cbranch_execnz .LBB101_52
; %bb.53:                               ;   in Loop: Header=BB101_16 Depth=1
	s_or_b64 exec, exec, s[72:73]
	v_readlane_b32 s90, v50, 39
	v_readlane_b32 s91, v50, 40
.LBB101_54:                             ;   in Loop: Header=BB101_16 Depth=1
	s_or_b64 exec, exec, s[50:51]
	v_add_co_u32_e32 v6, vcc, v6, v0
	v_addc_co_u32_e32 v7, vcc, 0, v7, vcc
	v_cmp_gt_u64_e32 vcc, s[52:53], v[6:7]
	v_pk_mov_b32 v[24:25], 0, 0
	s_and_saveexec_b64 s[0:1], vcc
	s_cbranch_execz .LBB101_56
; %bb.55:                               ;   in Loop: Header=BB101_16 Depth=1
	v_mul_lo_u32 v2, v7, s68
	v_mul_lo_u32 v26, v6, s69
	v_mad_u64_u32 v[24:25], s[6:7], v6, s68, 0
	v_add3_u32 v25, v25, v26, v2
	v_lshlrev_b64 v[24:25], 3, v[24:25]
	v_mov_b32_e32 v2, s26
	v_add_co_u32_e64 v24, s[6:7], s33, v24
	v_addc_co_u32_e64 v25, s[6:7], v2, v25, s[6:7]
	global_load_dwordx2 v[24:25], v[24:25], off
.LBB101_56:                             ;   in Loop: Header=BB101_16 Depth=1
	s_or_b64 exec, exec, s[0:1]
	s_and_saveexec_b64 s[0:1], vcc
	s_cbranch_execz .LBB101_63
; %bb.57:                               ;   in Loop: Header=BB101_16 Depth=1
	s_and_b32 s12, s80, 0xfe
	s_mov_b64 s[8:9], 0
	s_branch .LBB101_59
.LBB101_58:                             ;   in Loop: Header=BB101_59 Depth=2
	s_or_b64 exec, exec, s[10:11]
	s_waitcnt vmcnt(0)
	v_xor_b32_e32 v25, 0x80000000, v25
	v_and_b32_e32 v29, s65, v25
	v_and_b32_e32 v28, s64, v24
	v_lshrrev_b64 v[24:25], s12, v[24:25]
	s_and_b64 s[6:7], exec, vcc
	v_and_b32_e32 v2, 3, v24
	s_or_b64 s[8:9], s[6:7], s[8:9]
	v_cmp_eq_u64_e32 vcc, s[70:71], v[28:29]
	v_cmp_eq_u64_e64 s[6:7], 0, v[2:3]
	s_and_b64 s[6:7], vcc, s[6:7]
	v_cndmask_b32_e64 v24, 0, 1, s[6:7]
	v_cmp_ne_u32_e64 s[6:7], 0, v24
	s_bcnt1_i32_b64 s6, s[6:7]
	v_add_co_u32_e64 v10, s[6:7], s6, v10
	v_addc_co_u32_e64 v11, s[6:7], 0, v11, s[6:7]
	v_cmp_eq_u64_e64 s[6:7], 1, v[2:3]
	s_and_b64 s[6:7], vcc, s[6:7]
	v_cndmask_b32_e64 v24, 0, 1, s[6:7]
	v_cmp_ne_u32_e64 s[6:7], 0, v24
	s_bcnt1_i32_b64 s6, s[6:7]
	v_add_co_u32_e64 v12, s[6:7], s6, v12
	v_addc_co_u32_e64 v13, s[6:7], 0, v13, s[6:7]
	;; [unrolled: 7-line block ×3, first 2 shown]
	v_cmp_eq_u64_e64 s[6:7], 3, v[2:3]
	s_and_b64 s[6:7], vcc, s[6:7]
	v_cndmask_b32_e64 v2, 0, 1, s[6:7]
	v_cmp_ne_u32_e32 vcc, 0, v2
	s_bcnt1_i32_b64 s6, vcc
	v_add_co_u32_e32 v16, vcc, s6, v16
	v_addc_co_u32_e32 v17, vcc, 0, v17, vcc
	v_pk_mov_b32 v[24:25], v[26:27], v[26:27] op_sel:[0,1]
	s_andn2_b64 exec, exec, s[8:9]
	s_cbranch_execz .LBB101_62
.LBB101_59:                             ;   Parent Loop BB101_16 Depth=1
                                        ; =>  This Inner Loop Header: Depth=2
	v_add_co_u32_sdwa v6, vcc, v6, v5 dst_sel:DWORD dst_unused:UNUSED_PAD src0_sel:DWORD src1_sel:WORD_0
	v_addc_co_u32_e32 v7, vcc, 0, v7, vcc
	v_cmp_gt_u64_e64 s[6:7], s[52:53], v[6:7]
	v_cmp_le_u64_e32 vcc, s[52:53], v[6:7]
	v_pk_mov_b32 v[26:27], 0, 0
	s_and_saveexec_b64 s[10:11], s[6:7]
	s_cbranch_execz .LBB101_58
; %bb.60:                               ;   in Loop: Header=BB101_59 Depth=2
	v_mul_lo_u32 v2, v7, s68
	v_mul_lo_u32 v28, v6, s69
	v_mad_u64_u32 v[26:27], s[6:7], v6, s68, 0
	v_add3_u32 v27, v27, v28, v2
	v_lshlrev_b64 v[26:27], 3, v[26:27]
	v_mov_b32_e32 v2, s26
	v_add_co_u32_e64 v26, s[6:7], s33, v26
	v_addc_co_u32_e64 v27, s[6:7], v2, v27, s[6:7]
	global_load_dwordx2 v[26:27], v[26:27], off
	s_branch .LBB101_58
.LBB101_61:                             ;   in Loop: Header=BB101_16 Depth=1
                                        ; implicit-def: $vgpr16_vgpr17
                                        ; implicit-def: $vgpr12_vgpr13
	s_cbranch_execnz .LBB101_64
	s_branch .LBB101_73
.LBB101_62:                             ;   in Loop: Header=BB101_16 Depth=1
	s_or_b64 exec, exec, s[8:9]
.LBB101_63:                             ;   in Loop: Header=BB101_16 Depth=1
	s_or_b64 exec, exec, s[0:1]
	s_branch .LBB101_73
.LBB101_64:                             ;   in Loop: Header=BB101_16 Depth=1
	global_load_ushort v2, v3, s[88:89]
	v_pk_mov_b32 v[10:11], 0, 0
	s_mov_b64 s[72:73], 0
	v_pk_mov_b32 v[12:13], v[10:11], v[10:11] op_sel:[0,1]
	v_pk_mov_b32 v[14:15], v[10:11], v[10:11] op_sel:[0,1]
	;; [unrolled: 1-line block ×3, first 2 shown]
	s_waitcnt vmcnt(0)
	v_readfirstlane_b32 s0, v2
	s_and_b32 s0, 0xffff, s0
	s_lshl_b32 s75, s0, 2
	v_cvt_f32_u32_e32 v5, s75
	s_sub_i32 s0, 0, s75
	v_rcp_iflag_f32_e32 v5, v5
	v_mul_f32_e32 v5, 0x4f7ffffe, v5
	v_cvt_u32_f32_e32 v6, v5
	v_and_b32_e32 v5, 0xffff, v2
	v_readfirstlane_b32 s1, v6
	s_mul_i32 s0, s0, s1
	s_mul_hi_u32 s0, s1, s0
	s_add_i32 s1, s1, s0
	s_mul_hi_u32 s0, s74, s1
	s_mul_i32 s0, s0, s75
	s_sub_i32 s0, s74, s0
	s_sub_i32 s1, s0, s75
	s_cmp_ge_u32 s0, s75
	s_cselect_b32 s0, s1, s0
	s_sub_i32 s1, s0, s75
	s_cmp_ge_u32 s0, s75
	s_cselect_b32 s0, s1, s0
	s_sub_i32 s78, s74, s0
	v_cmp_gt_u32_e32 vcc, s78, v20
	s_and_saveexec_b64 s[0:1], vcc
	s_cbranch_execz .LBB101_68
; %bb.65:                               ;   in Loop: Header=BB101_16 Depth=1
	s_and_b32 s86, s80, 0xfe
	v_lshlrev_b32_e32 v39, 5, v5
	v_mov_b32_e32 v40, v36
	s_mov_b64 s[8:9], 0
	s_mov_b64 s[90:91], 0
	;; [unrolled: 1-line block ×4, first 2 shown]
	v_pk_mov_b32 v[6:7], v[20:21], v[20:21] op_sel:[0,1]
.LBB101_66:                             ;   Parent Loop BB101_16 Depth=1
                                        ; =>  This Inner Loop Header: Depth=2
	ds_read_b128 v[14:17], v40
	ds_read_b128 v[10:13], v40 offset:16
	v_mov_b32_e32 v25, v3
	v_mov_b32_e32 v27, v3
	v_mov_b32_e32 v29, v3
	s_waitcnt lgkmcnt(1)
	v_xor_b32_e32 v15, 0x80000000, v15
	v_xor_b32_e32 v17, 0x80000000, v17
	v_and_b32_e32 v42, s64, v14
	v_and_b32_e32 v43, s65, v15
	v_lshrrev_b64 v[14:15], s86, v[14:15]
	s_waitcnt lgkmcnt(0)
	v_xor_b32_e32 v11, 0x80000000, v11
	v_and_b32_e32 v44, s64, v16
	v_and_b32_e32 v45, s65, v17
	v_lshrrev_b64 v[16:17], s86, v[16:17]
	v_and_b32_e32 v2, 3, v14
	v_xor_b32_e32 v13, 0x80000000, v13
	v_and_b32_e32 v46, s64, v10
	v_and_b32_e32 v47, s65, v11
	v_lshrrev_b64 v[10:11], s86, v[10:11]
	v_cmp_eq_u64_e64 s[16:17], s[70:71], v[42:43]
	v_and_b32_e32 v24, 3, v16
	v_cmp_eq_u64_e64 s[6:7], 0, v[2:3]
	v_and_b32_e32 v48, s64, v12
	v_and_b32_e32 v49, s65, v13
	v_lshrrev_b64 v[12:13], s86, v[12:13]
	v_cmp_eq_u64_e64 s[14:15], s[70:71], v[44:45]
	v_and_b32_e32 v26, 3, v10
	v_cmp_eq_u64_e64 s[28:29], 0, v[24:25]
	s_and_b64 s[6:7], s[16:17], s[6:7]
	v_cmp_eq_u64_e64 s[12:13], s[70:71], v[46:47]
	v_and_b32_e32 v28, 3, v12
	v_cmp_eq_u64_e64 s[30:31], 0, v[26:27]
	v_cmp_eq_u64_e64 s[36:37], 1, v[2:3]
	;; [unrolled: 1-line block ×4, first 2 shown]
	v_cndmask_b32_e64 v2, 0, 1, s[6:7]
	s_and_b64 s[6:7], s[14:15], s[28:29]
	v_cmp_eq_u64_e64 s[10:11], s[70:71], v[48:49]
	v_cmp_eq_u64_e64 s[34:35], 0, v[28:29]
	v_cndmask_b32_e64 v10, 0, 1, s[6:7]
	s_and_b64 s[6:7], s[12:13], s[30:31]
	v_cndmask_b32_e64 v11, 0, 1, s[6:7]
	s_and_b64 s[6:7], s[10:11], s[34:35]
	v_cndmask_b32_e64 v12, 0, 1, s[6:7]
	v_cmp_ne_u32_e64 s[6:7], 0, v2
	v_cmp_ne_u32_e64 s[28:29], 0, v10
	v_cmp_ne_u32_e64 s[30:31], 0, v11
	v_cmp_ne_u32_e64 s[34:35], 0, v12
	s_bcnt1_i32_b64 s6, s[6:7]
	s_bcnt1_i32_b64 s7, s[28:29]
	s_bcnt1_i32_b64 s28, s[30:31]
	s_bcnt1_i32_b64 s29, s[34:35]
	s_add_u32 s6, s6, s54
	s_addc_u32 s30, 0, s55
	s_add_u32 s6, s6, s7
	s_addc_u32 s7, s30, 0
	s_add_u32 s6, s6, s28
	s_addc_u32 s7, s7, 0
	s_add_u32 s54, s6, s29
	v_cmp_eq_u64_e64 s[38:39], 1, v[24:25]
	s_addc_u32 s55, s7, 0
	s_and_b64 s[6:7], s[16:17], s[36:37]
	v_cmp_eq_u64_e64 s[40:41], 1, v[26:27]
	v_cndmask_b32_e64 v2, 0, 1, s[6:7]
	s_and_b64 s[6:7], s[14:15], s[38:39]
	v_cmp_eq_u64_e64 s[42:43], 1, v[28:29]
	v_cndmask_b32_e64 v12, 0, 1, s[6:7]
	s_and_b64 s[6:7], s[12:13], s[40:41]
	v_cndmask_b32_e64 v13, 0, 1, s[6:7]
	s_and_b64 s[6:7], s[10:11], s[42:43]
	v_cndmask_b32_e64 v14, 0, 1, s[6:7]
	v_cmp_ne_u32_e64 s[6:7], 0, v2
	v_cmp_ne_u32_e64 s[28:29], 0, v12
	v_cmp_ne_u32_e64 s[30:31], 0, v13
	v_cmp_ne_u32_e64 s[34:35], 0, v14
	s_bcnt1_i32_b64 s6, s[6:7]
	s_bcnt1_i32_b64 s7, s[28:29]
	s_bcnt1_i32_b64 s28, s[30:31]
	s_bcnt1_i32_b64 s29, s[34:35]
	s_add_u32 s6, s6, s92
	s_addc_u32 s30, 0, s93
	s_add_u32 s6, s6, s7
	s_addc_u32 s7, s30, 0
	s_add_u32 s6, s6, s28
	s_addc_u32 s7, s7, 0
	s_add_u32 s92, s6, s29
	v_cmp_eq_u64_e64 s[46:47], 2, v[24:25]
	s_addc_u32 s93, s7, 0
	s_and_b64 s[6:7], s[16:17], s[44:45]
	v_cmp_eq_u64_e64 s[48:49], 2, v[26:27]
	v_cndmask_b32_e64 v2, 0, 1, s[6:7]
	s_and_b64 s[6:7], s[14:15], s[46:47]
	;; [unrolled: 27-line block ×3, first 2 shown]
	v_cmp_eq_u64_e64 s[18:19], 3, v[28:29]
	v_cndmask_b32_e64 v16, 0, 1, s[6:7]
	s_and_b64 s[6:7], s[12:13], s[20:21]
	v_cndmask_b32_e64 v17, 0, 1, s[6:7]
	s_and_b64 s[6:7], s[10:11], s[18:19]
	v_cndmask_b32_e64 v24, 0, 1, s[6:7]
	v_cmp_ne_u32_e64 s[6:7], 0, v2
	v_cmp_ne_u32_e64 s[10:11], 0, v16
	;; [unrolled: 1-line block ×4, first 2 shown]
	s_bcnt1_i32_b64 s6, s[6:7]
	s_bcnt1_i32_b64 s7, s[10:11]
	;; [unrolled: 1-line block ×4, first 2 shown]
	s_add_u32 s6, s6, s8
	s_addc_u32 s8, 0, s9
	s_add_u32 s6, s6, s7
	s_addc_u32 s7, s8, 0
	s_add_u32 s6, s6, s10
	v_add_co_u32_e32 v6, vcc, s75, v6
	s_addc_u32 s7, s7, 0
	v_addc_co_u32_e32 v7, vcc, 0, v7, vcc
	s_add_u32 s8, s6, s11
	v_cmp_le_u64_e32 vcc, s[78:79], v[6:7]
	s_addc_u32 s9, s7, 0
	v_add_u32_e32 v40, v40, v39
	v_pk_mov_b32 v[10:11], s[54:55], s[54:55] op_sel:[0,1]
	v_pk_mov_b32 v[12:13], s[92:93], s[92:93] op_sel:[0,1]
	;; [unrolled: 1-line block ×3, first 2 shown]
	s_or_b64 s[72:73], vcc, s[72:73]
	v_pk_mov_b32 v[16:17], s[8:9], s[8:9] op_sel:[0,1]
	s_andn2_b64 exec, exec, s[72:73]
	s_cbranch_execnz .LBB101_66
; %bb.67:                               ;   in Loop: Header=BB101_16 Depth=1
	s_or_b64 exec, exec, s[72:73]
	v_readlane_b32 s90, v50, 39
	v_readlane_b32 s91, v50, 40
.LBB101_68:                             ;   in Loop: Header=BB101_16 Depth=1
	s_or_b64 exec, exec, s[0:1]
	v_add_u32_e32 v2, s78, v0
	v_cmp_gt_u32_e32 vcc, s74, v2
	s_and_saveexec_b64 s[0:1], vcc
	s_cbranch_execz .LBB101_72
; %bb.69:                               ;   in Loop: Header=BB101_16 Depth=1
	s_and_b32 s78, s74, 0x7fffffff
	s_and_b32 s18, s80, 0xfe
	v_lshlrev_b32_e32 v24, 3, v2
	v_lshlrev_b32_e32 v25, 3, v5
	s_mov_b64 s[8:9], 0
	v_pk_mov_b32 v[6:7], v[2:3], v[2:3] op_sel:[0,1]
.LBB101_70:                             ;   Parent Loop BB101_16 Depth=1
                                        ; =>  This Inner Loop Header: Depth=2
	ds_read_b64 v[26:27], v24
	v_add_co_u32_e32 v6, vcc, v6, v5
	v_addc_co_u32_e32 v7, vcc, 0, v7, vcc
	s_waitcnt lgkmcnt(0)
	v_xor_b32_e32 v27, 0x80000000, v27
	v_and_b32_e32 v28, s64, v26
	v_and_b32_e32 v29, s65, v27
	v_lshrrev_b64 v[26:27], s18, v[26:27]
	v_and_b32_e32 v2, 3, v26
	v_cmp_eq_u64_e64 s[6:7], s[70:71], v[28:29]
	v_cmp_eq_u64_e64 s[10:11], 0, v[2:3]
	v_cmp_eq_u64_e64 s[12:13], 1, v[2:3]
	s_and_b64 s[10:11], s[6:7], s[10:11]
	v_cmp_eq_u64_e64 s[14:15], 2, v[2:3]
	v_cmp_eq_u64_e64 s[16:17], 3, v[2:3]
	v_cndmask_b32_e64 v2, 0, 1, s[10:11]
	s_and_b64 s[10:11], s[6:7], s[12:13]
	v_cndmask_b32_e64 v26, 0, 1, s[10:11]
	s_and_b64 s[10:11], s[6:7], s[14:15]
	s_and_b64 s[6:7], s[6:7], s[16:17]
	v_cndmask_b32_e64 v28, 0, 1, s[6:7]
	v_cmp_ne_u32_e64 s[6:7], 0, v2
	s_bcnt1_i32_b64 s6, s[6:7]
	v_cndmask_b32_e64 v27, 0, 1, s[10:11]
	v_cmp_ne_u32_e64 s[10:11], 0, v26
	v_add_co_u32_e64 v10, s[6:7], s6, v10
	s_bcnt1_i32_b64 s10, s[10:11]
	v_addc_co_u32_e64 v11, s[6:7], 0, v11, s[6:7]
	v_cmp_ne_u32_e64 s[12:13], 0, v27
	v_cmp_ne_u32_e64 s[14:15], 0, v28
	v_add_co_u32_e64 v12, s[6:7], s10, v12
	v_cmp_le_u64_e32 vcc, s[78:79], v[6:7]
	s_bcnt1_i32_b64 s11, s[12:13]
	s_bcnt1_i32_b64 s12, s[14:15]
	v_addc_co_u32_e64 v13, s[6:7], 0, v13, s[6:7]
	v_add_co_u32_e64 v14, s[6:7], s11, v14
	s_or_b64 s[8:9], vcc, s[8:9]
	v_add_co_u32_e32 v16, vcc, s12, v16
	v_add_u32_e32 v24, v24, v25
	v_addc_co_u32_e64 v15, s[6:7], 0, v15, s[6:7]
	v_addc_co_u32_e32 v17, vcc, 0, v17, vcc
	s_andn2_b64 exec, exec, s[8:9]
	s_cbranch_execnz .LBB101_70
; %bb.71:                               ;   in Loop: Header=BB101_16 Depth=1
	s_or_b64 exec, exec, s[8:9]
.LBB101_72:                             ;   in Loop: Header=BB101_16 Depth=1
	s_or_b64 exec, exec, s[0:1]
.LBB101_73:                             ;   in Loop: Header=BB101_16 Depth=1
	s_lshl_b32 s6, s81, 6
	s_and_saveexec_b64 s[0:1], s[4:5]
	s_cbranch_execz .LBB101_75
; %bb.74:                               ;   in Loop: Header=BB101_16 Depth=1
	v_or_b32_e32 v2, s6, v34
	v_lshlrev_b32_e32 v2, 3, v2
	ds_write_b128 v2, v[10:13] offset:3072
	ds_write_b128 v2, v[14:17] offset:3088
.LBB101_75:                             ;   in Loop: Header=BB101_16 Depth=1
	s_or_b64 exec, exec, s[0:1]
	s_waitcnt lgkmcnt(0)
	s_barrier
	s_and_saveexec_b64 s[0:1], s[90:91]
	s_cbranch_execz .LBB101_87
; %bb.76:                               ;   in Loop: Header=BB101_16 Depth=1
	v_readlane_b32 s8, v50, 30
	v_readlane_b32 s9, v50, 31
	s_andn2_b64 vcc, exec, s[8:9]
	s_waitcnt vmcnt(0)
	v_pk_mov_b32 v[6:7], 0, 0
	s_cbranch_vccnz .LBB101_86
; %bb.77:                               ;   in Loop: Header=BB101_16 Depth=1
	v_readlane_b32 s8, v50, 34
	v_readlane_b32 s9, v50, 35
	s_andn2_b64 vcc, exec, s[8:9]
	s_cbranch_vccnz .LBB101_82
; %bb.78:                               ;   in Loop: Header=BB101_16 Depth=1
	v_lshl_add_u32 v2, s81, 9, v37
	s_mov_b32 s7, 0
	v_pk_mov_b32 v[6:7], 0, 0
.LBB101_79:                             ;   Parent Loop BB101_16 Depth=1
                                        ; =>  This Inner Loop Header: Depth=2
	ds_read2_b64 v[10:13], v2 offset1:4
	ds_read2_b64 v[14:17], v2 offset0:8 offset1:12
	ds_read2_b64 v[24:27], v2 offset0:16 offset1:20
	;; [unrolled: 1-line block ×3, first 2 shown]
	s_add_i32 s7, s7, 8
	s_waitcnt lgkmcnt(3)
	v_add_co_u32_e32 v5, vcc, v10, v6
	v_addc_co_u32_e32 v6, vcc, v11, v7, vcc
	v_add_co_u32_e32 v5, vcc, v12, v5
	v_addc_co_u32_e32 v6, vcc, v13, v6, vcc
	s_waitcnt lgkmcnt(2)
	v_add_co_u32_e32 v5, vcc, v14, v5
	v_addc_co_u32_e32 v6, vcc, v15, v6, vcc
	v_add_co_u32_e32 v5, vcc, v16, v5
	v_addc_co_u32_e32 v6, vcc, v17, v6, vcc
	;; [unrolled: 5-line block ×3, first 2 shown]
	s_waitcnt lgkmcnt(0)
	v_add_co_u32_e32 v5, vcc, v40, v5
	v_addc_co_u32_e32 v7, vcc, v41, v6, vcc
	v_add_co_u32_e32 v6, vcc, v42, v5
	v_add_u32_e32 v2, 0x100, v2
	s_cmp_eq_u32 s2, s7
	v_addc_co_u32_e32 v7, vcc, v43, v7, vcc
	s_cbranch_scc0 .LBB101_79
; %bb.80:                               ;   in Loop: Header=BB101_16 Depth=1
	s_mov_b32 s7, s2
	s_branch .LBB101_83
.LBB101_81:                             ;   in Loop: Header=BB101_16 Depth=1
                                        ; implicit-def: $vgpr6_vgpr7
	s_branch .LBB101_49
.LBB101_82:                             ;   in Loop: Header=BB101_16 Depth=1
	s_mov_b32 s7, 0
	v_pk_mov_b32 v[6:7], 0, 0
.LBB101_83:                             ;   in Loop: Header=BB101_16 Depth=1
	v_readlane_b32 s8, v50, 37
	v_readlane_b32 s9, v50, 38
	s_andn2_b64 vcc, exec, s[8:9]
	s_cbranch_vccnz .LBB101_86
; %bb.84:                               ;   in Loop: Header=BB101_16 Depth=1
	s_lshl_b32 s8, s81, 9
	s_lshl_b32 s7, s7, 5
	s_add_i32 s8, s8, s7
	v_add_u32_e32 v2, s8, v37
	v_readlane_b32 s7, v50, 36
.LBB101_85:                             ;   Parent Loop BB101_16 Depth=1
                                        ; =>  This Inner Loop Header: Depth=2
	ds_read_b64 v[10:11], v2
	s_add_i32 s7, s7, -1
	v_add_u32_e32 v2, 32, v2
	s_cmp_lg_u32 s7, 0
	s_waitcnt lgkmcnt(0)
	v_add_co_u32_e32 v6, vcc, v10, v6
	v_addc_co_u32_e32 v7, vcc, v11, v7, vcc
	s_cbranch_scc1 .LBB101_85
.LBB101_86:                             ;   in Loop: Header=BB101_16 Depth=1
	v_add_lshl_u32 v2, s6, v30, 3
	ds_write_b64 v2, v[6:7] offset:3072
.LBB101_87:                             ;   in Loop: Header=BB101_16 Depth=1
	s_or_b64 exec, exec, s[0:1]
	s_lshl_b32 s0, s6, 3
	v_mov_b32_e32 v2, s0
	s_waitcnt lgkmcnt(0)
	s_barrier
	ds_read_b128 v[10:13], v2 offset:3072
	ds_read_b128 v[14:17], v2 offset:3088
	s_and_b32 s44, s80, 0xfe
	s_lshl_b64 s[12:13], 3, s44
	s_not_b64 s[20:21], s[12:13]
	s_waitcnt lgkmcnt(1)
	v_readfirstlane_b32 s17, v11
	v_readfirstlane_b32 s16, v10
	s_cmp_eq_u64 s[16:17], 1
	s_cselect_b64 s[0:1], -1, 0
	s_cmp_eq_u64 s[82:83], 1
	s_cselect_b64 s[6:7], -1, 0
	s_and_b64 s[24:25], s[0:1], s[6:7]
	v_readfirstlane_b32 s34, v12
	v_readfirstlane_b32 s35, v13
	s_waitcnt lgkmcnt(0)
	v_readfirstlane_b32 s18, v14
	v_readfirstlane_b32 s19, v15
	v_readfirstlane_b32 s10, v16
	v_readfirstlane_b32 s11, v17
	s_mov_b64 s[22:23], -1
	s_and_b64 vcc, exec, s[24:25]
	s_cbranch_vccz .LBB101_102
; %bb.88:                               ;   in Loop: Header=BB101_16 Depth=1
	s_waitcnt vmcnt(0)
	ds_read_b64 v[6:7], v3 offset:5120
	s_waitcnt lgkmcnt(0)
	s_barrier
	v_readfirstlane_b32 s0, v6
	v_readfirstlane_b32 s1, v7
	s_mov_b64 s[6:7], exec
	v_readlane_b32 s8, v50, 26
	v_readlane_b32 s9, v50, 27
	s_and_b64 s[8:9], s[6:7], s[8:9]
	s_mov_b64 exec, s[8:9]
	s_cbranch_execz .LBB101_90
; %bb.89:                               ;   in Loop: Header=BB101_16 Depth=1
	v_mov_b32_e32 v2, v3
	ds_write_b64 v32, v[2:3]
.LBB101_90:                             ;   in Loop: Header=BB101_16 Depth=1
	s_or_b64 exec, exec, s[6:7]
	s_and_b64 s[70:71], s[70:71], s[20:21]
	s_or_b64 s[64:65], s[64:65], s[12:13]
	s_cmp_eq_u64 s[0:1], 0
	s_waitcnt lgkmcnt(0)
	s_barrier
	s_cbranch_scc1 .LBB101_103
; %bb.91:                               ;   in Loop: Header=BB101_16 Depth=1
	v_readlane_b32 s6, v50, 32
	s_add_u32 s14, s6, s0
	v_readlane_b32 s6, v50, 33
	s_addc_u32 s7, s6, s1
	s_mov_b32 s6, s79
	s_cmp_lg_u64 s[6:7], 0
	s_cbranch_scc0 .LBB101_148
; %bb.92:                               ;   in Loop: Header=BB101_16 Depth=1
	v_cvt_f32_u32_e32 v2, s84
	s_sub_u32 s6, 0, s84
	s_subb_u32 s8, 0, 0
	v_mac_f32_e32 v2, 0, v38
	v_rcp_f32_e32 v2, v2
	v_mul_f32_e32 v2, 0x5f7ffffc, v2
	v_mul_f32_e32 v5, 0x2f800000, v2
	v_trunc_f32_e32 v5, v5
	v_mac_f32_e32 v2, 0xcf800000, v5
	v_cvt_u32_f32_e32 v5, v5
	v_cvt_u32_f32_e32 v2, v2
	v_readfirstlane_b32 s9, v5
	v_readfirstlane_b32 s15, v2
	s_mul_i32 s28, s6, s9
	s_mul_hi_u32 s30, s6, s15
	s_mul_i32 s29, s8, s15
	s_add_i32 s28, s30, s28
	s_mul_i32 s31, s6, s15
	s_add_i32 s28, s28, s29
	s_mul_hi_u32 s30, s15, s31
	s_mul_hi_u32 s29, s15, s28
	s_mul_i32 s15, s15, s28
	s_add_u32 s15, s30, s15
	s_addc_u32 s29, 0, s29
	s_mul_hi_u32 s36, s9, s31
	s_mul_i32 s31, s9, s31
	s_add_u32 s15, s15, s31
	s_mul_hi_u32 s30, s9, s28
	s_addc_u32 s15, s29, s36
	s_addc_u32 s29, s30, 0
	s_mul_i32 s28, s9, s28
	s_add_u32 s15, s15, s28
	s_addc_u32 s28, 0, s29
	v_add_co_u32_e32 v2, vcc, s15, v2
	s_cmp_lg_u64 vcc, 0
	s_addc_u32 s9, s9, s28
	v_readfirstlane_b32 s28, v2
	s_mul_i32 s15, s6, s9
	s_mul_hi_u32 s29, s6, s28
	s_add_i32 s15, s29, s15
	s_mul_i32 s8, s8, s28
	s_add_i32 s15, s15, s8
	s_mul_i32 s6, s6, s28
	s_mul_hi_u32 s29, s9, s6
	s_mul_i32 s30, s9, s6
	s_mul_i32 s36, s28, s15
	s_mul_hi_u32 s6, s28, s6
	s_mul_hi_u32 s31, s28, s15
	s_add_u32 s6, s6, s36
	s_addc_u32 s28, 0, s31
	s_add_u32 s6, s6, s30
	s_mul_hi_u32 s8, s9, s15
	s_addc_u32 s6, s28, s29
	s_addc_u32 s8, s8, 0
	s_mul_i32 s15, s9, s15
	s_add_u32 s6, s6, s15
	s_addc_u32 s8, 0, s8
	v_add_co_u32_e32 v2, vcc, s6, v2
	s_cmp_lg_u64 vcc, 0
	s_addc_u32 s6, s9, s8
	v_readfirstlane_b32 s15, v2
	s_mul_i32 s9, s14, s6
	s_mul_hi_u32 s28, s14, s15
	s_mul_hi_u32 s8, s14, s6
	s_add_u32 s9, s28, s9
	s_addc_u32 s8, 0, s8
	s_mul_hi_u32 s29, s7, s15
	s_mul_i32 s15, s7, s15
	s_add_u32 s9, s9, s15
	s_mul_hi_u32 s28, s7, s6
	s_addc_u32 s8, s8, s29
	s_addc_u32 s9, s28, 0
	s_mul_i32 s6, s7, s6
	s_add_u32 s6, s8, s6
	s_addc_u32 s8, 0, s9
	s_mul_hi_u32 s9, s84, s6
	s_mul_i32 s6, s84, s6
	s_mul_i32 s8, s84, s8
	v_mov_b32_e32 v2, s6
	s_add_i32 s9, s9, s8
	v_sub_co_u32_e32 v2, vcc, s14, v2
	s_cmp_lg_u64 vcc, 0
	s_subb_u32 s6, s7, s9
	v_subrev_co_u32_e32 v5, vcc, s84, v2
	s_cmp_lg_u64 vcc, 0
	s_subb_u32 s8, s6, 0
	v_subrev_co_u32_e32 v6, vcc, s84, v5
	s_cmp_lg_u64 vcc, 0
	s_subb_u32 s9, s8, 0
	v_cmp_le_u32_e32 vcc, s84, v5
	s_cmp_eq_u32 s8, 0
	v_cndmask_b32_e64 v7, 0, -1, vcc
	s_cselect_b64 vcc, -1, 0
	v_cndmask_b32_e32 v7, -1, v7, vcc
	v_mov_b32_e32 v8, s8
	v_mov_b32_e32 v9, s9
	v_cmp_ne_u32_e32 vcc, 0, v7
	v_cndmask_b32_e32 v7, v8, v9, vcc
	v_cndmask_b32_e32 v5, v5, v6, vcc
	v_cmp_le_u32_e32 vcc, s84, v2
	s_cmp_eq_u32 s6, 0
	v_cndmask_b32_e64 v6, 0, -1, vcc
	s_cselect_b64 vcc, -1, 0
	v_cndmask_b32_e32 v6, -1, v6, vcc
	v_mov_b32_e32 v8, s6
	v_cmp_ne_u32_e32 vcc, 0, v6
	v_cndmask_b32_e32 v7, v8, v7, vcc
	v_cndmask_b32_e32 v6, v2, v5, vcc
	s_cbranch_execnz .LBB101_94
.LBB101_93:                             ;   in Loop: Header=BB101_16 Depth=1
	v_cvt_f32_u32_e32 v2, s84
	s_sub_i32 s6, 0, s84
	v_rcp_iflag_f32_e32 v2, v2
	v_mul_f32_e32 v2, 0x4f7ffffe, v2
	v_cvt_u32_f32_e32 v2, v2
	v_mul_lo_u32 v5, s6, v2
	v_mul_hi_u32 v5, v2, v5
	v_add_u32_e32 v2, v2, v5
	v_mul_hi_u32 v2, s14, v2
	v_mul_lo_u32 v2, v2, s84
	v_sub_u32_e32 v2, s14, v2
	v_subrev_u32_e32 v5, s84, v2
	v_cmp_le_u32_e32 vcc, s84, v2
	v_cndmask_b32_e32 v2, v2, v5, vcc
	v_subrev_u32_e32 v5, s84, v2
	v_cmp_le_u32_e32 vcc, s84, v2
	v_cndmask_b32_e32 v2, v2, v5, vcc
	v_pk_mov_b32 v[6:7], v[2:3], v[2:3] op_sel:[0,1]
.LBB101_94:                             ;   in Loop: Header=BB101_16 Depth=1
	v_mov_b32_e32 v2, s7
	v_sub_co_u32_e32 v10, vcc, s14, v6
	v_subb_co_u32_e32 v11, vcc, v2, v7, vcc
	v_cmp_gt_u64_e32 vcc, v[10:11], v[0:1]
	s_mov_b64 s[6:7], 0
                                        ; implicit-def: $vgpr8_vgpr9
	s_and_saveexec_b64 s[8:9], vcc
	s_cbranch_execz .LBB101_105
; %bb.95:                               ;   in Loop: Header=BB101_16 Depth=1
	s_mov_b64 s[14:15], 0
	v_mov_b32_e32 v2, v31
	v_pk_mov_b32 v[12:13], v[0:1], v[0:1] op_sel:[0,1]
                                        ; implicit-def: $sgpr6_sgpr7
	s_branch .LBB101_97
.LBB101_96:                             ;   in Loop: Header=BB101_97 Depth=2
	s_or_b64 exec, exec, s[28:29]
	s_waitcnt lgkmcnt(0)
	s_barrier
	ds_read_b128 v[6:9], v3 offset:3072
	v_mov_b32_e32 v5, s85
	v_add_co_u32_e32 v12, vcc, s84, v12
	v_addc_co_u32_e32 v13, vcc, v13, v5, vcc
	s_waitcnt lgkmcnt(0)
	v_readfirstlane_b32 s29, v7
	v_readfirstlane_b32 s28, v6
	s_cmp_lg_u64 s[28:29], 0
	s_cselect_b64 s[28:29], -1, 0
	v_cmp_ge_u64_e32 vcc, v[12:13], v[10:11]
	s_or_b64 s[30:31], vcc, s[28:29]
	s_and_b64 s[30:31], exec, s[30:31]
	s_or_b64 s[14:15], s[30:31], s[14:15]
	s_andn2_b64 s[6:7], s[6:7], exec
	s_and_b64 s[28:29], s[28:29], exec
	v_add_u32_e32 v2, s3, v2
	s_or_b64 s[6:7], s[6:7], s[28:29]
	s_barrier
	s_andn2_b64 exec, exec, s[14:15]
	s_cbranch_execz .LBB101_104
.LBB101_97:                             ;   Parent Loop BB101_16 Depth=1
                                        ; =>  This Inner Loop Header: Depth=2
	v_cmp_gt_u64_e32 vcc, s[0:1], v[12:13]
	v_pk_mov_b32 v[6:7], 0, 0
	s_and_saveexec_b64 s[28:29], vcc
	s_cbranch_execz .LBB101_99
; %bb.98:                               ;   in Loop: Header=BB101_97 Depth=2
	ds_read_b64 v[6:7], v2
.LBB101_99:                             ;   in Loop: Header=BB101_97 Depth=2
	s_or_b64 exec, exec, s[28:29]
	s_and_saveexec_b64 s[28:29], vcc
	s_cbranch_execz .LBB101_96
; %bb.100:                              ;   in Loop: Header=BB101_97 Depth=2
	s_waitcnt lgkmcnt(0)
	v_xor_b32_e32 v5, 0x80000000, v7
	v_and_b32_e32 v9, s65, v5
	v_and_b32_e32 v8, s64, v6
	v_cmp_eq_u64_e32 vcc, s[70:71], v[8:9]
	s_and_b64 exec, exec, vcc
	s_cbranch_execz .LBB101_96
; %bb.101:                              ;   in Loop: Header=BB101_97 Depth=2
	v_mov_b32_e32 v5, v3
	ds_write_b128 v3, v[4:7] offset:3072
	s_branch .LBB101_96
.LBB101_102:                            ;   in Loop: Header=BB101_16 Depth=1
	s_mov_b64 s[6:7], -1
                                        ; implicit-def: $sgpr0_sgpr1
                                        ; implicit-def: $sgpr14_sgpr15
                                        ; implicit-def: $sgpr8_sgpr9
	s_branch .LBB101_119
.LBB101_103:                            ;   in Loop: Header=BB101_16 Depth=1
	s_mov_b64 s[0:1], -1
	s_mov_b64 s[6:7], 0
                                        ; implicit-def: $sgpr8_sgpr9
                                        ; implicit-def: $vgpr8_vgpr9
	s_mov_b64 s[14:15], s[0:1]
	s_cbranch_execnz .LBB101_106
	s_branch .LBB101_119
.LBB101_104:                            ;   in Loop: Header=BB101_16 Depth=1
	s_or_b64 exec, exec, s[14:15]
	s_and_b64 s[6:7], s[6:7], exec
.LBB101_105:                            ;   in Loop: Header=BB101_16 Depth=1
	s_or_b64 exec, exec, s[8:9]
	s_mov_b64 s[8:9], -1
	s_mov_b64 s[0:1], 0
	s_mov_b64 s[14:15], s[0:1]
	s_branch .LBB101_119
.LBB101_106:                            ;   in Loop: Header=BB101_16 Depth=1
	s_mov_b32 s86, s79
	s_cmp_lg_u64 s[86:87], 0
	s_cbranch_scc0 .LBB101_152
; %bb.107:                              ;   in Loop: Header=BB101_16 Depth=1
	v_cvt_f32_u32_e32 v2, s84
	s_sub_u32 s0, 0, s84
	s_subb_u32 s1, 0, 0
	v_mac_f32_e32 v2, 0, v38
	v_rcp_f32_e32 v2, v2
	v_mul_f32_e32 v2, 0x5f7ffffc, v2
	v_mul_f32_e32 v5, 0x2f800000, v2
	v_trunc_f32_e32 v5, v5
	v_mac_f32_e32 v2, 0xcf800000, v5
	v_cvt_u32_f32_e32 v5, v5
	v_cvt_u32_f32_e32 v2, v2
	v_readfirstlane_b32 s6, v5
	v_readfirstlane_b32 s7, v2
	s_mul_i32 s8, s0, s6
	s_mul_hi_u32 s14, s0, s7
	s_mul_i32 s9, s1, s7
	s_add_i32 s8, s14, s8
	s_mul_i32 s15, s0, s7
	s_add_i32 s8, s8, s9
	s_mul_hi_u32 s14, s7, s15
	s_mul_hi_u32 s9, s7, s8
	s_mul_i32 s7, s7, s8
	s_add_u32 s7, s14, s7
	s_addc_u32 s9, 0, s9
	s_mul_hi_u32 s28, s6, s15
	s_mul_i32 s15, s6, s15
	s_add_u32 s7, s7, s15
	s_mul_hi_u32 s14, s6, s8
	s_addc_u32 s7, s9, s28
	s_addc_u32 s9, s14, 0
	s_mul_i32 s8, s6, s8
	s_add_u32 s7, s7, s8
	s_addc_u32 s8, 0, s9
	v_add_co_u32_e32 v2, vcc, s7, v2
	s_cmp_lg_u64 vcc, 0
	s_addc_u32 s6, s6, s8
	v_readfirstlane_b32 s8, v2
	s_mul_i32 s7, s0, s6
	s_mul_hi_u32 s9, s0, s8
	s_add_i32 s7, s9, s7
	s_mul_i32 s1, s1, s8
	s_add_i32 s7, s7, s1
	s_mul_i32 s0, s0, s8
	s_mul_hi_u32 s9, s6, s0
	s_mul_i32 s14, s6, s0
	s_mul_i32 s28, s8, s7
	s_mul_hi_u32 s0, s8, s0
	s_mul_hi_u32 s15, s8, s7
	s_add_u32 s0, s0, s28
	s_addc_u32 s8, 0, s15
	s_add_u32 s0, s0, s14
	s_mul_hi_u32 s1, s6, s7
	s_addc_u32 s0, s8, s9
	s_addc_u32 s1, s1, 0
	s_mul_i32 s7, s6, s7
	s_add_u32 s0, s0, s7
	s_addc_u32 s1, 0, s1
	v_add_co_u32_e32 v2, vcc, s0, v2
	s_cmp_lg_u64 vcc, 0
	s_addc_u32 s0, s6, s1
	v_readfirstlane_b32 s7, v2
	s_mul_i32 s6, s27, s0
	s_mul_hi_u32 s8, s27, s7
	s_mul_hi_u32 s1, s27, s0
	s_add_u32 s6, s8, s6
	s_addc_u32 s1, 0, s1
	s_mul_hi_u32 s9, s87, s7
	s_mul_i32 s7, s87, s7
	s_add_u32 s6, s6, s7
	s_mul_hi_u32 s8, s87, s0
	s_addc_u32 s1, s1, s9
	s_addc_u32 s6, s8, 0
	s_mul_i32 s0, s87, s0
	s_add_u32 s0, s1, s0
	s_addc_u32 s1, 0, s6
	s_mul_hi_u32 s6, s84, s0
	s_mul_i32 s0, s84, s0
	s_mul_i32 s1, s84, s1
	v_mov_b32_e32 v2, s0
	s_add_i32 s6, s6, s1
	v_sub_co_u32_e32 v2, vcc, s27, v2
	s_cmp_lg_u64 vcc, 0
	s_subb_u32 s0, s87, s6
	v_subrev_co_u32_e32 v5, vcc, s84, v2
	s_cmp_lg_u64 vcc, 0
	s_subb_u32 s1, s0, 0
	v_subrev_co_u32_e32 v6, vcc, s84, v5
	s_cmp_lg_u64 vcc, 0
	s_subb_u32 s6, s1, 0
	v_cmp_le_u32_e32 vcc, s84, v5
	s_cmp_eq_u32 s1, 0
	v_cndmask_b32_e64 v7, 0, -1, vcc
	s_cselect_b64 vcc, -1, 0
	v_cndmask_b32_e32 v7, -1, v7, vcc
	v_mov_b32_e32 v8, s1
	v_mov_b32_e32 v9, s6
	v_cmp_ne_u32_e32 vcc, 0, v7
	v_cndmask_b32_e32 v7, v8, v9, vcc
	v_cndmask_b32_e32 v5, v5, v6, vcc
	v_cmp_le_u32_e32 vcc, s84, v2
	s_cmp_eq_u32 s0, 0
	v_cndmask_b32_e64 v6, 0, -1, vcc
	s_cselect_b64 vcc, -1, 0
	v_cndmask_b32_e32 v6, -1, v6, vcc
	v_mov_b32_e32 v8, s0
	v_cmp_ne_u32_e32 vcc, 0, v6
	v_cndmask_b32_e32 v7, v8, v7, vcc
	v_cndmask_b32_e32 v6, v2, v5, vcc
	s_cbranch_execnz .LBB101_109
.LBB101_108:                            ;   in Loop: Header=BB101_16 Depth=1
	v_cvt_f32_u32_e32 v2, s84
	s_sub_i32 s0, 0, s84
	v_rcp_iflag_f32_e32 v2, v2
	v_mul_f32_e32 v2, 0x4f7ffffe, v2
	v_cvt_u32_f32_e32 v2, v2
	v_mul_lo_u32 v5, s0, v2
	v_mul_hi_u32 v5, v2, v5
	v_add_u32_e32 v2, v2, v5
	v_mul_hi_u32 v2, s27, v2
	v_mul_lo_u32 v2, v2, s84
	v_sub_u32_e32 v2, s27, v2
	v_subrev_u32_e32 v5, s84, v2
	v_cmp_le_u32_e32 vcc, s84, v2
	v_cndmask_b32_e32 v2, v2, v5, vcc
	v_subrev_u32_e32 v5, s84, v2
	v_cmp_le_u32_e32 vcc, s84, v2
	v_cndmask_b32_e32 v2, v2, v5, vcc
	v_pk_mov_b32 v[6:7], v[2:3], v[2:3] op_sel:[0,1]
.LBB101_109:                            ;   in Loop: Header=BB101_16 Depth=1
	v_mov_b32_e32 v2, s87
	v_sub_co_u32_e32 v10, vcc, s27, v6
	v_subb_co_u32_e32 v11, vcc, v2, v7, vcc
	v_cmp_gt_u64_e32 vcc, v[10:11], v[0:1]
	s_mov_b64 s[6:7], 0
                                        ; implicit-def: $vgpr8_vgpr9
	s_and_saveexec_b64 s[0:1], vcc
	s_cbranch_execz .LBB101_118
; %bb.110:                              ;   in Loop: Header=BB101_16 Depth=1
	s_mov_b64 s[14:15], 0
	v_pk_mov_b32 v[12:13], v[0:1], v[0:1] op_sel:[0,1]
                                        ; implicit-def: $sgpr8_sgpr9
	s_branch .LBB101_112
.LBB101_111:                            ;   in Loop: Header=BB101_112 Depth=2
	s_or_b64 exec, exec, s[6:7]
	s_waitcnt lgkmcnt(0)
	s_barrier
	s_waitcnt vmcnt(0)
	ds_read_b128 v[6:9], v3 offset:3072
	v_mov_b32_e32 v2, s85
	v_add_co_u32_e32 v12, vcc, s84, v12
	v_addc_co_u32_e32 v13, vcc, v13, v2, vcc
	s_waitcnt lgkmcnt(0)
	v_readfirstlane_b32 s7, v7
	v_readfirstlane_b32 s6, v6
	s_cmp_lg_u64 s[6:7], 0
	s_cselect_b64 s[6:7], -1, 0
	v_cmp_ge_u64_e32 vcc, v[12:13], v[10:11]
	s_or_b64 s[28:29], vcc, s[6:7]
	s_and_b64 s[28:29], exec, s[28:29]
	s_or_b64 s[14:15], s[28:29], s[14:15]
	s_andn2_b64 s[8:9], s[8:9], exec
	s_and_b64 s[6:7], s[6:7], exec
	s_or_b64 s[8:9], s[8:9], s[6:7]
	s_barrier
	s_andn2_b64 exec, exec, s[14:15]
	s_cbranch_execz .LBB101_117
.LBB101_112:                            ;   Parent Loop BB101_16 Depth=1
                                        ; =>  This Inner Loop Header: Depth=2
	v_cmp_gt_u64_e32 vcc, s[52:53], v[12:13]
	v_pk_mov_b32 v[6:7], 0, 0
	s_and_saveexec_b64 s[28:29], vcc
	s_cbranch_execz .LBB101_114
; %bb.113:                              ;   in Loop: Header=BB101_112 Depth=2
	v_mul_lo_u32 v2, v13, s68
	v_mul_lo_u32 v5, v12, s69
	v_mad_u64_u32 v[6:7], s[6:7], v12, s68, 0
	v_add3_u32 v7, v7, v5, v2
	v_lshlrev_b64 v[6:7], 3, v[6:7]
	v_mov_b32_e32 v2, s26
	v_add_co_u32_e64 v6, s[6:7], s33, v6
	v_addc_co_u32_e64 v7, s[6:7], v2, v7, s[6:7]
	global_load_dwordx2 v[6:7], v[6:7], off
.LBB101_114:                            ;   in Loop: Header=BB101_112 Depth=2
	s_or_b64 exec, exec, s[28:29]
	s_and_saveexec_b64 s[6:7], vcc
	s_cbranch_execz .LBB101_111
; %bb.115:                              ;   in Loop: Header=BB101_112 Depth=2
	s_waitcnt vmcnt(0)
	v_xor_b32_e32 v2, 0x80000000, v7
	v_and_b32_e32 v9, s65, v2
	v_and_b32_e32 v8, s64, v6
	v_cmp_eq_u64_e32 vcc, s[70:71], v[8:9]
	s_and_b64 exec, exec, vcc
	s_cbranch_execz .LBB101_111
; %bb.116:                              ;   in Loop: Header=BB101_112 Depth=2
	v_mov_b32_e32 v5, v3
	ds_write_b128 v3, v[4:7] offset:3072
	s_branch .LBB101_111
.LBB101_117:                            ;   in Loop: Header=BB101_16 Depth=1
	s_or_b64 exec, exec, s[14:15]
	s_and_b64 s[6:7], s[8:9], exec
.LBB101_118:                            ;   in Loop: Header=BB101_16 Depth=1
	s_or_b64 exec, exec, s[0:1]
	s_mov_b64 s[14:15], -1
	s_mov_b64 s[0:1], 0
	s_mov_b64 s[8:9], 0
.LBB101_119:                            ;   in Loop: Header=BB101_16 Depth=1
	s_andn2_b64 s[28:29], s[66:67], exec
	s_and_b64 s[0:1], s[0:1], exec
	s_or_b64 s[66:67], s[28:29], s[0:1]
	s_andn2_b64 s[0:1], s[62:63], exec
	s_and_b64 s[14:15], s[14:15], exec
	s_or_b64 s[62:63], s[0:1], s[14:15]
	;; [unrolled: 3-line block ×3, first 2 shown]
	s_and_saveexec_b64 s[14:15], s[6:7]
	s_cbranch_execz .LBB101_15
; %bb.120:                              ;   in Loop: Header=BB101_16 Depth=1
	s_xor_b64 s[0:1], s[24:25], -1
	s_andn2_b64 vcc, exec, s[0:1]
	s_mov_b32 s48, 1
	s_cbranch_vccnz .LBB101_131
; %bb.121:                              ;   in Loop: Header=BB101_16 Depth=1
	s_waitcnt vmcnt(0)
	v_pk_mov_b32 v[6:7], s[16:17], s[16:17] op_sel:[0,1]
	v_cmp_gt_u64_e32 vcc, s[82:83], v[6:7]
	s_mov_b64 s[0:1], -1
                                        ; implicit-def: $sgpr48
                                        ; implicit-def: $sgpr6_sgpr7
                                        ; implicit-def: $sgpr8_sgpr9
	s_cbranch_vccnz .LBB101_127
; %bb.122:                              ;   in Loop: Header=BB101_16 Depth=1
	ds_read_b64 v[6:7], v3 offset:5120
	s_waitcnt lgkmcnt(0)
	v_cmp_ne_u64_e32 vcc, 0, v[6:7]
	s_cbranch_vccnz .LBB101_126
; %bb.123:                              ;   in Loop: Header=BB101_16 Depth=1
	s_mov_b64 s[0:1], exec
	v_readlane_b32 s6, v50, 8
	v_readlane_b32 s7, v50, 9
	s_and_b64 s[6:7], s[0:1], s[6:7]
	s_mov_b64 exec, s[6:7]
	s_cbranch_execz .LBB101_125
; %bb.124:                              ;   in Loop: Header=BB101_16 Depth=1
	v_pk_mov_b32 v[6:7], s[16:17], s[16:17] op_sel:[0,1]
	ds_write_b64 v3, v[6:7] offset:5128
.LBB101_125:                            ;   in Loop: Header=BB101_16 Depth=1
	s_or_b64 exec, exec, s[0:1]
	s_waitcnt lgkmcnt(0)
	s_barrier
.LBB101_126:                            ;   in Loop: Header=BB101_16 Depth=1
	s_and_b64 s[6:7], s[70:71], s[20:21]
	s_or_b64 s[8:9], s[64:65], s[12:13]
	s_mov_b64 s[0:1], 0
	s_mov_b32 s48, 8
.LBB101_127:                            ;   in Loop: Header=BB101_16 Depth=1
	s_andn2_b64 vcc, exec, s[0:1]
	s_cbranch_vccnz .LBB101_129
; %bb.128:                              ;   in Loop: Header=BB101_16 Depth=1
	s_sub_u32 s82, s82, s16
	s_subb_u32 s83, s83, s17
	s_mov_b64 s[0:1], -1
	s_mov_b32 s48, 0
	s_mov_b64 s[6:7], s[70:71]
	s_mov_b64 s[8:9], s[64:65]
.LBB101_129:                            ;   in Loop: Header=BB101_16 Depth=1
	s_mov_b64 s[64:65], s[8:9]
	s_mov_b64 s[70:71], s[6:7]
	s_mov_b64 s[16:17], -1
	s_and_b64 vcc, exec, s[0:1]
	s_cbranch_vccnz .LBB101_132
.LBB101_130:                            ;   in Loop: Header=BB101_16 Depth=1
	s_mov_b64 s[0:1], -1
                                        ; implicit-def: $sgpr22_sgpr23
                                        ; implicit-def: $sgpr28_sgpr29
                                        ; implicit-def: $sgpr24_sgpr25
	s_and_saveexec_b64 s[6:7], s[0:1]
	s_xor_b64 s[0:1], exec, s[6:7]
	s_cbranch_execz .LBB101_14
	s_branch .LBB101_281
.LBB101_131:                            ;   in Loop: Header=BB101_16 Depth=1
	s_mov_b64 s[82:83], 1
	s_mov_b64 s[16:17], -1
	s_branch .LBB101_130
.LBB101_132:                            ;   in Loop: Header=BB101_16 Depth=1
	s_cmp_eq_u64 s[34:35], 1
	s_cselect_b64 s[0:1], -1, 0
	s_cmp_eq_u64 s[82:83], 1
	s_cselect_b64 s[6:7], -1, 0
	s_and_b64 s[36:37], s[0:1], s[6:7]
	s_mov_b64 s[6:7], -1
	s_and_b64 vcc, exec, s[36:37]
	s_cbranch_vccz .LBB101_147
; %bb.133:                              ;   in Loop: Header=BB101_16 Depth=1
	s_waitcnt vmcnt(0)
	ds_read_b64 v[6:7], v3 offset:5120
	s_waitcnt lgkmcnt(0)
	s_barrier
	v_readfirstlane_b32 s0, v6
	v_readfirstlane_b32 s1, v7
	s_mov_b64 s[6:7], exec
	v_readlane_b32 s8, v50, 26
	v_readlane_b32 s9, v50, 27
	s_and_b64 s[8:9], s[6:7], s[8:9]
	s_mov_b64 exec, s[8:9]
	s_cbranch_execz .LBB101_135
; %bb.134:                              ;   in Loop: Header=BB101_16 Depth=1
	v_mov_b32_e32 v2, v3
	ds_write_b64 v32, v[2:3]
.LBB101_135:                            ;   in Loop: Header=BB101_16 Depth=1
	s_or_b64 exec, exec, s[6:7]
	s_lshl_b64 s[6:7], 1, s44
	s_and_b64 s[8:9], s[70:71], s[20:21]
	s_or_b64 s[70:71], s[8:9], s[6:7]
	s_or_b64 s[64:65], s[64:65], s[12:13]
	s_cmp_eq_u64 s[0:1], 0
	s_waitcnt lgkmcnt(0)
	s_barrier
	s_cbranch_scc1 .LBB101_153
; %bb.136:                              ;   in Loop: Header=BB101_16 Depth=1
	v_readlane_b32 s6, v50, 32
	s_add_u32 s22, s6, s0
	v_readlane_b32 s6, v50, 33
	s_addc_u32 s7, s6, s1
	s_mov_b32 s6, s79
	s_cmp_lg_u64 s[6:7], 0
	s_cbranch_scc0 .LBB101_198
; %bb.137:                              ;   in Loop: Header=BB101_16 Depth=1
	v_cvt_f32_u32_e32 v2, s84
	s_sub_u32 s6, 0, s84
	s_subb_u32 s8, 0, 0
	v_mac_f32_e32 v2, 0, v38
	v_rcp_f32_e32 v2, v2
	v_mul_f32_e32 v2, 0x5f7ffffc, v2
	v_mul_f32_e32 v5, 0x2f800000, v2
	v_trunc_f32_e32 v5, v5
	v_mac_f32_e32 v2, 0xcf800000, v5
	v_cvt_u32_f32_e32 v5, v5
	v_cvt_u32_f32_e32 v2, v2
	v_readfirstlane_b32 s9, v5
	v_readfirstlane_b32 s23, v2
	s_mul_i32 s24, s6, s9
	s_mul_hi_u32 s28, s6, s23
	s_mul_i32 s25, s8, s23
	s_add_i32 s24, s28, s24
	s_mul_i32 s29, s6, s23
	s_add_i32 s24, s24, s25
	s_mul_hi_u32 s28, s23, s29
	s_mul_hi_u32 s25, s23, s24
	s_mul_i32 s23, s23, s24
	s_add_u32 s23, s28, s23
	s_addc_u32 s25, 0, s25
	s_mul_hi_u32 s30, s9, s29
	s_mul_i32 s29, s9, s29
	s_add_u32 s23, s23, s29
	s_mul_hi_u32 s28, s9, s24
	s_addc_u32 s23, s25, s30
	s_addc_u32 s25, s28, 0
	s_mul_i32 s24, s9, s24
	s_add_u32 s23, s23, s24
	s_addc_u32 s24, 0, s25
	v_add_co_u32_e32 v2, vcc, s23, v2
	s_cmp_lg_u64 vcc, 0
	s_addc_u32 s9, s9, s24
	v_readfirstlane_b32 s24, v2
	s_mul_i32 s23, s6, s9
	s_mul_hi_u32 s25, s6, s24
	s_add_i32 s23, s25, s23
	s_mul_i32 s8, s8, s24
	s_add_i32 s23, s23, s8
	s_mul_i32 s6, s6, s24
	s_mul_hi_u32 s25, s9, s6
	s_mul_i32 s28, s9, s6
	s_mul_i32 s30, s24, s23
	s_mul_hi_u32 s6, s24, s6
	s_mul_hi_u32 s29, s24, s23
	s_add_u32 s6, s6, s30
	s_addc_u32 s24, 0, s29
	s_add_u32 s6, s6, s28
	s_mul_hi_u32 s8, s9, s23
	s_addc_u32 s6, s24, s25
	s_addc_u32 s8, s8, 0
	s_mul_i32 s23, s9, s23
	s_add_u32 s6, s6, s23
	s_addc_u32 s8, 0, s8
	v_add_co_u32_e32 v2, vcc, s6, v2
	s_cmp_lg_u64 vcc, 0
	s_addc_u32 s6, s9, s8
	v_readfirstlane_b32 s23, v2
	s_mul_i32 s9, s22, s6
	s_mul_hi_u32 s24, s22, s23
	s_mul_hi_u32 s8, s22, s6
	s_add_u32 s9, s24, s9
	s_addc_u32 s8, 0, s8
	s_mul_hi_u32 s25, s7, s23
	s_mul_i32 s23, s7, s23
	s_add_u32 s9, s9, s23
	s_mul_hi_u32 s24, s7, s6
	s_addc_u32 s8, s8, s25
	s_addc_u32 s9, s24, 0
	s_mul_i32 s6, s7, s6
	s_add_u32 s6, s8, s6
	s_addc_u32 s8, 0, s9
	s_mul_hi_u32 s9, s84, s6
	s_mul_i32 s6, s84, s6
	s_mul_i32 s8, s84, s8
	v_mov_b32_e32 v2, s6
	s_add_i32 s9, s9, s8
	v_sub_co_u32_e32 v2, vcc, s22, v2
	s_cmp_lg_u64 vcc, 0
	s_subb_u32 s6, s7, s9
	v_subrev_co_u32_e32 v5, vcc, s84, v2
	s_cmp_lg_u64 vcc, 0
	s_subb_u32 s8, s6, 0
	v_subrev_co_u32_e32 v6, vcc, s84, v5
	s_cmp_lg_u64 vcc, 0
	s_subb_u32 s9, s8, 0
	v_cmp_le_u32_e32 vcc, s84, v5
	s_cmp_eq_u32 s8, 0
	v_cndmask_b32_e64 v7, 0, -1, vcc
	s_cselect_b64 vcc, -1, 0
	v_cndmask_b32_e32 v7, -1, v7, vcc
	v_mov_b32_e32 v8, s8
	v_mov_b32_e32 v9, s9
	v_cmp_ne_u32_e32 vcc, 0, v7
	v_cndmask_b32_e32 v7, v8, v9, vcc
	v_cndmask_b32_e32 v5, v5, v6, vcc
	v_cmp_le_u32_e32 vcc, s84, v2
	s_cmp_eq_u32 s6, 0
	v_cndmask_b32_e64 v6, 0, -1, vcc
	s_cselect_b64 vcc, -1, 0
	v_cndmask_b32_e32 v6, -1, v6, vcc
	v_mov_b32_e32 v8, s6
	v_cmp_ne_u32_e32 vcc, 0, v6
	v_cndmask_b32_e32 v7, v8, v7, vcc
	v_cndmask_b32_e32 v6, v2, v5, vcc
	s_cbranch_execnz .LBB101_139
.LBB101_138:                            ;   in Loop: Header=BB101_16 Depth=1
	v_cvt_f32_u32_e32 v2, s84
	s_sub_i32 s6, 0, s84
	v_rcp_iflag_f32_e32 v2, v2
	v_mul_f32_e32 v2, 0x4f7ffffe, v2
	v_cvt_u32_f32_e32 v2, v2
	v_mul_lo_u32 v5, s6, v2
	v_mul_hi_u32 v5, v2, v5
	v_add_u32_e32 v2, v2, v5
	v_mul_hi_u32 v2, s22, v2
	v_mul_lo_u32 v2, v2, s84
	v_sub_u32_e32 v2, s22, v2
	v_subrev_u32_e32 v5, s84, v2
	v_cmp_le_u32_e32 vcc, s84, v2
	v_cndmask_b32_e32 v2, v2, v5, vcc
	v_subrev_u32_e32 v5, s84, v2
	v_cmp_le_u32_e32 vcc, s84, v2
	v_cndmask_b32_e32 v2, v2, v5, vcc
	v_pk_mov_b32 v[6:7], v[2:3], v[2:3] op_sel:[0,1]
.LBB101_139:                            ;   in Loop: Header=BB101_16 Depth=1
	v_mov_b32_e32 v2, s7
	v_sub_co_u32_e32 v10, vcc, s22, v6
	v_subb_co_u32_e32 v11, vcc, v2, v7, vcc
	v_cmp_gt_u64_e32 vcc, v[10:11], v[0:1]
	s_mov_b64 s[6:7], 0
                                        ; implicit-def: $vgpr8_vgpr9
	s_and_saveexec_b64 s[8:9], vcc
	s_cbranch_execz .LBB101_155
; %bb.140:                              ;   in Loop: Header=BB101_16 Depth=1
	s_mov_b64 s[22:23], 0
	v_mov_b32_e32 v2, v31
	v_pk_mov_b32 v[12:13], v[0:1], v[0:1] op_sel:[0,1]
                                        ; implicit-def: $sgpr6_sgpr7
	s_branch .LBB101_142
.LBB101_141:                            ;   in Loop: Header=BB101_142 Depth=2
	s_or_b64 exec, exec, s[24:25]
	s_waitcnt lgkmcnt(0)
	s_barrier
	ds_read_b128 v[6:9], v3 offset:3072
	v_mov_b32_e32 v5, s85
	v_add_co_u32_e32 v12, vcc, s84, v12
	v_addc_co_u32_e32 v13, vcc, v13, v5, vcc
	s_waitcnt lgkmcnt(0)
	v_readfirstlane_b32 s25, v7
	v_readfirstlane_b32 s24, v6
	s_cmp_lg_u64 s[24:25], 0
	s_cselect_b64 s[24:25], -1, 0
	v_cmp_ge_u64_e32 vcc, v[12:13], v[10:11]
	s_or_b64 s[28:29], vcc, s[24:25]
	s_and_b64 s[28:29], exec, s[28:29]
	s_or_b64 s[22:23], s[28:29], s[22:23]
	s_andn2_b64 s[6:7], s[6:7], exec
	s_and_b64 s[24:25], s[24:25], exec
	v_add_u32_e32 v2, s3, v2
	s_or_b64 s[6:7], s[6:7], s[24:25]
	s_barrier
	s_andn2_b64 exec, exec, s[22:23]
	s_cbranch_execz .LBB101_154
.LBB101_142:                            ;   Parent Loop BB101_16 Depth=1
                                        ; =>  This Inner Loop Header: Depth=2
	v_cmp_gt_u64_e32 vcc, s[0:1], v[12:13]
	v_pk_mov_b32 v[6:7], 0, 0
	s_and_saveexec_b64 s[24:25], vcc
	s_cbranch_execz .LBB101_144
; %bb.143:                              ;   in Loop: Header=BB101_142 Depth=2
	ds_read_b64 v[6:7], v2
.LBB101_144:                            ;   in Loop: Header=BB101_142 Depth=2
	s_or_b64 exec, exec, s[24:25]
	s_and_saveexec_b64 s[24:25], vcc
	s_cbranch_execz .LBB101_141
; %bb.145:                              ;   in Loop: Header=BB101_142 Depth=2
	s_waitcnt lgkmcnt(0)
	v_xor_b32_e32 v5, 0x80000000, v7
	v_and_b32_e32 v9, s65, v5
	v_and_b32_e32 v8, s64, v6
	v_cmp_eq_u64_e32 vcc, s[70:71], v[8:9]
	s_and_b64 exec, exec, vcc
	s_cbranch_execz .LBB101_141
; %bb.146:                              ;   in Loop: Header=BB101_142 Depth=2
	v_mov_b32_e32 v5, v3
	ds_write_b128 v3, v[4:7] offset:3072
	s_branch .LBB101_141
.LBB101_147:                            ;   in Loop: Header=BB101_16 Depth=1
                                        ; implicit-def: $sgpr24_sgpr25
                                        ; implicit-def: $sgpr28_sgpr29
                                        ; implicit-def: $sgpr22_sgpr23
	s_branch .LBB101_169
.LBB101_148:                            ;   in Loop: Header=BB101_16 Depth=1
                                        ; implicit-def: $vgpr6_vgpr7
	s_branch .LBB101_93
.LBB101_149:                            ;   in Loop: Header=BB101_16 Depth=1
	s_or_b64 exec, exec, s[0:1]
	s_waitcnt lgkmcnt(0)
	s_barrier
	s_mov_b64 s[0:1], exec
	v_readlane_b32 s6, v50, 8
	v_readlane_b32 s7, v50, 9
	s_and_b64 s[6:7], s[0:1], s[6:7]
	s_mov_b64 exec, s[6:7]
	s_cbranch_execz .LBB101_151
; %bb.150:                              ;   in Loop: Header=BB101_16 Depth=1
	s_waitcnt vmcnt(0)
	ds_read_b32 v6, v3 offset:5144
	s_waitcnt lgkmcnt(0)
	v_ashrrev_i32_e32 v7, 31, v6
	ds_write_b64 v3, v[6:7] offset:5120
.LBB101_151:                            ;   in Loop: Header=BB101_16 Depth=1
	s_or_b64 exec, exec, s[0:1]
	s_waitcnt lgkmcnt(0)
	s_barrier
	s_mov_b64 s[0:1], -1
	s_and_b64 vcc, exec, s[74:75]
	s_cbranch_vccnz .LBB101_34
	s_branch .LBB101_44
.LBB101_152:                            ;   in Loop: Header=BB101_16 Depth=1
                                        ; implicit-def: $vgpr6_vgpr7
	s_branch .LBB101_108
.LBB101_153:                            ;   in Loop: Header=BB101_16 Depth=1
	s_mov_b64 s[24:25], -1
	s_mov_b64 s[6:7], 0
                                        ; implicit-def: $sgpr22_sgpr23
                                        ; implicit-def: $vgpr8_vgpr9
	s_mov_b64 s[28:29], s[24:25]
	s_cbranch_execnz .LBB101_156
	s_branch .LBB101_169
.LBB101_154:                            ;   in Loop: Header=BB101_16 Depth=1
	s_or_b64 exec, exec, s[22:23]
	s_and_b64 s[6:7], s[6:7], exec
.LBB101_155:                            ;   in Loop: Header=BB101_16 Depth=1
	s_or_b64 exec, exec, s[8:9]
	s_mov_b64 s[22:23], -1
	s_mov_b64 s[24:25], 0
	s_mov_b64 s[28:29], s[24:25]
	s_branch .LBB101_169
.LBB101_156:                            ;   in Loop: Header=BB101_16 Depth=1
	s_mov_b32 s86, s79
	s_cmp_lg_u64 s[86:87], 0
	s_cbranch_scc0 .LBB101_199
; %bb.157:                              ;   in Loop: Header=BB101_16 Depth=1
	v_cvt_f32_u32_e32 v2, s84
	s_sub_u32 s0, 0, s84
	s_subb_u32 s1, 0, 0
	v_mac_f32_e32 v2, 0, v38
	v_rcp_f32_e32 v2, v2
	v_mul_f32_e32 v2, 0x5f7ffffc, v2
	v_mul_f32_e32 v5, 0x2f800000, v2
	v_trunc_f32_e32 v5, v5
	v_mac_f32_e32 v2, 0xcf800000, v5
	v_cvt_u32_f32_e32 v5, v5
	v_cvt_u32_f32_e32 v2, v2
	v_readfirstlane_b32 s6, v5
	v_readfirstlane_b32 s7, v2
	s_mul_i32 s8, s0, s6
	s_mul_hi_u32 s22, s0, s7
	s_mul_i32 s9, s1, s7
	s_add_i32 s8, s22, s8
	s_mul_i32 s23, s0, s7
	s_add_i32 s8, s8, s9
	s_mul_hi_u32 s22, s7, s23
	s_mul_hi_u32 s9, s7, s8
	s_mul_i32 s7, s7, s8
	s_add_u32 s7, s22, s7
	s_addc_u32 s9, 0, s9
	s_mul_hi_u32 s24, s6, s23
	s_mul_i32 s23, s6, s23
	s_add_u32 s7, s7, s23
	s_mul_hi_u32 s22, s6, s8
	s_addc_u32 s7, s9, s24
	s_addc_u32 s9, s22, 0
	s_mul_i32 s8, s6, s8
	s_add_u32 s7, s7, s8
	s_addc_u32 s8, 0, s9
	v_add_co_u32_e32 v2, vcc, s7, v2
	s_cmp_lg_u64 vcc, 0
	s_addc_u32 s6, s6, s8
	v_readfirstlane_b32 s8, v2
	s_mul_i32 s7, s0, s6
	s_mul_hi_u32 s9, s0, s8
	s_add_i32 s7, s9, s7
	s_mul_i32 s1, s1, s8
	s_add_i32 s7, s7, s1
	s_mul_i32 s0, s0, s8
	s_mul_hi_u32 s9, s6, s0
	s_mul_i32 s22, s6, s0
	s_mul_i32 s24, s8, s7
	s_mul_hi_u32 s0, s8, s0
	s_mul_hi_u32 s23, s8, s7
	s_add_u32 s0, s0, s24
	s_addc_u32 s8, 0, s23
	s_add_u32 s0, s0, s22
	s_mul_hi_u32 s1, s6, s7
	s_addc_u32 s0, s8, s9
	s_addc_u32 s1, s1, 0
	s_mul_i32 s7, s6, s7
	s_add_u32 s0, s0, s7
	s_addc_u32 s1, 0, s1
	v_add_co_u32_e32 v2, vcc, s0, v2
	s_cmp_lg_u64 vcc, 0
	s_addc_u32 s0, s6, s1
	v_readfirstlane_b32 s7, v2
	s_mul_i32 s6, s27, s0
	s_mul_hi_u32 s8, s27, s7
	s_mul_hi_u32 s1, s27, s0
	s_add_u32 s6, s8, s6
	s_addc_u32 s1, 0, s1
	s_mul_hi_u32 s9, s87, s7
	s_mul_i32 s7, s87, s7
	s_add_u32 s6, s6, s7
	s_mul_hi_u32 s8, s87, s0
	s_addc_u32 s1, s1, s9
	s_addc_u32 s6, s8, 0
	s_mul_i32 s0, s87, s0
	s_add_u32 s0, s1, s0
	s_addc_u32 s1, 0, s6
	s_mul_hi_u32 s6, s84, s0
	s_mul_i32 s0, s84, s0
	s_mul_i32 s1, s84, s1
	v_mov_b32_e32 v2, s0
	s_add_i32 s6, s6, s1
	v_sub_co_u32_e32 v2, vcc, s27, v2
	s_cmp_lg_u64 vcc, 0
	s_subb_u32 s0, s87, s6
	v_subrev_co_u32_e32 v5, vcc, s84, v2
	s_cmp_lg_u64 vcc, 0
	s_subb_u32 s1, s0, 0
	v_subrev_co_u32_e32 v6, vcc, s84, v5
	s_cmp_lg_u64 vcc, 0
	s_subb_u32 s6, s1, 0
	v_cmp_le_u32_e32 vcc, s84, v5
	s_cmp_eq_u32 s1, 0
	v_cndmask_b32_e64 v7, 0, -1, vcc
	s_cselect_b64 vcc, -1, 0
	v_cndmask_b32_e32 v7, -1, v7, vcc
	v_mov_b32_e32 v8, s1
	v_mov_b32_e32 v9, s6
	v_cmp_ne_u32_e32 vcc, 0, v7
	v_cndmask_b32_e32 v7, v8, v9, vcc
	v_cndmask_b32_e32 v5, v5, v6, vcc
	v_cmp_le_u32_e32 vcc, s84, v2
	s_cmp_eq_u32 s0, 0
	v_cndmask_b32_e64 v6, 0, -1, vcc
	s_cselect_b64 vcc, -1, 0
	v_cndmask_b32_e32 v6, -1, v6, vcc
	v_mov_b32_e32 v8, s0
	v_cmp_ne_u32_e32 vcc, 0, v6
	v_cndmask_b32_e32 v7, v8, v7, vcc
	v_cndmask_b32_e32 v6, v2, v5, vcc
	s_cbranch_execnz .LBB101_159
.LBB101_158:                            ;   in Loop: Header=BB101_16 Depth=1
	v_cvt_f32_u32_e32 v2, s84
	s_sub_i32 s0, 0, s84
	v_rcp_iflag_f32_e32 v2, v2
	v_mul_f32_e32 v2, 0x4f7ffffe, v2
	v_cvt_u32_f32_e32 v2, v2
	v_mul_lo_u32 v5, s0, v2
	v_mul_hi_u32 v5, v2, v5
	v_add_u32_e32 v2, v2, v5
	v_mul_hi_u32 v2, s27, v2
	v_mul_lo_u32 v2, v2, s84
	v_sub_u32_e32 v2, s27, v2
	v_subrev_u32_e32 v5, s84, v2
	v_cmp_le_u32_e32 vcc, s84, v2
	v_cndmask_b32_e32 v2, v2, v5, vcc
	v_subrev_u32_e32 v5, s84, v2
	v_cmp_le_u32_e32 vcc, s84, v2
	v_cndmask_b32_e32 v2, v2, v5, vcc
	v_pk_mov_b32 v[6:7], v[2:3], v[2:3] op_sel:[0,1]
.LBB101_159:                            ;   in Loop: Header=BB101_16 Depth=1
	v_mov_b32_e32 v2, s87
	v_sub_co_u32_e32 v10, vcc, s27, v6
	v_subb_co_u32_e32 v11, vcc, v2, v7, vcc
	v_cmp_gt_u64_e32 vcc, v[10:11], v[0:1]
	s_mov_b64 s[6:7], 0
                                        ; implicit-def: $vgpr8_vgpr9
	s_and_saveexec_b64 s[0:1], vcc
	s_cbranch_execz .LBB101_168
; %bb.160:                              ;   in Loop: Header=BB101_16 Depth=1
	s_mov_b64 s[22:23], 0
	v_pk_mov_b32 v[12:13], v[0:1], v[0:1] op_sel:[0,1]
                                        ; implicit-def: $sgpr8_sgpr9
	s_branch .LBB101_162
.LBB101_161:                            ;   in Loop: Header=BB101_162 Depth=2
	s_or_b64 exec, exec, s[6:7]
	s_waitcnt lgkmcnt(0)
	s_barrier
	s_waitcnt vmcnt(0)
	ds_read_b128 v[6:9], v3 offset:3072
	v_mov_b32_e32 v2, s85
	v_add_co_u32_e32 v12, vcc, s84, v12
	v_addc_co_u32_e32 v13, vcc, v13, v2, vcc
	s_waitcnt lgkmcnt(0)
	v_readfirstlane_b32 s7, v7
	v_readfirstlane_b32 s6, v6
	s_cmp_lg_u64 s[6:7], 0
	s_cselect_b64 s[6:7], -1, 0
	v_cmp_ge_u64_e32 vcc, v[12:13], v[10:11]
	s_or_b64 s[24:25], vcc, s[6:7]
	s_and_b64 s[24:25], exec, s[24:25]
	s_or_b64 s[22:23], s[24:25], s[22:23]
	s_andn2_b64 s[8:9], s[8:9], exec
	s_and_b64 s[6:7], s[6:7], exec
	s_or_b64 s[8:9], s[8:9], s[6:7]
	s_barrier
	s_andn2_b64 exec, exec, s[22:23]
	s_cbranch_execz .LBB101_167
.LBB101_162:                            ;   Parent Loop BB101_16 Depth=1
                                        ; =>  This Inner Loop Header: Depth=2
	v_cmp_gt_u64_e32 vcc, s[52:53], v[12:13]
	v_pk_mov_b32 v[6:7], 0, 0
	s_and_saveexec_b64 s[24:25], vcc
	s_cbranch_execz .LBB101_164
; %bb.163:                              ;   in Loop: Header=BB101_162 Depth=2
	v_mul_lo_u32 v2, v13, s68
	v_mul_lo_u32 v5, v12, s69
	v_mad_u64_u32 v[6:7], s[6:7], v12, s68, 0
	v_add3_u32 v7, v7, v5, v2
	v_lshlrev_b64 v[6:7], 3, v[6:7]
	v_mov_b32_e32 v2, s26
	v_add_co_u32_e64 v6, s[6:7], s33, v6
	v_addc_co_u32_e64 v7, s[6:7], v2, v7, s[6:7]
	global_load_dwordx2 v[6:7], v[6:7], off
.LBB101_164:                            ;   in Loop: Header=BB101_162 Depth=2
	s_or_b64 exec, exec, s[24:25]
	s_and_saveexec_b64 s[6:7], vcc
	s_cbranch_execz .LBB101_161
; %bb.165:                              ;   in Loop: Header=BB101_162 Depth=2
	s_waitcnt vmcnt(0)
	v_xor_b32_e32 v2, 0x80000000, v7
	v_and_b32_e32 v9, s65, v2
	v_and_b32_e32 v8, s64, v6
	v_cmp_eq_u64_e32 vcc, s[70:71], v[8:9]
	s_and_b64 exec, exec, vcc
	s_cbranch_execz .LBB101_161
; %bb.166:                              ;   in Loop: Header=BB101_162 Depth=2
	v_mov_b32_e32 v5, v3
	ds_write_b128 v3, v[4:7] offset:3072
	s_branch .LBB101_161
.LBB101_167:                            ;   in Loop: Header=BB101_16 Depth=1
	s_or_b64 exec, exec, s[22:23]
	s_and_b64 s[6:7], s[8:9], exec
.LBB101_168:                            ;   in Loop: Header=BB101_16 Depth=1
	s_or_b64 exec, exec, s[0:1]
	s_mov_b64 s[28:29], -1
	s_mov_b64 s[24:25], 0
	s_mov_b64 s[22:23], 0
.LBB101_169:                            ;   in Loop: Header=BB101_16 Depth=1
	s_mov_b64 s[0:1], 0
                                        ; implicit-def: $sgpr48
	s_and_saveexec_b64 s[30:31], s[6:7]
	s_cbranch_execz .LBB101_280
; %bb.170:                              ;   in Loop: Header=BB101_16 Depth=1
	s_xor_b64 s[0:1], s[36:37], -1
	s_andn2_b64 vcc, exec, s[0:1]
	s_mov_b32 s48, 1
	s_cbranch_vccnz .LBB101_181
; %bb.171:                              ;   in Loop: Header=BB101_16 Depth=1
	s_waitcnt vmcnt(0)
	v_pk_mov_b32 v[6:7], s[34:35], s[34:35] op_sel:[0,1]
	v_cmp_gt_u64_e32 vcc, s[82:83], v[6:7]
	s_mov_b64 s[0:1], -1
                                        ; implicit-def: $sgpr48
                                        ; implicit-def: $sgpr6_sgpr7
                                        ; implicit-def: $sgpr8_sgpr9
	s_cbranch_vccnz .LBB101_177
; %bb.172:                              ;   in Loop: Header=BB101_16 Depth=1
	ds_read_b64 v[6:7], v3 offset:5120
	s_waitcnt lgkmcnt(0)
	v_cmp_ne_u64_e32 vcc, 0, v[6:7]
	s_cbranch_vccnz .LBB101_176
; %bb.173:                              ;   in Loop: Header=BB101_16 Depth=1
	s_mov_b64 s[0:1], exec
	v_readlane_b32 s6, v50, 8
	v_readlane_b32 s7, v50, 9
	s_and_b64 s[6:7], s[0:1], s[6:7]
	s_mov_b64 exec, s[6:7]
	s_cbranch_execz .LBB101_175
; %bb.174:                              ;   in Loop: Header=BB101_16 Depth=1
	v_pk_mov_b32 v[6:7], s[34:35], s[34:35] op_sel:[0,1]
	ds_write_b64 v3, v[6:7] offset:5128
.LBB101_175:                            ;   in Loop: Header=BB101_16 Depth=1
	s_or_b64 exec, exec, s[0:1]
	s_waitcnt lgkmcnt(0)
	s_barrier
.LBB101_176:                            ;   in Loop: Header=BB101_16 Depth=1
	s_lshl_b64 s[0:1], 1, s44
	s_and_b64 s[6:7], s[70:71], s[20:21]
	s_or_b64 s[6:7], s[6:7], s[0:1]
	s_or_b64 s[8:9], s[64:65], s[12:13]
	s_mov_b64 s[0:1], 0
	s_mov_b32 s48, 8
.LBB101_177:                            ;   in Loop: Header=BB101_16 Depth=1
	s_andn2_b64 vcc, exec, s[0:1]
	s_cbranch_vccnz .LBB101_179
; %bb.178:                              ;   in Loop: Header=BB101_16 Depth=1
	s_sub_u32 s82, s82, s34
	s_subb_u32 s83, s83, s35
	s_mov_b64 s[0:1], -1
	s_mov_b32 s48, 0
	s_mov_b64 s[6:7], s[70:71]
	s_mov_b64 s[8:9], s[64:65]
.LBB101_179:                            ;   in Loop: Header=BB101_16 Depth=1
	s_mov_b64 s[64:65], s[8:9]
	s_mov_b64 s[70:71], s[6:7]
	s_andn2_b64 vcc, exec, s[0:1]
	s_mov_b64 s[0:1], -1
	s_cbranch_vccz .LBB101_182
.LBB101_180:                            ;   in Loop: Header=BB101_16 Depth=1
                                        ; implicit-def: $sgpr36_sgpr37
                                        ; implicit-def: $sgpr38_sgpr39
                                        ; implicit-def: $sgpr34_sgpr35
	s_branch .LBB101_279
.LBB101_181:                            ;   in Loop: Header=BB101_16 Depth=1
	s_mov_b64 s[82:83], 1
	s_mov_b64 s[0:1], -1
	s_cbranch_execnz .LBB101_180
.LBB101_182:                            ;   in Loop: Header=BB101_16 Depth=1
	s_cmp_eq_u64 s[18:19], 1
	s_cselect_b64 s[0:1], -1, 0
	s_cmp_eq_u64 s[82:83], 1
	s_cselect_b64 s[6:7], -1, 0
	s_and_b64 s[42:43], s[0:1], s[6:7]
	s_mov_b64 s[6:7], -1
	s_and_b64 vcc, exec, s[42:43]
	s_cbranch_vccz .LBB101_197
; %bb.183:                              ;   in Loop: Header=BB101_16 Depth=1
	s_waitcnt vmcnt(0)
	ds_read_b64 v[6:7], v3 offset:5120
	s_waitcnt lgkmcnt(0)
	s_barrier
	v_readfirstlane_b32 s0, v6
	v_readfirstlane_b32 s1, v7
	s_mov_b64 s[6:7], exec
	v_readlane_b32 s8, v50, 26
	v_readlane_b32 s9, v50, 27
	s_and_b64 s[8:9], s[6:7], s[8:9]
	s_mov_b64 exec, s[8:9]
	s_cbranch_execz .LBB101_185
; %bb.184:                              ;   in Loop: Header=BB101_16 Depth=1
	v_mov_b32_e32 v2, v3
	ds_write_b64 v32, v[2:3]
.LBB101_185:                            ;   in Loop: Header=BB101_16 Depth=1
	s_or_b64 exec, exec, s[6:7]
	s_lshl_b64 s[6:7], 2, s44
	s_and_b64 s[8:9], s[70:71], s[20:21]
	s_or_b64 s[70:71], s[8:9], s[6:7]
	s_or_b64 s[64:65], s[64:65], s[12:13]
	s_cmp_eq_u64 s[0:1], 0
	s_waitcnt lgkmcnt(0)
	s_barrier
	s_cbranch_scc1 .LBB101_200
; %bb.186:                              ;   in Loop: Header=BB101_16 Depth=1
	v_readlane_b32 s6, v50, 32
	s_add_u32 s34, s6, s0
	v_readlane_b32 s6, v50, 33
	s_addc_u32 s7, s6, s1
	s_mov_b32 s6, s79
	s_cmp_lg_u64 s[6:7], 0
	s_cbranch_scc0 .LBB101_245
; %bb.187:                              ;   in Loop: Header=BB101_16 Depth=1
	v_cvt_f32_u32_e32 v2, s84
	s_sub_u32 s6, 0, s84
	s_subb_u32 s8, 0, 0
	v_mac_f32_e32 v2, 0, v38
	v_rcp_f32_e32 v2, v2
	v_mul_f32_e32 v2, 0x5f7ffffc, v2
	v_mul_f32_e32 v5, 0x2f800000, v2
	v_trunc_f32_e32 v5, v5
	v_mac_f32_e32 v2, 0xcf800000, v5
	v_cvt_u32_f32_e32 v5, v5
	v_cvt_u32_f32_e32 v2, v2
	v_readfirstlane_b32 s9, v5
	v_readfirstlane_b32 s35, v2
	s_mul_i32 s36, s6, s9
	s_mul_hi_u32 s38, s6, s35
	s_mul_i32 s37, s8, s35
	s_add_i32 s36, s38, s36
	s_mul_i32 s39, s6, s35
	s_add_i32 s36, s36, s37
	s_mul_hi_u32 s38, s35, s39
	s_mul_hi_u32 s37, s35, s36
	s_mul_i32 s35, s35, s36
	s_add_u32 s35, s38, s35
	s_addc_u32 s37, 0, s37
	s_mul_hi_u32 s40, s9, s39
	s_mul_i32 s39, s9, s39
	s_add_u32 s35, s35, s39
	s_mul_hi_u32 s38, s9, s36
	s_addc_u32 s35, s37, s40
	s_addc_u32 s37, s38, 0
	s_mul_i32 s36, s9, s36
	s_add_u32 s35, s35, s36
	s_addc_u32 s36, 0, s37
	v_add_co_u32_e32 v2, vcc, s35, v2
	s_cmp_lg_u64 vcc, 0
	s_addc_u32 s9, s9, s36
	v_readfirstlane_b32 s36, v2
	s_mul_i32 s35, s6, s9
	s_mul_hi_u32 s37, s6, s36
	s_add_i32 s35, s37, s35
	s_mul_i32 s8, s8, s36
	s_add_i32 s35, s35, s8
	s_mul_i32 s6, s6, s36
	s_mul_hi_u32 s37, s9, s6
	s_mul_i32 s38, s9, s6
	s_mul_i32 s40, s36, s35
	s_mul_hi_u32 s6, s36, s6
	s_mul_hi_u32 s39, s36, s35
	s_add_u32 s6, s6, s40
	s_addc_u32 s36, 0, s39
	s_add_u32 s6, s6, s38
	s_mul_hi_u32 s8, s9, s35
	s_addc_u32 s6, s36, s37
	s_addc_u32 s8, s8, 0
	s_mul_i32 s35, s9, s35
	s_add_u32 s6, s6, s35
	s_addc_u32 s8, 0, s8
	v_add_co_u32_e32 v2, vcc, s6, v2
	s_cmp_lg_u64 vcc, 0
	s_addc_u32 s6, s9, s8
	v_readfirstlane_b32 s35, v2
	s_mul_i32 s9, s34, s6
	s_mul_hi_u32 s36, s34, s35
	s_mul_hi_u32 s8, s34, s6
	s_add_u32 s9, s36, s9
	s_addc_u32 s8, 0, s8
	s_mul_hi_u32 s37, s7, s35
	s_mul_i32 s35, s7, s35
	s_add_u32 s9, s9, s35
	s_mul_hi_u32 s36, s7, s6
	s_addc_u32 s8, s8, s37
	s_addc_u32 s9, s36, 0
	s_mul_i32 s6, s7, s6
	s_add_u32 s6, s8, s6
	s_addc_u32 s8, 0, s9
	s_mul_hi_u32 s9, s84, s6
	s_mul_i32 s6, s84, s6
	s_mul_i32 s8, s84, s8
	v_mov_b32_e32 v2, s6
	s_add_i32 s9, s9, s8
	v_sub_co_u32_e32 v2, vcc, s34, v2
	s_cmp_lg_u64 vcc, 0
	s_subb_u32 s6, s7, s9
	v_subrev_co_u32_e32 v5, vcc, s84, v2
	s_cmp_lg_u64 vcc, 0
	s_subb_u32 s8, s6, 0
	v_subrev_co_u32_e32 v6, vcc, s84, v5
	s_cmp_lg_u64 vcc, 0
	s_subb_u32 s9, s8, 0
	v_cmp_le_u32_e32 vcc, s84, v5
	s_cmp_eq_u32 s8, 0
	v_cndmask_b32_e64 v7, 0, -1, vcc
	s_cselect_b64 vcc, -1, 0
	v_cndmask_b32_e32 v7, -1, v7, vcc
	v_mov_b32_e32 v8, s8
	v_mov_b32_e32 v9, s9
	v_cmp_ne_u32_e32 vcc, 0, v7
	v_cndmask_b32_e32 v7, v8, v9, vcc
	v_cndmask_b32_e32 v5, v5, v6, vcc
	v_cmp_le_u32_e32 vcc, s84, v2
	s_cmp_eq_u32 s6, 0
	v_cndmask_b32_e64 v6, 0, -1, vcc
	s_cselect_b64 vcc, -1, 0
	v_cndmask_b32_e32 v6, -1, v6, vcc
	v_mov_b32_e32 v8, s6
	v_cmp_ne_u32_e32 vcc, 0, v6
	v_cndmask_b32_e32 v7, v8, v7, vcc
	v_cndmask_b32_e32 v6, v2, v5, vcc
	s_cbranch_execnz .LBB101_189
.LBB101_188:                            ;   in Loop: Header=BB101_16 Depth=1
	v_cvt_f32_u32_e32 v2, s84
	s_sub_i32 s6, 0, s84
	v_rcp_iflag_f32_e32 v2, v2
	v_mul_f32_e32 v2, 0x4f7ffffe, v2
	v_cvt_u32_f32_e32 v2, v2
	v_mul_lo_u32 v5, s6, v2
	v_mul_hi_u32 v5, v2, v5
	v_add_u32_e32 v2, v2, v5
	v_mul_hi_u32 v2, s34, v2
	v_mul_lo_u32 v2, v2, s84
	v_sub_u32_e32 v2, s34, v2
	v_subrev_u32_e32 v5, s84, v2
	v_cmp_le_u32_e32 vcc, s84, v2
	v_cndmask_b32_e32 v2, v2, v5, vcc
	v_subrev_u32_e32 v5, s84, v2
	v_cmp_le_u32_e32 vcc, s84, v2
	v_cndmask_b32_e32 v2, v2, v5, vcc
	v_pk_mov_b32 v[6:7], v[2:3], v[2:3] op_sel:[0,1]
.LBB101_189:                            ;   in Loop: Header=BB101_16 Depth=1
	v_mov_b32_e32 v2, s7
	v_sub_co_u32_e32 v10, vcc, s34, v6
	v_subb_co_u32_e32 v11, vcc, v2, v7, vcc
	v_cmp_gt_u64_e32 vcc, v[10:11], v[0:1]
	s_mov_b64 s[6:7], 0
                                        ; implicit-def: $vgpr8_vgpr9
	s_and_saveexec_b64 s[8:9], vcc
	s_cbranch_execz .LBB101_202
; %bb.190:                              ;   in Loop: Header=BB101_16 Depth=1
	s_mov_b64 s[34:35], 0
	v_mov_b32_e32 v2, v31
	v_pk_mov_b32 v[12:13], v[0:1], v[0:1] op_sel:[0,1]
                                        ; implicit-def: $sgpr6_sgpr7
	s_branch .LBB101_192
.LBB101_191:                            ;   in Loop: Header=BB101_192 Depth=2
	s_or_b64 exec, exec, s[36:37]
	s_waitcnt lgkmcnt(0)
	s_barrier
	ds_read_b128 v[6:9], v3 offset:3072
	v_mov_b32_e32 v5, s85
	v_add_co_u32_e32 v12, vcc, s84, v12
	v_addc_co_u32_e32 v13, vcc, v13, v5, vcc
	s_waitcnt lgkmcnt(0)
	v_readfirstlane_b32 s37, v7
	v_readfirstlane_b32 s36, v6
	s_cmp_lg_u64 s[36:37], 0
	s_cselect_b64 s[36:37], -1, 0
	v_cmp_ge_u64_e32 vcc, v[12:13], v[10:11]
	s_or_b64 s[38:39], vcc, s[36:37]
	s_and_b64 s[38:39], exec, s[38:39]
	s_or_b64 s[34:35], s[38:39], s[34:35]
	s_andn2_b64 s[6:7], s[6:7], exec
	s_and_b64 s[36:37], s[36:37], exec
	v_add_u32_e32 v2, s3, v2
	s_or_b64 s[6:7], s[6:7], s[36:37]
	s_barrier
	s_andn2_b64 exec, exec, s[34:35]
	s_cbranch_execz .LBB101_201
.LBB101_192:                            ;   Parent Loop BB101_16 Depth=1
                                        ; =>  This Inner Loop Header: Depth=2
	v_cmp_gt_u64_e32 vcc, s[0:1], v[12:13]
	v_pk_mov_b32 v[6:7], 0, 0
	s_and_saveexec_b64 s[36:37], vcc
	s_cbranch_execz .LBB101_194
; %bb.193:                              ;   in Loop: Header=BB101_192 Depth=2
	ds_read_b64 v[6:7], v2
.LBB101_194:                            ;   in Loop: Header=BB101_192 Depth=2
	s_or_b64 exec, exec, s[36:37]
	s_and_saveexec_b64 s[36:37], vcc
	s_cbranch_execz .LBB101_191
; %bb.195:                              ;   in Loop: Header=BB101_192 Depth=2
	s_waitcnt lgkmcnt(0)
	v_xor_b32_e32 v5, 0x80000000, v7
	v_and_b32_e32 v9, s65, v5
	v_and_b32_e32 v8, s64, v6
	v_cmp_eq_u64_e32 vcc, s[70:71], v[8:9]
	s_and_b64 exec, exec, vcc
	s_cbranch_execz .LBB101_191
; %bb.196:                              ;   in Loop: Header=BB101_192 Depth=2
	v_mov_b32_e32 v5, v3
	ds_write_b128 v3, v[4:7] offset:3072
	s_branch .LBB101_191
.LBB101_197:                            ;   in Loop: Header=BB101_16 Depth=1
                                        ; implicit-def: $sgpr34_sgpr35
                                        ; implicit-def: $sgpr38_sgpr39
                                        ; implicit-def: $sgpr36_sgpr37
	s_branch .LBB101_216
.LBB101_198:                            ;   in Loop: Header=BB101_16 Depth=1
                                        ; implicit-def: $vgpr6_vgpr7
	s_branch .LBB101_138
.LBB101_199:                            ;   in Loop: Header=BB101_16 Depth=1
                                        ; implicit-def: $vgpr6_vgpr7
	s_branch .LBB101_158
.LBB101_200:                            ;   in Loop: Header=BB101_16 Depth=1
	s_mov_b64 s[34:35], -1
	s_mov_b64 s[6:7], 0
                                        ; implicit-def: $sgpr36_sgpr37
                                        ; implicit-def: $vgpr8_vgpr9
	s_mov_b64 s[38:39], s[34:35]
	s_cbranch_execnz .LBB101_203
	s_branch .LBB101_216
.LBB101_201:                            ;   in Loop: Header=BB101_16 Depth=1
	s_or_b64 exec, exec, s[34:35]
	s_and_b64 s[6:7], s[6:7], exec
.LBB101_202:                            ;   in Loop: Header=BB101_16 Depth=1
	s_or_b64 exec, exec, s[8:9]
	s_mov_b64 s[36:37], -1
	s_mov_b64 s[34:35], 0
	s_mov_b64 s[38:39], s[34:35]
	s_branch .LBB101_216
.LBB101_203:                            ;   in Loop: Header=BB101_16 Depth=1
	s_mov_b32 s86, s79
	s_cmp_lg_u64 s[86:87], 0
	s_cbranch_scc0 .LBB101_246
; %bb.204:                              ;   in Loop: Header=BB101_16 Depth=1
	v_cvt_f32_u32_e32 v2, s84
	s_sub_u32 s0, 0, s84
	s_subb_u32 s1, 0, 0
	v_mac_f32_e32 v2, 0, v38
	v_rcp_f32_e32 v2, v2
	v_mul_f32_e32 v2, 0x5f7ffffc, v2
	v_mul_f32_e32 v5, 0x2f800000, v2
	v_trunc_f32_e32 v5, v5
	v_mac_f32_e32 v2, 0xcf800000, v5
	v_cvt_u32_f32_e32 v5, v5
	v_cvt_u32_f32_e32 v2, v2
	v_readfirstlane_b32 s6, v5
	v_readfirstlane_b32 s7, v2
	s_mul_i32 s8, s0, s6
	s_mul_hi_u32 s34, s0, s7
	s_mul_i32 s9, s1, s7
	s_add_i32 s8, s34, s8
	s_mul_i32 s35, s0, s7
	s_add_i32 s8, s8, s9
	s_mul_hi_u32 s34, s7, s35
	s_mul_hi_u32 s9, s7, s8
	s_mul_i32 s7, s7, s8
	s_add_u32 s7, s34, s7
	s_addc_u32 s9, 0, s9
	s_mul_hi_u32 s36, s6, s35
	s_mul_i32 s35, s6, s35
	s_add_u32 s7, s7, s35
	s_mul_hi_u32 s34, s6, s8
	s_addc_u32 s7, s9, s36
	s_addc_u32 s9, s34, 0
	s_mul_i32 s8, s6, s8
	s_add_u32 s7, s7, s8
	s_addc_u32 s8, 0, s9
	v_add_co_u32_e32 v2, vcc, s7, v2
	s_cmp_lg_u64 vcc, 0
	s_addc_u32 s6, s6, s8
	v_readfirstlane_b32 s8, v2
	s_mul_i32 s7, s0, s6
	s_mul_hi_u32 s9, s0, s8
	s_add_i32 s7, s9, s7
	s_mul_i32 s1, s1, s8
	s_add_i32 s7, s7, s1
	s_mul_i32 s0, s0, s8
	s_mul_hi_u32 s9, s6, s0
	s_mul_i32 s34, s6, s0
	s_mul_i32 s36, s8, s7
	s_mul_hi_u32 s0, s8, s0
	s_mul_hi_u32 s35, s8, s7
	s_add_u32 s0, s0, s36
	s_addc_u32 s8, 0, s35
	s_add_u32 s0, s0, s34
	s_mul_hi_u32 s1, s6, s7
	s_addc_u32 s0, s8, s9
	s_addc_u32 s1, s1, 0
	s_mul_i32 s7, s6, s7
	s_add_u32 s0, s0, s7
	s_addc_u32 s1, 0, s1
	v_add_co_u32_e32 v2, vcc, s0, v2
	s_cmp_lg_u64 vcc, 0
	s_addc_u32 s0, s6, s1
	v_readfirstlane_b32 s7, v2
	s_mul_i32 s6, s27, s0
	s_mul_hi_u32 s8, s27, s7
	s_mul_hi_u32 s1, s27, s0
	s_add_u32 s6, s8, s6
	s_addc_u32 s1, 0, s1
	s_mul_hi_u32 s9, s87, s7
	s_mul_i32 s7, s87, s7
	s_add_u32 s6, s6, s7
	s_mul_hi_u32 s8, s87, s0
	s_addc_u32 s1, s1, s9
	s_addc_u32 s6, s8, 0
	s_mul_i32 s0, s87, s0
	s_add_u32 s0, s1, s0
	s_addc_u32 s1, 0, s6
	s_mul_hi_u32 s6, s84, s0
	s_mul_i32 s0, s84, s0
	s_mul_i32 s1, s84, s1
	v_mov_b32_e32 v2, s0
	s_add_i32 s6, s6, s1
	v_sub_co_u32_e32 v2, vcc, s27, v2
	s_cmp_lg_u64 vcc, 0
	s_subb_u32 s0, s87, s6
	v_subrev_co_u32_e32 v5, vcc, s84, v2
	s_cmp_lg_u64 vcc, 0
	s_subb_u32 s1, s0, 0
	v_subrev_co_u32_e32 v6, vcc, s84, v5
	s_cmp_lg_u64 vcc, 0
	s_subb_u32 s6, s1, 0
	v_cmp_le_u32_e32 vcc, s84, v5
	s_cmp_eq_u32 s1, 0
	v_cndmask_b32_e64 v7, 0, -1, vcc
	s_cselect_b64 vcc, -1, 0
	v_cndmask_b32_e32 v7, -1, v7, vcc
	v_mov_b32_e32 v8, s1
	v_mov_b32_e32 v9, s6
	v_cmp_ne_u32_e32 vcc, 0, v7
	v_cndmask_b32_e32 v7, v8, v9, vcc
	v_cndmask_b32_e32 v5, v5, v6, vcc
	v_cmp_le_u32_e32 vcc, s84, v2
	s_cmp_eq_u32 s0, 0
	v_cndmask_b32_e64 v6, 0, -1, vcc
	s_cselect_b64 vcc, -1, 0
	v_cndmask_b32_e32 v6, -1, v6, vcc
	v_mov_b32_e32 v8, s0
	v_cmp_ne_u32_e32 vcc, 0, v6
	v_cndmask_b32_e32 v7, v8, v7, vcc
	v_cndmask_b32_e32 v6, v2, v5, vcc
	s_cbranch_execnz .LBB101_206
.LBB101_205:                            ;   in Loop: Header=BB101_16 Depth=1
	v_cvt_f32_u32_e32 v2, s84
	s_sub_i32 s0, 0, s84
	v_rcp_iflag_f32_e32 v2, v2
	v_mul_f32_e32 v2, 0x4f7ffffe, v2
	v_cvt_u32_f32_e32 v2, v2
	v_mul_lo_u32 v5, s0, v2
	v_mul_hi_u32 v5, v2, v5
	v_add_u32_e32 v2, v2, v5
	v_mul_hi_u32 v2, s27, v2
	v_mul_lo_u32 v2, v2, s84
	v_sub_u32_e32 v2, s27, v2
	v_subrev_u32_e32 v5, s84, v2
	v_cmp_le_u32_e32 vcc, s84, v2
	v_cndmask_b32_e32 v2, v2, v5, vcc
	v_subrev_u32_e32 v5, s84, v2
	v_cmp_le_u32_e32 vcc, s84, v2
	v_cndmask_b32_e32 v2, v2, v5, vcc
	v_pk_mov_b32 v[6:7], v[2:3], v[2:3] op_sel:[0,1]
.LBB101_206:                            ;   in Loop: Header=BB101_16 Depth=1
	v_mov_b32_e32 v2, s87
	v_sub_co_u32_e32 v10, vcc, s27, v6
	v_subb_co_u32_e32 v11, vcc, v2, v7, vcc
	v_cmp_gt_u64_e32 vcc, v[10:11], v[0:1]
	s_mov_b64 s[6:7], 0
                                        ; implicit-def: $vgpr8_vgpr9
	s_and_saveexec_b64 s[0:1], vcc
	s_cbranch_execz .LBB101_215
; %bb.207:                              ;   in Loop: Header=BB101_16 Depth=1
	s_mov_b64 s[34:35], 0
	v_pk_mov_b32 v[12:13], v[0:1], v[0:1] op_sel:[0,1]
                                        ; implicit-def: $sgpr8_sgpr9
	s_branch .LBB101_209
.LBB101_208:                            ;   in Loop: Header=BB101_209 Depth=2
	s_or_b64 exec, exec, s[6:7]
	s_waitcnt lgkmcnt(0)
	s_barrier
	s_waitcnt vmcnt(0)
	ds_read_b128 v[6:9], v3 offset:3072
	v_mov_b32_e32 v2, s85
	v_add_co_u32_e32 v12, vcc, s84, v12
	v_addc_co_u32_e32 v13, vcc, v13, v2, vcc
	s_waitcnt lgkmcnt(0)
	v_readfirstlane_b32 s7, v7
	v_readfirstlane_b32 s6, v6
	s_cmp_lg_u64 s[6:7], 0
	s_cselect_b64 s[6:7], -1, 0
	v_cmp_ge_u64_e32 vcc, v[12:13], v[10:11]
	s_or_b64 s[36:37], vcc, s[6:7]
	s_and_b64 s[36:37], exec, s[36:37]
	s_or_b64 s[34:35], s[36:37], s[34:35]
	s_andn2_b64 s[8:9], s[8:9], exec
	s_and_b64 s[6:7], s[6:7], exec
	s_or_b64 s[8:9], s[8:9], s[6:7]
	s_barrier
	s_andn2_b64 exec, exec, s[34:35]
	s_cbranch_execz .LBB101_214
.LBB101_209:                            ;   Parent Loop BB101_16 Depth=1
                                        ; =>  This Inner Loop Header: Depth=2
	v_cmp_gt_u64_e32 vcc, s[52:53], v[12:13]
	v_pk_mov_b32 v[6:7], 0, 0
	s_and_saveexec_b64 s[36:37], vcc
	s_cbranch_execz .LBB101_211
; %bb.210:                              ;   in Loop: Header=BB101_209 Depth=2
	v_mul_lo_u32 v2, v13, s68
	v_mul_lo_u32 v5, v12, s69
	v_mad_u64_u32 v[6:7], s[6:7], v12, s68, 0
	v_add3_u32 v7, v7, v5, v2
	v_lshlrev_b64 v[6:7], 3, v[6:7]
	v_mov_b32_e32 v2, s26
	v_add_co_u32_e64 v6, s[6:7], s33, v6
	v_addc_co_u32_e64 v7, s[6:7], v2, v7, s[6:7]
	global_load_dwordx2 v[6:7], v[6:7], off
.LBB101_211:                            ;   in Loop: Header=BB101_209 Depth=2
	s_or_b64 exec, exec, s[36:37]
	s_and_saveexec_b64 s[6:7], vcc
	s_cbranch_execz .LBB101_208
; %bb.212:                              ;   in Loop: Header=BB101_209 Depth=2
	s_waitcnt vmcnt(0)
	v_xor_b32_e32 v2, 0x80000000, v7
	v_and_b32_e32 v9, s65, v2
	v_and_b32_e32 v8, s64, v6
	v_cmp_eq_u64_e32 vcc, s[70:71], v[8:9]
	s_and_b64 exec, exec, vcc
	s_cbranch_execz .LBB101_208
; %bb.213:                              ;   in Loop: Header=BB101_209 Depth=2
	v_mov_b32_e32 v5, v3
	ds_write_b128 v3, v[4:7] offset:3072
	s_branch .LBB101_208
.LBB101_214:                            ;   in Loop: Header=BB101_16 Depth=1
	s_or_b64 exec, exec, s[34:35]
	s_and_b64 s[6:7], s[8:9], exec
.LBB101_215:                            ;   in Loop: Header=BB101_16 Depth=1
	s_or_b64 exec, exec, s[0:1]
	s_mov_b64 s[38:39], -1
	s_mov_b64 s[34:35], 0
	s_mov_b64 s[36:37], 0
.LBB101_216:                            ;   in Loop: Header=BB101_16 Depth=1
	s_mov_b64 s[0:1], 0
                                        ; implicit-def: $sgpr48
	s_and_saveexec_b64 s[40:41], s[6:7]
	s_cbranch_execz .LBB101_278
; %bb.217:                              ;   in Loop: Header=BB101_16 Depth=1
	s_xor_b64 s[0:1], s[42:43], -1
	s_andn2_b64 vcc, exec, s[0:1]
	s_mov_b32 s48, 1
	s_cbranch_vccnz .LBB101_228
; %bb.218:                              ;   in Loop: Header=BB101_16 Depth=1
	s_waitcnt vmcnt(0)
	v_pk_mov_b32 v[6:7], s[18:19], s[18:19] op_sel:[0,1]
	v_cmp_gt_u64_e32 vcc, s[82:83], v[6:7]
	s_mov_b64 s[0:1], -1
                                        ; implicit-def: $sgpr48
                                        ; implicit-def: $sgpr6_sgpr7
                                        ; implicit-def: $sgpr8_sgpr9
	s_cbranch_vccnz .LBB101_224
; %bb.219:                              ;   in Loop: Header=BB101_16 Depth=1
	ds_read_b64 v[6:7], v3 offset:5120
	s_waitcnt lgkmcnt(0)
	v_cmp_ne_u64_e32 vcc, 0, v[6:7]
	s_cbranch_vccnz .LBB101_223
; %bb.220:                              ;   in Loop: Header=BB101_16 Depth=1
	s_mov_b64 s[0:1], exec
	v_readlane_b32 s6, v50, 8
	v_readlane_b32 s7, v50, 9
	s_and_b64 s[6:7], s[0:1], s[6:7]
	s_mov_b64 exec, s[6:7]
	s_cbranch_execz .LBB101_222
; %bb.221:                              ;   in Loop: Header=BB101_16 Depth=1
	v_pk_mov_b32 v[6:7], s[18:19], s[18:19] op_sel:[0,1]
	ds_write_b64 v3, v[6:7] offset:5128
.LBB101_222:                            ;   in Loop: Header=BB101_16 Depth=1
	s_or_b64 exec, exec, s[0:1]
	s_waitcnt lgkmcnt(0)
	s_barrier
.LBB101_223:                            ;   in Loop: Header=BB101_16 Depth=1
	s_lshl_b64 s[0:1], 2, s44
	s_and_b64 s[6:7], s[70:71], s[20:21]
	s_or_b64 s[6:7], s[6:7], s[0:1]
	s_or_b64 s[8:9], s[64:65], s[12:13]
	s_mov_b64 s[0:1], 0
	s_mov_b32 s48, 8
.LBB101_224:                            ;   in Loop: Header=BB101_16 Depth=1
	s_andn2_b64 vcc, exec, s[0:1]
	s_cbranch_vccnz .LBB101_226
; %bb.225:                              ;   in Loop: Header=BB101_16 Depth=1
	s_sub_u32 s82, s82, s18
	s_subb_u32 s83, s83, s19
	s_mov_b64 s[0:1], -1
	s_mov_b32 s48, 0
	s_mov_b64 s[6:7], s[70:71]
	s_mov_b64 s[8:9], s[64:65]
.LBB101_226:                            ;   in Loop: Header=BB101_16 Depth=1
	s_mov_b64 s[64:65], s[8:9]
	s_mov_b64 s[70:71], s[6:7]
	s_andn2_b64 vcc, exec, s[0:1]
	s_mov_b64 s[44:45], -1
	s_cbranch_vccz .LBB101_229
.LBB101_227:                            ;   in Loop: Header=BB101_16 Depth=1
                                        ; implicit-def: $sgpr0_sgpr1
                                        ; implicit-def: $sgpr8_sgpr9
                                        ; implicit-def: $sgpr6_sgpr7
	s_branch .LBB101_277
.LBB101_228:                            ;   in Loop: Header=BB101_16 Depth=1
	s_mov_b64 s[82:83], 1
	s_mov_b64 s[44:45], -1
	s_cbranch_execnz .LBB101_227
.LBB101_229:                            ;   in Loop: Header=BB101_16 Depth=1
	s_cmp_eq_u64 s[10:11], 1
	s_cselect_b64 s[0:1], -1, 0
	s_cmp_eq_u64 s[82:83], 1
	s_cselect_b64 s[6:7], -1, 0
	s_and_b64 s[18:19], s[0:1], s[6:7]
	s_mov_b64 s[20:21], -1
	s_and_b64 vcc, exec, s[18:19]
	s_cbranch_vccz .LBB101_244
; %bb.230:                              ;   in Loop: Header=BB101_16 Depth=1
	s_waitcnt vmcnt(0)
	ds_read_b64 v[6:7], v3 offset:5120
	s_waitcnt lgkmcnt(0)
	s_barrier
	v_readfirstlane_b32 s0, v6
	v_readfirstlane_b32 s1, v7
	s_mov_b64 s[6:7], exec
	v_readlane_b32 s8, v50, 26
	v_readlane_b32 s9, v50, 27
	s_and_b64 s[8:9], s[6:7], s[8:9]
	s_mov_b64 exec, s[8:9]
	s_cbranch_execz .LBB101_232
; %bb.231:                              ;   in Loop: Header=BB101_16 Depth=1
	v_mov_b32_e32 v2, v3
	ds_write_b64 v32, v[2:3]
.LBB101_232:                            ;   in Loop: Header=BB101_16 Depth=1
	s_or_b64 exec, exec, s[6:7]
	s_or_b64 s[70:71], s[70:71], s[12:13]
	s_or_b64 s[64:65], s[64:65], s[12:13]
	s_cmp_eq_u64 s[0:1], 0
	s_waitcnt lgkmcnt(0)
	s_barrier
	s_cbranch_scc1 .LBB101_247
; %bb.233:                              ;   in Loop: Header=BB101_16 Depth=1
	v_readlane_b32 s6, v50, 32
	s_add_u32 s20, s6, s0
	v_readlane_b32 s6, v50, 33
	s_addc_u32 s7, s6, s1
	s_mov_b32 s6, s79
	s_cmp_lg_u64 s[6:7], 0
	s_cbranch_scc0 .LBB101_283
; %bb.234:                              ;   in Loop: Header=BB101_16 Depth=1
	v_cvt_f32_u32_e32 v2, s84
	s_sub_u32 s6, 0, s84
	s_subb_u32 s8, 0, 0
	v_mac_f32_e32 v2, 0, v38
	v_rcp_f32_e32 v2, v2
	v_mul_f32_e32 v2, 0x5f7ffffc, v2
	v_mul_f32_e32 v5, 0x2f800000, v2
	v_trunc_f32_e32 v5, v5
	v_mac_f32_e32 v2, 0xcf800000, v5
	v_cvt_u32_f32_e32 v5, v5
	v_cvt_u32_f32_e32 v2, v2
	v_readfirstlane_b32 s9, v5
	v_readfirstlane_b32 s21, v2
	s_mul_i32 s42, s6, s9
	s_mul_hi_u32 s44, s6, s21
	s_mul_i32 s43, s8, s21
	s_add_i32 s42, s44, s42
	s_mul_i32 s45, s6, s21
	s_add_i32 s42, s42, s43
	s_mul_hi_u32 s44, s21, s45
	s_mul_hi_u32 s43, s21, s42
	s_mul_i32 s21, s21, s42
	s_add_u32 s21, s44, s21
	s_addc_u32 s43, 0, s43
	s_mul_hi_u32 s46, s9, s45
	s_mul_i32 s45, s9, s45
	s_add_u32 s21, s21, s45
	s_mul_hi_u32 s44, s9, s42
	s_addc_u32 s21, s43, s46
	s_addc_u32 s43, s44, 0
	s_mul_i32 s42, s9, s42
	s_add_u32 s21, s21, s42
	s_addc_u32 s42, 0, s43
	v_add_co_u32_e32 v2, vcc, s21, v2
	s_cmp_lg_u64 vcc, 0
	s_addc_u32 s9, s9, s42
	v_readfirstlane_b32 s42, v2
	s_mul_i32 s21, s6, s9
	s_mul_hi_u32 s43, s6, s42
	s_add_i32 s21, s43, s21
	s_mul_i32 s8, s8, s42
	s_add_i32 s21, s21, s8
	s_mul_i32 s6, s6, s42
	s_mul_hi_u32 s43, s9, s6
	s_mul_i32 s44, s9, s6
	s_mul_i32 s46, s42, s21
	s_mul_hi_u32 s6, s42, s6
	s_mul_hi_u32 s45, s42, s21
	s_add_u32 s6, s6, s46
	s_addc_u32 s42, 0, s45
	s_add_u32 s6, s6, s44
	s_mul_hi_u32 s8, s9, s21
	s_addc_u32 s6, s42, s43
	s_addc_u32 s8, s8, 0
	s_mul_i32 s21, s9, s21
	s_add_u32 s6, s6, s21
	s_addc_u32 s8, 0, s8
	v_add_co_u32_e32 v2, vcc, s6, v2
	s_cmp_lg_u64 vcc, 0
	s_addc_u32 s6, s9, s8
	v_readfirstlane_b32 s21, v2
	s_mul_i32 s9, s20, s6
	s_mul_hi_u32 s42, s20, s21
	s_mul_hi_u32 s8, s20, s6
	s_add_u32 s9, s42, s9
	s_addc_u32 s8, 0, s8
	s_mul_hi_u32 s43, s7, s21
	s_mul_i32 s21, s7, s21
	s_add_u32 s9, s9, s21
	s_mul_hi_u32 s42, s7, s6
	s_addc_u32 s8, s8, s43
	s_addc_u32 s9, s42, 0
	s_mul_i32 s6, s7, s6
	s_add_u32 s6, s8, s6
	s_addc_u32 s8, 0, s9
	s_mul_hi_u32 s9, s84, s6
	s_mul_i32 s6, s84, s6
	s_mul_i32 s8, s84, s8
	v_mov_b32_e32 v2, s6
	s_add_i32 s9, s9, s8
	v_sub_co_u32_e32 v2, vcc, s20, v2
	s_cmp_lg_u64 vcc, 0
	s_subb_u32 s6, s7, s9
	v_subrev_co_u32_e32 v5, vcc, s84, v2
	s_cmp_lg_u64 vcc, 0
	s_subb_u32 s8, s6, 0
	v_subrev_co_u32_e32 v6, vcc, s84, v5
	s_cmp_lg_u64 vcc, 0
	s_subb_u32 s9, s8, 0
	v_cmp_le_u32_e32 vcc, s84, v5
	s_cmp_eq_u32 s8, 0
	v_cndmask_b32_e64 v7, 0, -1, vcc
	s_cselect_b64 vcc, -1, 0
	v_cndmask_b32_e32 v7, -1, v7, vcc
	v_mov_b32_e32 v8, s8
	v_mov_b32_e32 v9, s9
	v_cmp_ne_u32_e32 vcc, 0, v7
	v_cndmask_b32_e32 v7, v8, v9, vcc
	v_cndmask_b32_e32 v5, v5, v6, vcc
	v_cmp_le_u32_e32 vcc, s84, v2
	s_cmp_eq_u32 s6, 0
	v_cndmask_b32_e64 v6, 0, -1, vcc
	s_cselect_b64 vcc, -1, 0
	v_cndmask_b32_e32 v6, -1, v6, vcc
	v_mov_b32_e32 v8, s6
	v_cmp_ne_u32_e32 vcc, 0, v6
	v_cndmask_b32_e32 v7, v8, v7, vcc
	v_cndmask_b32_e32 v6, v2, v5, vcc
	s_cbranch_execnz .LBB101_236
.LBB101_235:                            ;   in Loop: Header=BB101_16 Depth=1
	v_cvt_f32_u32_e32 v2, s84
	s_sub_i32 s6, 0, s84
	v_rcp_iflag_f32_e32 v2, v2
	v_mul_f32_e32 v2, 0x4f7ffffe, v2
	v_cvt_u32_f32_e32 v2, v2
	v_mul_lo_u32 v5, s6, v2
	v_mul_hi_u32 v5, v2, v5
	v_add_u32_e32 v2, v2, v5
	v_mul_hi_u32 v2, s20, v2
	v_mul_lo_u32 v2, v2, s84
	v_sub_u32_e32 v2, s20, v2
	v_subrev_u32_e32 v5, s84, v2
	v_cmp_le_u32_e32 vcc, s84, v2
	v_cndmask_b32_e32 v2, v2, v5, vcc
	v_subrev_u32_e32 v5, s84, v2
	v_cmp_le_u32_e32 vcc, s84, v2
	v_cndmask_b32_e32 v2, v2, v5, vcc
	v_pk_mov_b32 v[6:7], v[2:3], v[2:3] op_sel:[0,1]
.LBB101_236:                            ;   in Loop: Header=BB101_16 Depth=1
	v_mov_b32_e32 v2, s7
	v_sub_co_u32_e32 v10, vcc, s20, v6
	v_subb_co_u32_e32 v11, vcc, v2, v7, vcc
	v_cmp_gt_u64_e32 vcc, v[10:11], v[0:1]
	s_mov_b64 s[20:21], 0
                                        ; implicit-def: $vgpr8_vgpr9
	s_and_saveexec_b64 s[6:7], vcc
	s_cbranch_execz .LBB101_249
; %bb.237:                              ;   in Loop: Header=BB101_16 Depth=1
	v_mov_b32_e32 v2, v31
	v_pk_mov_b32 v[12:13], v[0:1], v[0:1] op_sel:[0,1]
                                        ; implicit-def: $sgpr8_sgpr9
	s_branch .LBB101_239
.LBB101_238:                            ;   in Loop: Header=BB101_239 Depth=2
	s_or_b64 exec, exec, s[42:43]
	s_waitcnt lgkmcnt(0)
	s_barrier
	ds_read_b128 v[6:9], v3 offset:3072
	v_mov_b32_e32 v5, s85
	v_add_co_u32_e32 v12, vcc, s84, v12
	v_addc_co_u32_e32 v13, vcc, v13, v5, vcc
	s_waitcnt lgkmcnt(0)
	v_readfirstlane_b32 s43, v7
	v_readfirstlane_b32 s42, v6
	s_cmp_lg_u64 s[42:43], 0
	s_cselect_b64 s[42:43], -1, 0
	v_cmp_ge_u64_e32 vcc, v[12:13], v[10:11]
	s_or_b64 s[44:45], vcc, s[42:43]
	s_and_b64 s[44:45], exec, s[44:45]
	s_or_b64 s[20:21], s[44:45], s[20:21]
	s_andn2_b64 s[8:9], s[8:9], exec
	s_and_b64 s[42:43], s[42:43], exec
	v_add_u32_e32 v2, s3, v2
	s_or_b64 s[8:9], s[8:9], s[42:43]
	s_barrier
	s_andn2_b64 exec, exec, s[20:21]
	s_cbranch_execz .LBB101_248
.LBB101_239:                            ;   Parent Loop BB101_16 Depth=1
                                        ; =>  This Inner Loop Header: Depth=2
	v_cmp_gt_u64_e32 vcc, s[0:1], v[12:13]
	v_pk_mov_b32 v[6:7], 0, 0
	s_and_saveexec_b64 s[42:43], vcc
	s_cbranch_execz .LBB101_241
; %bb.240:                              ;   in Loop: Header=BB101_239 Depth=2
	ds_read_b64 v[6:7], v2
.LBB101_241:                            ;   in Loop: Header=BB101_239 Depth=2
	s_or_b64 exec, exec, s[42:43]
	s_and_saveexec_b64 s[42:43], vcc
	s_cbranch_execz .LBB101_238
; %bb.242:                              ;   in Loop: Header=BB101_239 Depth=2
	s_waitcnt lgkmcnt(0)
	v_xor_b32_e32 v5, 0x80000000, v7
	v_and_b32_e32 v9, s65, v5
	v_and_b32_e32 v8, s64, v6
	v_cmp_eq_u64_e32 vcc, s[70:71], v[8:9]
	s_and_b64 exec, exec, vcc
	s_cbranch_execz .LBB101_238
; %bb.243:                              ;   in Loop: Header=BB101_239 Depth=2
	v_mov_b32_e32 v5, v3
	ds_write_b128 v3, v[4:7] offset:3072
	s_branch .LBB101_238
.LBB101_244:                            ;   in Loop: Header=BB101_16 Depth=1
                                        ; implicit-def: $sgpr0_sgpr1
                                        ; implicit-def: $sgpr8_sgpr9
                                        ; implicit-def: $sgpr6_sgpr7
	s_branch .LBB101_263
.LBB101_245:                            ;   in Loop: Header=BB101_16 Depth=1
                                        ; implicit-def: $vgpr6_vgpr7
	s_branch .LBB101_188
.LBB101_246:                            ;   in Loop: Header=BB101_16 Depth=1
                                        ; implicit-def: $vgpr6_vgpr7
	s_branch .LBB101_205
.LBB101_247:                            ;   in Loop: Header=BB101_16 Depth=1
	s_mov_b64 s[0:1], -1
	s_mov_b64 s[20:21], 0
                                        ; implicit-def: $sgpr6_sgpr7
                                        ; implicit-def: $vgpr8_vgpr9
	s_mov_b64 s[8:9], s[0:1]
	s_cbranch_execnz .LBB101_250
	s_branch .LBB101_263
.LBB101_248:                            ;   in Loop: Header=BB101_16 Depth=1
	s_or_b64 exec, exec, s[20:21]
	s_and_b64 s[20:21], s[8:9], exec
.LBB101_249:                            ;   in Loop: Header=BB101_16 Depth=1
	s_or_b64 exec, exec, s[6:7]
	s_mov_b64 s[6:7], -1
	s_mov_b64 s[0:1], 0
	s_mov_b64 s[8:9], s[0:1]
	s_branch .LBB101_263
.LBB101_250:                            ;   in Loop: Header=BB101_16 Depth=1
	s_mov_b32 s86, s79
	s_cmp_lg_u64 s[86:87], 0
	s_cbranch_scc0 .LBB101_284
; %bb.251:                              ;   in Loop: Header=BB101_16 Depth=1
	v_cvt_f32_u32_e32 v2, s84
	s_sub_u32 s0, 0, s84
	s_subb_u32 s1, 0, 0
	v_mac_f32_e32 v2, 0, v38
	v_rcp_f32_e32 v2, v2
	v_mul_f32_e32 v2, 0x5f7ffffc, v2
	v_mul_f32_e32 v5, 0x2f800000, v2
	v_trunc_f32_e32 v5, v5
	v_mac_f32_e32 v2, 0xcf800000, v5
	v_cvt_u32_f32_e32 v5, v5
	v_cvt_u32_f32_e32 v2, v2
	v_readfirstlane_b32 s6, v5
	v_readfirstlane_b32 s7, v2
	s_mul_i32 s8, s0, s6
	s_mul_hi_u32 s20, s0, s7
	s_mul_i32 s9, s1, s7
	s_add_i32 s8, s20, s8
	s_mul_i32 s21, s0, s7
	s_add_i32 s8, s8, s9
	s_mul_hi_u32 s20, s7, s21
	s_mul_hi_u32 s9, s7, s8
	s_mul_i32 s7, s7, s8
	s_add_u32 s7, s20, s7
	s_addc_u32 s9, 0, s9
	s_mul_hi_u32 s42, s6, s21
	s_mul_i32 s21, s6, s21
	s_add_u32 s7, s7, s21
	s_mul_hi_u32 s20, s6, s8
	s_addc_u32 s7, s9, s42
	s_addc_u32 s9, s20, 0
	s_mul_i32 s8, s6, s8
	s_add_u32 s7, s7, s8
	s_addc_u32 s8, 0, s9
	v_add_co_u32_e32 v2, vcc, s7, v2
	s_cmp_lg_u64 vcc, 0
	s_addc_u32 s6, s6, s8
	v_readfirstlane_b32 s8, v2
	s_mul_i32 s7, s0, s6
	s_mul_hi_u32 s9, s0, s8
	s_add_i32 s7, s9, s7
	s_mul_i32 s1, s1, s8
	s_add_i32 s7, s7, s1
	s_mul_i32 s0, s0, s8
	s_mul_hi_u32 s9, s6, s0
	s_mul_i32 s20, s6, s0
	s_mul_i32 s42, s8, s7
	s_mul_hi_u32 s0, s8, s0
	s_mul_hi_u32 s21, s8, s7
	s_add_u32 s0, s0, s42
	s_addc_u32 s8, 0, s21
	s_add_u32 s0, s0, s20
	s_mul_hi_u32 s1, s6, s7
	s_addc_u32 s0, s8, s9
	s_addc_u32 s1, s1, 0
	s_mul_i32 s7, s6, s7
	s_add_u32 s0, s0, s7
	s_addc_u32 s1, 0, s1
	v_add_co_u32_e32 v2, vcc, s0, v2
	s_cmp_lg_u64 vcc, 0
	s_addc_u32 s0, s6, s1
	v_readfirstlane_b32 s7, v2
	s_mul_i32 s6, s27, s0
	s_mul_hi_u32 s8, s27, s7
	s_mul_hi_u32 s1, s27, s0
	s_add_u32 s6, s8, s6
	s_addc_u32 s1, 0, s1
	s_mul_hi_u32 s9, s87, s7
	s_mul_i32 s7, s87, s7
	s_add_u32 s6, s6, s7
	s_mul_hi_u32 s8, s87, s0
	s_addc_u32 s1, s1, s9
	s_addc_u32 s6, s8, 0
	s_mul_i32 s0, s87, s0
	s_add_u32 s0, s1, s0
	s_addc_u32 s1, 0, s6
	s_mul_hi_u32 s6, s84, s0
	s_mul_i32 s0, s84, s0
	s_mul_i32 s1, s84, s1
	v_mov_b32_e32 v2, s0
	s_add_i32 s6, s6, s1
	v_sub_co_u32_e32 v2, vcc, s27, v2
	s_cmp_lg_u64 vcc, 0
	s_subb_u32 s0, s87, s6
	v_subrev_co_u32_e32 v5, vcc, s84, v2
	s_cmp_lg_u64 vcc, 0
	s_subb_u32 s1, s0, 0
	v_subrev_co_u32_e32 v6, vcc, s84, v5
	s_cmp_lg_u64 vcc, 0
	s_subb_u32 s6, s1, 0
	v_cmp_le_u32_e32 vcc, s84, v5
	s_cmp_eq_u32 s1, 0
	v_cndmask_b32_e64 v7, 0, -1, vcc
	s_cselect_b64 vcc, -1, 0
	v_cndmask_b32_e32 v7, -1, v7, vcc
	v_mov_b32_e32 v8, s1
	v_mov_b32_e32 v9, s6
	v_cmp_ne_u32_e32 vcc, 0, v7
	v_cndmask_b32_e32 v7, v8, v9, vcc
	v_cndmask_b32_e32 v5, v5, v6, vcc
	v_cmp_le_u32_e32 vcc, s84, v2
	s_cmp_eq_u32 s0, 0
	v_cndmask_b32_e64 v6, 0, -1, vcc
	s_cselect_b64 vcc, -1, 0
	v_cndmask_b32_e32 v6, -1, v6, vcc
	v_mov_b32_e32 v8, s0
	v_cmp_ne_u32_e32 vcc, 0, v6
	v_cndmask_b32_e32 v7, v8, v7, vcc
	v_cndmask_b32_e32 v6, v2, v5, vcc
	s_cbranch_execnz .LBB101_253
.LBB101_252:                            ;   in Loop: Header=BB101_16 Depth=1
	v_cvt_f32_u32_e32 v2, s84
	s_sub_i32 s0, 0, s84
	v_rcp_iflag_f32_e32 v2, v2
	v_mul_f32_e32 v2, 0x4f7ffffe, v2
	v_cvt_u32_f32_e32 v2, v2
	v_mul_lo_u32 v5, s0, v2
	v_mul_hi_u32 v5, v2, v5
	v_add_u32_e32 v2, v2, v5
	v_mul_hi_u32 v2, s27, v2
	v_mul_lo_u32 v2, v2, s84
	v_sub_u32_e32 v2, s27, v2
	v_subrev_u32_e32 v5, s84, v2
	v_cmp_le_u32_e32 vcc, s84, v2
	v_cndmask_b32_e32 v2, v2, v5, vcc
	v_subrev_u32_e32 v5, s84, v2
	v_cmp_le_u32_e32 vcc, s84, v2
	v_cndmask_b32_e32 v2, v2, v5, vcc
	v_pk_mov_b32 v[6:7], v[2:3], v[2:3] op_sel:[0,1]
.LBB101_253:                            ;   in Loop: Header=BB101_16 Depth=1
	v_mov_b32_e32 v2, s87
	v_sub_co_u32_e32 v10, vcc, s27, v6
	v_subb_co_u32_e32 v11, vcc, v2, v7, vcc
	v_cmp_gt_u64_e32 vcc, v[10:11], v[0:1]
	s_mov_b64 s[20:21], 0
                                        ; implicit-def: $vgpr8_vgpr9
	s_and_saveexec_b64 s[0:1], vcc
	s_cbranch_execz .LBB101_262
; %bb.254:                              ;   in Loop: Header=BB101_16 Depth=1
	v_pk_mov_b32 v[12:13], v[0:1], v[0:1] op_sel:[0,1]
                                        ; implicit-def: $sgpr8_sgpr9
	s_branch .LBB101_256
.LBB101_255:                            ;   in Loop: Header=BB101_256 Depth=2
	s_or_b64 exec, exec, s[6:7]
	s_waitcnt lgkmcnt(0)
	s_barrier
	s_waitcnt vmcnt(0)
	ds_read_b128 v[6:9], v3 offset:3072
	v_mov_b32_e32 v2, s85
	v_add_co_u32_e32 v12, vcc, s84, v12
	v_addc_co_u32_e32 v13, vcc, v13, v2, vcc
	s_waitcnt lgkmcnt(0)
	v_readfirstlane_b32 s7, v7
	v_readfirstlane_b32 s6, v6
	s_cmp_lg_u64 s[6:7], 0
	s_cselect_b64 s[6:7], -1, 0
	v_cmp_ge_u64_e32 vcc, v[12:13], v[10:11]
	s_or_b64 s[42:43], vcc, s[6:7]
	s_and_b64 s[42:43], exec, s[42:43]
	s_or_b64 s[20:21], s[42:43], s[20:21]
	s_andn2_b64 s[8:9], s[8:9], exec
	s_and_b64 s[6:7], s[6:7], exec
	s_or_b64 s[8:9], s[8:9], s[6:7]
	s_barrier
	s_andn2_b64 exec, exec, s[20:21]
	s_cbranch_execz .LBB101_261
.LBB101_256:                            ;   Parent Loop BB101_16 Depth=1
                                        ; =>  This Inner Loop Header: Depth=2
	v_cmp_gt_u64_e32 vcc, s[52:53], v[12:13]
	v_pk_mov_b32 v[6:7], 0, 0
	s_and_saveexec_b64 s[42:43], vcc
	s_cbranch_execz .LBB101_258
; %bb.257:                              ;   in Loop: Header=BB101_256 Depth=2
	v_mul_lo_u32 v2, v13, s68
	v_mul_lo_u32 v5, v12, s69
	v_mad_u64_u32 v[6:7], s[6:7], v12, s68, 0
	v_add3_u32 v7, v7, v5, v2
	v_lshlrev_b64 v[6:7], 3, v[6:7]
	v_mov_b32_e32 v2, s26
	v_add_co_u32_e64 v6, s[6:7], s33, v6
	v_addc_co_u32_e64 v7, s[6:7], v2, v7, s[6:7]
	global_load_dwordx2 v[6:7], v[6:7], off
.LBB101_258:                            ;   in Loop: Header=BB101_256 Depth=2
	s_or_b64 exec, exec, s[42:43]
	s_and_saveexec_b64 s[6:7], vcc
	s_cbranch_execz .LBB101_255
; %bb.259:                              ;   in Loop: Header=BB101_256 Depth=2
	s_waitcnt vmcnt(0)
	v_xor_b32_e32 v2, 0x80000000, v7
	v_and_b32_e32 v9, s65, v2
	v_and_b32_e32 v8, s64, v6
	v_cmp_eq_u64_e32 vcc, s[70:71], v[8:9]
	s_and_b64 exec, exec, vcc
	s_cbranch_execz .LBB101_255
; %bb.260:                              ;   in Loop: Header=BB101_256 Depth=2
	v_mov_b32_e32 v5, v3
	ds_write_b128 v3, v[4:7] offset:3072
	s_branch .LBB101_255
.LBB101_261:                            ;   in Loop: Header=BB101_16 Depth=1
	s_or_b64 exec, exec, s[20:21]
	s_and_b64 s[20:21], s[8:9], exec
.LBB101_262:                            ;   in Loop: Header=BB101_16 Depth=1
	s_or_b64 exec, exec, s[0:1]
	s_mov_b64 s[8:9], -1
	s_mov_b64 s[0:1], 0
	s_mov_b64 s[6:7], 0
.LBB101_263:                            ;   in Loop: Header=BB101_16 Depth=1
	s_mov_b64 s[44:45], 0
                                        ; implicit-def: $sgpr48
                                        ; implicit-def: $sgpr46_sgpr47
	s_and_saveexec_b64 s[42:43], s[20:21]
	s_cbranch_execz .LBB101_276
; %bb.264:                              ;   in Loop: Header=BB101_16 Depth=1
	s_xor_b64 s[18:19], s[18:19], -1
	s_mov_b64 s[46:47], 1
	s_andn2_b64 vcc, exec, s[18:19]
	s_mov_b32 s48, 1
	s_cbranch_vccnz .LBB101_275
; %bb.265:                              ;   in Loop: Header=BB101_16 Depth=1
	s_waitcnt vmcnt(0)
	v_pk_mov_b32 v[6:7], s[10:11], s[10:11] op_sel:[0,1]
	v_cmp_gt_u64_e32 vcc, s[82:83], v[6:7]
	s_cbranch_vccnz .LBB101_271
; %bb.266:                              ;   in Loop: Header=BB101_16 Depth=1
	ds_read_b64 v[6:7], v3 offset:5120
	s_waitcnt lgkmcnt(0)
	v_cmp_ne_u64_e32 vcc, 0, v[6:7]
	s_cbranch_vccnz .LBB101_270
; %bb.267:                              ;   in Loop: Header=BB101_16 Depth=1
	s_mov_b64 s[18:19], exec
	v_readlane_b32 s20, v50, 8
	v_readlane_b32 s21, v50, 9
	s_and_b64 s[20:21], s[18:19], s[20:21]
	s_mov_b64 exec, s[20:21]
	s_cbranch_execz .LBB101_269
; %bb.268:                              ;   in Loop: Header=BB101_16 Depth=1
	v_pk_mov_b32 v[6:7], s[10:11], s[10:11] op_sel:[0,1]
	ds_write_b64 v3, v[6:7] offset:5128
.LBB101_269:                            ;   in Loop: Header=BB101_16 Depth=1
	s_or_b64 exec, exec, s[18:19]
	s_waitcnt lgkmcnt(0)
	s_barrier
.LBB101_270:                            ;   in Loop: Header=BB101_16 Depth=1
	s_or_b64 s[18:19], s[70:71], s[12:13]
	s_or_b64 s[12:13], s[64:65], s[12:13]
	s_mov_b64 s[20:21], 0
	s_mov_b32 s48, 8
	s_branch .LBB101_272
.LBB101_271:                            ;   in Loop: Header=BB101_16 Depth=1
	s_mov_b64 s[20:21], -1
                                        ; implicit-def: $sgpr48
                                        ; implicit-def: $sgpr18_sgpr19
                                        ; implicit-def: $sgpr12_sgpr13
.LBB101_272:                            ;   in Loop: Header=BB101_16 Depth=1
	s_andn2_b64 vcc, exec, s[20:21]
	s_cbranch_vccnz .LBB101_274
; %bb.273:                              ;   in Loop: Header=BB101_16 Depth=1
	s_sub_u32 s82, s82, s10
	s_subb_u32 s83, s83, s11
	s_mov_b32 s48, 8
	s_mov_b64 s[18:19], s[70:71]
	s_mov_b64 s[12:13], s[64:65]
.LBB101_274:                            ;   in Loop: Header=BB101_16 Depth=1
	s_mov_b64 s[46:47], s[82:83]
	s_mov_b64 s[70:71], s[18:19]
	;; [unrolled: 1-line block ×3, first 2 shown]
.LBB101_275:                            ;   in Loop: Header=BB101_16 Depth=1
	s_mov_b64 s[44:45], exec
.LBB101_276:                            ;   in Loop: Header=BB101_16 Depth=1
	s_or_b64 exec, exec, s[42:43]
	s_mov_b64 s[82:83], s[46:47]
.LBB101_277:                            ;   in Loop: Header=BB101_16 Depth=1
	s_andn2_b64 s[10:11], s[34:35], exec
	s_and_b64 s[0:1], s[0:1], exec
	s_or_b64 s[34:35], s[10:11], s[0:1]
	s_andn2_b64 s[0:1], s[38:39], exec
	s_and_b64 s[8:9], s[8:9], exec
	s_or_b64 s[38:39], s[0:1], s[8:9]
	;; [unrolled: 3-line block ×3, first 2 shown]
	s_and_b64 s[0:1], s[44:45], exec
.LBB101_278:                            ;   in Loop: Header=BB101_16 Depth=1
	s_or_b64 exec, exec, s[40:41]
.LBB101_279:                            ;   in Loop: Header=BB101_16 Depth=1
	s_andn2_b64 s[6:7], s[24:25], exec
	s_and_b64 s[8:9], s[34:35], exec
	s_or_b64 s[24:25], s[6:7], s[8:9]
	s_andn2_b64 s[6:7], s[28:29], exec
	s_and_b64 s[8:9], s[38:39], exec
	s_or_b64 s[28:29], s[6:7], s[8:9]
	;; [unrolled: 3-line block ×3, first 2 shown]
	s_and_b64 s[0:1], s[0:1], exec
.LBB101_280:                            ;   in Loop: Header=BB101_16 Depth=1
	s_or_b64 exec, exec, s[30:31]
	s_and_saveexec_b64 s[6:7], s[0:1]
	s_xor_b64 s[0:1], exec, s[6:7]
	s_cbranch_execz .LBB101_14
.LBB101_281:                            ;   in Loop: Header=BB101_16 Depth=1
	s_and_b32 s6, s48, -9
	s_cmp_eq_u32 s6, 0
	s_cbranch_scc1 .LBB101_12
; %bb.282:                              ;   in Loop: Header=BB101_16 Depth=1
	s_mov_b64 s[6:7], -1
                                        ; implicit-def: $sgpr64_sgpr65
                                        ; implicit-def: $sgpr82_sgpr83
                                        ; implicit-def: $sgpr80
                                        ; implicit-def: $sgpr81
	s_mov_b64 s[8:9], -1
	s_branch .LBB101_13
.LBB101_283:                            ;   in Loop: Header=BB101_16 Depth=1
                                        ; implicit-def: $vgpr6_vgpr7
	s_branch .LBB101_235
.LBB101_284:                            ;   in Loop: Header=BB101_16 Depth=1
                                        ; implicit-def: $vgpr6_vgpr7
	s_branch .LBB101_252
.LBB101_285:
	s_or_b64 exec, exec, s[94:95]
	s_xor_b64 s[8:9], s[76:77], -1
	s_xor_b64 s[0:1], s[56:57], -1
	;; [unrolled: 1-line block ×3, first 2 shown]
	s_mov_b64 s[4:5], 0
	s_and_saveexec_b64 s[2:3], s[0:1]
	s_xor_b64 s[0:1], exec, s[2:3]
	s_cbranch_execnz .LBB101_290
; %bb.286:
	s_andn2_saveexec_b64 s[0:1], s[0:1]
	s_cbranch_execnz .LBB101_303
.LBB101_287:
	s_or_b64 exec, exec, s[0:1]
	s_and_saveexec_b64 s[0:1], s[4:5]
.LBB101_288:
	; divergent unreachable
.LBB101_289:
	s_endpgm
.LBB101_290:
	s_and_saveexec_b64 s[2:3], s[8:9]
	s_xor_b64 s[4:5], exec, s[2:3]
	s_cbranch_execz .LBB101_301
; %bb.291:
	s_and_saveexec_b64 s[2:3], s[6:7]
	s_xor_b64 s[6:7], exec, s[2:3]
; %bb.292:
	v_xor_b32_e32 v7, 0x80000000, v7
	v_pk_mov_b32 v[8:9], v[6:7], v[6:7] op_sel:[0,1]
; %bb.293:
	s_or_b64 exec, exec, s[6:7]
	v_readlane_b32 s6, v50, 6
	v_readlane_b32 s2, v50, 4
	;; [unrolled: 1-line block ×4, first 2 shown]
	s_mov_b32 s8, s2
	s_mul_i32 s2, s2, s7
	s_mul_hi_u32 s3, s8, s6
	s_add_i32 s3, s3, s2
	s_mul_i32 s2, s8, s6
	v_readlane_b32 s18, v50, 22
	v_readlane_b32 s12, v50, 18
	s_sub_u32 s2, s18, s2
	v_readlane_b32 s14, v50, 20
	v_readlane_b32 s15, v50, 21
	s_subb_u32 s3, 0, s3
	s_mul_i32 s6, s2, s15
	s_mul_hi_u32 s7, s2, s14
	v_readlane_b32 s13, v50, 19
	s_add_i32 s6, s7, s6
	s_mul_i32 s3, s3, s14
	s_add_i32 s3, s6, s3
	s_mul_i32 s6, s8, s13
	s_mul_hi_u32 s7, s8, s12
	s_add_i32 s7, s7, s6
	s_mul_i32 s6, s8, s12
	s_lshl_b64 s[6:7], s[6:7], 3
	v_readlane_b32 s8, v50, 12
	s_mul_i32 s2, s2, s14
	v_readlane_b32 s9, v50, 13
	s_add_u32 s6, s8, s6
	s_addc_u32 s7, s9, s7
	s_lshl_b64 s[2:3], s[2:3], 3
	s_add_u32 s2, s6, s2
	s_addc_u32 s3, s7, s3
	v_mov_b32_e32 v2, 0
	v_readlane_b32 s19, v50, 23
	global_store_dwordx2 v2, v[8:9], s[2:3]
	s_mov_b64 s[6:7], exec
	v_readlane_b32 s2, v50, 24
	v_readlane_b32 s3, v50, 25
	s_and_b64 s[2:3], s[6:7], s[2:3]
	s_mov_b64 exec, s[2:3]
	s_cbranch_execz .LBB101_300
; %bb.294:
	s_mov_b64 s[2:3], 0
	v_mov_b32_e32 v4, s26
                                        ; implicit-def: $sgpr8_sgpr9
                                        ; implicit-def: $sgpr12_sgpr13
                                        ; implicit-def: $sgpr10_sgpr11
	s_branch .LBB101_296
.LBB101_295:                            ;   in Loop: Header=BB101_296 Depth=1
	s_or_b64 exec, exec, s[14:15]
	s_and_b64 s[14:15], exec, s[12:13]
	s_or_b64 s[2:3], s[14:15], s[2:3]
	s_andn2_b64 s[8:9], s[8:9], exec
	s_and_b64 s[14:15], s[10:11], exec
	s_or_b64 s[8:9], s[8:9], s[14:15]
	s_andn2_b64 exec, exec, s[2:3]
	s_cbranch_execz .LBB101_298
.LBB101_296:                            ; =>This Inner Loop Header: Depth=1
	v_pk_mov_b32 v[2:3], v[0:1], v[0:1] op_sel:[0,1]
	v_mul_lo_u32 v5, v3, s68
	v_mul_lo_u32 v6, v2, s69
	v_mad_u64_u32 v[0:1], s[14:15], v2, s68, 0
	v_add3_u32 v1, v1, v6, v5
	v_lshlrev_b64 v[0:1], 3, v[0:1]
	v_add_co_u32_e32 v0, vcc, s33, v0
	v_addc_co_u32_e32 v1, vcc, v4, v1, vcc
	global_load_dwordx2 v[0:1], v[0:1], off
	s_or_b64 s[10:11], s[10:11], exec
	s_or_b64 s[12:13], s[12:13], exec
	s_waitcnt vmcnt(0)
	v_cmp_ne_u64_e32 vcc, v[0:1], v[8:9]
                                        ; implicit-def: $vgpr0_vgpr1
	s_and_saveexec_b64 s[14:15], vcc
	s_cbranch_execz .LBB101_295
; %bb.297:                              ;   in Loop: Header=BB101_296 Depth=1
	v_mov_b32_e32 v1, s85
	v_add_co_u32_e32 v0, vcc, s84, v2
	v_addc_co_u32_e32 v1, vcc, v3, v1, vcc
	v_cmp_le_u64_e32 vcc, s[52:53], v[0:1]
	s_andn2_b64 s[12:13], s[12:13], exec
	s_and_b64 s[16:17], vcc, exec
	s_andn2_b64 s[10:11], s[10:11], exec
	s_or_b64 s[12:13], s[12:13], s[16:17]
	s_branch .LBB101_295
.LBB101_298:
	s_or_b64 exec, exec, s[2:3]
	s_and_saveexec_b64 s[2:3], s[8:9]
	s_xor_b64 s[2:3], exec, s[2:3]
	s_cbranch_execz .LBB101_300
; %bb.299:
	v_readlane_b32 s8, v50, 0
	v_readlane_b32 s2, v50, 2
	;; [unrolled: 1-line block ×4, first 2 shown]
	s_mov_b32 s10, s2
	s_mul_i32 s2, s2, s9
	s_mul_hi_u32 s3, s10, s8
	s_add_i32 s3, s3, s2
	s_mul_i32 s2, s10, s8
	v_readlane_b32 s12, v50, 14
	s_sub_u32 s2, s18, s2
	v_readlane_b32 s14, v50, 16
	v_readlane_b32 s15, v50, 17
	s_subb_u32 s3, 0, s3
	s_mul_i32 s8, s2, s15
	s_mul_hi_u32 s9, s2, s14
	v_readlane_b32 s13, v50, 15
	s_add_i32 s8, s9, s8
	s_mul_i32 s3, s3, s14
	s_add_i32 s3, s8, s3
	s_mul_i32 s8, s10, s13
	s_mul_hi_u32 s9, s10, s12
	s_add_i32 s9, s9, s8
	s_mul_i32 s8, s10, s12
	s_lshl_b64 s[8:9], s[8:9], 3
	v_readlane_b32 s10, v50, 10
	s_mul_i32 s2, s2, s14
	v_readlane_b32 s11, v50, 11
	s_add_u32 s8, s10, s8
	s_addc_u32 s9, s11, s9
	s_lshl_b64 s[2:3], s[2:3], 3
	s_add_u32 s2, s8, s2
	s_addc_u32 s3, s9, s3
	v_mov_b32_e32 v0, 0
	global_store_dwordx2 v0, v[2:3], s[2:3]
.LBB101_300:
	s_or_b64 exec, exec, s[6:7]
.LBB101_301:
	s_or_saveexec_b64 s[2:3], s[4:5]
	s_mov_b64 s[4:5], 0
	s_xor_b64 exec, exec, s[2:3]
	s_cbranch_execnz .LBB101_304
.LBB101_302:
	s_or_b64 exec, exec, s[2:3]
	s_and_b64 s[4:5], s[4:5], exec
	s_andn2_saveexec_b64 s[0:1], s[0:1]
	s_cbranch_execz .LBB101_287
.LBB101_303:
	s_or_b64 s[4:5], s[4:5], exec
	s_trap 2
	s_or_b64 exec, exec, s[0:1]
	s_and_saveexec_b64 s[0:1], s[4:5]
	s_cbranch_execnz .LBB101_288
	s_branch .LBB101_289
.LBB101_304:
	s_mov_b64 s[4:5], exec
	s_trap 2
	s_branch .LBB101_302
	.section	.rodata,"a",@progbits
	.p2align	6, 0x0
	.amdhsa_kernel _ZN2at6native12_GLOBAL__N_112gatherMedianIlmLi2EEEvNS_4cuda6detail10TensorInfoIT_T0_EENS5_IlS7_EENS5_IKS6_S7_EES7_S7_S7_b
		.amdhsa_group_segment_fixed_size 5152
		.amdhsa_private_segment_fixed_size 0
		.amdhsa_kernarg_size 1536
		.amdhsa_user_sgpr_count 6
		.amdhsa_user_sgpr_private_segment_buffer 1
		.amdhsa_user_sgpr_dispatch_ptr 0
		.amdhsa_user_sgpr_queue_ptr 0
		.amdhsa_user_sgpr_kernarg_segment_ptr 1
		.amdhsa_user_sgpr_dispatch_id 0
		.amdhsa_user_sgpr_flat_scratch_init 0
		.amdhsa_user_sgpr_kernarg_preload_length 0
		.amdhsa_user_sgpr_kernarg_preload_offset 0
		.amdhsa_user_sgpr_private_segment_size 0
		.amdhsa_uses_dynamic_stack 0
		.amdhsa_system_sgpr_private_segment_wavefront_offset 0
		.amdhsa_system_sgpr_workgroup_id_x 1
		.amdhsa_system_sgpr_workgroup_id_y 1
		.amdhsa_system_sgpr_workgroup_id_z 1
		.amdhsa_system_sgpr_workgroup_info 0
		.amdhsa_system_vgpr_workitem_id 0
		.amdhsa_next_free_vgpr 51
		.amdhsa_next_free_sgpr 96
		.amdhsa_accum_offset 52
		.amdhsa_reserve_vcc 1
		.amdhsa_reserve_flat_scratch 0
		.amdhsa_float_round_mode_32 0
		.amdhsa_float_round_mode_16_64 0
		.amdhsa_float_denorm_mode_32 3
		.amdhsa_float_denorm_mode_16_64 3
		.amdhsa_dx10_clamp 1
		.amdhsa_ieee_mode 1
		.amdhsa_fp16_overflow 0
		.amdhsa_tg_split 0
		.amdhsa_exception_fp_ieee_invalid_op 0
		.amdhsa_exception_fp_denorm_src 0
		.amdhsa_exception_fp_ieee_div_zero 0
		.amdhsa_exception_fp_ieee_overflow 0
		.amdhsa_exception_fp_ieee_underflow 0
		.amdhsa_exception_fp_ieee_inexact 0
		.amdhsa_exception_int_div_zero 0
	.end_amdhsa_kernel
	.section	.text._ZN2at6native12_GLOBAL__N_112gatherMedianIlmLi2EEEvNS_4cuda6detail10TensorInfoIT_T0_EENS5_IlS7_EENS5_IKS6_S7_EES7_S7_S7_b,"axG",@progbits,_ZN2at6native12_GLOBAL__N_112gatherMedianIlmLi2EEEvNS_4cuda6detail10TensorInfoIT_T0_EENS5_IlS7_EENS5_IKS6_S7_EES7_S7_S7_b,comdat
.Lfunc_end101:
	.size	_ZN2at6native12_GLOBAL__N_112gatherMedianIlmLi2EEEvNS_4cuda6detail10TensorInfoIT_T0_EENS5_IlS7_EENS5_IKS6_S7_EES7_S7_S7_b, .Lfunc_end101-_ZN2at6native12_GLOBAL__N_112gatherMedianIlmLi2EEEvNS_4cuda6detail10TensorInfoIT_T0_EENS5_IlS7_EENS5_IKS6_S7_EES7_S7_S7_b
                                        ; -- End function
	.section	.AMDGPU.csdata,"",@progbits
; Kernel info:
; codeLenInByte = 16256
; NumSgprs: 100
; NumVgprs: 51
; NumAgprs: 0
; TotalNumVgprs: 51
; ScratchSize: 0
; MemoryBound: 0
; FloatMode: 240
; IeeeMode: 1
; LDSByteSize: 5152 bytes/workgroup (compile time only)
; SGPRBlocks: 12
; VGPRBlocks: 6
; NumSGPRsForWavesPerEU: 100
; NumVGPRsForWavesPerEU: 51
; AccumOffset: 52
; Occupancy: 8
; WaveLimiterHint : 1
; COMPUTE_PGM_RSRC2:SCRATCH_EN: 0
; COMPUTE_PGM_RSRC2:USER_SGPR: 6
; COMPUTE_PGM_RSRC2:TRAP_HANDLER: 0
; COMPUTE_PGM_RSRC2:TGID_X_EN: 1
; COMPUTE_PGM_RSRC2:TGID_Y_EN: 1
; COMPUTE_PGM_RSRC2:TGID_Z_EN: 1
; COMPUTE_PGM_RSRC2:TIDIG_COMP_CNT: 0
; COMPUTE_PGM_RSRC3_GFX90A:ACCUM_OFFSET: 12
; COMPUTE_PGM_RSRC3_GFX90A:TG_SPLIT: 0
	.section	.text._ZN2at6native12_GLOBAL__N_112gatherMedianIlmLi3EEEvNS_4cuda6detail10TensorInfoIT_T0_EENS5_IlS7_EENS5_IKS6_S7_EES7_S7_S7_b,"axG",@progbits,_ZN2at6native12_GLOBAL__N_112gatherMedianIlmLi3EEEvNS_4cuda6detail10TensorInfoIT_T0_EENS5_IlS7_EENS5_IKS6_S7_EES7_S7_S7_b,comdat
	.globl	_ZN2at6native12_GLOBAL__N_112gatherMedianIlmLi3EEEvNS_4cuda6detail10TensorInfoIT_T0_EENS5_IlS7_EENS5_IKS6_S7_EES7_S7_S7_b ; -- Begin function _ZN2at6native12_GLOBAL__N_112gatherMedianIlmLi3EEEvNS_4cuda6detail10TensorInfoIT_T0_EENS5_IlS7_EENS5_IKS6_S7_EES7_S7_S7_b
	.p2align	8
	.type	_ZN2at6native12_GLOBAL__N_112gatherMedianIlmLi3EEEvNS_4cuda6detail10TensorInfoIT_T0_EENS5_IlS7_EENS5_IKS6_S7_EES7_S7_S7_b,@function
_ZN2at6native12_GLOBAL__N_112gatherMedianIlmLi3EEEvNS_4cuda6detail10TensorInfoIT_T0_EENS5_IlS7_EENS5_IKS6_S7_EES7_S7_S7_b: ; @_ZN2at6native12_GLOBAL__N_112gatherMedianIlmLi3EEEvNS_4cuda6detail10TensorInfoIT_T0_EENS5_IlS7_EENS5_IKS6_S7_EES7_S7_S7_b
; %bb.0:
	s_load_dwordx4 s[52:55], s[4:5], 0x4e0
	s_load_dwordx2 s[16:17], s[4:5], 0x500
	s_add_u32 s18, s4, 0x500
	s_addc_u32 s19, s5, 0
	s_mov_b32 s31, 0
	s_waitcnt lgkmcnt(0)
	v_mov_b32_e32 v2, s54
	s_mul_i32 s0, s17, s8
	s_add_i32 s0, s0, s7
	s_mul_i32 s0, s0, s16
	v_mov_b32_e32 v3, s55
	s_add_i32 s30, s0, s6
	v_cmp_ge_u64_e32 vcc, s[30:31], v[2:3]
	s_cbranch_vccnz .LBB102_295
; %bb.1:
	s_load_dwordx4 s[20:23], s[4:5], 0x10
	s_mov_b64 s[10:11], 0
	s_mov_b64 s[8:9], 0
	s_waitcnt lgkmcnt(0)
	v_pk_mov_b32 v[2:3], s[22:23], s[22:23] op_sel:[0,1]
	v_cmp_lt_u64_e32 vcc, s[30:31], v[2:3]
	s_cbranch_vccnz .LBB102_3
; %bb.2:
	v_cvt_f32_u32_e32 v1, s22
	s_sub_i32 s0, 0, s22
	s_mov_b32 s9, 0
	v_rcp_iflag_f32_e32 v1, v1
	v_mul_f32_e32 v1, 0x4f7ffffe, v1
	v_cvt_u32_f32_e32 v1, v1
	v_readfirstlane_b32 s1, v1
	s_mul_i32 s0, s0, s1
	s_mul_hi_u32 s0, s1, s0
	s_add_i32 s1, s1, s0
	s_mul_hi_u32 s0, s30, s1
	s_mul_i32 s2, s0, s22
	s_sub_i32 s2, s30, s2
	s_add_i32 s1, s0, 1
	s_sub_i32 s3, s2, s22
	s_cmp_ge_u32 s2, s22
	s_cselect_b32 s0, s1, s0
	s_cselect_b32 s2, s3, s2
	s_add_i32 s1, s0, 1
	s_cmp_ge_u32 s2, s22
	s_cselect_b32 s8, s1, s0
.LBB102_3:
	s_load_dwordx4 s[0:3], s[4:5], 0x1b0
                                        ; implicit-def: $vgpr50 : SGPR spill to VGPR lane
	v_pk_mov_b32 v[2:3], s[20:21], s[20:21] op_sel:[0,1]
	v_cmp_lt_u64_e32 vcc, s[8:9], v[2:3]
	s_and_b64 vcc, exec, vcc
	s_waitcnt lgkmcnt(0)
	v_writelane_b32 v50, s0, 0
	v_writelane_b32 v50, s1, 1
	;; [unrolled: 1-line block ×4, first 2 shown]
	s_cbranch_vccnz .LBB102_5
; %bb.4:
	v_cvt_f32_u32_e32 v1, s20
	s_sub_i32 s0, 0, s20
	v_rcp_iflag_f32_e32 v1, v1
	v_mul_f32_e32 v1, 0x4f7ffffe, v1
	v_cvt_u32_f32_e32 v1, v1
	v_readfirstlane_b32 s1, v1
	s_mul_i32 s0, s0, s1
	s_mul_hi_u32 s0, s1, s0
	s_add_i32 s1, s1, s0
	s_mul_hi_u32 s0, s8, s1
	s_mul_i32 s2, s0, s20
	s_sub_i32 s2, s8, s2
	s_add_i32 s1, s0, 1
	s_sub_i32 s3, s2, s20
	s_cmp_ge_u32 s2, s20
	s_cselect_b32 s0, s1, s0
	s_cselect_b32 s2, s3, s2
	s_add_i32 s1, s0, 1
	s_cmp_ge_u32 s2, s20
	s_cselect_b32 s10, s1, s0
	s_load_dwordx4 s[0:3], s[4:5], 0x1b0
.LBB102_5:
	v_writelane_b32 v50, s10, 4
	s_waitcnt lgkmcnt(0)
	v_pk_mov_b32 v[2:3], s[2:3], s[2:3] op_sel:[0,1]
	v_writelane_b32 v50, s11, 5
	v_cmp_lt_u64_e32 vcc, s[30:31], v[2:3]
	v_writelane_b32 v50, s8, 6
	s_mov_b64 s[14:15], 0
	s_mov_b64 s[12:13], 0
	v_writelane_b32 v50, s9, 7
	s_cbranch_vccnz .LBB102_7
; %bb.6:
	v_cvt_f32_u32_e32 v1, s2
	s_load_dwordx4 s[0:3], s[4:5], 0x1b0
	s_load_dwordx4 s[8:11], s[4:5], 0x1b0
	s_mov_b32 s13, 0
	v_rcp_iflag_f32_e32 v1, v1
	s_waitcnt lgkmcnt(0)
	s_sub_i32 s0, 0, s2
	v_mul_f32_e32 v1, 0x4f7ffffe, v1
	v_cvt_u32_f32_e32 v1, v1
	v_readfirstlane_b32 s1, v1
	s_mul_i32 s0, s0, s1
	s_mul_hi_u32 s0, s1, s0
	s_add_i32 s1, s1, s0
	s_mul_hi_u32 s0, s30, s1
	s_mul_i32 s2, s0, s10
	s_load_dwordx4 s[8:11], s[4:5], 0x1b0
	s_sub_i32 s2, s30, s2
	s_add_i32 s1, s0, 1
	s_waitcnt lgkmcnt(0)
	s_sub_i32 s3, s2, s10
	s_load_dwordx4 s[8:11], s[4:5], 0x1b0
	s_waitcnt lgkmcnt(0)
	s_cmp_ge_u32 s2, s10
	s_load_dwordx4 s[8:11], s[4:5], 0x1b0
	s_cselect_b32 s0, s1, s0
	s_cselect_b32 s2, s3, s2
	s_add_i32 s1, s0, 1
	s_waitcnt lgkmcnt(0)
	s_cmp_ge_u32 s2, s10
	s_cselect_b32 s12, s1, s0
	s_load_dwordx4 s[0:3], s[4:5], 0x1b0
.LBB102_7:
	s_load_dwordx4 s[8:11], s[4:5], 0x350
	s_waitcnt lgkmcnt(0)
	v_pk_mov_b32 v[2:3], s[0:1], s[0:1] op_sel:[0,1]
	v_writelane_b32 v50, s12, 8
	v_cmp_lt_u64_e32 vcc, s[12:13], v[2:3]
	v_writelane_b32 v50, s13, 9
	s_cbranch_vccnz .LBB102_9
; %bb.8:
	s_load_dwordx4 s[12:15], s[4:5], 0x1b0
	s_waitcnt lgkmcnt(0)
	v_readlane_b32 s14, v50, 8
	v_readlane_b32 s15, v50, 9
	v_cvt_f32_u32_e32 v1, s12
	s_sub_i32 s0, 0, s12
	v_rcp_iflag_f32_e32 v1, v1
	v_mul_f32_e32 v1, 0x4f7ffffe, v1
	v_cvt_u32_f32_e32 v1, v1
	v_readfirstlane_b32 s1, v1
	s_mul_i32 s0, s0, s1
	s_mul_hi_u32 s0, s1, s0
	s_add_i32 s1, s1, s0
	s_mul_hi_u32 s0, s14, s1
	s_mul_i32 s2, s0, s12
	s_sub_i32 s2, s14, s2
	s_add_i32 s1, s0, 1
	s_sub_i32 s3, s2, s12
	s_cmp_ge_u32 s2, s12
	s_cselect_b32 s0, s1, s0
	s_cselect_b32 s2, s3, s2
	s_add_i32 s1, s0, 1
	s_cmp_ge_u32 s2, s12
	s_cselect_b32 s14, s1, s0
.LBB102_9:
	s_load_dwordx2 s[80:81], s[4:5], 0x4f0
	v_pk_mov_b32 v[2:3], s[10:11], s[10:11] op_sel:[0,1]
	v_cmp_lt_u64_e32 vcc, s[30:31], v[2:3]
	v_writelane_b32 v50, s14, 10
	s_mov_b64 s[0:1], 0
	s_mov_b64 s[2:3], 0
	v_writelane_b32 v50, s15, 11
	s_cbranch_vccnz .LBB102_11
; %bb.10:
	v_cvt_f32_u32_e32 v1, s10
	s_sub_i32 s1, 0, s10
	s_mov_b32 s3, 0
	v_rcp_iflag_f32_e32 v1, v1
	v_mul_f32_e32 v1, 0x4f7ffffe, v1
	v_cvt_u32_f32_e32 v1, v1
	v_readfirstlane_b32 s2, v1
	s_mul_i32 s1, s1, s2
	s_mul_hi_u32 s1, s2, s1
	s_add_i32 s2, s2, s1
	s_mul_hi_u32 s1, s30, s2
	s_mul_i32 s7, s1, s10
	s_sub_i32 s7, s30, s7
	s_add_i32 s2, s1, 1
	s_sub_i32 s12, s7, s10
	s_cmp_ge_u32 s7, s10
	s_cselect_b32 s1, s2, s1
	s_cselect_b32 s7, s12, s7
	s_add_i32 s2, s1, 1
	s_cmp_ge_u32 s7, s10
	s_cselect_b32 s2, s2, s1
.LBB102_11:
	v_writelane_b32 v50, s20, 12
	v_writelane_b32 v50, s21, 13
	;; [unrolled: 1-line block ×4, first 2 shown]
	s_load_dwordx2 s[20:21], s[4:5], 0x420
	s_load_dwordx4 s[12:15], s[4:5], 0x410
	v_pk_mov_b32 v[2:3], s[8:9], s[8:9] op_sel:[0,1]
	v_cmp_lt_u64_e32 vcc, s[2:3], v[2:3]
	s_cbranch_vccnz .LBB102_13
; %bb.12:
	v_cvt_f32_u32_e32 v1, s8
	s_sub_i32 s0, 0, s8
	v_rcp_iflag_f32_e32 v1, v1
	v_mul_f32_e32 v1, 0x4f7ffffe, v1
	v_cvt_u32_f32_e32 v1, v1
	v_readfirstlane_b32 s1, v1
	s_mul_i32 s0, s0, s1
	s_mul_hi_u32 s0, s1, s0
	s_add_i32 s1, s1, s0
	s_mul_hi_u32 s0, s2, s1
	s_mul_i32 s7, s0, s8
	s_sub_i32 s7, s2, s7
	s_add_i32 s1, s0, 1
	s_sub_i32 s17, s7, s8
	s_cmp_ge_u32 s7, s8
	s_cselect_b32 s0, s1, s0
	s_cselect_b32 s7, s17, s7
	s_add_i32 s1, s0, 1
	s_cmp_ge_u32 s7, s8
	s_cselect_b32 s0, s1, s0
.LBB102_13:
	s_load_dwordx2 s[22:23], s[4:5], 0x280
	s_load_dwordx4 s[24:27], s[4:5], 0x270
	s_waitcnt lgkmcnt(0)
	v_writelane_b32 v50, s22, 16
	v_writelane_b32 v50, s23, 17
	;; [unrolled: 1-line block ×3, first 2 shown]
	s_load_dwordx2 s[22:23], s[4:5], 0xe0
	v_writelane_b32 v50, s25, 19
	v_writelane_b32 v50, s26, 20
	v_writelane_b32 v50, s27, 21
	s_load_dwordx4 s[24:27], s[4:5], 0xd0
	s_waitcnt lgkmcnt(0)
	v_writelane_b32 v50, s22, 22
	v_writelane_b32 v50, s23, 23
	s_load_dwordx2 s[22:23], s[4:5], 0x340
	v_writelane_b32 v50, s24, 24
	v_writelane_b32 v50, s25, 25
	;; [unrolled: 1-line block ×4, first 2 shown]
	v_cmp_eq_u32_e64 s[26:27], 0, v0
	s_mov_b64 s[24:25], exec
	v_writelane_b32 v50, s26, 28
	v_writelane_b32 v50, s27, 29
	s_and_b64 s[26:27], s[24:25], s[26:27]
	s_mov_b64 exec, s[26:27]
	s_cbranch_execz .LBB102_15
; %bb.14:
	v_mov_b32_e32 v2, 0
	v_mov_b32_e32 v3, v2
	ds_write_b64 v2, v[2:3] offset:5136
.LBB102_15:
	s_or_b64 exec, exec, s[24:25]
	s_load_dwordx2 s[24:25], s[4:5], 0x1a0
	v_mov_b32_e32 v3, 0
	s_waitcnt lgkmcnt(0)
	s_barrier
	v_writelane_b32 v50, s24, 30
	v_writelane_b32 v50, s25, 31
	s_load_dwordx2 s[24:25], s[4:5], 0x0
	s_waitcnt lgkmcnt(0)
	s_barrier
	ds_read_b64 v[4:5], v3 offset:5136
	v_writelane_b32 v50, s24, 32
	v_writelane_b32 v50, s25, 33
	s_waitcnt lgkmcnt(0)
	v_readfirstlane_b32 s24, v4
	v_readfirstlane_b32 s25, v5
	s_mov_b64 s[26:27], exec
	v_readlane_b32 s28, v50, 28
	v_readlane_b32 s29, v50, 29
	s_and_b64 s[28:29], s[26:27], s[28:29]
	s_mov_b64 exec, s[28:29]
	s_cbranch_execz .LBB102_17
; %bb.16:
	v_mov_b32_e32 v4, s52
	v_mov_b32_e32 v5, s53
	;; [unrolled: 1-line block ×3, first 2 shown]
	ds_write_b32 v3, v3 offset:5144
	ds_write_b128 v3, v[2:5] offset:5120
.LBB102_17:
	s_or_b64 exec, exec, s[26:27]
	s_load_dword s1, s[4:5], 0x4f8
	v_cmp_lt_i64_e64 s[4:5], s[24:25], 1
	s_mul_i32 s7, s2, s11
	v_mov_b32_e32 v1, v3
	v_mov_b32_e32 v4, 0x180
	s_waitcnt lgkmcnt(0)
	s_bitcmp1_b32 s1, 0
	s_cselect_b64 s[26:27], -1, 0
	s_not_b64 s[24:25], s[24:25]
	s_or_b64 s[4:5], s[26:27], s[4:5]
	s_add_u32 s24, s24, s52
	s_addc_u32 s25, s25, s53
	s_lshr_b64 s[24:25], s[24:25], 1
	s_add_u32 s1, s24, 1
	s_addc_u32 s11, s25, 0
	s_and_b64 s[4:5], s[4:5], exec
	s_cselect_b32 s92, s1, s52
	s_mul_hi_u32 s1, s2, s10
	s_cselect_b32 s93, s11, s53
	s_add_i32 s1, s1, s7
	s_mul_i32 s4, s2, s10
	s_sub_u32 s4, s30, s4
	s_subb_u32 s1, 0, s1
	s_mul_i32 s5, s4, s21
	s_mul_hi_u32 s7, s4, s20
	s_add_i32 s5, s7, s5
	s_mul_i32 s1, s1, s20
	s_add_i32 s5, s5, s1
	s_mul_i32 s1, s0, s9
	s_mul_hi_u32 s7, s0, s8
	s_add_i32 s7, s7, s1
	s_mul_i32 s1, s0, s8
	s_sub_u32 s1, s2, s1
	s_subb_u32 s2, s3, s7
	s_mul_i32 s3, s1, s15
	s_mul_hi_u32 s7, s1, s14
	s_add_i32 s3, s7, s3
	s_mul_i32 s2, s2, s14
	s_add_i32 s3, s3, s2
	s_mul_i32 s2, s1, s14
	s_mul_i32 s1, s0, s13
	s_mul_hi_u32 s7, s0, s12
	s_add_i32 s1, s7, s1
	s_mul_i32 s0, s0, s12
	s_lshl_b64 s[0:1], s[0:1], 3
	s_add_u32 s7, s22, s0
	s_addc_u32 s8, s23, s1
	s_lshl_b64 s[0:1], s[2:3], 3
	s_mul_i32 s4, s4, s20
	s_add_u32 s2, s7, s0
	s_mov_b32 s10, s30
	s_addc_u32 s3, s8, s1
	s_lshl_b64 s[0:1], s[4:5], 3
	v_writelane_b32 v50, s10, 34
	s_add_u32 s33, s2, s0
	v_writelane_b32 v50, s11, 35
	s_addc_u32 s26, s3, s1
	v_cmp_gt_u64_e64 s[0:1], s[52:53], v[0:1]
	v_writelane_b32 v50, s0, 36
	v_writelane_b32 v50, s1, 37
	v_cmp_gt_u32_e64 s[0:1], 2, v0
	v_writelane_b32 v50, s0, 38
	v_mov_b32_e32 v5, 0
	v_writelane_b32 v50, s1, 39
	v_cmp_gt_u64_e64 s[0:1], s[52:53], v[4:5]
	v_writelane_b32 v50, s0, 40
	v_mbcnt_lo_u32_b32 v2, -1, 0
	v_writelane_b32 v50, s1, 41
	v_mad_u64_u32 v[4:5], s[0:1], v0, s80, 0
	v_mbcnt_hi_u32_b32 v30, -1, v2
	v_mov_b32_e32 v2, v5
	v_mad_u64_u32 v[6:7], s[0:1], v0, s81, v[2:3]
	s_barrier
	s_load_dword s0, s[18:19], 0xc
	v_cmp_gt_u32_e32 vcc, 64, v0
	v_cmp_gt_i32_e64 s[8:9], 4, v30
	s_and_b64 s[88:89], vcc, s[8:9]
	v_mov_b32_e32 v5, v6
	s_waitcnt lgkmcnt(0)
	s_and_b32 s84, s0, 0xffff
	s_bfe_u32 s1, s0, 0xa0006
	v_cmp_gt_u16_e64 s[2:3], s0, 63
	v_writelane_b32 v50, s2, 42
	s_add_u32 s0, s84, -1
	v_writelane_b32 v50, s3, 43
	s_addc_u32 s2, 0, -1
	s_add_u32 s27, s0, s52
	s_addc_u32 s83, s2, s53
	s_cmp_lt_u32 s6, s16
	v_writelane_b32 v50, s0, 44
	s_cselect_b32 s0, 12, 18
	s_add_u32 s64, s18, s0
	s_addc_u32 s65, s19, 0
	s_add_i32 s0, s1, -1
	s_bfe_u32 s3, s84, 0x30006
	s_cmp_gt_u32 s0, 6
	v_writelane_b32 v50, s2, 45
	s_cselect_b64 s[6:7], -1, 0
	v_writelane_b32 v50, s6, 46
	s_and_b32 s2, s1, 0x3f8
	v_writelane_b32 v50, s7, 47
	s_cmp_lg_u32 s3, 0
	v_lshlrev_b64 v[4:5], 3, v[4:5]
	v_lshrrev_b32_e32 v2, 4, v0
	v_writelane_b32 v50, s3, 48
	s_cselect_b64 s[0:1], -1, 0
	v_mov_b32_e32 v33, s26
	v_add_co_u32_e32 v18, vcc, s33, v4
	v_and_b32_e32 v34, 60, v2
	v_lshlrev_b32_e32 v2, 2, v30
	v_writelane_b32 v50, s0, 49
	s_mov_b32 s91, 0
	v_lshlrev_b32_e32 v31, 3, v0
	v_addc_co_u32_e32 v19, vcc, v33, v5, vcc
	v_and_b32_e32 v35, 0x100, v2
	v_lshlrev_b64 v[4:5], v30, -1
	v_writelane_b32 v50, s1, 50
	v_mov_b32_e32 v2, 0xc00
	v_cmp_eq_u32_e64 s[4:5], 0, v30
	v_add_u32_e32 v32, 0xc00, v31
	v_lshlrev_b32_e32 v20, 2, v0
	v_mov_b32_e32 v21, v3
	v_not_b32_e32 v23, v5
	v_not_b32_e32 v22, v4
	s_mov_b32 s85, s91
	v_lshlrev_b32_e32 v36, 5, v0
	v_lshl_or_b32 v37, v30, 3, v2
	s_lshl_b32 s3, s84, 3
	s_mov_b32 s94, 62
	s_mov_b64 s[86:87], 0
	v_pk_mov_b32 v[8:9], 0, 0
	v_mov_b32_e32 v4, 1
	v_mov_b32_e32 v38, 0x4f800000
	s_mov_b32 s95, 0
	s_mov_b64 s[60:61], 0
	s_mov_b64 s[72:73], 0
	v_writelane_b32 v50, s88, 51
                                        ; implicit-def: $sgpr70_sgpr71
                                        ; implicit-def: $sgpr78_sgpr79
                                        ; implicit-def: $sgpr74_sgpr75
                                        ; implicit-def: $sgpr68_sgpr69
                                        ; implicit-def: $sgpr56_sgpr57
                                        ; implicit-def: $sgpr58_sgpr59
	v_writelane_b32 v50, s89, 52
	s_branch .LBB102_22
.LBB102_18:                             ;   in Loop: Header=BB102_22 Depth=1
	s_xor_b32 s95, s95, 1
	s_add_i32 s10, s94, -2
	s_cmp_eq_u32 s94, 0
	s_mov_b64 s[6:7], 0
	s_cselect_b64 s[8:9], -1, 0
	s_mov_b32 s94, s10
.LBB102_19:                             ;   in Loop: Header=BB102_22 Depth=1
	s_andn2_b64 s[10:11], s[24:25], exec
	s_and_b64 s[6:7], s[6:7], exec
	s_or_b64 s[24:25], s[10:11], s[6:7]
	s_andn2_b64 s[28:29], s[28:29], exec
	s_andn2_b64 s[22:23], s[22:23], exec
	s_orn2_b64 s[16:17], s[8:9], exec
.LBB102_20:                             ;   in Loop: Header=BB102_22 Depth=1
	s_or_b64 exec, exec, s[0:1]
	s_andn2_b64 s[0:1], s[58:59], exec
	s_and_b64 s[6:7], s[24:25], exec
	s_or_b64 s[58:59], s[0:1], s[6:7]
	s_andn2_b64 s[0:1], s[56:57], exec
	s_and_b64 s[6:7], s[28:29], exec
	s_or_b64 s[56:57], s[0:1], s[6:7]
	;; [unrolled: 3-line block ×3, first 2 shown]
	s_orn2_b64 s[22:23], s[16:17], exec
.LBB102_21:                             ;   in Loop: Header=BB102_22 Depth=1
	s_or_b64 exec, exec, s[14:15]
	s_and_b64 s[0:1], exec, s[22:23]
	s_or_b64 s[86:87], s[0:1], s[86:87]
	s_andn2_b64 s[0:1], s[74:75], exec
	s_and_b64 s[6:7], s[58:59], exec
	s_or_b64 s[74:75], s[0:1], s[6:7]
	s_andn2_b64 s[0:1], s[78:79], exec
	s_and_b64 s[6:7], s[56:57], exec
	;; [unrolled: 3-line block ×3, first 2 shown]
	s_waitcnt vmcnt(0)
	v_pk_mov_b32 v[6:7], s[60:61], s[60:61] op_sel:[0,1]
	s_or_b64 s[70:71], s[0:1], s[6:7]
	s_andn2_b64 exec, exec, s[86:87]
	s_cbranch_execz .LBB102_291
.LBB102_22:                             ; =>This Loop Header: Depth=1
                                        ;     Child Loop BB102_30 Depth 2
                                        ;     Child Loop BB102_45 Depth 2
	;; [unrolled: 1-line block ×16, first 2 shown]
	ds_read_b128 v[10:13], v3 offset:5120
	s_waitcnt lgkmcnt(0)
	v_readfirstlane_b32 s63, v11
	v_readfirstlane_b32 s62, v10
	s_cmp_lg_u64 s[62:63], 0
	s_cbranch_scc1 .LBB102_52
; %bb.23:                               ;   in Loop: Header=BB102_22 Depth=1
	v_readlane_b32 s0, v50, 40
	v_readlane_b32 s1, v50, 41
	s_and_b64 vcc, exec, s[0:1]
	s_cbranch_vccz .LBB102_38
; %bb.24:                               ;   in Loop: Header=BB102_22 Depth=1
	s_mov_b64 s[0:1], 0x181
	v_cmp_gt_u64_e32 vcc, s[0:1], v[12:13]
	s_mov_b64 s[62:63], 0
	s_mov_b64 s[0:1], 0
	s_cbranch_vccz .LBB102_39
; %bb.25:                               ;   in Loop: Header=BB102_22 Depth=1
	v_pk_mov_b32 v[6:7], 0, 0
	s_mov_b64 s[0:1], exec
	v_readlane_b32 s6, v50, 36
	v_readlane_b32 s7, v50, 37
	s_and_b64 s[6:7], s[0:1], s[6:7]
	s_mov_b64 exec, s[6:7]
	s_cbranch_execz .LBB102_27
; %bb.26:                               ;   in Loop: Header=BB102_22 Depth=1
	global_load_dwordx2 v[6:7], v[18:19], off
.LBB102_27:                             ;   in Loop: Header=BB102_22 Depth=1
	s_or_b64 exec, exec, s[0:1]
	s_mov_b64 s[0:1], exec
	v_readlane_b32 s6, v50, 36
	v_readlane_b32 s7, v50, 37
	s_and_b64 s[6:7], s[0:1], s[6:7]
	s_mov_b64 exec, s[6:7]
	s_cbranch_execz .LBB102_155
; %bb.28:                               ;   in Loop: Header=BB102_22 Depth=1
	global_load_ushort v2, v3, s[64:65]
	s_mov_b64 s[8:9], 0
	v_pk_mov_b32 v[10:11], v[0:1], v[0:1] op_sel:[0,1]
	s_branch .LBB102_30
.LBB102_29:                             ;   in Loop: Header=BB102_30 Depth=2
	s_or_b64 exec, exec, s[6:7]
	s_waitcnt vmcnt(0)
	v_pk_mov_b32 v[6:7], v[12:13], v[12:13] op_sel:[0,1]
	s_andn2_b64 exec, exec, s[8:9]
	s_cbranch_execz .LBB102_155
.LBB102_30:                             ;   Parent Loop BB102_22 Depth=1
                                        ; =>  This Inner Loop Header: Depth=2
	s_waitcnt vmcnt(0)
	v_add_co_u32_sdwa v10, vcc, v10, v2 dst_sel:DWORD dst_unused:UNUSED_PAD src0_sel:DWORD src1_sel:WORD_0
	v_addc_co_u32_e32 v11, vcc, 0, v11, vcc
	v_cmp_gt_u64_e64 s[6:7], s[52:53], v[10:11]
	v_cmp_le_u64_e32 vcc, s[52:53], v[10:11]
	v_pk_mov_b32 v[12:13], 0, 0
	s_and_saveexec_b64 s[10:11], s[6:7]
	s_cbranch_execz .LBB102_32
; %bb.31:                               ;   in Loop: Header=BB102_30 Depth=2
	s_waitcnt lgkmcnt(0)
	v_mul_lo_u32 v5, v11, s80
	v_mul_lo_u32 v14, v10, s81
	v_mad_u64_u32 v[12:13], s[6:7], v10, s80, 0
	v_add3_u32 v13, v13, v14, v5
	v_lshlrev_b64 v[12:13], 3, v[12:13]
	v_add_co_u32_e64 v12, s[6:7], s33, v12
	v_addc_co_u32_e64 v13, s[6:7], v33, v13, s[6:7]
	global_load_dwordx2 v[12:13], v[12:13], off
.LBB102_32:                             ;   in Loop: Header=BB102_30 Depth=2
	s_or_b64 exec, exec, s[10:11]
	s_waitcnt lgkmcnt(0)
	v_xor_b32_e32 v5, 0x80000000, v7
	v_and_b32_e32 v15, s73, v5
	v_and_b32_e32 v14, s72, v6
	v_cmp_eq_u64_e64 s[10:11], s[60:61], v[14:15]
	s_cmp_lg_u64 s[10:11], 0
	s_cselect_b64 s[6:7], -1, 0
	s_and_b64 s[6:7], s[4:5], s[6:7]
	v_mov_b32_e32 v5, 0
	s_and_saveexec_b64 s[12:13], s[6:7]
	s_cbranch_execz .LBB102_36
; %bb.33:                               ;   in Loop: Header=BB102_30 Depth=2
	s_mov_b64 s[16:17], exec
	v_mbcnt_lo_u32_b32 v5, s16, 0
	v_mbcnt_hi_u32_b32 v5, s17, v5
	s_bcnt1_i32_b64 s18, s[10:11]
	v_cmp_eq_u32_e64 s[6:7], 0, v5
                                        ; implicit-def: $vgpr14
	s_and_saveexec_b64 s[14:15], s[6:7]
	s_cbranch_execz .LBB102_35
; %bb.34:                               ;   in Loop: Header=BB102_30 Depth=2
	s_bcnt1_i32_b64 s6, s[16:17]
	s_mul_i32 s6, s18, s6
	v_mov_b32_e32 v14, s6
	ds_add_rtn_u32 v14, v3, v14 offset:5144
.LBB102_35:                             ;   in Loop: Header=BB102_30 Depth=2
	s_or_b64 exec, exec, s[14:15]
	s_waitcnt lgkmcnt(0)
	v_readfirstlane_b32 s6, v14
	v_mov_b32_e32 v14, s6
	v_mad_u32_u24 v5, s18, v5, v14
.LBB102_36:                             ;   in Loop: Header=BB102_30 Depth=2
	s_or_b64 exec, exec, s[12:13]
	ds_bpermute_b32 v5, v35, v5
	s_and_b64 s[6:7], exec, vcc
	s_or_b64 s[8:9], s[6:7], s[8:9]
	s_and_saveexec_b64 s[6:7], s[10:11]
	s_cbranch_execz .LBB102_29
; %bb.37:                               ;   in Loop: Header=BB102_30 Depth=2
	v_and_b32_e32 v15, s10, v22
	v_and_b32_e32 v14, s11, v23
	v_bcnt_u32_b32 v15, v15, 0
	v_bcnt_u32_b32 v14, v14, v15
	v_lshlrev_b32_e32 v14, 3, v14
	s_waitcnt lgkmcnt(0)
	v_lshl_add_u32 v5, v5, 3, v14
	ds_write_b64 v5, v[6:7]
	s_branch .LBB102_29
.LBB102_38:                             ;   in Loop: Header=BB102_22 Depth=1
	s_mov_b64 s[62:63], -1
	s_mov_b64 s[0:1], 0
.LBB102_39:                             ;   in Loop: Header=BB102_22 Depth=1
	s_and_b64 vcc, exec, s[62:63]
	s_cbranch_vccz .LBB102_50
.LBB102_40:                             ;   in Loop: Header=BB102_22 Depth=1
	s_waitcnt vmcnt(0)
	v_pk_mov_b32 v[6:7], 0, 0
	s_mov_b64 s[0:1], exec
	v_readlane_b32 s6, v50, 36
	v_readlane_b32 s7, v50, 37
	s_and_b64 s[6:7], s[0:1], s[6:7]
	s_mov_b64 exec, s[6:7]
	s_cbranch_execz .LBB102_42
; %bb.41:                               ;   in Loop: Header=BB102_22 Depth=1
	global_load_dwordx2 v[6:7], v[18:19], off
.LBB102_42:                             ;   in Loop: Header=BB102_22 Depth=1
	s_or_b64 exec, exec, s[0:1]
	s_mov_b64 s[0:1], exec
	v_readlane_b32 s6, v50, 36
	v_readlane_b32 s7, v50, 37
	s_and_b64 s[6:7], s[0:1], s[6:7]
	s_mov_b64 exec, s[6:7]
	s_cbranch_execz .LBB102_47
; %bb.43:                               ;   in Loop: Header=BB102_22 Depth=1
	global_load_ushort v5, v3, s[64:65]
	s_mov_b64 s[8:9], 0
	v_mov_b32_e32 v2, v31
	v_pk_mov_b32 v[10:11], v[0:1], v[0:1] op_sel:[0,1]
	s_waitcnt vmcnt(0)
	v_and_b32_e32 v5, 0xffff, v5
	v_lshlrev_b32_e32 v14, 3, v5
	s_branch .LBB102_45
.LBB102_44:                             ;   in Loop: Header=BB102_45 Depth=2
	s_or_b64 exec, exec, s[10:11]
	s_and_b64 s[6:7], exec, vcc
	s_or_b64 s[8:9], s[6:7], s[8:9]
	ds_write_b64 v2, v[6:7]
	v_add_u32_e32 v2, v2, v14
	s_waitcnt vmcnt(0)
	v_pk_mov_b32 v[6:7], v[12:13], v[12:13] op_sel:[0,1]
	s_andn2_b64 exec, exec, s[8:9]
	s_cbranch_execz .LBB102_47
.LBB102_45:                             ;   Parent Loop BB102_22 Depth=1
                                        ; =>  This Inner Loop Header: Depth=2
	v_add_co_u32_e32 v10, vcc, v10, v5
	v_addc_co_u32_e32 v11, vcc, 0, v11, vcc
	v_cmp_gt_u64_e64 s[6:7], s[52:53], v[10:11]
	v_cmp_le_u64_e32 vcc, s[52:53], v[10:11]
	v_pk_mov_b32 v[12:13], 0, 0
	s_and_saveexec_b64 s[10:11], s[6:7]
	s_cbranch_execz .LBB102_44
; %bb.46:                               ;   in Loop: Header=BB102_45 Depth=2
	v_mul_lo_u32 v15, v11, s80
	v_mul_lo_u32 v16, v10, s81
	v_mad_u64_u32 v[12:13], s[6:7], v10, s80, 0
	v_add3_u32 v13, v13, v16, v15
	v_lshlrev_b64 v[12:13], 3, v[12:13]
	v_mov_b32_e32 v15, s26
	v_add_co_u32_e64 v12, s[6:7], s33, v12
	v_addc_co_u32_e64 v13, s[6:7], v15, v13, s[6:7]
	global_load_dwordx2 v[12:13], v[12:13], off
	s_branch .LBB102_44
.LBB102_47:                             ;   in Loop: Header=BB102_22 Depth=1
	s_or_b64 exec, exec, s[0:1]
	s_waitcnt lgkmcnt(0)
	s_barrier
	s_mov_b64 s[0:1], exec
	v_readlane_b32 s6, v50, 28
	v_readlane_b32 s7, v50, 29
	s_and_b64 s[6:7], s[0:1], s[6:7]
	s_mov_b64 exec, s[6:7]
	s_cbranch_execz .LBB102_49
; %bb.48:                               ;   in Loop: Header=BB102_22 Depth=1
	s_waitcnt vmcnt(0)
	v_pk_mov_b32 v[6:7], s[52:53], s[52:53] op_sel:[0,1]
	ds_write_b64 v3, v[6:7] offset:5120
.LBB102_49:                             ;   in Loop: Header=BB102_22 Depth=1
	s_or_b64 exec, exec, s[0:1]
	s_mov_b64 s[0:1], -1
	s_waitcnt lgkmcnt(0)
	s_barrier
                                        ; implicit-def: $sgpr62_sgpr63
.LBB102_50:                             ;   in Loop: Header=BB102_22 Depth=1
	s_and_b64 vcc, exec, s[0:1]
	s_cbranch_vccz .LBB102_52
; %bb.51:                               ;   in Loop: Header=BB102_22 Depth=1
	s_waitcnt vmcnt(0)
	ds_read_b64 v[6:7], v3 offset:5120
	s_waitcnt lgkmcnt(0)
	v_readfirstlane_b32 s62, v6
.LBB102_52:                             ;   in Loop: Header=BB102_22 Depth=1
	s_cmp_lt_i32 s62, 1
	s_cbranch_scc0 .LBB102_67
; %bb.53:                               ;   in Loop: Header=BB102_22 Depth=1
	global_load_ushort v5, v3, s[64:65]
	s_mov_b32 s0, s91
	s_waitcnt vmcnt(0)
	v_readfirstlane_b32 s1, v5
	s_and_b32 s1, 0xffff, s1
	s_lshl_b32 s54, s1, 2
	s_mov_b32 s1, s53
	s_cmp_lg_u64 s[0:1], 0
	s_cbranch_scc0 .LBB102_87
; %bb.54:                               ;   in Loop: Header=BB102_22 Depth=1
	v_cvt_f32_u32_e32 v2, s54
	s_sub_u32 s0, 0, s54
	s_subb_u32 s1, 0, 0
	v_mac_f32_e32 v2, 0, v38
	v_rcp_f32_e32 v2, v2
	v_mul_f32_e32 v2, 0x5f7ffffc, v2
	v_mul_f32_e32 v6, 0x2f800000, v2
	v_trunc_f32_e32 v6, v6
	v_mac_f32_e32 v2, 0xcf800000, v6
	v_cvt_u32_f32_e32 v6, v6
	v_cvt_u32_f32_e32 v2, v2
	v_readfirstlane_b32 s6, v6
	v_readfirstlane_b32 s7, v2
	s_mul_i32 s8, s0, s6
	s_mul_hi_u32 s10, s0, s7
	s_mul_i32 s9, s1, s7
	s_add_i32 s8, s10, s8
	s_mul_i32 s11, s0, s7
	s_add_i32 s8, s8, s9
	s_mul_hi_u32 s10, s7, s11
	s_mul_hi_u32 s9, s7, s8
	s_mul_i32 s7, s7, s8
	s_add_u32 s7, s10, s7
	s_addc_u32 s9, 0, s9
	s_mul_hi_u32 s12, s6, s11
	s_mul_i32 s11, s6, s11
	s_add_u32 s7, s7, s11
	s_mul_hi_u32 s10, s6, s8
	s_addc_u32 s7, s9, s12
	s_addc_u32 s9, s10, 0
	s_mul_i32 s8, s6, s8
	s_add_u32 s7, s7, s8
	s_addc_u32 s8, 0, s9
	v_add_co_u32_e32 v2, vcc, s7, v2
	s_cmp_lg_u64 vcc, 0
	s_addc_u32 s6, s6, s8
	v_readfirstlane_b32 s8, v2
	s_mul_i32 s7, s0, s6
	s_mul_hi_u32 s9, s0, s8
	s_add_i32 s7, s9, s7
	s_mul_i32 s1, s1, s8
	s_add_i32 s7, s7, s1
	s_mul_i32 s0, s0, s8
	s_mul_hi_u32 s9, s6, s0
	s_mul_i32 s10, s6, s0
	s_mul_i32 s12, s8, s7
	s_mul_hi_u32 s0, s8, s0
	s_mul_hi_u32 s11, s8, s7
	s_add_u32 s0, s0, s12
	s_addc_u32 s8, 0, s11
	s_add_u32 s0, s0, s10
	s_mul_hi_u32 s1, s6, s7
	s_addc_u32 s0, s8, s9
	s_addc_u32 s1, s1, 0
	s_mul_i32 s7, s6, s7
	s_add_u32 s0, s0, s7
	s_addc_u32 s1, 0, s1
	v_add_co_u32_e32 v2, vcc, s0, v2
	s_cmp_lg_u64 vcc, 0
	s_addc_u32 s0, s6, s1
	v_readfirstlane_b32 s7, v2
	s_mul_i32 s6, s52, s0
	s_mul_hi_u32 s8, s52, s7
	s_mul_hi_u32 s1, s52, s0
	s_add_u32 s6, s8, s6
	s_addc_u32 s1, 0, s1
	s_mul_hi_u32 s9, s53, s7
	s_mul_i32 s7, s53, s7
	s_add_u32 s6, s6, s7
	s_mul_hi_u32 s8, s53, s0
	s_addc_u32 s1, s1, s9
	s_addc_u32 s6, s8, 0
	s_mul_i32 s0, s53, s0
	s_add_u32 s0, s1, s0
	s_addc_u32 s1, 0, s6
	s_mul_hi_u32 s6, s54, s0
	s_mul_i32 s0, s54, s0
	s_mul_i32 s1, s54, s1
	v_mov_b32_e32 v2, s0
	s_add_i32 s6, s6, s1
	v_sub_co_u32_e32 v2, vcc, s52, v2
	s_cmp_lg_u64 vcc, 0
	s_subb_u32 s0, s53, s6
	v_subrev_co_u32_e32 v6, vcc, s54, v2
	s_cmp_lg_u64 vcc, 0
	s_subb_u32 s1, s0, 0
	v_subrev_co_u32_e32 v7, vcc, s54, v6
	s_cmp_lg_u64 vcc, 0
	s_subb_u32 s6, s1, 0
	v_cmp_le_u32_e32 vcc, s54, v6
	s_cmp_eq_u32 s1, 0
	v_cndmask_b32_e64 v10, 0, -1, vcc
	s_cselect_b64 vcc, -1, 0
	v_cndmask_b32_e32 v10, -1, v10, vcc
	v_mov_b32_e32 v11, s1
	v_mov_b32_e32 v12, s6
	v_cmp_ne_u32_e32 vcc, 0, v10
	v_cndmask_b32_e32 v10, v11, v12, vcc
	v_cndmask_b32_e32 v6, v6, v7, vcc
	v_cmp_le_u32_e32 vcc, s54, v2
	s_cmp_eq_u32 s0, 0
	v_cndmask_b32_e64 v7, 0, -1, vcc
	s_cselect_b64 vcc, -1, 0
	v_cndmask_b32_e32 v7, -1, v7, vcc
	v_mov_b32_e32 v11, s0
	v_cmp_ne_u32_e32 vcc, 0, v7
	v_cndmask_b32_e32 v7, v11, v10, vcc
	v_cndmask_b32_e32 v6, v2, v6, vcc
	s_cbranch_execnz .LBB102_56
.LBB102_55:                             ;   in Loop: Header=BB102_22 Depth=1
	v_cvt_f32_u32_e32 v2, s54
	s_sub_i32 s0, 0, s54
	v_rcp_iflag_f32_e32 v2, v2
	v_mul_f32_e32 v2, 0x4f7ffffe, v2
	v_cvt_u32_f32_e32 v2, v2
	v_mul_lo_u32 v6, s0, v2
	v_mul_hi_u32 v6, v2, v6
	v_add_u32_e32 v2, v2, v6
	v_mul_hi_u32 v2, s52, v2
	v_mul_lo_u32 v2, v2, s54
	v_sub_u32_e32 v2, s52, v2
	v_subrev_u32_e32 v6, s54, v2
	v_cmp_le_u32_e32 vcc, s54, v2
	v_cndmask_b32_e32 v2, v2, v6, vcc
	v_subrev_u32_e32 v6, s54, v2
	v_cmp_le_u32_e32 vcc, s54, v2
	v_cndmask_b32_e32 v2, v2, v6, vcc
	v_pk_mov_b32 v[6:7], v[2:3], v[2:3] op_sel:[0,1]
.LBB102_56:                             ;   in Loop: Header=BB102_22 Depth=1
	v_mov_b32_e32 v2, s53
	v_sub_co_u32_e32 v6, vcc, s52, v6
	v_subb_co_u32_e32 v7, vcc, v2, v7, vcc
	v_pk_mov_b32 v[10:11], 0, 0
	v_cmp_gt_u64_e32 vcc, v[6:7], v[20:21]
	s_mov_b64 s[76:77], 0
	v_pk_mov_b32 v[12:13], v[10:11], v[10:11] op_sel:[0,1]
	v_pk_mov_b32 v[14:15], v[10:11], v[10:11] op_sel:[0,1]
	;; [unrolled: 1-line block ×3, first 2 shown]
	s_and_saveexec_b64 s[50:51], vcc
	s_cbranch_execz .LBB102_60
; %bb.57:                               ;   in Loop: Header=BB102_22 Depth=1
	s_and_b32 s55, s94, 0xfe
	s_mov_b64 s[66:67], 0
	s_mov_b64 s[88:89], 0
	;; [unrolled: 1-line block ×4, first 2 shown]
	v_pk_mov_b32 v[24:25], v[20:21], v[20:21] op_sel:[0,1]
.LBB102_58:                             ;   Parent Loop BB102_22 Depth=1
                                        ; =>  This Inner Loop Header: Depth=2
	v_mul_lo_u32 v2, v25, s80
	v_mul_lo_u32 v12, v24, s81
	v_mad_u64_u32 v[10:11], s[6:7], v24, s80, 0
	v_add3_u32 v11, v11, v12, v2
	v_lshlrev_b64 v[10:11], 3, v[10:11]
	v_mov_b32_e32 v14, s26
	v_add_co_u32_e64 v10, s[6:7], s33, v10
	s_lshl_b64 s[10:11], s[80:81], 3
	v_addc_co_u32_e64 v11, s[6:7], v14, v11, s[6:7]
	v_mov_b32_e32 v2, s11
	v_add_co_u32_e64 v26, s[6:7], s10, v10
	v_addc_co_u32_e64 v27, s[6:7], v11, v2, s[6:7]
	global_load_dwordx2 v[10:11], v[10:11], off
	s_nop 0
	global_load_dwordx2 v[28:29], v[26:27], off
	v_add_co_u32_e64 v26, s[6:7], s10, v26
	v_addc_co_u32_e64 v27, s[6:7], v27, v2, s[6:7]
	global_load_dwordx2 v[40:41], v[26:27], off
	v_add_co_u32_e64 v26, s[6:7], s10, v26
	v_addc_co_u32_e64 v27, s[6:7], v27, v2, s[6:7]
	global_load_dwordx2 v[26:27], v[26:27], off
	v_mov_b32_e32 v17, v3
	v_mov_b32_e32 v15, v3
	;; [unrolled: 1-line block ×3, first 2 shown]
	v_add_co_u32_e32 v24, vcc, s54, v24
	v_addc_co_u32_e32 v25, vcc, 0, v25, vcc
	v_cmp_ge_u64_e32 vcc, v[24:25], v[6:7]
	s_waitcnt vmcnt(3)
	v_xor_b32_e32 v11, 0x80000000, v11
	v_and_b32_e32 v42, s72, v10
	s_waitcnt vmcnt(2)
	v_xor_b32_e32 v29, 0x80000000, v29
	v_and_b32_e32 v43, s73, v11
	v_lshrrev_b64 v[10:11], s55, v[10:11]
	v_and_b32_e32 v2, 3, v10
	v_lshrrev_b64 v[10:11], s55, v[28:29]
	v_and_b32_e32 v44, s72, v28
	s_waitcnt vmcnt(1)
	v_xor_b32_e32 v41, 0x80000000, v41
	v_cmp_eq_u64_e64 s[12:13], s[60:61], v[42:43]
	v_and_b32_e32 v45, s73, v29
	v_and_b32_e32 v16, 3, v10
	v_cmp_eq_u64_e64 s[6:7], 0, v[2:3]
	s_waitcnt vmcnt(0)
	v_xor_b32_e32 v27, 0x80000000, v27
	v_cmp_eq_u64_e64 s[10:11], s[60:61], v[44:45]
	v_lshrrev_b64 v[10:11], s55, v[40:41]
	v_cmp_eq_u64_e64 s[24:25], 0, v[16:17]
	s_and_b64 s[6:7], s[12:13], s[6:7]
	v_and_b32_e32 v42, s72, v40
	v_and_b32_e32 v43, s73, v41
	v_cmp_eq_u64_e64 s[28:29], 1, v[2:3]
	v_cmp_eq_u64_e64 s[30:31], 2, v[2:3]
	;; [unrolled: 1-line block ×3, first 2 shown]
	v_and_b32_e32 v14, 3, v10
	v_lshrrev_b64 v[10:11], s55, v[26:27]
	v_cndmask_b32_e64 v2, 0, 1, s[6:7]
	s_and_b64 s[24:25], s[10:11], s[24:25]
	v_and_b32_e32 v28, s72, v26
	v_cmp_eq_u64_e64 s[14:15], s[60:61], v[42:43]
	v_and_b32_e32 v29, s73, v27
	v_and_b32_e32 v12, 3, v10
	v_cmp_eq_u64_e64 s[6:7], 0, v[14:15]
	v_cmp_ne_u32_e64 s[42:43], 0, v2
	v_cndmask_b32_e64 v2, 0, 1, s[24:25]
	v_cmp_eq_u64_e64 s[18:19], s[60:61], v[28:29]
	v_cmp_eq_u64_e64 s[44:45], 0, v[12:13]
	s_bcnt1_i32_b64 s63, s[42:43]
	v_cmp_ne_u32_e64 s[42:43], 0, v2
	s_and_b64 s[6:7], s[14:15], s[6:7]
	v_cndmask_b32_e64 v2, 0, 1, s[6:7]
	s_bcnt1_i32_b64 s82, s[42:43]
	s_and_b64 s[42:43], s[18:19], s[44:45]
	v_cmp_ne_u32_e64 s[6:7], 0, v2
	v_cndmask_b32_e64 v2, 0, 1, s[42:43]
	s_bcnt1_i32_b64 s42, s[6:7]
	v_cmp_ne_u32_e64 s[6:7], 0, v2
	s_bcnt1_i32_b64 s6, s[6:7]
	s_add_u32 s0, s63, s0
	s_addc_u32 s1, 0, s1
	s_add_u32 s0, s0, s82
	s_addc_u32 s1, s1, 0
	s_add_u32 s0, s0, s42
	s_addc_u32 s1, s1, 0
	s_add_u32 s0, s0, s6
	v_cmp_eq_u64_e64 s[34:35], 1, v[16:17]
	s_addc_u32 s1, s1, 0
	s_and_b64 s[6:7], s[12:13], s[28:29]
	v_cmp_eq_u64_e64 s[38:39], 1, v[14:15]
	v_cndmask_b32_e64 v2, 0, 1, s[6:7]
	s_and_b64 s[6:7], s[10:11], s[34:35]
	v_cmp_eq_u64_e64 s[46:47], 1, v[12:13]
	v_cmp_eq_u64_e64 s[48:49], 2, v[12:13]
	v_cmp_eq_u64_e64 s[24:25], 3, v[12:13]
	v_cndmask_b32_e64 v12, 0, 1, s[6:7]
	s_and_b64 s[6:7], s[14:15], s[38:39]
	v_cndmask_b32_e64 v13, 0, 1, s[6:7]
	s_and_b64 s[6:7], s[18:19], s[46:47]
	v_cmp_eq_u64_e64 s[40:41], 2, v[14:15]
	v_cmp_eq_u64_e64 s[22:23], 3, v[14:15]
	v_cndmask_b32_e64 v14, 0, 1, s[6:7]
	v_cmp_ne_u32_e64 s[6:7], 0, v2
	v_cmp_ne_u32_e64 s[28:29], 0, v12
	;; [unrolled: 1-line block ×4, first 2 shown]
	s_bcnt1_i32_b64 s6, s[6:7]
	s_bcnt1_i32_b64 s7, s[28:29]
	;; [unrolled: 1-line block ×4, first 2 shown]
	s_add_u32 s6, s6, s8
	s_addc_u32 s8, 0, s9
	s_add_u32 s6, s6, s7
	s_addc_u32 s7, s8, 0
	;; [unrolled: 2-line block ×3, first 2 shown]
	s_add_u32 s8, s6, s29
	v_cmp_eq_u64_e64 s[36:37], 2, v[16:17]
	s_addc_u32 s9, s7, 0
	s_and_b64 s[6:7], s[12:13], s[30:31]
	v_cndmask_b32_e64 v2, 0, 1, s[6:7]
	s_and_b64 s[6:7], s[10:11], s[36:37]
	v_cndmask_b32_e64 v14, 0, 1, s[6:7]
	;; [unrolled: 2-line block ×3, first 2 shown]
	s_and_b64 s[6:7], s[18:19], s[48:49]
	v_cmp_eq_u64_e64 s[20:21], 3, v[16:17]
	v_cndmask_b32_e64 v16, 0, 1, s[6:7]
	v_cmp_ne_u32_e64 s[6:7], 0, v2
	v_cmp_ne_u32_e64 s[28:29], 0, v14
	;; [unrolled: 1-line block ×4, first 2 shown]
	s_bcnt1_i32_b64 s6, s[6:7]
	s_bcnt1_i32_b64 s7, s[28:29]
	;; [unrolled: 1-line block ×4, first 2 shown]
	s_add_u32 s6, s6, s88
	s_addc_u32 s30, 0, s89
	s_add_u32 s6, s6, s7
	s_addc_u32 s7, s30, 0
	;; [unrolled: 2-line block ×4, first 2 shown]
	s_and_b64 s[6:7], s[12:13], s[16:17]
	v_cndmask_b32_e64 v2, 0, 1, s[6:7]
	s_and_b64 s[6:7], s[10:11], s[20:21]
	v_cndmask_b32_e64 v16, 0, 1, s[6:7]
	;; [unrolled: 2-line block ×4, first 2 shown]
	v_cmp_ne_u32_e64 s[6:7], 0, v2
	v_cmp_ne_u32_e64 s[10:11], 0, v16
	;; [unrolled: 1-line block ×4, first 2 shown]
	s_bcnt1_i32_b64 s6, s[6:7]
	s_bcnt1_i32_b64 s7, s[10:11]
	;; [unrolled: 1-line block ×4, first 2 shown]
	s_add_u32 s6, s6, s66
	s_addc_u32 s12, 0, s67
	s_add_u32 s6, s6, s7
	s_addc_u32 s7, s12, 0
	;; [unrolled: 2-line block ×4, first 2 shown]
	v_pk_mov_b32 v[10:11], s[0:1], s[0:1] op_sel:[0,1]
	v_pk_mov_b32 v[12:13], s[8:9], s[8:9] op_sel:[0,1]
	;; [unrolled: 1-line block ×3, first 2 shown]
	s_or_b64 s[76:77], vcc, s[76:77]
	v_pk_mov_b32 v[16:17], s[66:67], s[66:67] op_sel:[0,1]
	s_andn2_b64 exec, exec, s[76:77]
	s_cbranch_execnz .LBB102_58
; %bb.59:                               ;   in Loop: Header=BB102_22 Depth=1
	s_or_b64 exec, exec, s[76:77]
	v_readlane_b32 s88, v50, 51
	v_readlane_b32 s89, v50, 52
.LBB102_60:                             ;   in Loop: Header=BB102_22 Depth=1
	s_or_b64 exec, exec, s[50:51]
	v_add_co_u32_e32 v6, vcc, v6, v0
	v_addc_co_u32_e32 v7, vcc, 0, v7, vcc
	v_cmp_gt_u64_e32 vcc, s[52:53], v[6:7]
	v_pk_mov_b32 v[24:25], 0, 0
	s_and_saveexec_b64 s[0:1], vcc
	s_cbranch_execz .LBB102_62
; %bb.61:                               ;   in Loop: Header=BB102_22 Depth=1
	v_mul_lo_u32 v2, v7, s80
	v_mul_lo_u32 v26, v6, s81
	v_mad_u64_u32 v[24:25], s[6:7], v6, s80, 0
	v_add3_u32 v25, v25, v26, v2
	v_lshlrev_b64 v[24:25], 3, v[24:25]
	v_mov_b32_e32 v2, s26
	v_add_co_u32_e64 v24, s[6:7], s33, v24
	v_addc_co_u32_e64 v25, s[6:7], v2, v25, s[6:7]
	global_load_dwordx2 v[24:25], v[24:25], off
.LBB102_62:                             ;   in Loop: Header=BB102_22 Depth=1
	s_or_b64 exec, exec, s[0:1]
	s_and_saveexec_b64 s[0:1], vcc
	s_cbranch_execz .LBB102_69
; %bb.63:                               ;   in Loop: Header=BB102_22 Depth=1
	s_and_b32 s12, s94, 0xfe
	s_mov_b64 s[8:9], 0
	s_branch .LBB102_65
.LBB102_64:                             ;   in Loop: Header=BB102_65 Depth=2
	s_or_b64 exec, exec, s[10:11]
	s_waitcnt vmcnt(0)
	v_xor_b32_e32 v25, 0x80000000, v25
	v_and_b32_e32 v29, s73, v25
	v_and_b32_e32 v28, s72, v24
	v_lshrrev_b64 v[24:25], s12, v[24:25]
	s_and_b64 s[6:7], exec, vcc
	v_and_b32_e32 v2, 3, v24
	s_or_b64 s[8:9], s[6:7], s[8:9]
	v_cmp_eq_u64_e32 vcc, s[60:61], v[28:29]
	v_cmp_eq_u64_e64 s[6:7], 0, v[2:3]
	s_and_b64 s[6:7], vcc, s[6:7]
	v_cndmask_b32_e64 v24, 0, 1, s[6:7]
	v_cmp_ne_u32_e64 s[6:7], 0, v24
	s_bcnt1_i32_b64 s6, s[6:7]
	v_add_co_u32_e64 v10, s[6:7], s6, v10
	v_addc_co_u32_e64 v11, s[6:7], 0, v11, s[6:7]
	v_cmp_eq_u64_e64 s[6:7], 1, v[2:3]
	s_and_b64 s[6:7], vcc, s[6:7]
	v_cndmask_b32_e64 v24, 0, 1, s[6:7]
	v_cmp_ne_u32_e64 s[6:7], 0, v24
	s_bcnt1_i32_b64 s6, s[6:7]
	v_add_co_u32_e64 v12, s[6:7], s6, v12
	v_addc_co_u32_e64 v13, s[6:7], 0, v13, s[6:7]
	;; [unrolled: 7-line block ×3, first 2 shown]
	v_cmp_eq_u64_e64 s[6:7], 3, v[2:3]
	s_and_b64 s[6:7], vcc, s[6:7]
	v_cndmask_b32_e64 v2, 0, 1, s[6:7]
	v_cmp_ne_u32_e32 vcc, 0, v2
	s_bcnt1_i32_b64 s6, vcc
	v_add_co_u32_e32 v16, vcc, s6, v16
	v_addc_co_u32_e32 v17, vcc, 0, v17, vcc
	v_pk_mov_b32 v[24:25], v[26:27], v[26:27] op_sel:[0,1]
	s_andn2_b64 exec, exec, s[8:9]
	s_cbranch_execz .LBB102_68
.LBB102_65:                             ;   Parent Loop BB102_22 Depth=1
                                        ; =>  This Inner Loop Header: Depth=2
	v_add_co_u32_sdwa v6, vcc, v6, v5 dst_sel:DWORD dst_unused:UNUSED_PAD src0_sel:DWORD src1_sel:WORD_0
	v_addc_co_u32_e32 v7, vcc, 0, v7, vcc
	v_cmp_gt_u64_e64 s[6:7], s[52:53], v[6:7]
	v_cmp_le_u64_e32 vcc, s[52:53], v[6:7]
	v_pk_mov_b32 v[26:27], 0, 0
	s_and_saveexec_b64 s[10:11], s[6:7]
	s_cbranch_execz .LBB102_64
; %bb.66:                               ;   in Loop: Header=BB102_65 Depth=2
	v_mul_lo_u32 v2, v7, s80
	v_mul_lo_u32 v28, v6, s81
	v_mad_u64_u32 v[26:27], s[6:7], v6, s80, 0
	v_add3_u32 v27, v27, v28, v2
	v_lshlrev_b64 v[26:27], 3, v[26:27]
	v_mov_b32_e32 v2, s26
	v_add_co_u32_e64 v26, s[6:7], s33, v26
	v_addc_co_u32_e64 v27, s[6:7], v2, v27, s[6:7]
	global_load_dwordx2 v[26:27], v[26:27], off
	s_branch .LBB102_64
.LBB102_67:                             ;   in Loop: Header=BB102_22 Depth=1
                                        ; implicit-def: $vgpr16_vgpr17
                                        ; implicit-def: $vgpr12_vgpr13
	s_cbranch_execnz .LBB102_70
	s_branch .LBB102_79
.LBB102_68:                             ;   in Loop: Header=BB102_22 Depth=1
	s_or_b64 exec, exec, s[8:9]
.LBB102_69:                             ;   in Loop: Header=BB102_22 Depth=1
	s_or_b64 exec, exec, s[0:1]
	s_branch .LBB102_79
.LBB102_70:                             ;   in Loop: Header=BB102_22 Depth=1
	global_load_ushort v2, v3, s[64:65]
	v_pk_mov_b32 v[10:11], 0, 0
	s_mov_b64 s[66:67], 0
	v_pk_mov_b32 v[12:13], v[10:11], v[10:11] op_sel:[0,1]
	v_pk_mov_b32 v[14:15], v[10:11], v[10:11] op_sel:[0,1]
	;; [unrolled: 1-line block ×3, first 2 shown]
	s_waitcnt vmcnt(0)
	v_readfirstlane_b32 s0, v2
	s_and_b32 s0, 0xffff, s0
	s_lshl_b32 s63, s0, 2
	v_cvt_f32_u32_e32 v5, s63
	s_sub_i32 s0, 0, s63
	v_rcp_iflag_f32_e32 v5, v5
	v_mul_f32_e32 v5, 0x4f7ffffe, v5
	v_cvt_u32_f32_e32 v6, v5
	v_and_b32_e32 v5, 0xffff, v2
	v_readfirstlane_b32 s1, v6
	s_mul_i32 s0, s0, s1
	s_mul_hi_u32 s0, s1, s0
	s_add_i32 s1, s1, s0
	s_mul_hi_u32 s0, s62, s1
	s_mul_i32 s0, s0, s63
	s_sub_i32 s0, s62, s0
	s_sub_i32 s1, s0, s63
	s_cmp_ge_u32 s0, s63
	s_cselect_b32 s0, s1, s0
	s_sub_i32 s1, s0, s63
	s_cmp_ge_u32 s0, s63
	s_cselect_b32 s0, s1, s0
	s_sub_i32 s90, s62, s0
	v_cmp_gt_u32_e32 vcc, s90, v20
	s_and_saveexec_b64 s[0:1], vcc
	s_cbranch_execz .LBB102_74
; %bb.71:                               ;   in Loop: Header=BB102_22 Depth=1
	s_and_b32 s82, s94, 0xfe
	v_lshlrev_b32_e32 v39, 5, v5
	v_mov_b32_e32 v40, v36
	s_mov_b64 s[8:9], 0
	s_mov_b64 s[76:77], 0
	;; [unrolled: 1-line block ×4, first 2 shown]
	v_pk_mov_b32 v[6:7], v[20:21], v[20:21] op_sel:[0,1]
.LBB102_72:                             ;   Parent Loop BB102_22 Depth=1
                                        ; =>  This Inner Loop Header: Depth=2
	ds_read_b128 v[14:17], v40
	ds_read_b128 v[10:13], v40 offset:16
	v_mov_b32_e32 v25, v3
	v_mov_b32_e32 v27, v3
	;; [unrolled: 1-line block ×3, first 2 shown]
	s_waitcnt lgkmcnt(1)
	v_xor_b32_e32 v15, 0x80000000, v15
	v_xor_b32_e32 v17, 0x80000000, v17
	v_and_b32_e32 v42, s72, v14
	v_and_b32_e32 v43, s73, v15
	v_lshrrev_b64 v[14:15], s82, v[14:15]
	s_waitcnt lgkmcnt(0)
	v_xor_b32_e32 v11, 0x80000000, v11
	v_and_b32_e32 v44, s72, v16
	v_and_b32_e32 v45, s73, v17
	v_lshrrev_b64 v[16:17], s82, v[16:17]
	v_and_b32_e32 v2, 3, v14
	v_xor_b32_e32 v13, 0x80000000, v13
	v_and_b32_e32 v46, s72, v10
	v_and_b32_e32 v47, s73, v11
	v_lshrrev_b64 v[10:11], s82, v[10:11]
	v_cmp_eq_u64_e64 s[16:17], s[60:61], v[42:43]
	v_and_b32_e32 v24, 3, v16
	v_cmp_eq_u64_e64 s[6:7], 0, v[2:3]
	v_and_b32_e32 v48, s72, v12
	v_and_b32_e32 v49, s73, v13
	v_lshrrev_b64 v[12:13], s82, v[12:13]
	v_cmp_eq_u64_e64 s[14:15], s[60:61], v[44:45]
	v_and_b32_e32 v26, 3, v10
	v_cmp_eq_u64_e64 s[28:29], 0, v[24:25]
	s_and_b64 s[6:7], s[16:17], s[6:7]
	v_cmp_eq_u64_e64 s[12:13], s[60:61], v[46:47]
	v_and_b32_e32 v28, 3, v12
	v_cmp_eq_u64_e64 s[30:31], 0, v[26:27]
	v_cmp_eq_u64_e64 s[36:37], 1, v[2:3]
	;; [unrolled: 1-line block ×4, first 2 shown]
	v_cndmask_b32_e64 v2, 0, 1, s[6:7]
	s_and_b64 s[6:7], s[14:15], s[28:29]
	v_cmp_eq_u64_e64 s[10:11], s[60:61], v[48:49]
	v_cmp_eq_u64_e64 s[34:35], 0, v[28:29]
	v_cndmask_b32_e64 v10, 0, 1, s[6:7]
	s_and_b64 s[6:7], s[12:13], s[30:31]
	v_cndmask_b32_e64 v11, 0, 1, s[6:7]
	s_and_b64 s[6:7], s[10:11], s[34:35]
	v_cndmask_b32_e64 v12, 0, 1, s[6:7]
	v_cmp_ne_u32_e64 s[6:7], 0, v2
	v_cmp_ne_u32_e64 s[28:29], 0, v10
	v_cmp_ne_u32_e64 s[30:31], 0, v11
	v_cmp_ne_u32_e64 s[34:35], 0, v12
	s_bcnt1_i32_b64 s6, s[6:7]
	s_bcnt1_i32_b64 s7, s[28:29]
	s_bcnt1_i32_b64 s28, s[30:31]
	s_bcnt1_i32_b64 s29, s[34:35]
	s_add_u32 s6, s6, s54
	s_addc_u32 s30, 0, s55
	s_add_u32 s6, s6, s7
	s_addc_u32 s7, s30, 0
	s_add_u32 s6, s6, s28
	s_addc_u32 s7, s7, 0
	s_add_u32 s54, s6, s29
	v_cmp_eq_u64_e64 s[38:39], 1, v[24:25]
	s_addc_u32 s55, s7, 0
	s_and_b64 s[6:7], s[16:17], s[36:37]
	v_cmp_eq_u64_e64 s[40:41], 1, v[26:27]
	v_cndmask_b32_e64 v2, 0, 1, s[6:7]
	s_and_b64 s[6:7], s[14:15], s[38:39]
	v_cmp_eq_u64_e64 s[42:43], 1, v[28:29]
	v_cndmask_b32_e64 v12, 0, 1, s[6:7]
	s_and_b64 s[6:7], s[12:13], s[40:41]
	v_cndmask_b32_e64 v13, 0, 1, s[6:7]
	s_and_b64 s[6:7], s[10:11], s[42:43]
	v_cndmask_b32_e64 v14, 0, 1, s[6:7]
	v_cmp_ne_u32_e64 s[6:7], 0, v2
	v_cmp_ne_u32_e64 s[28:29], 0, v12
	v_cmp_ne_u32_e64 s[30:31], 0, v13
	v_cmp_ne_u32_e64 s[34:35], 0, v14
	s_bcnt1_i32_b64 s6, s[6:7]
	s_bcnt1_i32_b64 s7, s[28:29]
	s_bcnt1_i32_b64 s28, s[30:31]
	s_bcnt1_i32_b64 s29, s[34:35]
	s_add_u32 s6, s6, s88
	s_addc_u32 s30, 0, s89
	s_add_u32 s6, s6, s7
	s_addc_u32 s7, s30, 0
	s_add_u32 s6, s6, s28
	s_addc_u32 s7, s7, 0
	s_add_u32 s88, s6, s29
	v_cmp_eq_u64_e64 s[46:47], 2, v[24:25]
	s_addc_u32 s89, s7, 0
	s_and_b64 s[6:7], s[16:17], s[44:45]
	v_cmp_eq_u64_e64 s[48:49], 2, v[26:27]
	v_cndmask_b32_e64 v2, 0, 1, s[6:7]
	s_and_b64 s[6:7], s[14:15], s[46:47]
	;; [unrolled: 27-line block ×3, first 2 shown]
	v_cmp_eq_u64_e64 s[18:19], 3, v[28:29]
	v_cndmask_b32_e64 v16, 0, 1, s[6:7]
	s_and_b64 s[6:7], s[12:13], s[20:21]
	v_cndmask_b32_e64 v17, 0, 1, s[6:7]
	s_and_b64 s[6:7], s[10:11], s[18:19]
	v_cndmask_b32_e64 v24, 0, 1, s[6:7]
	v_cmp_ne_u32_e64 s[6:7], 0, v2
	v_cmp_ne_u32_e64 s[10:11], 0, v16
	;; [unrolled: 1-line block ×4, first 2 shown]
	s_bcnt1_i32_b64 s6, s[6:7]
	s_bcnt1_i32_b64 s7, s[10:11]
	;; [unrolled: 1-line block ×4, first 2 shown]
	s_add_u32 s6, s6, s8
	s_addc_u32 s8, 0, s9
	s_add_u32 s6, s6, s7
	s_addc_u32 s7, s8, 0
	s_add_u32 s6, s6, s10
	v_add_co_u32_e32 v6, vcc, s63, v6
	s_addc_u32 s7, s7, 0
	v_addc_co_u32_e32 v7, vcc, 0, v7, vcc
	s_add_u32 s8, s6, s11
	v_cmp_le_u64_e32 vcc, s[90:91], v[6:7]
	s_addc_u32 s9, s7, 0
	v_add_u32_e32 v40, v40, v39
	v_pk_mov_b32 v[10:11], s[54:55], s[54:55] op_sel:[0,1]
	v_pk_mov_b32 v[12:13], s[88:89], s[88:89] op_sel:[0,1]
	;; [unrolled: 1-line block ×3, first 2 shown]
	s_or_b64 s[66:67], vcc, s[66:67]
	v_pk_mov_b32 v[16:17], s[8:9], s[8:9] op_sel:[0,1]
	s_andn2_b64 exec, exec, s[66:67]
	s_cbranch_execnz .LBB102_72
; %bb.73:                               ;   in Loop: Header=BB102_22 Depth=1
	s_or_b64 exec, exec, s[66:67]
	v_readlane_b32 s88, v50, 51
	v_readlane_b32 s89, v50, 52
.LBB102_74:                             ;   in Loop: Header=BB102_22 Depth=1
	s_or_b64 exec, exec, s[0:1]
	v_add_u32_e32 v2, s90, v0
	v_cmp_gt_u32_e32 vcc, s62, v2
	s_and_saveexec_b64 s[0:1], vcc
	s_cbranch_execz .LBB102_78
; %bb.75:                               ;   in Loop: Header=BB102_22 Depth=1
	s_and_b32 s90, s62, 0x7fffffff
	s_and_b32 s18, s94, 0xfe
	v_lshlrev_b32_e32 v24, 3, v2
	v_lshlrev_b32_e32 v25, 3, v5
	s_mov_b64 s[8:9], 0
	v_pk_mov_b32 v[6:7], v[2:3], v[2:3] op_sel:[0,1]
.LBB102_76:                             ;   Parent Loop BB102_22 Depth=1
                                        ; =>  This Inner Loop Header: Depth=2
	ds_read_b64 v[26:27], v24
	v_add_co_u32_e32 v6, vcc, v6, v5
	v_addc_co_u32_e32 v7, vcc, 0, v7, vcc
	s_waitcnt lgkmcnt(0)
	v_xor_b32_e32 v27, 0x80000000, v27
	v_and_b32_e32 v28, s72, v26
	v_and_b32_e32 v29, s73, v27
	v_lshrrev_b64 v[26:27], s18, v[26:27]
	v_and_b32_e32 v2, 3, v26
	v_cmp_eq_u64_e64 s[6:7], s[60:61], v[28:29]
	v_cmp_eq_u64_e64 s[10:11], 0, v[2:3]
	;; [unrolled: 1-line block ×3, first 2 shown]
	s_and_b64 s[10:11], s[6:7], s[10:11]
	v_cmp_eq_u64_e64 s[14:15], 2, v[2:3]
	v_cmp_eq_u64_e64 s[16:17], 3, v[2:3]
	v_cndmask_b32_e64 v2, 0, 1, s[10:11]
	s_and_b64 s[10:11], s[6:7], s[12:13]
	v_cndmask_b32_e64 v26, 0, 1, s[10:11]
	s_and_b64 s[10:11], s[6:7], s[14:15]
	s_and_b64 s[6:7], s[6:7], s[16:17]
	v_cndmask_b32_e64 v27, 0, 1, s[10:11]
	v_cndmask_b32_e64 v28, 0, 1, s[6:7]
	v_cmp_ne_u32_e64 s[6:7], 0, v2
	v_cmp_ne_u32_e64 s[10:11], 0, v26
	;; [unrolled: 1-line block ×4, first 2 shown]
	v_cmp_le_u64_e32 vcc, s[90:91], v[6:7]
	s_bcnt1_i32_b64 s6, s[6:7]
	s_bcnt1_i32_b64 s7, s[10:11]
	s_bcnt1_i32_b64 s10, s[12:13]
	s_bcnt1_i32_b64 s11, s[14:15]
	s_or_b64 s[8:9], vcc, s[8:9]
	v_add_co_u32_e32 v10, vcc, s6, v10
	v_addc_co_u32_e32 v11, vcc, 0, v11, vcc
	v_add_co_u32_e32 v12, vcc, s7, v12
	v_addc_co_u32_e32 v13, vcc, 0, v13, vcc
	;; [unrolled: 2-line block ×3, first 2 shown]
	v_add_co_u32_e32 v16, vcc, s11, v16
	v_add_u32_e32 v24, v24, v25
	v_addc_co_u32_e32 v17, vcc, 0, v17, vcc
	s_andn2_b64 exec, exec, s[8:9]
	s_cbranch_execnz .LBB102_76
; %bb.77:                               ;   in Loop: Header=BB102_22 Depth=1
	s_or_b64 exec, exec, s[8:9]
.LBB102_78:                             ;   in Loop: Header=BB102_22 Depth=1
	s_or_b64 exec, exec, s[0:1]
.LBB102_79:                             ;   in Loop: Header=BB102_22 Depth=1
	s_lshl_b32 s6, s95, 6
	s_and_saveexec_b64 s[0:1], s[4:5]
	s_cbranch_execz .LBB102_81
; %bb.80:                               ;   in Loop: Header=BB102_22 Depth=1
	v_or_b32_e32 v2, s6, v34
	v_lshlrev_b32_e32 v2, 3, v2
	ds_write_b128 v2, v[10:13] offset:3072
	ds_write_b128 v2, v[14:17] offset:3088
.LBB102_81:                             ;   in Loop: Header=BB102_22 Depth=1
	s_or_b64 exec, exec, s[0:1]
	s_waitcnt lgkmcnt(0)
	s_barrier
	s_and_saveexec_b64 s[0:1], s[88:89]
	s_cbranch_execz .LBB102_93
; %bb.82:                               ;   in Loop: Header=BB102_22 Depth=1
	v_readlane_b32 s8, v50, 42
	v_readlane_b32 s9, v50, 43
	s_andn2_b64 vcc, exec, s[8:9]
	s_waitcnt vmcnt(0)
	v_pk_mov_b32 v[6:7], 0, 0
	s_cbranch_vccnz .LBB102_92
; %bb.83:                               ;   in Loop: Header=BB102_22 Depth=1
	v_readlane_b32 s8, v50, 46
	v_readlane_b32 s9, v50, 47
	s_andn2_b64 vcc, exec, s[8:9]
	s_cbranch_vccnz .LBB102_88
; %bb.84:                               ;   in Loop: Header=BB102_22 Depth=1
	v_lshl_add_u32 v2, s95, 9, v37
	s_mov_b32 s7, 0
	v_pk_mov_b32 v[6:7], 0, 0
.LBB102_85:                             ;   Parent Loop BB102_22 Depth=1
                                        ; =>  This Inner Loop Header: Depth=2
	ds_read2_b64 v[10:13], v2 offset1:4
	ds_read2_b64 v[14:17], v2 offset0:8 offset1:12
	ds_read2_b64 v[24:27], v2 offset0:16 offset1:20
	;; [unrolled: 1-line block ×3, first 2 shown]
	s_add_i32 s7, s7, 8
	s_waitcnt lgkmcnt(3)
	v_add_co_u32_e32 v5, vcc, v10, v6
	v_addc_co_u32_e32 v6, vcc, v11, v7, vcc
	v_add_co_u32_e32 v5, vcc, v12, v5
	v_addc_co_u32_e32 v6, vcc, v13, v6, vcc
	s_waitcnt lgkmcnt(2)
	v_add_co_u32_e32 v5, vcc, v14, v5
	v_addc_co_u32_e32 v6, vcc, v15, v6, vcc
	v_add_co_u32_e32 v5, vcc, v16, v5
	v_addc_co_u32_e32 v6, vcc, v17, v6, vcc
	;; [unrolled: 5-line block ×3, first 2 shown]
	s_waitcnt lgkmcnt(0)
	v_add_co_u32_e32 v5, vcc, v40, v5
	v_addc_co_u32_e32 v7, vcc, v41, v6, vcc
	v_add_co_u32_e32 v6, vcc, v42, v5
	v_add_u32_e32 v2, 0x100, v2
	s_cmp_eq_u32 s2, s7
	v_addc_co_u32_e32 v7, vcc, v43, v7, vcc
	s_cbranch_scc0 .LBB102_85
; %bb.86:                               ;   in Loop: Header=BB102_22 Depth=1
	s_mov_b32 s7, s2
	s_branch .LBB102_89
.LBB102_87:                             ;   in Loop: Header=BB102_22 Depth=1
                                        ; implicit-def: $vgpr6_vgpr7
	s_branch .LBB102_55
.LBB102_88:                             ;   in Loop: Header=BB102_22 Depth=1
	s_mov_b32 s7, 0
	v_pk_mov_b32 v[6:7], 0, 0
.LBB102_89:                             ;   in Loop: Header=BB102_22 Depth=1
	v_readlane_b32 s8, v50, 49
	v_readlane_b32 s9, v50, 50
	s_andn2_b64 vcc, exec, s[8:9]
	s_cbranch_vccnz .LBB102_92
; %bb.90:                               ;   in Loop: Header=BB102_22 Depth=1
	s_lshl_b32 s8, s95, 9
	s_lshl_b32 s7, s7, 5
	s_add_i32 s8, s8, s7
	v_add_u32_e32 v2, s8, v37
	v_readlane_b32 s7, v50, 48
.LBB102_91:                             ;   Parent Loop BB102_22 Depth=1
                                        ; =>  This Inner Loop Header: Depth=2
	ds_read_b64 v[10:11], v2
	s_add_i32 s7, s7, -1
	v_add_u32_e32 v2, 32, v2
	s_cmp_lg_u32 s7, 0
	s_waitcnt lgkmcnt(0)
	v_add_co_u32_e32 v6, vcc, v10, v6
	v_addc_co_u32_e32 v7, vcc, v11, v7, vcc
	s_cbranch_scc1 .LBB102_91
.LBB102_92:                             ;   in Loop: Header=BB102_22 Depth=1
	v_add_lshl_u32 v2, s6, v30, 3
	ds_write_b64 v2, v[6:7] offset:3072
.LBB102_93:                             ;   in Loop: Header=BB102_22 Depth=1
	s_or_b64 exec, exec, s[0:1]
	s_lshl_b32 s0, s6, 3
	v_mov_b32_e32 v2, s0
	s_waitcnt lgkmcnt(0)
	s_barrier
	ds_read_b128 v[10:13], v2 offset:3072
	ds_read_b128 v[14:17], v2 offset:3088
	s_and_b32 s44, s94, 0xfe
	s_lshl_b64 s[12:13], 3, s44
	s_not_b64 s[20:21], s[12:13]
	s_waitcnt lgkmcnt(1)
	v_readfirstlane_b32 s17, v11
	v_readfirstlane_b32 s16, v10
	s_cmp_eq_u64 s[16:17], 1
	s_cselect_b64 s[0:1], -1, 0
	s_cmp_eq_u64 s[92:93], 1
	s_cselect_b64 s[6:7], -1, 0
	s_and_b64 s[24:25], s[0:1], s[6:7]
	v_readfirstlane_b32 s34, v12
	v_readfirstlane_b32 s35, v13
	s_waitcnt lgkmcnt(0)
	v_readfirstlane_b32 s18, v14
	v_readfirstlane_b32 s19, v15
	v_readfirstlane_b32 s10, v16
	v_readfirstlane_b32 s11, v17
	s_mov_b64 s[22:23], -1
	s_and_b64 vcc, exec, s[24:25]
	s_cbranch_vccz .LBB102_108
; %bb.94:                               ;   in Loop: Header=BB102_22 Depth=1
	s_waitcnt vmcnt(0)
	ds_read_b64 v[6:7], v3 offset:5120
	s_waitcnt lgkmcnt(0)
	s_barrier
	v_readfirstlane_b32 s0, v6
	v_readfirstlane_b32 s1, v7
	s_mov_b64 s[6:7], exec
	v_readlane_b32 s8, v50, 38
	v_readlane_b32 s9, v50, 39
	s_and_b64 s[8:9], s[6:7], s[8:9]
	s_mov_b64 exec, s[8:9]
	s_cbranch_execz .LBB102_96
; %bb.95:                               ;   in Loop: Header=BB102_22 Depth=1
	v_mov_b32_e32 v2, v3
	ds_write_b64 v32, v[2:3]
.LBB102_96:                             ;   in Loop: Header=BB102_22 Depth=1
	s_or_b64 exec, exec, s[6:7]
	s_and_b64 s[60:61], s[60:61], s[20:21]
	s_or_b64 s[72:73], s[72:73], s[12:13]
	s_cmp_eq_u64 s[0:1], 0
	s_waitcnt lgkmcnt(0)
	s_barrier
	s_cbranch_scc1 .LBB102_109
; %bb.97:                               ;   in Loop: Header=BB102_22 Depth=1
	v_readlane_b32 s6, v50, 44
	s_add_u32 s14, s6, s0
	v_readlane_b32 s6, v50, 45
	s_addc_u32 s7, s6, s1
	s_mov_b32 s6, s91
	s_cmp_lg_u64 s[6:7], 0
	s_cbranch_scc0 .LBB102_154
; %bb.98:                               ;   in Loop: Header=BB102_22 Depth=1
	v_cvt_f32_u32_e32 v2, s84
	s_sub_u32 s6, 0, s84
	s_subb_u32 s8, 0, 0
	v_mac_f32_e32 v2, 0, v38
	v_rcp_f32_e32 v2, v2
	v_mul_f32_e32 v2, 0x5f7ffffc, v2
	v_mul_f32_e32 v5, 0x2f800000, v2
	v_trunc_f32_e32 v5, v5
	v_mac_f32_e32 v2, 0xcf800000, v5
	v_cvt_u32_f32_e32 v5, v5
	v_cvt_u32_f32_e32 v2, v2
	v_readfirstlane_b32 s9, v5
	v_readfirstlane_b32 s15, v2
	s_mul_i32 s28, s6, s9
	s_mul_hi_u32 s30, s6, s15
	s_mul_i32 s29, s8, s15
	s_add_i32 s28, s30, s28
	s_mul_i32 s31, s6, s15
	s_add_i32 s28, s28, s29
	s_mul_hi_u32 s30, s15, s31
	s_mul_hi_u32 s29, s15, s28
	s_mul_i32 s15, s15, s28
	s_add_u32 s15, s30, s15
	s_addc_u32 s29, 0, s29
	s_mul_hi_u32 s36, s9, s31
	s_mul_i32 s31, s9, s31
	s_add_u32 s15, s15, s31
	s_mul_hi_u32 s30, s9, s28
	s_addc_u32 s15, s29, s36
	s_addc_u32 s29, s30, 0
	s_mul_i32 s28, s9, s28
	s_add_u32 s15, s15, s28
	s_addc_u32 s28, 0, s29
	v_add_co_u32_e32 v2, vcc, s15, v2
	s_cmp_lg_u64 vcc, 0
	s_addc_u32 s9, s9, s28
	v_readfirstlane_b32 s28, v2
	s_mul_i32 s15, s6, s9
	s_mul_hi_u32 s29, s6, s28
	s_add_i32 s15, s29, s15
	s_mul_i32 s8, s8, s28
	s_add_i32 s15, s15, s8
	s_mul_i32 s6, s6, s28
	s_mul_hi_u32 s29, s9, s6
	s_mul_i32 s30, s9, s6
	s_mul_i32 s36, s28, s15
	s_mul_hi_u32 s6, s28, s6
	s_mul_hi_u32 s31, s28, s15
	s_add_u32 s6, s6, s36
	s_addc_u32 s28, 0, s31
	s_add_u32 s6, s6, s30
	s_mul_hi_u32 s8, s9, s15
	s_addc_u32 s6, s28, s29
	s_addc_u32 s8, s8, 0
	s_mul_i32 s15, s9, s15
	s_add_u32 s6, s6, s15
	s_addc_u32 s8, 0, s8
	v_add_co_u32_e32 v2, vcc, s6, v2
	s_cmp_lg_u64 vcc, 0
	s_addc_u32 s6, s9, s8
	v_readfirstlane_b32 s15, v2
	s_mul_i32 s9, s14, s6
	s_mul_hi_u32 s28, s14, s15
	s_mul_hi_u32 s8, s14, s6
	s_add_u32 s9, s28, s9
	s_addc_u32 s8, 0, s8
	s_mul_hi_u32 s29, s7, s15
	s_mul_i32 s15, s7, s15
	s_add_u32 s9, s9, s15
	s_mul_hi_u32 s28, s7, s6
	s_addc_u32 s8, s8, s29
	s_addc_u32 s9, s28, 0
	s_mul_i32 s6, s7, s6
	s_add_u32 s6, s8, s6
	s_addc_u32 s8, 0, s9
	s_mul_hi_u32 s9, s84, s6
	s_mul_i32 s6, s84, s6
	s_mul_i32 s8, s84, s8
	v_mov_b32_e32 v2, s6
	s_add_i32 s9, s9, s8
	v_sub_co_u32_e32 v2, vcc, s14, v2
	s_cmp_lg_u64 vcc, 0
	s_subb_u32 s6, s7, s9
	v_subrev_co_u32_e32 v5, vcc, s84, v2
	s_cmp_lg_u64 vcc, 0
	s_subb_u32 s8, s6, 0
	v_subrev_co_u32_e32 v6, vcc, s84, v5
	s_cmp_lg_u64 vcc, 0
	s_subb_u32 s9, s8, 0
	v_cmp_le_u32_e32 vcc, s84, v5
	s_cmp_eq_u32 s8, 0
	v_cndmask_b32_e64 v7, 0, -1, vcc
	s_cselect_b64 vcc, -1, 0
	v_cndmask_b32_e32 v7, -1, v7, vcc
	v_mov_b32_e32 v8, s8
	v_mov_b32_e32 v9, s9
	v_cmp_ne_u32_e32 vcc, 0, v7
	v_cndmask_b32_e32 v7, v8, v9, vcc
	v_cndmask_b32_e32 v5, v5, v6, vcc
	v_cmp_le_u32_e32 vcc, s84, v2
	s_cmp_eq_u32 s6, 0
	v_cndmask_b32_e64 v6, 0, -1, vcc
	s_cselect_b64 vcc, -1, 0
	v_cndmask_b32_e32 v6, -1, v6, vcc
	v_mov_b32_e32 v8, s6
	v_cmp_ne_u32_e32 vcc, 0, v6
	v_cndmask_b32_e32 v7, v8, v7, vcc
	v_cndmask_b32_e32 v6, v2, v5, vcc
	s_cbranch_execnz .LBB102_100
.LBB102_99:                             ;   in Loop: Header=BB102_22 Depth=1
	v_cvt_f32_u32_e32 v2, s84
	s_sub_i32 s6, 0, s84
	v_rcp_iflag_f32_e32 v2, v2
	v_mul_f32_e32 v2, 0x4f7ffffe, v2
	v_cvt_u32_f32_e32 v2, v2
	v_mul_lo_u32 v5, s6, v2
	v_mul_hi_u32 v5, v2, v5
	v_add_u32_e32 v2, v2, v5
	v_mul_hi_u32 v2, s14, v2
	v_mul_lo_u32 v2, v2, s84
	v_sub_u32_e32 v2, s14, v2
	v_subrev_u32_e32 v5, s84, v2
	v_cmp_le_u32_e32 vcc, s84, v2
	v_cndmask_b32_e32 v2, v2, v5, vcc
	v_subrev_u32_e32 v5, s84, v2
	v_cmp_le_u32_e32 vcc, s84, v2
	v_cndmask_b32_e32 v2, v2, v5, vcc
	v_pk_mov_b32 v[6:7], v[2:3], v[2:3] op_sel:[0,1]
.LBB102_100:                            ;   in Loop: Header=BB102_22 Depth=1
	v_mov_b32_e32 v2, s7
	v_sub_co_u32_e32 v10, vcc, s14, v6
	v_subb_co_u32_e32 v11, vcc, v2, v7, vcc
	v_cmp_gt_u64_e32 vcc, v[10:11], v[0:1]
	s_mov_b64 s[6:7], 0
                                        ; implicit-def: $vgpr8_vgpr9
	s_and_saveexec_b64 s[8:9], vcc
	s_cbranch_execz .LBB102_111
; %bb.101:                              ;   in Loop: Header=BB102_22 Depth=1
	s_mov_b64 s[14:15], 0
	v_mov_b32_e32 v2, v31
	v_pk_mov_b32 v[12:13], v[0:1], v[0:1] op_sel:[0,1]
                                        ; implicit-def: $sgpr6_sgpr7
	s_branch .LBB102_103
.LBB102_102:                            ;   in Loop: Header=BB102_103 Depth=2
	s_or_b64 exec, exec, s[28:29]
	s_waitcnt lgkmcnt(0)
	s_barrier
	ds_read_b128 v[6:9], v3 offset:3072
	v_mov_b32_e32 v5, s85
	v_add_co_u32_e32 v12, vcc, s84, v12
	v_addc_co_u32_e32 v13, vcc, v13, v5, vcc
	s_waitcnt lgkmcnt(0)
	v_readfirstlane_b32 s29, v7
	v_readfirstlane_b32 s28, v6
	s_cmp_lg_u64 s[28:29], 0
	s_cselect_b64 s[28:29], -1, 0
	v_cmp_ge_u64_e32 vcc, v[12:13], v[10:11]
	s_or_b64 s[30:31], vcc, s[28:29]
	s_and_b64 s[30:31], exec, s[30:31]
	s_or_b64 s[14:15], s[30:31], s[14:15]
	s_andn2_b64 s[6:7], s[6:7], exec
	s_and_b64 s[28:29], s[28:29], exec
	v_add_u32_e32 v2, s3, v2
	s_or_b64 s[6:7], s[6:7], s[28:29]
	s_barrier
	s_andn2_b64 exec, exec, s[14:15]
	s_cbranch_execz .LBB102_110
.LBB102_103:                            ;   Parent Loop BB102_22 Depth=1
                                        ; =>  This Inner Loop Header: Depth=2
	v_cmp_gt_u64_e32 vcc, s[0:1], v[12:13]
	v_pk_mov_b32 v[6:7], 0, 0
	s_and_saveexec_b64 s[28:29], vcc
	s_cbranch_execz .LBB102_105
; %bb.104:                              ;   in Loop: Header=BB102_103 Depth=2
	ds_read_b64 v[6:7], v2
.LBB102_105:                            ;   in Loop: Header=BB102_103 Depth=2
	s_or_b64 exec, exec, s[28:29]
	s_and_saveexec_b64 s[28:29], vcc
	s_cbranch_execz .LBB102_102
; %bb.106:                              ;   in Loop: Header=BB102_103 Depth=2
	s_waitcnt lgkmcnt(0)
	v_xor_b32_e32 v5, 0x80000000, v7
	v_and_b32_e32 v9, s73, v5
	v_and_b32_e32 v8, s72, v6
	v_cmp_eq_u64_e32 vcc, s[60:61], v[8:9]
	s_and_b64 exec, exec, vcc
	s_cbranch_execz .LBB102_102
; %bb.107:                              ;   in Loop: Header=BB102_103 Depth=2
	v_mov_b32_e32 v5, v3
	ds_write_b128 v3, v[4:7] offset:3072
	s_branch .LBB102_102
.LBB102_108:                            ;   in Loop: Header=BB102_22 Depth=1
	s_mov_b64 s[6:7], -1
                                        ; implicit-def: $sgpr0_sgpr1
                                        ; implicit-def: $sgpr14_sgpr15
                                        ; implicit-def: $sgpr8_sgpr9
	s_branch .LBB102_125
.LBB102_109:                            ;   in Loop: Header=BB102_22 Depth=1
	s_mov_b64 s[0:1], -1
	s_mov_b64 s[6:7], 0
                                        ; implicit-def: $sgpr8_sgpr9
                                        ; implicit-def: $vgpr8_vgpr9
	s_mov_b64 s[14:15], s[0:1]
	s_cbranch_execnz .LBB102_112
	s_branch .LBB102_125
.LBB102_110:                            ;   in Loop: Header=BB102_22 Depth=1
	s_or_b64 exec, exec, s[14:15]
	s_and_b64 s[6:7], s[6:7], exec
.LBB102_111:                            ;   in Loop: Header=BB102_22 Depth=1
	s_or_b64 exec, exec, s[8:9]
	s_mov_b64 s[8:9], -1
	s_mov_b64 s[0:1], 0
	s_mov_b64 s[14:15], s[0:1]
	s_branch .LBB102_125
.LBB102_112:                            ;   in Loop: Header=BB102_22 Depth=1
	s_mov_b32 s82, s91
	s_cmp_lg_u64 s[82:83], 0
	s_cbranch_scc0 .LBB102_158
; %bb.113:                              ;   in Loop: Header=BB102_22 Depth=1
	v_cvt_f32_u32_e32 v2, s84
	s_sub_u32 s0, 0, s84
	s_subb_u32 s1, 0, 0
	v_mac_f32_e32 v2, 0, v38
	v_rcp_f32_e32 v2, v2
	v_mul_f32_e32 v2, 0x5f7ffffc, v2
	v_mul_f32_e32 v5, 0x2f800000, v2
	v_trunc_f32_e32 v5, v5
	v_mac_f32_e32 v2, 0xcf800000, v5
	v_cvt_u32_f32_e32 v5, v5
	v_cvt_u32_f32_e32 v2, v2
	v_readfirstlane_b32 s6, v5
	v_readfirstlane_b32 s7, v2
	s_mul_i32 s8, s0, s6
	s_mul_hi_u32 s14, s0, s7
	s_mul_i32 s9, s1, s7
	s_add_i32 s8, s14, s8
	s_mul_i32 s15, s0, s7
	s_add_i32 s8, s8, s9
	s_mul_hi_u32 s14, s7, s15
	s_mul_hi_u32 s9, s7, s8
	s_mul_i32 s7, s7, s8
	s_add_u32 s7, s14, s7
	s_addc_u32 s9, 0, s9
	s_mul_hi_u32 s28, s6, s15
	s_mul_i32 s15, s6, s15
	s_add_u32 s7, s7, s15
	s_mul_hi_u32 s14, s6, s8
	s_addc_u32 s7, s9, s28
	s_addc_u32 s9, s14, 0
	s_mul_i32 s8, s6, s8
	s_add_u32 s7, s7, s8
	s_addc_u32 s8, 0, s9
	v_add_co_u32_e32 v2, vcc, s7, v2
	s_cmp_lg_u64 vcc, 0
	s_addc_u32 s6, s6, s8
	v_readfirstlane_b32 s8, v2
	s_mul_i32 s7, s0, s6
	s_mul_hi_u32 s9, s0, s8
	s_add_i32 s7, s9, s7
	s_mul_i32 s1, s1, s8
	s_add_i32 s7, s7, s1
	s_mul_i32 s0, s0, s8
	s_mul_hi_u32 s9, s6, s0
	s_mul_i32 s14, s6, s0
	s_mul_i32 s28, s8, s7
	s_mul_hi_u32 s0, s8, s0
	s_mul_hi_u32 s15, s8, s7
	s_add_u32 s0, s0, s28
	s_addc_u32 s8, 0, s15
	s_add_u32 s0, s0, s14
	s_mul_hi_u32 s1, s6, s7
	s_addc_u32 s0, s8, s9
	s_addc_u32 s1, s1, 0
	s_mul_i32 s7, s6, s7
	s_add_u32 s0, s0, s7
	s_addc_u32 s1, 0, s1
	v_add_co_u32_e32 v2, vcc, s0, v2
	s_cmp_lg_u64 vcc, 0
	s_addc_u32 s0, s6, s1
	v_readfirstlane_b32 s7, v2
	s_mul_i32 s6, s27, s0
	s_mul_hi_u32 s8, s27, s7
	s_mul_hi_u32 s1, s27, s0
	s_add_u32 s6, s8, s6
	s_addc_u32 s1, 0, s1
	s_mul_hi_u32 s9, s83, s7
	s_mul_i32 s7, s83, s7
	s_add_u32 s6, s6, s7
	s_mul_hi_u32 s8, s83, s0
	s_addc_u32 s1, s1, s9
	s_addc_u32 s6, s8, 0
	s_mul_i32 s0, s83, s0
	s_add_u32 s0, s1, s0
	s_addc_u32 s1, 0, s6
	s_mul_hi_u32 s6, s84, s0
	s_mul_i32 s0, s84, s0
	s_mul_i32 s1, s84, s1
	v_mov_b32_e32 v2, s0
	s_add_i32 s6, s6, s1
	v_sub_co_u32_e32 v2, vcc, s27, v2
	s_cmp_lg_u64 vcc, 0
	s_subb_u32 s0, s83, s6
	v_subrev_co_u32_e32 v5, vcc, s84, v2
	s_cmp_lg_u64 vcc, 0
	s_subb_u32 s1, s0, 0
	v_subrev_co_u32_e32 v6, vcc, s84, v5
	s_cmp_lg_u64 vcc, 0
	s_subb_u32 s6, s1, 0
	v_cmp_le_u32_e32 vcc, s84, v5
	s_cmp_eq_u32 s1, 0
	v_cndmask_b32_e64 v7, 0, -1, vcc
	s_cselect_b64 vcc, -1, 0
	v_cndmask_b32_e32 v7, -1, v7, vcc
	v_mov_b32_e32 v8, s1
	v_mov_b32_e32 v9, s6
	v_cmp_ne_u32_e32 vcc, 0, v7
	v_cndmask_b32_e32 v7, v8, v9, vcc
	v_cndmask_b32_e32 v5, v5, v6, vcc
	v_cmp_le_u32_e32 vcc, s84, v2
	s_cmp_eq_u32 s0, 0
	v_cndmask_b32_e64 v6, 0, -1, vcc
	s_cselect_b64 vcc, -1, 0
	v_cndmask_b32_e32 v6, -1, v6, vcc
	v_mov_b32_e32 v8, s0
	v_cmp_ne_u32_e32 vcc, 0, v6
	v_cndmask_b32_e32 v7, v8, v7, vcc
	v_cndmask_b32_e32 v6, v2, v5, vcc
	s_cbranch_execnz .LBB102_115
.LBB102_114:                            ;   in Loop: Header=BB102_22 Depth=1
	v_cvt_f32_u32_e32 v2, s84
	s_sub_i32 s0, 0, s84
	v_rcp_iflag_f32_e32 v2, v2
	v_mul_f32_e32 v2, 0x4f7ffffe, v2
	v_cvt_u32_f32_e32 v2, v2
	v_mul_lo_u32 v5, s0, v2
	v_mul_hi_u32 v5, v2, v5
	v_add_u32_e32 v2, v2, v5
	v_mul_hi_u32 v2, s27, v2
	v_mul_lo_u32 v2, v2, s84
	v_sub_u32_e32 v2, s27, v2
	v_subrev_u32_e32 v5, s84, v2
	v_cmp_le_u32_e32 vcc, s84, v2
	v_cndmask_b32_e32 v2, v2, v5, vcc
	v_subrev_u32_e32 v5, s84, v2
	v_cmp_le_u32_e32 vcc, s84, v2
	v_cndmask_b32_e32 v2, v2, v5, vcc
	v_pk_mov_b32 v[6:7], v[2:3], v[2:3] op_sel:[0,1]
.LBB102_115:                            ;   in Loop: Header=BB102_22 Depth=1
	v_mov_b32_e32 v2, s83
	v_sub_co_u32_e32 v10, vcc, s27, v6
	v_subb_co_u32_e32 v11, vcc, v2, v7, vcc
	v_cmp_gt_u64_e32 vcc, v[10:11], v[0:1]
	s_mov_b64 s[6:7], 0
                                        ; implicit-def: $vgpr8_vgpr9
	s_and_saveexec_b64 s[0:1], vcc
	s_cbranch_execz .LBB102_124
; %bb.116:                              ;   in Loop: Header=BB102_22 Depth=1
	s_mov_b64 s[14:15], 0
	v_pk_mov_b32 v[12:13], v[0:1], v[0:1] op_sel:[0,1]
                                        ; implicit-def: $sgpr8_sgpr9
	s_branch .LBB102_118
.LBB102_117:                            ;   in Loop: Header=BB102_118 Depth=2
	s_or_b64 exec, exec, s[6:7]
	s_waitcnt lgkmcnt(0)
	s_barrier
	s_waitcnt vmcnt(0)
	ds_read_b128 v[6:9], v3 offset:3072
	v_mov_b32_e32 v2, s85
	v_add_co_u32_e32 v12, vcc, s84, v12
	v_addc_co_u32_e32 v13, vcc, v13, v2, vcc
	s_waitcnt lgkmcnt(0)
	v_readfirstlane_b32 s7, v7
	v_readfirstlane_b32 s6, v6
	s_cmp_lg_u64 s[6:7], 0
	s_cselect_b64 s[6:7], -1, 0
	v_cmp_ge_u64_e32 vcc, v[12:13], v[10:11]
	s_or_b64 s[28:29], vcc, s[6:7]
	s_and_b64 s[28:29], exec, s[28:29]
	s_or_b64 s[14:15], s[28:29], s[14:15]
	s_andn2_b64 s[8:9], s[8:9], exec
	s_and_b64 s[6:7], s[6:7], exec
	s_or_b64 s[8:9], s[8:9], s[6:7]
	s_barrier
	s_andn2_b64 exec, exec, s[14:15]
	s_cbranch_execz .LBB102_123
.LBB102_118:                            ;   Parent Loop BB102_22 Depth=1
                                        ; =>  This Inner Loop Header: Depth=2
	v_cmp_gt_u64_e32 vcc, s[52:53], v[12:13]
	v_pk_mov_b32 v[6:7], 0, 0
	s_and_saveexec_b64 s[28:29], vcc
	s_cbranch_execz .LBB102_120
; %bb.119:                              ;   in Loop: Header=BB102_118 Depth=2
	v_mul_lo_u32 v2, v13, s80
	v_mul_lo_u32 v5, v12, s81
	v_mad_u64_u32 v[6:7], s[6:7], v12, s80, 0
	v_add3_u32 v7, v7, v5, v2
	v_lshlrev_b64 v[6:7], 3, v[6:7]
	v_mov_b32_e32 v2, s26
	v_add_co_u32_e64 v6, s[6:7], s33, v6
	v_addc_co_u32_e64 v7, s[6:7], v2, v7, s[6:7]
	global_load_dwordx2 v[6:7], v[6:7], off
.LBB102_120:                            ;   in Loop: Header=BB102_118 Depth=2
	s_or_b64 exec, exec, s[28:29]
	s_and_saveexec_b64 s[6:7], vcc
	s_cbranch_execz .LBB102_117
; %bb.121:                              ;   in Loop: Header=BB102_118 Depth=2
	s_waitcnt vmcnt(0)
	v_xor_b32_e32 v2, 0x80000000, v7
	v_and_b32_e32 v9, s73, v2
	v_and_b32_e32 v8, s72, v6
	v_cmp_eq_u64_e32 vcc, s[60:61], v[8:9]
	s_and_b64 exec, exec, vcc
	s_cbranch_execz .LBB102_117
; %bb.122:                              ;   in Loop: Header=BB102_118 Depth=2
	v_mov_b32_e32 v5, v3
	ds_write_b128 v3, v[4:7] offset:3072
	s_branch .LBB102_117
.LBB102_123:                            ;   in Loop: Header=BB102_22 Depth=1
	s_or_b64 exec, exec, s[14:15]
	s_and_b64 s[6:7], s[8:9], exec
.LBB102_124:                            ;   in Loop: Header=BB102_22 Depth=1
	s_or_b64 exec, exec, s[0:1]
	s_mov_b64 s[14:15], -1
	s_mov_b64 s[0:1], 0
	s_mov_b64 s[8:9], 0
.LBB102_125:                            ;   in Loop: Header=BB102_22 Depth=1
	s_andn2_b64 s[28:29], s[58:59], exec
	s_and_b64 s[0:1], s[0:1], exec
	s_or_b64 s[58:59], s[28:29], s[0:1]
	s_andn2_b64 s[0:1], s[56:57], exec
	s_and_b64 s[14:15], s[14:15], exec
	s_or_b64 s[56:57], s[0:1], s[14:15]
	;; [unrolled: 3-line block ×3, first 2 shown]
	s_and_saveexec_b64 s[14:15], s[6:7]
	s_cbranch_execz .LBB102_21
; %bb.126:                              ;   in Loop: Header=BB102_22 Depth=1
	s_xor_b64 s[0:1], s[24:25], -1
	s_andn2_b64 vcc, exec, s[0:1]
	s_mov_b32 s48, 1
	s_cbranch_vccnz .LBB102_137
; %bb.127:                              ;   in Loop: Header=BB102_22 Depth=1
	s_waitcnt vmcnt(0)
	v_pk_mov_b32 v[6:7], s[16:17], s[16:17] op_sel:[0,1]
	v_cmp_gt_u64_e32 vcc, s[92:93], v[6:7]
	s_mov_b64 s[0:1], -1
                                        ; implicit-def: $sgpr48
                                        ; implicit-def: $sgpr6_sgpr7
                                        ; implicit-def: $sgpr8_sgpr9
	s_cbranch_vccnz .LBB102_133
; %bb.128:                              ;   in Loop: Header=BB102_22 Depth=1
	ds_read_b64 v[6:7], v3 offset:5120
	s_waitcnt lgkmcnt(0)
	v_cmp_ne_u64_e32 vcc, 0, v[6:7]
	s_cbranch_vccnz .LBB102_132
; %bb.129:                              ;   in Loop: Header=BB102_22 Depth=1
	s_mov_b64 s[0:1], exec
	v_readlane_b32 s6, v50, 28
	v_readlane_b32 s7, v50, 29
	s_and_b64 s[6:7], s[0:1], s[6:7]
	s_mov_b64 exec, s[6:7]
	s_cbranch_execz .LBB102_131
; %bb.130:                              ;   in Loop: Header=BB102_22 Depth=1
	v_pk_mov_b32 v[6:7], s[16:17], s[16:17] op_sel:[0,1]
	ds_write_b64 v3, v[6:7] offset:5128
.LBB102_131:                            ;   in Loop: Header=BB102_22 Depth=1
	s_or_b64 exec, exec, s[0:1]
	s_waitcnt lgkmcnt(0)
	s_barrier
.LBB102_132:                            ;   in Loop: Header=BB102_22 Depth=1
	s_and_b64 s[6:7], s[60:61], s[20:21]
	s_or_b64 s[8:9], s[72:73], s[12:13]
	s_mov_b64 s[0:1], 0
	s_mov_b32 s48, 8
.LBB102_133:                            ;   in Loop: Header=BB102_22 Depth=1
	s_andn2_b64 vcc, exec, s[0:1]
	s_cbranch_vccnz .LBB102_135
; %bb.134:                              ;   in Loop: Header=BB102_22 Depth=1
	s_sub_u32 s92, s92, s16
	s_subb_u32 s93, s93, s17
	s_mov_b64 s[0:1], -1
	s_mov_b32 s48, 0
	s_mov_b64 s[6:7], s[60:61]
	s_mov_b64 s[8:9], s[72:73]
.LBB102_135:                            ;   in Loop: Header=BB102_22 Depth=1
	s_mov_b64 s[72:73], s[8:9]
	s_mov_b64 s[60:61], s[6:7]
	s_mov_b64 s[16:17], -1
	s_and_b64 vcc, exec, s[0:1]
	s_cbranch_vccnz .LBB102_138
.LBB102_136:                            ;   in Loop: Header=BB102_22 Depth=1
	s_mov_b64 s[0:1], -1
                                        ; implicit-def: $sgpr22_sgpr23
                                        ; implicit-def: $sgpr28_sgpr29
                                        ; implicit-def: $sgpr24_sgpr25
	s_and_saveexec_b64 s[6:7], s[0:1]
	s_xor_b64 s[0:1], exec, s[6:7]
	s_cbranch_execz .LBB102_20
	s_branch .LBB102_287
.LBB102_137:                            ;   in Loop: Header=BB102_22 Depth=1
	s_mov_b64 s[92:93], 1
	s_mov_b64 s[16:17], -1
	s_branch .LBB102_136
.LBB102_138:                            ;   in Loop: Header=BB102_22 Depth=1
	s_cmp_eq_u64 s[34:35], 1
	s_cselect_b64 s[0:1], -1, 0
	s_cmp_eq_u64 s[92:93], 1
	s_cselect_b64 s[6:7], -1, 0
	s_and_b64 s[36:37], s[0:1], s[6:7]
	s_mov_b64 s[6:7], -1
	s_and_b64 vcc, exec, s[36:37]
	s_cbranch_vccz .LBB102_153
; %bb.139:                              ;   in Loop: Header=BB102_22 Depth=1
	s_waitcnt vmcnt(0)
	ds_read_b64 v[6:7], v3 offset:5120
	s_waitcnt lgkmcnt(0)
	s_barrier
	v_readfirstlane_b32 s0, v6
	v_readfirstlane_b32 s1, v7
	s_mov_b64 s[6:7], exec
	v_readlane_b32 s8, v50, 38
	v_readlane_b32 s9, v50, 39
	s_and_b64 s[8:9], s[6:7], s[8:9]
	s_mov_b64 exec, s[8:9]
	s_cbranch_execz .LBB102_141
; %bb.140:                              ;   in Loop: Header=BB102_22 Depth=1
	v_mov_b32_e32 v2, v3
	ds_write_b64 v32, v[2:3]
.LBB102_141:                            ;   in Loop: Header=BB102_22 Depth=1
	s_or_b64 exec, exec, s[6:7]
	s_lshl_b64 s[6:7], 1, s44
	s_and_b64 s[8:9], s[60:61], s[20:21]
	s_or_b64 s[60:61], s[8:9], s[6:7]
	s_or_b64 s[72:73], s[72:73], s[12:13]
	s_cmp_eq_u64 s[0:1], 0
	s_waitcnt lgkmcnt(0)
	s_barrier
	s_cbranch_scc1 .LBB102_159
; %bb.142:                              ;   in Loop: Header=BB102_22 Depth=1
	v_readlane_b32 s6, v50, 44
	s_add_u32 s22, s6, s0
	v_readlane_b32 s6, v50, 45
	s_addc_u32 s7, s6, s1
	s_mov_b32 s6, s91
	s_cmp_lg_u64 s[6:7], 0
	s_cbranch_scc0 .LBB102_204
; %bb.143:                              ;   in Loop: Header=BB102_22 Depth=1
	v_cvt_f32_u32_e32 v2, s84
	s_sub_u32 s6, 0, s84
	s_subb_u32 s8, 0, 0
	v_mac_f32_e32 v2, 0, v38
	v_rcp_f32_e32 v2, v2
	v_mul_f32_e32 v2, 0x5f7ffffc, v2
	v_mul_f32_e32 v5, 0x2f800000, v2
	v_trunc_f32_e32 v5, v5
	v_mac_f32_e32 v2, 0xcf800000, v5
	v_cvt_u32_f32_e32 v5, v5
	v_cvt_u32_f32_e32 v2, v2
	v_readfirstlane_b32 s9, v5
	v_readfirstlane_b32 s23, v2
	s_mul_i32 s24, s6, s9
	s_mul_hi_u32 s28, s6, s23
	s_mul_i32 s25, s8, s23
	s_add_i32 s24, s28, s24
	s_mul_i32 s29, s6, s23
	s_add_i32 s24, s24, s25
	s_mul_hi_u32 s28, s23, s29
	s_mul_hi_u32 s25, s23, s24
	s_mul_i32 s23, s23, s24
	s_add_u32 s23, s28, s23
	s_addc_u32 s25, 0, s25
	s_mul_hi_u32 s30, s9, s29
	s_mul_i32 s29, s9, s29
	s_add_u32 s23, s23, s29
	s_mul_hi_u32 s28, s9, s24
	s_addc_u32 s23, s25, s30
	s_addc_u32 s25, s28, 0
	s_mul_i32 s24, s9, s24
	s_add_u32 s23, s23, s24
	s_addc_u32 s24, 0, s25
	v_add_co_u32_e32 v2, vcc, s23, v2
	s_cmp_lg_u64 vcc, 0
	s_addc_u32 s9, s9, s24
	v_readfirstlane_b32 s24, v2
	s_mul_i32 s23, s6, s9
	s_mul_hi_u32 s25, s6, s24
	s_add_i32 s23, s25, s23
	s_mul_i32 s8, s8, s24
	s_add_i32 s23, s23, s8
	s_mul_i32 s6, s6, s24
	s_mul_hi_u32 s25, s9, s6
	s_mul_i32 s28, s9, s6
	s_mul_i32 s30, s24, s23
	s_mul_hi_u32 s6, s24, s6
	s_mul_hi_u32 s29, s24, s23
	s_add_u32 s6, s6, s30
	s_addc_u32 s24, 0, s29
	s_add_u32 s6, s6, s28
	s_mul_hi_u32 s8, s9, s23
	s_addc_u32 s6, s24, s25
	s_addc_u32 s8, s8, 0
	s_mul_i32 s23, s9, s23
	s_add_u32 s6, s6, s23
	s_addc_u32 s8, 0, s8
	v_add_co_u32_e32 v2, vcc, s6, v2
	s_cmp_lg_u64 vcc, 0
	s_addc_u32 s6, s9, s8
	v_readfirstlane_b32 s23, v2
	s_mul_i32 s9, s22, s6
	s_mul_hi_u32 s24, s22, s23
	s_mul_hi_u32 s8, s22, s6
	s_add_u32 s9, s24, s9
	s_addc_u32 s8, 0, s8
	s_mul_hi_u32 s25, s7, s23
	s_mul_i32 s23, s7, s23
	s_add_u32 s9, s9, s23
	s_mul_hi_u32 s24, s7, s6
	s_addc_u32 s8, s8, s25
	s_addc_u32 s9, s24, 0
	s_mul_i32 s6, s7, s6
	s_add_u32 s6, s8, s6
	s_addc_u32 s8, 0, s9
	s_mul_hi_u32 s9, s84, s6
	s_mul_i32 s6, s84, s6
	s_mul_i32 s8, s84, s8
	v_mov_b32_e32 v2, s6
	s_add_i32 s9, s9, s8
	v_sub_co_u32_e32 v2, vcc, s22, v2
	s_cmp_lg_u64 vcc, 0
	s_subb_u32 s6, s7, s9
	v_subrev_co_u32_e32 v5, vcc, s84, v2
	s_cmp_lg_u64 vcc, 0
	s_subb_u32 s8, s6, 0
	v_subrev_co_u32_e32 v6, vcc, s84, v5
	s_cmp_lg_u64 vcc, 0
	s_subb_u32 s9, s8, 0
	v_cmp_le_u32_e32 vcc, s84, v5
	s_cmp_eq_u32 s8, 0
	v_cndmask_b32_e64 v7, 0, -1, vcc
	s_cselect_b64 vcc, -1, 0
	v_cndmask_b32_e32 v7, -1, v7, vcc
	v_mov_b32_e32 v8, s8
	v_mov_b32_e32 v9, s9
	v_cmp_ne_u32_e32 vcc, 0, v7
	v_cndmask_b32_e32 v7, v8, v9, vcc
	v_cndmask_b32_e32 v5, v5, v6, vcc
	v_cmp_le_u32_e32 vcc, s84, v2
	s_cmp_eq_u32 s6, 0
	v_cndmask_b32_e64 v6, 0, -1, vcc
	s_cselect_b64 vcc, -1, 0
	v_cndmask_b32_e32 v6, -1, v6, vcc
	v_mov_b32_e32 v8, s6
	v_cmp_ne_u32_e32 vcc, 0, v6
	v_cndmask_b32_e32 v7, v8, v7, vcc
	v_cndmask_b32_e32 v6, v2, v5, vcc
	s_cbranch_execnz .LBB102_145
.LBB102_144:                            ;   in Loop: Header=BB102_22 Depth=1
	v_cvt_f32_u32_e32 v2, s84
	s_sub_i32 s6, 0, s84
	v_rcp_iflag_f32_e32 v2, v2
	v_mul_f32_e32 v2, 0x4f7ffffe, v2
	v_cvt_u32_f32_e32 v2, v2
	v_mul_lo_u32 v5, s6, v2
	v_mul_hi_u32 v5, v2, v5
	v_add_u32_e32 v2, v2, v5
	v_mul_hi_u32 v2, s22, v2
	v_mul_lo_u32 v2, v2, s84
	v_sub_u32_e32 v2, s22, v2
	v_subrev_u32_e32 v5, s84, v2
	v_cmp_le_u32_e32 vcc, s84, v2
	v_cndmask_b32_e32 v2, v2, v5, vcc
	v_subrev_u32_e32 v5, s84, v2
	v_cmp_le_u32_e32 vcc, s84, v2
	v_cndmask_b32_e32 v2, v2, v5, vcc
	v_pk_mov_b32 v[6:7], v[2:3], v[2:3] op_sel:[0,1]
.LBB102_145:                            ;   in Loop: Header=BB102_22 Depth=1
	v_mov_b32_e32 v2, s7
	v_sub_co_u32_e32 v10, vcc, s22, v6
	v_subb_co_u32_e32 v11, vcc, v2, v7, vcc
	v_cmp_gt_u64_e32 vcc, v[10:11], v[0:1]
	s_mov_b64 s[6:7], 0
                                        ; implicit-def: $vgpr8_vgpr9
	s_and_saveexec_b64 s[8:9], vcc
	s_cbranch_execz .LBB102_161
; %bb.146:                              ;   in Loop: Header=BB102_22 Depth=1
	s_mov_b64 s[22:23], 0
	v_mov_b32_e32 v2, v31
	v_pk_mov_b32 v[12:13], v[0:1], v[0:1] op_sel:[0,1]
                                        ; implicit-def: $sgpr6_sgpr7
	s_branch .LBB102_148
.LBB102_147:                            ;   in Loop: Header=BB102_148 Depth=2
	s_or_b64 exec, exec, s[24:25]
	s_waitcnt lgkmcnt(0)
	s_barrier
	ds_read_b128 v[6:9], v3 offset:3072
	v_mov_b32_e32 v5, s85
	v_add_co_u32_e32 v12, vcc, s84, v12
	v_addc_co_u32_e32 v13, vcc, v13, v5, vcc
	s_waitcnt lgkmcnt(0)
	v_readfirstlane_b32 s25, v7
	v_readfirstlane_b32 s24, v6
	s_cmp_lg_u64 s[24:25], 0
	s_cselect_b64 s[24:25], -1, 0
	v_cmp_ge_u64_e32 vcc, v[12:13], v[10:11]
	s_or_b64 s[28:29], vcc, s[24:25]
	s_and_b64 s[28:29], exec, s[28:29]
	s_or_b64 s[22:23], s[28:29], s[22:23]
	s_andn2_b64 s[6:7], s[6:7], exec
	s_and_b64 s[24:25], s[24:25], exec
	v_add_u32_e32 v2, s3, v2
	s_or_b64 s[6:7], s[6:7], s[24:25]
	s_barrier
	s_andn2_b64 exec, exec, s[22:23]
	s_cbranch_execz .LBB102_160
.LBB102_148:                            ;   Parent Loop BB102_22 Depth=1
                                        ; =>  This Inner Loop Header: Depth=2
	v_cmp_gt_u64_e32 vcc, s[0:1], v[12:13]
	v_pk_mov_b32 v[6:7], 0, 0
	s_and_saveexec_b64 s[24:25], vcc
	s_cbranch_execz .LBB102_150
; %bb.149:                              ;   in Loop: Header=BB102_148 Depth=2
	ds_read_b64 v[6:7], v2
.LBB102_150:                            ;   in Loop: Header=BB102_148 Depth=2
	s_or_b64 exec, exec, s[24:25]
	s_and_saveexec_b64 s[24:25], vcc
	s_cbranch_execz .LBB102_147
; %bb.151:                              ;   in Loop: Header=BB102_148 Depth=2
	s_waitcnt lgkmcnt(0)
	v_xor_b32_e32 v5, 0x80000000, v7
	v_and_b32_e32 v9, s73, v5
	v_and_b32_e32 v8, s72, v6
	v_cmp_eq_u64_e32 vcc, s[60:61], v[8:9]
	s_and_b64 exec, exec, vcc
	s_cbranch_execz .LBB102_147
; %bb.152:                              ;   in Loop: Header=BB102_148 Depth=2
	v_mov_b32_e32 v5, v3
	ds_write_b128 v3, v[4:7] offset:3072
	s_branch .LBB102_147
.LBB102_153:                            ;   in Loop: Header=BB102_22 Depth=1
                                        ; implicit-def: $sgpr24_sgpr25
                                        ; implicit-def: $sgpr28_sgpr29
                                        ; implicit-def: $sgpr22_sgpr23
	s_branch .LBB102_175
.LBB102_154:                            ;   in Loop: Header=BB102_22 Depth=1
                                        ; implicit-def: $vgpr6_vgpr7
	s_branch .LBB102_99
.LBB102_155:                            ;   in Loop: Header=BB102_22 Depth=1
	s_or_b64 exec, exec, s[0:1]
	s_waitcnt lgkmcnt(0)
	s_barrier
	s_mov_b64 s[0:1], exec
	v_readlane_b32 s6, v50, 28
	v_readlane_b32 s7, v50, 29
	s_and_b64 s[6:7], s[0:1], s[6:7]
	s_mov_b64 exec, s[6:7]
	s_cbranch_execz .LBB102_157
; %bb.156:                              ;   in Loop: Header=BB102_22 Depth=1
	s_waitcnt vmcnt(0)
	ds_read_b32 v6, v3 offset:5144
	s_waitcnt lgkmcnt(0)
	v_ashrrev_i32_e32 v7, 31, v6
	ds_write_b64 v3, v[6:7] offset:5120
.LBB102_157:                            ;   in Loop: Header=BB102_22 Depth=1
	s_or_b64 exec, exec, s[0:1]
	s_waitcnt lgkmcnt(0)
	s_barrier
	s_mov_b64 s[0:1], -1
	s_and_b64 vcc, exec, s[62:63]
	s_cbranch_vccnz .LBB102_40
	s_branch .LBB102_50
.LBB102_158:                            ;   in Loop: Header=BB102_22 Depth=1
                                        ; implicit-def: $vgpr6_vgpr7
	s_branch .LBB102_114
.LBB102_159:                            ;   in Loop: Header=BB102_22 Depth=1
	s_mov_b64 s[24:25], -1
	s_mov_b64 s[6:7], 0
                                        ; implicit-def: $sgpr22_sgpr23
                                        ; implicit-def: $vgpr8_vgpr9
	s_mov_b64 s[28:29], s[24:25]
	s_cbranch_execnz .LBB102_162
	s_branch .LBB102_175
.LBB102_160:                            ;   in Loop: Header=BB102_22 Depth=1
	s_or_b64 exec, exec, s[22:23]
	s_and_b64 s[6:7], s[6:7], exec
.LBB102_161:                            ;   in Loop: Header=BB102_22 Depth=1
	s_or_b64 exec, exec, s[8:9]
	s_mov_b64 s[22:23], -1
	s_mov_b64 s[24:25], 0
	s_mov_b64 s[28:29], s[24:25]
	s_branch .LBB102_175
.LBB102_162:                            ;   in Loop: Header=BB102_22 Depth=1
	s_mov_b32 s82, s91
	s_cmp_lg_u64 s[82:83], 0
	s_cbranch_scc0 .LBB102_205
; %bb.163:                              ;   in Loop: Header=BB102_22 Depth=1
	v_cvt_f32_u32_e32 v2, s84
	s_sub_u32 s0, 0, s84
	s_subb_u32 s1, 0, 0
	v_mac_f32_e32 v2, 0, v38
	v_rcp_f32_e32 v2, v2
	v_mul_f32_e32 v2, 0x5f7ffffc, v2
	v_mul_f32_e32 v5, 0x2f800000, v2
	v_trunc_f32_e32 v5, v5
	v_mac_f32_e32 v2, 0xcf800000, v5
	v_cvt_u32_f32_e32 v5, v5
	v_cvt_u32_f32_e32 v2, v2
	v_readfirstlane_b32 s6, v5
	v_readfirstlane_b32 s7, v2
	s_mul_i32 s8, s0, s6
	s_mul_hi_u32 s22, s0, s7
	s_mul_i32 s9, s1, s7
	s_add_i32 s8, s22, s8
	s_mul_i32 s23, s0, s7
	s_add_i32 s8, s8, s9
	s_mul_hi_u32 s22, s7, s23
	s_mul_hi_u32 s9, s7, s8
	s_mul_i32 s7, s7, s8
	s_add_u32 s7, s22, s7
	s_addc_u32 s9, 0, s9
	s_mul_hi_u32 s24, s6, s23
	s_mul_i32 s23, s6, s23
	s_add_u32 s7, s7, s23
	s_mul_hi_u32 s22, s6, s8
	s_addc_u32 s7, s9, s24
	s_addc_u32 s9, s22, 0
	s_mul_i32 s8, s6, s8
	s_add_u32 s7, s7, s8
	s_addc_u32 s8, 0, s9
	v_add_co_u32_e32 v2, vcc, s7, v2
	s_cmp_lg_u64 vcc, 0
	s_addc_u32 s6, s6, s8
	v_readfirstlane_b32 s8, v2
	s_mul_i32 s7, s0, s6
	s_mul_hi_u32 s9, s0, s8
	s_add_i32 s7, s9, s7
	s_mul_i32 s1, s1, s8
	s_add_i32 s7, s7, s1
	s_mul_i32 s0, s0, s8
	s_mul_hi_u32 s9, s6, s0
	s_mul_i32 s22, s6, s0
	s_mul_i32 s24, s8, s7
	s_mul_hi_u32 s0, s8, s0
	s_mul_hi_u32 s23, s8, s7
	s_add_u32 s0, s0, s24
	s_addc_u32 s8, 0, s23
	s_add_u32 s0, s0, s22
	s_mul_hi_u32 s1, s6, s7
	s_addc_u32 s0, s8, s9
	s_addc_u32 s1, s1, 0
	s_mul_i32 s7, s6, s7
	s_add_u32 s0, s0, s7
	s_addc_u32 s1, 0, s1
	v_add_co_u32_e32 v2, vcc, s0, v2
	s_cmp_lg_u64 vcc, 0
	s_addc_u32 s0, s6, s1
	v_readfirstlane_b32 s7, v2
	s_mul_i32 s6, s27, s0
	s_mul_hi_u32 s8, s27, s7
	s_mul_hi_u32 s1, s27, s0
	s_add_u32 s6, s8, s6
	s_addc_u32 s1, 0, s1
	s_mul_hi_u32 s9, s83, s7
	s_mul_i32 s7, s83, s7
	s_add_u32 s6, s6, s7
	s_mul_hi_u32 s8, s83, s0
	s_addc_u32 s1, s1, s9
	s_addc_u32 s6, s8, 0
	s_mul_i32 s0, s83, s0
	s_add_u32 s0, s1, s0
	s_addc_u32 s1, 0, s6
	s_mul_hi_u32 s6, s84, s0
	s_mul_i32 s0, s84, s0
	s_mul_i32 s1, s84, s1
	v_mov_b32_e32 v2, s0
	s_add_i32 s6, s6, s1
	v_sub_co_u32_e32 v2, vcc, s27, v2
	s_cmp_lg_u64 vcc, 0
	s_subb_u32 s0, s83, s6
	v_subrev_co_u32_e32 v5, vcc, s84, v2
	s_cmp_lg_u64 vcc, 0
	s_subb_u32 s1, s0, 0
	v_subrev_co_u32_e32 v6, vcc, s84, v5
	s_cmp_lg_u64 vcc, 0
	s_subb_u32 s6, s1, 0
	v_cmp_le_u32_e32 vcc, s84, v5
	s_cmp_eq_u32 s1, 0
	v_cndmask_b32_e64 v7, 0, -1, vcc
	s_cselect_b64 vcc, -1, 0
	v_cndmask_b32_e32 v7, -1, v7, vcc
	v_mov_b32_e32 v8, s1
	v_mov_b32_e32 v9, s6
	v_cmp_ne_u32_e32 vcc, 0, v7
	v_cndmask_b32_e32 v7, v8, v9, vcc
	v_cndmask_b32_e32 v5, v5, v6, vcc
	v_cmp_le_u32_e32 vcc, s84, v2
	s_cmp_eq_u32 s0, 0
	v_cndmask_b32_e64 v6, 0, -1, vcc
	s_cselect_b64 vcc, -1, 0
	v_cndmask_b32_e32 v6, -1, v6, vcc
	v_mov_b32_e32 v8, s0
	v_cmp_ne_u32_e32 vcc, 0, v6
	v_cndmask_b32_e32 v7, v8, v7, vcc
	v_cndmask_b32_e32 v6, v2, v5, vcc
	s_cbranch_execnz .LBB102_165
.LBB102_164:                            ;   in Loop: Header=BB102_22 Depth=1
	v_cvt_f32_u32_e32 v2, s84
	s_sub_i32 s0, 0, s84
	v_rcp_iflag_f32_e32 v2, v2
	v_mul_f32_e32 v2, 0x4f7ffffe, v2
	v_cvt_u32_f32_e32 v2, v2
	v_mul_lo_u32 v5, s0, v2
	v_mul_hi_u32 v5, v2, v5
	v_add_u32_e32 v2, v2, v5
	v_mul_hi_u32 v2, s27, v2
	v_mul_lo_u32 v2, v2, s84
	v_sub_u32_e32 v2, s27, v2
	v_subrev_u32_e32 v5, s84, v2
	v_cmp_le_u32_e32 vcc, s84, v2
	v_cndmask_b32_e32 v2, v2, v5, vcc
	v_subrev_u32_e32 v5, s84, v2
	v_cmp_le_u32_e32 vcc, s84, v2
	v_cndmask_b32_e32 v2, v2, v5, vcc
	v_pk_mov_b32 v[6:7], v[2:3], v[2:3] op_sel:[0,1]
.LBB102_165:                            ;   in Loop: Header=BB102_22 Depth=1
	v_mov_b32_e32 v2, s83
	v_sub_co_u32_e32 v10, vcc, s27, v6
	v_subb_co_u32_e32 v11, vcc, v2, v7, vcc
	v_cmp_gt_u64_e32 vcc, v[10:11], v[0:1]
	s_mov_b64 s[6:7], 0
                                        ; implicit-def: $vgpr8_vgpr9
	s_and_saveexec_b64 s[0:1], vcc
	s_cbranch_execz .LBB102_174
; %bb.166:                              ;   in Loop: Header=BB102_22 Depth=1
	s_mov_b64 s[22:23], 0
	v_pk_mov_b32 v[12:13], v[0:1], v[0:1] op_sel:[0,1]
                                        ; implicit-def: $sgpr8_sgpr9
	s_branch .LBB102_168
.LBB102_167:                            ;   in Loop: Header=BB102_168 Depth=2
	s_or_b64 exec, exec, s[6:7]
	s_waitcnt lgkmcnt(0)
	s_barrier
	s_waitcnt vmcnt(0)
	ds_read_b128 v[6:9], v3 offset:3072
	v_mov_b32_e32 v2, s85
	v_add_co_u32_e32 v12, vcc, s84, v12
	v_addc_co_u32_e32 v13, vcc, v13, v2, vcc
	s_waitcnt lgkmcnt(0)
	v_readfirstlane_b32 s7, v7
	v_readfirstlane_b32 s6, v6
	s_cmp_lg_u64 s[6:7], 0
	s_cselect_b64 s[6:7], -1, 0
	v_cmp_ge_u64_e32 vcc, v[12:13], v[10:11]
	s_or_b64 s[24:25], vcc, s[6:7]
	s_and_b64 s[24:25], exec, s[24:25]
	s_or_b64 s[22:23], s[24:25], s[22:23]
	s_andn2_b64 s[8:9], s[8:9], exec
	s_and_b64 s[6:7], s[6:7], exec
	s_or_b64 s[8:9], s[8:9], s[6:7]
	s_barrier
	s_andn2_b64 exec, exec, s[22:23]
	s_cbranch_execz .LBB102_173
.LBB102_168:                            ;   Parent Loop BB102_22 Depth=1
                                        ; =>  This Inner Loop Header: Depth=2
	v_cmp_gt_u64_e32 vcc, s[52:53], v[12:13]
	v_pk_mov_b32 v[6:7], 0, 0
	s_and_saveexec_b64 s[24:25], vcc
	s_cbranch_execz .LBB102_170
; %bb.169:                              ;   in Loop: Header=BB102_168 Depth=2
	v_mul_lo_u32 v2, v13, s80
	v_mul_lo_u32 v5, v12, s81
	v_mad_u64_u32 v[6:7], s[6:7], v12, s80, 0
	v_add3_u32 v7, v7, v5, v2
	v_lshlrev_b64 v[6:7], 3, v[6:7]
	v_mov_b32_e32 v2, s26
	v_add_co_u32_e64 v6, s[6:7], s33, v6
	v_addc_co_u32_e64 v7, s[6:7], v2, v7, s[6:7]
	global_load_dwordx2 v[6:7], v[6:7], off
.LBB102_170:                            ;   in Loop: Header=BB102_168 Depth=2
	s_or_b64 exec, exec, s[24:25]
	s_and_saveexec_b64 s[6:7], vcc
	s_cbranch_execz .LBB102_167
; %bb.171:                              ;   in Loop: Header=BB102_168 Depth=2
	s_waitcnt vmcnt(0)
	v_xor_b32_e32 v2, 0x80000000, v7
	v_and_b32_e32 v9, s73, v2
	v_and_b32_e32 v8, s72, v6
	v_cmp_eq_u64_e32 vcc, s[60:61], v[8:9]
	s_and_b64 exec, exec, vcc
	s_cbranch_execz .LBB102_167
; %bb.172:                              ;   in Loop: Header=BB102_168 Depth=2
	v_mov_b32_e32 v5, v3
	ds_write_b128 v3, v[4:7] offset:3072
	s_branch .LBB102_167
.LBB102_173:                            ;   in Loop: Header=BB102_22 Depth=1
	s_or_b64 exec, exec, s[22:23]
	s_and_b64 s[6:7], s[8:9], exec
.LBB102_174:                            ;   in Loop: Header=BB102_22 Depth=1
	s_or_b64 exec, exec, s[0:1]
	s_mov_b64 s[28:29], -1
	s_mov_b64 s[24:25], 0
	s_mov_b64 s[22:23], 0
.LBB102_175:                            ;   in Loop: Header=BB102_22 Depth=1
	s_mov_b64 s[0:1], 0
                                        ; implicit-def: $sgpr48
	s_and_saveexec_b64 s[30:31], s[6:7]
	s_cbranch_execz .LBB102_286
; %bb.176:                              ;   in Loop: Header=BB102_22 Depth=1
	s_xor_b64 s[0:1], s[36:37], -1
	s_andn2_b64 vcc, exec, s[0:1]
	s_mov_b32 s48, 1
	s_cbranch_vccnz .LBB102_187
; %bb.177:                              ;   in Loop: Header=BB102_22 Depth=1
	s_waitcnt vmcnt(0)
	v_pk_mov_b32 v[6:7], s[34:35], s[34:35] op_sel:[0,1]
	v_cmp_gt_u64_e32 vcc, s[92:93], v[6:7]
	s_mov_b64 s[0:1], -1
                                        ; implicit-def: $sgpr48
                                        ; implicit-def: $sgpr6_sgpr7
                                        ; implicit-def: $sgpr8_sgpr9
	s_cbranch_vccnz .LBB102_183
; %bb.178:                              ;   in Loop: Header=BB102_22 Depth=1
	ds_read_b64 v[6:7], v3 offset:5120
	s_waitcnt lgkmcnt(0)
	v_cmp_ne_u64_e32 vcc, 0, v[6:7]
	s_cbranch_vccnz .LBB102_182
; %bb.179:                              ;   in Loop: Header=BB102_22 Depth=1
	s_mov_b64 s[0:1], exec
	v_readlane_b32 s6, v50, 28
	v_readlane_b32 s7, v50, 29
	s_and_b64 s[6:7], s[0:1], s[6:7]
	s_mov_b64 exec, s[6:7]
	s_cbranch_execz .LBB102_181
; %bb.180:                              ;   in Loop: Header=BB102_22 Depth=1
	v_pk_mov_b32 v[6:7], s[34:35], s[34:35] op_sel:[0,1]
	ds_write_b64 v3, v[6:7] offset:5128
.LBB102_181:                            ;   in Loop: Header=BB102_22 Depth=1
	s_or_b64 exec, exec, s[0:1]
	s_waitcnt lgkmcnt(0)
	s_barrier
.LBB102_182:                            ;   in Loop: Header=BB102_22 Depth=1
	s_lshl_b64 s[0:1], 1, s44
	s_and_b64 s[6:7], s[60:61], s[20:21]
	s_or_b64 s[6:7], s[6:7], s[0:1]
	s_or_b64 s[8:9], s[72:73], s[12:13]
	s_mov_b64 s[0:1], 0
	s_mov_b32 s48, 8
.LBB102_183:                            ;   in Loop: Header=BB102_22 Depth=1
	s_andn2_b64 vcc, exec, s[0:1]
	s_cbranch_vccnz .LBB102_185
; %bb.184:                              ;   in Loop: Header=BB102_22 Depth=1
	s_sub_u32 s92, s92, s34
	s_subb_u32 s93, s93, s35
	s_mov_b64 s[0:1], -1
	s_mov_b32 s48, 0
	s_mov_b64 s[6:7], s[60:61]
	s_mov_b64 s[8:9], s[72:73]
.LBB102_185:                            ;   in Loop: Header=BB102_22 Depth=1
	s_mov_b64 s[72:73], s[8:9]
	s_mov_b64 s[60:61], s[6:7]
	s_andn2_b64 vcc, exec, s[0:1]
	s_mov_b64 s[0:1], -1
	s_cbranch_vccz .LBB102_188
.LBB102_186:                            ;   in Loop: Header=BB102_22 Depth=1
                                        ; implicit-def: $sgpr36_sgpr37
                                        ; implicit-def: $sgpr38_sgpr39
                                        ; implicit-def: $sgpr34_sgpr35
	s_branch .LBB102_285
.LBB102_187:                            ;   in Loop: Header=BB102_22 Depth=1
	s_mov_b64 s[92:93], 1
	s_mov_b64 s[0:1], -1
	s_cbranch_execnz .LBB102_186
.LBB102_188:                            ;   in Loop: Header=BB102_22 Depth=1
	s_cmp_eq_u64 s[18:19], 1
	s_cselect_b64 s[0:1], -1, 0
	s_cmp_eq_u64 s[92:93], 1
	s_cselect_b64 s[6:7], -1, 0
	s_and_b64 s[42:43], s[0:1], s[6:7]
	s_mov_b64 s[6:7], -1
	s_and_b64 vcc, exec, s[42:43]
	s_cbranch_vccz .LBB102_203
; %bb.189:                              ;   in Loop: Header=BB102_22 Depth=1
	s_waitcnt vmcnt(0)
	ds_read_b64 v[6:7], v3 offset:5120
	s_waitcnt lgkmcnt(0)
	s_barrier
	v_readfirstlane_b32 s0, v6
	v_readfirstlane_b32 s1, v7
	s_mov_b64 s[6:7], exec
	v_readlane_b32 s8, v50, 38
	v_readlane_b32 s9, v50, 39
	s_and_b64 s[8:9], s[6:7], s[8:9]
	s_mov_b64 exec, s[8:9]
	s_cbranch_execz .LBB102_191
; %bb.190:                              ;   in Loop: Header=BB102_22 Depth=1
	v_mov_b32_e32 v2, v3
	ds_write_b64 v32, v[2:3]
.LBB102_191:                            ;   in Loop: Header=BB102_22 Depth=1
	s_or_b64 exec, exec, s[6:7]
	s_lshl_b64 s[6:7], 2, s44
	s_and_b64 s[8:9], s[60:61], s[20:21]
	s_or_b64 s[60:61], s[8:9], s[6:7]
	s_or_b64 s[72:73], s[72:73], s[12:13]
	s_cmp_eq_u64 s[0:1], 0
	s_waitcnt lgkmcnt(0)
	s_barrier
	s_cbranch_scc1 .LBB102_206
; %bb.192:                              ;   in Loop: Header=BB102_22 Depth=1
	v_readlane_b32 s6, v50, 44
	s_add_u32 s34, s6, s0
	v_readlane_b32 s6, v50, 45
	s_addc_u32 s7, s6, s1
	s_mov_b32 s6, s91
	s_cmp_lg_u64 s[6:7], 0
	s_cbranch_scc0 .LBB102_251
; %bb.193:                              ;   in Loop: Header=BB102_22 Depth=1
	v_cvt_f32_u32_e32 v2, s84
	s_sub_u32 s6, 0, s84
	s_subb_u32 s8, 0, 0
	v_mac_f32_e32 v2, 0, v38
	v_rcp_f32_e32 v2, v2
	v_mul_f32_e32 v2, 0x5f7ffffc, v2
	v_mul_f32_e32 v5, 0x2f800000, v2
	v_trunc_f32_e32 v5, v5
	v_mac_f32_e32 v2, 0xcf800000, v5
	v_cvt_u32_f32_e32 v5, v5
	v_cvt_u32_f32_e32 v2, v2
	v_readfirstlane_b32 s9, v5
	v_readfirstlane_b32 s35, v2
	s_mul_i32 s36, s6, s9
	s_mul_hi_u32 s38, s6, s35
	s_mul_i32 s37, s8, s35
	s_add_i32 s36, s38, s36
	s_mul_i32 s39, s6, s35
	s_add_i32 s36, s36, s37
	s_mul_hi_u32 s38, s35, s39
	s_mul_hi_u32 s37, s35, s36
	s_mul_i32 s35, s35, s36
	s_add_u32 s35, s38, s35
	s_addc_u32 s37, 0, s37
	s_mul_hi_u32 s40, s9, s39
	s_mul_i32 s39, s9, s39
	s_add_u32 s35, s35, s39
	s_mul_hi_u32 s38, s9, s36
	s_addc_u32 s35, s37, s40
	s_addc_u32 s37, s38, 0
	s_mul_i32 s36, s9, s36
	s_add_u32 s35, s35, s36
	s_addc_u32 s36, 0, s37
	v_add_co_u32_e32 v2, vcc, s35, v2
	s_cmp_lg_u64 vcc, 0
	s_addc_u32 s9, s9, s36
	v_readfirstlane_b32 s36, v2
	s_mul_i32 s35, s6, s9
	s_mul_hi_u32 s37, s6, s36
	s_add_i32 s35, s37, s35
	s_mul_i32 s8, s8, s36
	s_add_i32 s35, s35, s8
	s_mul_i32 s6, s6, s36
	s_mul_hi_u32 s37, s9, s6
	s_mul_i32 s38, s9, s6
	s_mul_i32 s40, s36, s35
	s_mul_hi_u32 s6, s36, s6
	s_mul_hi_u32 s39, s36, s35
	s_add_u32 s6, s6, s40
	s_addc_u32 s36, 0, s39
	s_add_u32 s6, s6, s38
	s_mul_hi_u32 s8, s9, s35
	s_addc_u32 s6, s36, s37
	s_addc_u32 s8, s8, 0
	s_mul_i32 s35, s9, s35
	s_add_u32 s6, s6, s35
	s_addc_u32 s8, 0, s8
	v_add_co_u32_e32 v2, vcc, s6, v2
	s_cmp_lg_u64 vcc, 0
	s_addc_u32 s6, s9, s8
	v_readfirstlane_b32 s35, v2
	s_mul_i32 s9, s34, s6
	s_mul_hi_u32 s36, s34, s35
	s_mul_hi_u32 s8, s34, s6
	s_add_u32 s9, s36, s9
	s_addc_u32 s8, 0, s8
	s_mul_hi_u32 s37, s7, s35
	s_mul_i32 s35, s7, s35
	s_add_u32 s9, s9, s35
	s_mul_hi_u32 s36, s7, s6
	s_addc_u32 s8, s8, s37
	s_addc_u32 s9, s36, 0
	s_mul_i32 s6, s7, s6
	s_add_u32 s6, s8, s6
	s_addc_u32 s8, 0, s9
	s_mul_hi_u32 s9, s84, s6
	s_mul_i32 s6, s84, s6
	s_mul_i32 s8, s84, s8
	v_mov_b32_e32 v2, s6
	s_add_i32 s9, s9, s8
	v_sub_co_u32_e32 v2, vcc, s34, v2
	s_cmp_lg_u64 vcc, 0
	s_subb_u32 s6, s7, s9
	v_subrev_co_u32_e32 v5, vcc, s84, v2
	s_cmp_lg_u64 vcc, 0
	s_subb_u32 s8, s6, 0
	v_subrev_co_u32_e32 v6, vcc, s84, v5
	s_cmp_lg_u64 vcc, 0
	s_subb_u32 s9, s8, 0
	v_cmp_le_u32_e32 vcc, s84, v5
	s_cmp_eq_u32 s8, 0
	v_cndmask_b32_e64 v7, 0, -1, vcc
	s_cselect_b64 vcc, -1, 0
	v_cndmask_b32_e32 v7, -1, v7, vcc
	v_mov_b32_e32 v8, s8
	v_mov_b32_e32 v9, s9
	v_cmp_ne_u32_e32 vcc, 0, v7
	v_cndmask_b32_e32 v7, v8, v9, vcc
	v_cndmask_b32_e32 v5, v5, v6, vcc
	v_cmp_le_u32_e32 vcc, s84, v2
	s_cmp_eq_u32 s6, 0
	v_cndmask_b32_e64 v6, 0, -1, vcc
	s_cselect_b64 vcc, -1, 0
	v_cndmask_b32_e32 v6, -1, v6, vcc
	v_mov_b32_e32 v8, s6
	v_cmp_ne_u32_e32 vcc, 0, v6
	v_cndmask_b32_e32 v7, v8, v7, vcc
	v_cndmask_b32_e32 v6, v2, v5, vcc
	s_cbranch_execnz .LBB102_195
.LBB102_194:                            ;   in Loop: Header=BB102_22 Depth=1
	v_cvt_f32_u32_e32 v2, s84
	s_sub_i32 s6, 0, s84
	v_rcp_iflag_f32_e32 v2, v2
	v_mul_f32_e32 v2, 0x4f7ffffe, v2
	v_cvt_u32_f32_e32 v2, v2
	v_mul_lo_u32 v5, s6, v2
	v_mul_hi_u32 v5, v2, v5
	v_add_u32_e32 v2, v2, v5
	v_mul_hi_u32 v2, s34, v2
	v_mul_lo_u32 v2, v2, s84
	v_sub_u32_e32 v2, s34, v2
	v_subrev_u32_e32 v5, s84, v2
	v_cmp_le_u32_e32 vcc, s84, v2
	v_cndmask_b32_e32 v2, v2, v5, vcc
	v_subrev_u32_e32 v5, s84, v2
	v_cmp_le_u32_e32 vcc, s84, v2
	v_cndmask_b32_e32 v2, v2, v5, vcc
	v_pk_mov_b32 v[6:7], v[2:3], v[2:3] op_sel:[0,1]
.LBB102_195:                            ;   in Loop: Header=BB102_22 Depth=1
	v_mov_b32_e32 v2, s7
	v_sub_co_u32_e32 v10, vcc, s34, v6
	v_subb_co_u32_e32 v11, vcc, v2, v7, vcc
	v_cmp_gt_u64_e32 vcc, v[10:11], v[0:1]
	s_mov_b64 s[6:7], 0
                                        ; implicit-def: $vgpr8_vgpr9
	s_and_saveexec_b64 s[8:9], vcc
	s_cbranch_execz .LBB102_208
; %bb.196:                              ;   in Loop: Header=BB102_22 Depth=1
	s_mov_b64 s[34:35], 0
	v_mov_b32_e32 v2, v31
	v_pk_mov_b32 v[12:13], v[0:1], v[0:1] op_sel:[0,1]
                                        ; implicit-def: $sgpr6_sgpr7
	s_branch .LBB102_198
.LBB102_197:                            ;   in Loop: Header=BB102_198 Depth=2
	s_or_b64 exec, exec, s[36:37]
	s_waitcnt lgkmcnt(0)
	s_barrier
	ds_read_b128 v[6:9], v3 offset:3072
	v_mov_b32_e32 v5, s85
	v_add_co_u32_e32 v12, vcc, s84, v12
	v_addc_co_u32_e32 v13, vcc, v13, v5, vcc
	s_waitcnt lgkmcnt(0)
	v_readfirstlane_b32 s37, v7
	v_readfirstlane_b32 s36, v6
	s_cmp_lg_u64 s[36:37], 0
	s_cselect_b64 s[36:37], -1, 0
	v_cmp_ge_u64_e32 vcc, v[12:13], v[10:11]
	s_or_b64 s[38:39], vcc, s[36:37]
	s_and_b64 s[38:39], exec, s[38:39]
	s_or_b64 s[34:35], s[38:39], s[34:35]
	s_andn2_b64 s[6:7], s[6:7], exec
	s_and_b64 s[36:37], s[36:37], exec
	v_add_u32_e32 v2, s3, v2
	s_or_b64 s[6:7], s[6:7], s[36:37]
	s_barrier
	s_andn2_b64 exec, exec, s[34:35]
	s_cbranch_execz .LBB102_207
.LBB102_198:                            ;   Parent Loop BB102_22 Depth=1
                                        ; =>  This Inner Loop Header: Depth=2
	v_cmp_gt_u64_e32 vcc, s[0:1], v[12:13]
	v_pk_mov_b32 v[6:7], 0, 0
	s_and_saveexec_b64 s[36:37], vcc
	s_cbranch_execz .LBB102_200
; %bb.199:                              ;   in Loop: Header=BB102_198 Depth=2
	ds_read_b64 v[6:7], v2
.LBB102_200:                            ;   in Loop: Header=BB102_198 Depth=2
	s_or_b64 exec, exec, s[36:37]
	s_and_saveexec_b64 s[36:37], vcc
	s_cbranch_execz .LBB102_197
; %bb.201:                              ;   in Loop: Header=BB102_198 Depth=2
	s_waitcnt lgkmcnt(0)
	v_xor_b32_e32 v5, 0x80000000, v7
	v_and_b32_e32 v9, s73, v5
	v_and_b32_e32 v8, s72, v6
	v_cmp_eq_u64_e32 vcc, s[60:61], v[8:9]
	s_and_b64 exec, exec, vcc
	s_cbranch_execz .LBB102_197
; %bb.202:                              ;   in Loop: Header=BB102_198 Depth=2
	v_mov_b32_e32 v5, v3
	ds_write_b128 v3, v[4:7] offset:3072
	s_branch .LBB102_197
.LBB102_203:                            ;   in Loop: Header=BB102_22 Depth=1
                                        ; implicit-def: $sgpr34_sgpr35
                                        ; implicit-def: $sgpr38_sgpr39
                                        ; implicit-def: $sgpr36_sgpr37
	s_branch .LBB102_222
.LBB102_204:                            ;   in Loop: Header=BB102_22 Depth=1
                                        ; implicit-def: $vgpr6_vgpr7
	s_branch .LBB102_144
.LBB102_205:                            ;   in Loop: Header=BB102_22 Depth=1
                                        ; implicit-def: $vgpr6_vgpr7
	s_branch .LBB102_164
.LBB102_206:                            ;   in Loop: Header=BB102_22 Depth=1
	s_mov_b64 s[34:35], -1
	s_mov_b64 s[6:7], 0
                                        ; implicit-def: $sgpr36_sgpr37
                                        ; implicit-def: $vgpr8_vgpr9
	s_mov_b64 s[38:39], s[34:35]
	s_cbranch_execnz .LBB102_209
	s_branch .LBB102_222
.LBB102_207:                            ;   in Loop: Header=BB102_22 Depth=1
	s_or_b64 exec, exec, s[34:35]
	s_and_b64 s[6:7], s[6:7], exec
.LBB102_208:                            ;   in Loop: Header=BB102_22 Depth=1
	s_or_b64 exec, exec, s[8:9]
	s_mov_b64 s[36:37], -1
	s_mov_b64 s[34:35], 0
	s_mov_b64 s[38:39], s[34:35]
	s_branch .LBB102_222
.LBB102_209:                            ;   in Loop: Header=BB102_22 Depth=1
	s_mov_b32 s82, s91
	s_cmp_lg_u64 s[82:83], 0
	s_cbranch_scc0 .LBB102_252
; %bb.210:                              ;   in Loop: Header=BB102_22 Depth=1
	v_cvt_f32_u32_e32 v2, s84
	s_sub_u32 s0, 0, s84
	s_subb_u32 s1, 0, 0
	v_mac_f32_e32 v2, 0, v38
	v_rcp_f32_e32 v2, v2
	v_mul_f32_e32 v2, 0x5f7ffffc, v2
	v_mul_f32_e32 v5, 0x2f800000, v2
	v_trunc_f32_e32 v5, v5
	v_mac_f32_e32 v2, 0xcf800000, v5
	v_cvt_u32_f32_e32 v5, v5
	v_cvt_u32_f32_e32 v2, v2
	v_readfirstlane_b32 s6, v5
	v_readfirstlane_b32 s7, v2
	s_mul_i32 s8, s0, s6
	s_mul_hi_u32 s34, s0, s7
	s_mul_i32 s9, s1, s7
	s_add_i32 s8, s34, s8
	s_mul_i32 s35, s0, s7
	s_add_i32 s8, s8, s9
	s_mul_hi_u32 s34, s7, s35
	s_mul_hi_u32 s9, s7, s8
	s_mul_i32 s7, s7, s8
	s_add_u32 s7, s34, s7
	s_addc_u32 s9, 0, s9
	s_mul_hi_u32 s36, s6, s35
	s_mul_i32 s35, s6, s35
	s_add_u32 s7, s7, s35
	s_mul_hi_u32 s34, s6, s8
	s_addc_u32 s7, s9, s36
	s_addc_u32 s9, s34, 0
	s_mul_i32 s8, s6, s8
	s_add_u32 s7, s7, s8
	s_addc_u32 s8, 0, s9
	v_add_co_u32_e32 v2, vcc, s7, v2
	s_cmp_lg_u64 vcc, 0
	s_addc_u32 s6, s6, s8
	v_readfirstlane_b32 s8, v2
	s_mul_i32 s7, s0, s6
	s_mul_hi_u32 s9, s0, s8
	s_add_i32 s7, s9, s7
	s_mul_i32 s1, s1, s8
	s_add_i32 s7, s7, s1
	s_mul_i32 s0, s0, s8
	s_mul_hi_u32 s9, s6, s0
	s_mul_i32 s34, s6, s0
	s_mul_i32 s36, s8, s7
	s_mul_hi_u32 s0, s8, s0
	s_mul_hi_u32 s35, s8, s7
	s_add_u32 s0, s0, s36
	s_addc_u32 s8, 0, s35
	s_add_u32 s0, s0, s34
	s_mul_hi_u32 s1, s6, s7
	s_addc_u32 s0, s8, s9
	s_addc_u32 s1, s1, 0
	s_mul_i32 s7, s6, s7
	s_add_u32 s0, s0, s7
	s_addc_u32 s1, 0, s1
	v_add_co_u32_e32 v2, vcc, s0, v2
	s_cmp_lg_u64 vcc, 0
	s_addc_u32 s0, s6, s1
	v_readfirstlane_b32 s7, v2
	s_mul_i32 s6, s27, s0
	s_mul_hi_u32 s8, s27, s7
	s_mul_hi_u32 s1, s27, s0
	s_add_u32 s6, s8, s6
	s_addc_u32 s1, 0, s1
	s_mul_hi_u32 s9, s83, s7
	s_mul_i32 s7, s83, s7
	s_add_u32 s6, s6, s7
	s_mul_hi_u32 s8, s83, s0
	s_addc_u32 s1, s1, s9
	s_addc_u32 s6, s8, 0
	s_mul_i32 s0, s83, s0
	s_add_u32 s0, s1, s0
	s_addc_u32 s1, 0, s6
	s_mul_hi_u32 s6, s84, s0
	s_mul_i32 s0, s84, s0
	s_mul_i32 s1, s84, s1
	v_mov_b32_e32 v2, s0
	s_add_i32 s6, s6, s1
	v_sub_co_u32_e32 v2, vcc, s27, v2
	s_cmp_lg_u64 vcc, 0
	s_subb_u32 s0, s83, s6
	v_subrev_co_u32_e32 v5, vcc, s84, v2
	s_cmp_lg_u64 vcc, 0
	s_subb_u32 s1, s0, 0
	v_subrev_co_u32_e32 v6, vcc, s84, v5
	s_cmp_lg_u64 vcc, 0
	s_subb_u32 s6, s1, 0
	v_cmp_le_u32_e32 vcc, s84, v5
	s_cmp_eq_u32 s1, 0
	v_cndmask_b32_e64 v7, 0, -1, vcc
	s_cselect_b64 vcc, -1, 0
	v_cndmask_b32_e32 v7, -1, v7, vcc
	v_mov_b32_e32 v8, s1
	v_mov_b32_e32 v9, s6
	v_cmp_ne_u32_e32 vcc, 0, v7
	v_cndmask_b32_e32 v7, v8, v9, vcc
	v_cndmask_b32_e32 v5, v5, v6, vcc
	v_cmp_le_u32_e32 vcc, s84, v2
	s_cmp_eq_u32 s0, 0
	v_cndmask_b32_e64 v6, 0, -1, vcc
	s_cselect_b64 vcc, -1, 0
	v_cndmask_b32_e32 v6, -1, v6, vcc
	v_mov_b32_e32 v8, s0
	v_cmp_ne_u32_e32 vcc, 0, v6
	v_cndmask_b32_e32 v7, v8, v7, vcc
	v_cndmask_b32_e32 v6, v2, v5, vcc
	s_cbranch_execnz .LBB102_212
.LBB102_211:                            ;   in Loop: Header=BB102_22 Depth=1
	v_cvt_f32_u32_e32 v2, s84
	s_sub_i32 s0, 0, s84
	v_rcp_iflag_f32_e32 v2, v2
	v_mul_f32_e32 v2, 0x4f7ffffe, v2
	v_cvt_u32_f32_e32 v2, v2
	v_mul_lo_u32 v5, s0, v2
	v_mul_hi_u32 v5, v2, v5
	v_add_u32_e32 v2, v2, v5
	v_mul_hi_u32 v2, s27, v2
	v_mul_lo_u32 v2, v2, s84
	v_sub_u32_e32 v2, s27, v2
	v_subrev_u32_e32 v5, s84, v2
	v_cmp_le_u32_e32 vcc, s84, v2
	v_cndmask_b32_e32 v2, v2, v5, vcc
	v_subrev_u32_e32 v5, s84, v2
	v_cmp_le_u32_e32 vcc, s84, v2
	v_cndmask_b32_e32 v2, v2, v5, vcc
	v_pk_mov_b32 v[6:7], v[2:3], v[2:3] op_sel:[0,1]
.LBB102_212:                            ;   in Loop: Header=BB102_22 Depth=1
	v_mov_b32_e32 v2, s83
	v_sub_co_u32_e32 v10, vcc, s27, v6
	v_subb_co_u32_e32 v11, vcc, v2, v7, vcc
	v_cmp_gt_u64_e32 vcc, v[10:11], v[0:1]
	s_mov_b64 s[6:7], 0
                                        ; implicit-def: $vgpr8_vgpr9
	s_and_saveexec_b64 s[0:1], vcc
	s_cbranch_execz .LBB102_221
; %bb.213:                              ;   in Loop: Header=BB102_22 Depth=1
	s_mov_b64 s[34:35], 0
	v_pk_mov_b32 v[12:13], v[0:1], v[0:1] op_sel:[0,1]
                                        ; implicit-def: $sgpr8_sgpr9
	s_branch .LBB102_215
.LBB102_214:                            ;   in Loop: Header=BB102_215 Depth=2
	s_or_b64 exec, exec, s[6:7]
	s_waitcnt lgkmcnt(0)
	s_barrier
	s_waitcnt vmcnt(0)
	ds_read_b128 v[6:9], v3 offset:3072
	v_mov_b32_e32 v2, s85
	v_add_co_u32_e32 v12, vcc, s84, v12
	v_addc_co_u32_e32 v13, vcc, v13, v2, vcc
	s_waitcnt lgkmcnt(0)
	v_readfirstlane_b32 s7, v7
	v_readfirstlane_b32 s6, v6
	s_cmp_lg_u64 s[6:7], 0
	s_cselect_b64 s[6:7], -1, 0
	v_cmp_ge_u64_e32 vcc, v[12:13], v[10:11]
	s_or_b64 s[36:37], vcc, s[6:7]
	s_and_b64 s[36:37], exec, s[36:37]
	s_or_b64 s[34:35], s[36:37], s[34:35]
	s_andn2_b64 s[8:9], s[8:9], exec
	s_and_b64 s[6:7], s[6:7], exec
	s_or_b64 s[8:9], s[8:9], s[6:7]
	s_barrier
	s_andn2_b64 exec, exec, s[34:35]
	s_cbranch_execz .LBB102_220
.LBB102_215:                            ;   Parent Loop BB102_22 Depth=1
                                        ; =>  This Inner Loop Header: Depth=2
	v_cmp_gt_u64_e32 vcc, s[52:53], v[12:13]
	v_pk_mov_b32 v[6:7], 0, 0
	s_and_saveexec_b64 s[36:37], vcc
	s_cbranch_execz .LBB102_217
; %bb.216:                              ;   in Loop: Header=BB102_215 Depth=2
	v_mul_lo_u32 v2, v13, s80
	v_mul_lo_u32 v5, v12, s81
	v_mad_u64_u32 v[6:7], s[6:7], v12, s80, 0
	v_add3_u32 v7, v7, v5, v2
	v_lshlrev_b64 v[6:7], 3, v[6:7]
	v_mov_b32_e32 v2, s26
	v_add_co_u32_e64 v6, s[6:7], s33, v6
	v_addc_co_u32_e64 v7, s[6:7], v2, v7, s[6:7]
	global_load_dwordx2 v[6:7], v[6:7], off
.LBB102_217:                            ;   in Loop: Header=BB102_215 Depth=2
	s_or_b64 exec, exec, s[36:37]
	s_and_saveexec_b64 s[6:7], vcc
	s_cbranch_execz .LBB102_214
; %bb.218:                              ;   in Loop: Header=BB102_215 Depth=2
	s_waitcnt vmcnt(0)
	v_xor_b32_e32 v2, 0x80000000, v7
	v_and_b32_e32 v9, s73, v2
	v_and_b32_e32 v8, s72, v6
	v_cmp_eq_u64_e32 vcc, s[60:61], v[8:9]
	s_and_b64 exec, exec, vcc
	s_cbranch_execz .LBB102_214
; %bb.219:                              ;   in Loop: Header=BB102_215 Depth=2
	v_mov_b32_e32 v5, v3
	ds_write_b128 v3, v[4:7] offset:3072
	s_branch .LBB102_214
.LBB102_220:                            ;   in Loop: Header=BB102_22 Depth=1
	s_or_b64 exec, exec, s[34:35]
	s_and_b64 s[6:7], s[8:9], exec
.LBB102_221:                            ;   in Loop: Header=BB102_22 Depth=1
	s_or_b64 exec, exec, s[0:1]
	s_mov_b64 s[38:39], -1
	s_mov_b64 s[34:35], 0
	s_mov_b64 s[36:37], 0
.LBB102_222:                            ;   in Loop: Header=BB102_22 Depth=1
	s_mov_b64 s[0:1], 0
                                        ; implicit-def: $sgpr48
	s_and_saveexec_b64 s[40:41], s[6:7]
	s_cbranch_execz .LBB102_284
; %bb.223:                              ;   in Loop: Header=BB102_22 Depth=1
	s_xor_b64 s[0:1], s[42:43], -1
	s_andn2_b64 vcc, exec, s[0:1]
	s_mov_b32 s48, 1
	s_cbranch_vccnz .LBB102_234
; %bb.224:                              ;   in Loop: Header=BB102_22 Depth=1
	s_waitcnt vmcnt(0)
	v_pk_mov_b32 v[6:7], s[18:19], s[18:19] op_sel:[0,1]
	v_cmp_gt_u64_e32 vcc, s[92:93], v[6:7]
	s_mov_b64 s[0:1], -1
                                        ; implicit-def: $sgpr48
                                        ; implicit-def: $sgpr6_sgpr7
                                        ; implicit-def: $sgpr8_sgpr9
	s_cbranch_vccnz .LBB102_230
; %bb.225:                              ;   in Loop: Header=BB102_22 Depth=1
	ds_read_b64 v[6:7], v3 offset:5120
	s_waitcnt lgkmcnt(0)
	v_cmp_ne_u64_e32 vcc, 0, v[6:7]
	s_cbranch_vccnz .LBB102_229
; %bb.226:                              ;   in Loop: Header=BB102_22 Depth=1
	s_mov_b64 s[0:1], exec
	v_readlane_b32 s6, v50, 28
	v_readlane_b32 s7, v50, 29
	s_and_b64 s[6:7], s[0:1], s[6:7]
	s_mov_b64 exec, s[6:7]
	s_cbranch_execz .LBB102_228
; %bb.227:                              ;   in Loop: Header=BB102_22 Depth=1
	v_pk_mov_b32 v[6:7], s[18:19], s[18:19] op_sel:[0,1]
	ds_write_b64 v3, v[6:7] offset:5128
.LBB102_228:                            ;   in Loop: Header=BB102_22 Depth=1
	s_or_b64 exec, exec, s[0:1]
	s_waitcnt lgkmcnt(0)
	s_barrier
.LBB102_229:                            ;   in Loop: Header=BB102_22 Depth=1
	s_lshl_b64 s[0:1], 2, s44
	s_and_b64 s[6:7], s[60:61], s[20:21]
	s_or_b64 s[6:7], s[6:7], s[0:1]
	s_or_b64 s[8:9], s[72:73], s[12:13]
	s_mov_b64 s[0:1], 0
	s_mov_b32 s48, 8
.LBB102_230:                            ;   in Loop: Header=BB102_22 Depth=1
	s_andn2_b64 vcc, exec, s[0:1]
	s_cbranch_vccnz .LBB102_232
; %bb.231:                              ;   in Loop: Header=BB102_22 Depth=1
	s_sub_u32 s92, s92, s18
	s_subb_u32 s93, s93, s19
	s_mov_b64 s[0:1], -1
	s_mov_b32 s48, 0
	s_mov_b64 s[6:7], s[60:61]
	s_mov_b64 s[8:9], s[72:73]
.LBB102_232:                            ;   in Loop: Header=BB102_22 Depth=1
	s_mov_b64 s[72:73], s[8:9]
	s_mov_b64 s[60:61], s[6:7]
	s_andn2_b64 vcc, exec, s[0:1]
	s_mov_b64 s[44:45], -1
	s_cbranch_vccz .LBB102_235
.LBB102_233:                            ;   in Loop: Header=BB102_22 Depth=1
                                        ; implicit-def: $sgpr0_sgpr1
                                        ; implicit-def: $sgpr8_sgpr9
                                        ; implicit-def: $sgpr6_sgpr7
	s_branch .LBB102_283
.LBB102_234:                            ;   in Loop: Header=BB102_22 Depth=1
	s_mov_b64 s[92:93], 1
	s_mov_b64 s[44:45], -1
	s_cbranch_execnz .LBB102_233
.LBB102_235:                            ;   in Loop: Header=BB102_22 Depth=1
	s_cmp_eq_u64 s[10:11], 1
	s_cselect_b64 s[0:1], -1, 0
	s_cmp_eq_u64 s[92:93], 1
	s_cselect_b64 s[6:7], -1, 0
	s_and_b64 s[18:19], s[0:1], s[6:7]
	s_mov_b64 s[20:21], -1
	s_and_b64 vcc, exec, s[18:19]
	s_cbranch_vccz .LBB102_250
; %bb.236:                              ;   in Loop: Header=BB102_22 Depth=1
	s_waitcnt vmcnt(0)
	ds_read_b64 v[6:7], v3 offset:5120
	s_waitcnt lgkmcnt(0)
	s_barrier
	v_readfirstlane_b32 s0, v6
	v_readfirstlane_b32 s1, v7
	s_mov_b64 s[6:7], exec
	v_readlane_b32 s8, v50, 38
	v_readlane_b32 s9, v50, 39
	s_and_b64 s[8:9], s[6:7], s[8:9]
	s_mov_b64 exec, s[8:9]
	s_cbranch_execz .LBB102_238
; %bb.237:                              ;   in Loop: Header=BB102_22 Depth=1
	v_mov_b32_e32 v2, v3
	ds_write_b64 v32, v[2:3]
.LBB102_238:                            ;   in Loop: Header=BB102_22 Depth=1
	s_or_b64 exec, exec, s[6:7]
	s_or_b64 s[60:61], s[60:61], s[12:13]
	s_or_b64 s[72:73], s[72:73], s[12:13]
	s_cmp_eq_u64 s[0:1], 0
	s_waitcnt lgkmcnt(0)
	s_barrier
	s_cbranch_scc1 .LBB102_253
; %bb.239:                              ;   in Loop: Header=BB102_22 Depth=1
	v_readlane_b32 s6, v50, 44
	s_add_u32 s20, s6, s0
	v_readlane_b32 s6, v50, 45
	s_addc_u32 s7, s6, s1
	s_mov_b32 s6, s91
	s_cmp_lg_u64 s[6:7], 0
	s_cbranch_scc0 .LBB102_289
; %bb.240:                              ;   in Loop: Header=BB102_22 Depth=1
	v_cvt_f32_u32_e32 v2, s84
	s_sub_u32 s6, 0, s84
	s_subb_u32 s8, 0, 0
	v_mac_f32_e32 v2, 0, v38
	v_rcp_f32_e32 v2, v2
	v_mul_f32_e32 v2, 0x5f7ffffc, v2
	v_mul_f32_e32 v5, 0x2f800000, v2
	v_trunc_f32_e32 v5, v5
	v_mac_f32_e32 v2, 0xcf800000, v5
	v_cvt_u32_f32_e32 v5, v5
	v_cvt_u32_f32_e32 v2, v2
	v_readfirstlane_b32 s9, v5
	v_readfirstlane_b32 s21, v2
	s_mul_i32 s42, s6, s9
	s_mul_hi_u32 s44, s6, s21
	s_mul_i32 s43, s8, s21
	s_add_i32 s42, s44, s42
	s_mul_i32 s45, s6, s21
	s_add_i32 s42, s42, s43
	s_mul_hi_u32 s44, s21, s45
	s_mul_hi_u32 s43, s21, s42
	s_mul_i32 s21, s21, s42
	s_add_u32 s21, s44, s21
	s_addc_u32 s43, 0, s43
	s_mul_hi_u32 s46, s9, s45
	s_mul_i32 s45, s9, s45
	s_add_u32 s21, s21, s45
	s_mul_hi_u32 s44, s9, s42
	s_addc_u32 s21, s43, s46
	s_addc_u32 s43, s44, 0
	s_mul_i32 s42, s9, s42
	s_add_u32 s21, s21, s42
	s_addc_u32 s42, 0, s43
	v_add_co_u32_e32 v2, vcc, s21, v2
	s_cmp_lg_u64 vcc, 0
	s_addc_u32 s9, s9, s42
	v_readfirstlane_b32 s42, v2
	s_mul_i32 s21, s6, s9
	s_mul_hi_u32 s43, s6, s42
	s_add_i32 s21, s43, s21
	s_mul_i32 s8, s8, s42
	s_add_i32 s21, s21, s8
	s_mul_i32 s6, s6, s42
	s_mul_hi_u32 s43, s9, s6
	s_mul_i32 s44, s9, s6
	s_mul_i32 s46, s42, s21
	s_mul_hi_u32 s6, s42, s6
	s_mul_hi_u32 s45, s42, s21
	s_add_u32 s6, s6, s46
	s_addc_u32 s42, 0, s45
	s_add_u32 s6, s6, s44
	s_mul_hi_u32 s8, s9, s21
	s_addc_u32 s6, s42, s43
	s_addc_u32 s8, s8, 0
	s_mul_i32 s21, s9, s21
	s_add_u32 s6, s6, s21
	s_addc_u32 s8, 0, s8
	v_add_co_u32_e32 v2, vcc, s6, v2
	s_cmp_lg_u64 vcc, 0
	s_addc_u32 s6, s9, s8
	v_readfirstlane_b32 s21, v2
	s_mul_i32 s9, s20, s6
	s_mul_hi_u32 s42, s20, s21
	s_mul_hi_u32 s8, s20, s6
	s_add_u32 s9, s42, s9
	s_addc_u32 s8, 0, s8
	s_mul_hi_u32 s43, s7, s21
	s_mul_i32 s21, s7, s21
	s_add_u32 s9, s9, s21
	s_mul_hi_u32 s42, s7, s6
	s_addc_u32 s8, s8, s43
	s_addc_u32 s9, s42, 0
	s_mul_i32 s6, s7, s6
	s_add_u32 s6, s8, s6
	s_addc_u32 s8, 0, s9
	s_mul_hi_u32 s9, s84, s6
	s_mul_i32 s6, s84, s6
	s_mul_i32 s8, s84, s8
	v_mov_b32_e32 v2, s6
	s_add_i32 s9, s9, s8
	v_sub_co_u32_e32 v2, vcc, s20, v2
	s_cmp_lg_u64 vcc, 0
	s_subb_u32 s6, s7, s9
	v_subrev_co_u32_e32 v5, vcc, s84, v2
	s_cmp_lg_u64 vcc, 0
	s_subb_u32 s8, s6, 0
	v_subrev_co_u32_e32 v6, vcc, s84, v5
	s_cmp_lg_u64 vcc, 0
	s_subb_u32 s9, s8, 0
	v_cmp_le_u32_e32 vcc, s84, v5
	s_cmp_eq_u32 s8, 0
	v_cndmask_b32_e64 v7, 0, -1, vcc
	s_cselect_b64 vcc, -1, 0
	v_cndmask_b32_e32 v7, -1, v7, vcc
	v_mov_b32_e32 v8, s8
	v_mov_b32_e32 v9, s9
	v_cmp_ne_u32_e32 vcc, 0, v7
	v_cndmask_b32_e32 v7, v8, v9, vcc
	v_cndmask_b32_e32 v5, v5, v6, vcc
	v_cmp_le_u32_e32 vcc, s84, v2
	s_cmp_eq_u32 s6, 0
	v_cndmask_b32_e64 v6, 0, -1, vcc
	s_cselect_b64 vcc, -1, 0
	v_cndmask_b32_e32 v6, -1, v6, vcc
	v_mov_b32_e32 v8, s6
	v_cmp_ne_u32_e32 vcc, 0, v6
	v_cndmask_b32_e32 v7, v8, v7, vcc
	v_cndmask_b32_e32 v6, v2, v5, vcc
	s_cbranch_execnz .LBB102_242
.LBB102_241:                            ;   in Loop: Header=BB102_22 Depth=1
	v_cvt_f32_u32_e32 v2, s84
	s_sub_i32 s6, 0, s84
	v_rcp_iflag_f32_e32 v2, v2
	v_mul_f32_e32 v2, 0x4f7ffffe, v2
	v_cvt_u32_f32_e32 v2, v2
	v_mul_lo_u32 v5, s6, v2
	v_mul_hi_u32 v5, v2, v5
	v_add_u32_e32 v2, v2, v5
	v_mul_hi_u32 v2, s20, v2
	v_mul_lo_u32 v2, v2, s84
	v_sub_u32_e32 v2, s20, v2
	v_subrev_u32_e32 v5, s84, v2
	v_cmp_le_u32_e32 vcc, s84, v2
	v_cndmask_b32_e32 v2, v2, v5, vcc
	v_subrev_u32_e32 v5, s84, v2
	v_cmp_le_u32_e32 vcc, s84, v2
	v_cndmask_b32_e32 v2, v2, v5, vcc
	v_pk_mov_b32 v[6:7], v[2:3], v[2:3] op_sel:[0,1]
.LBB102_242:                            ;   in Loop: Header=BB102_22 Depth=1
	v_mov_b32_e32 v2, s7
	v_sub_co_u32_e32 v10, vcc, s20, v6
	v_subb_co_u32_e32 v11, vcc, v2, v7, vcc
	v_cmp_gt_u64_e32 vcc, v[10:11], v[0:1]
	s_mov_b64 s[20:21], 0
                                        ; implicit-def: $vgpr8_vgpr9
	s_and_saveexec_b64 s[6:7], vcc
	s_cbranch_execz .LBB102_255
; %bb.243:                              ;   in Loop: Header=BB102_22 Depth=1
	v_mov_b32_e32 v2, v31
	v_pk_mov_b32 v[12:13], v[0:1], v[0:1] op_sel:[0,1]
                                        ; implicit-def: $sgpr8_sgpr9
	s_branch .LBB102_245
.LBB102_244:                            ;   in Loop: Header=BB102_245 Depth=2
	s_or_b64 exec, exec, s[42:43]
	s_waitcnt lgkmcnt(0)
	s_barrier
	ds_read_b128 v[6:9], v3 offset:3072
	v_mov_b32_e32 v5, s85
	v_add_co_u32_e32 v12, vcc, s84, v12
	v_addc_co_u32_e32 v13, vcc, v13, v5, vcc
	s_waitcnt lgkmcnt(0)
	v_readfirstlane_b32 s43, v7
	v_readfirstlane_b32 s42, v6
	s_cmp_lg_u64 s[42:43], 0
	s_cselect_b64 s[42:43], -1, 0
	v_cmp_ge_u64_e32 vcc, v[12:13], v[10:11]
	s_or_b64 s[44:45], vcc, s[42:43]
	s_and_b64 s[44:45], exec, s[44:45]
	s_or_b64 s[20:21], s[44:45], s[20:21]
	s_andn2_b64 s[8:9], s[8:9], exec
	s_and_b64 s[42:43], s[42:43], exec
	v_add_u32_e32 v2, s3, v2
	s_or_b64 s[8:9], s[8:9], s[42:43]
	s_barrier
	s_andn2_b64 exec, exec, s[20:21]
	s_cbranch_execz .LBB102_254
.LBB102_245:                            ;   Parent Loop BB102_22 Depth=1
                                        ; =>  This Inner Loop Header: Depth=2
	v_cmp_gt_u64_e32 vcc, s[0:1], v[12:13]
	v_pk_mov_b32 v[6:7], 0, 0
	s_and_saveexec_b64 s[42:43], vcc
	s_cbranch_execz .LBB102_247
; %bb.246:                              ;   in Loop: Header=BB102_245 Depth=2
	ds_read_b64 v[6:7], v2
.LBB102_247:                            ;   in Loop: Header=BB102_245 Depth=2
	s_or_b64 exec, exec, s[42:43]
	s_and_saveexec_b64 s[42:43], vcc
	s_cbranch_execz .LBB102_244
; %bb.248:                              ;   in Loop: Header=BB102_245 Depth=2
	s_waitcnt lgkmcnt(0)
	v_xor_b32_e32 v5, 0x80000000, v7
	v_and_b32_e32 v9, s73, v5
	v_and_b32_e32 v8, s72, v6
	v_cmp_eq_u64_e32 vcc, s[60:61], v[8:9]
	s_and_b64 exec, exec, vcc
	s_cbranch_execz .LBB102_244
; %bb.249:                              ;   in Loop: Header=BB102_245 Depth=2
	v_mov_b32_e32 v5, v3
	ds_write_b128 v3, v[4:7] offset:3072
	s_branch .LBB102_244
.LBB102_250:                            ;   in Loop: Header=BB102_22 Depth=1
                                        ; implicit-def: $sgpr0_sgpr1
                                        ; implicit-def: $sgpr8_sgpr9
                                        ; implicit-def: $sgpr6_sgpr7
	s_branch .LBB102_269
.LBB102_251:                            ;   in Loop: Header=BB102_22 Depth=1
                                        ; implicit-def: $vgpr6_vgpr7
	s_branch .LBB102_194
.LBB102_252:                            ;   in Loop: Header=BB102_22 Depth=1
                                        ; implicit-def: $vgpr6_vgpr7
	s_branch .LBB102_211
.LBB102_253:                            ;   in Loop: Header=BB102_22 Depth=1
	s_mov_b64 s[0:1], -1
	s_mov_b64 s[20:21], 0
                                        ; implicit-def: $sgpr6_sgpr7
                                        ; implicit-def: $vgpr8_vgpr9
	s_mov_b64 s[8:9], s[0:1]
	s_cbranch_execnz .LBB102_256
	s_branch .LBB102_269
.LBB102_254:                            ;   in Loop: Header=BB102_22 Depth=1
	s_or_b64 exec, exec, s[20:21]
	s_and_b64 s[20:21], s[8:9], exec
.LBB102_255:                            ;   in Loop: Header=BB102_22 Depth=1
	s_or_b64 exec, exec, s[6:7]
	s_mov_b64 s[6:7], -1
	s_mov_b64 s[0:1], 0
	s_mov_b64 s[8:9], s[0:1]
	s_branch .LBB102_269
.LBB102_256:                            ;   in Loop: Header=BB102_22 Depth=1
	s_mov_b32 s82, s91
	s_cmp_lg_u64 s[82:83], 0
	s_cbranch_scc0 .LBB102_290
; %bb.257:                              ;   in Loop: Header=BB102_22 Depth=1
	v_cvt_f32_u32_e32 v2, s84
	s_sub_u32 s0, 0, s84
	s_subb_u32 s1, 0, 0
	v_mac_f32_e32 v2, 0, v38
	v_rcp_f32_e32 v2, v2
	v_mul_f32_e32 v2, 0x5f7ffffc, v2
	v_mul_f32_e32 v5, 0x2f800000, v2
	v_trunc_f32_e32 v5, v5
	v_mac_f32_e32 v2, 0xcf800000, v5
	v_cvt_u32_f32_e32 v5, v5
	v_cvt_u32_f32_e32 v2, v2
	v_readfirstlane_b32 s6, v5
	v_readfirstlane_b32 s7, v2
	s_mul_i32 s8, s0, s6
	s_mul_hi_u32 s20, s0, s7
	s_mul_i32 s9, s1, s7
	s_add_i32 s8, s20, s8
	s_mul_i32 s21, s0, s7
	s_add_i32 s8, s8, s9
	s_mul_hi_u32 s20, s7, s21
	s_mul_hi_u32 s9, s7, s8
	s_mul_i32 s7, s7, s8
	s_add_u32 s7, s20, s7
	s_addc_u32 s9, 0, s9
	s_mul_hi_u32 s42, s6, s21
	s_mul_i32 s21, s6, s21
	s_add_u32 s7, s7, s21
	s_mul_hi_u32 s20, s6, s8
	s_addc_u32 s7, s9, s42
	s_addc_u32 s9, s20, 0
	s_mul_i32 s8, s6, s8
	s_add_u32 s7, s7, s8
	s_addc_u32 s8, 0, s9
	v_add_co_u32_e32 v2, vcc, s7, v2
	s_cmp_lg_u64 vcc, 0
	s_addc_u32 s6, s6, s8
	v_readfirstlane_b32 s8, v2
	s_mul_i32 s7, s0, s6
	s_mul_hi_u32 s9, s0, s8
	s_add_i32 s7, s9, s7
	s_mul_i32 s1, s1, s8
	s_add_i32 s7, s7, s1
	s_mul_i32 s0, s0, s8
	s_mul_hi_u32 s9, s6, s0
	s_mul_i32 s20, s6, s0
	s_mul_i32 s42, s8, s7
	s_mul_hi_u32 s0, s8, s0
	s_mul_hi_u32 s21, s8, s7
	s_add_u32 s0, s0, s42
	s_addc_u32 s8, 0, s21
	s_add_u32 s0, s0, s20
	s_mul_hi_u32 s1, s6, s7
	s_addc_u32 s0, s8, s9
	s_addc_u32 s1, s1, 0
	s_mul_i32 s7, s6, s7
	s_add_u32 s0, s0, s7
	s_addc_u32 s1, 0, s1
	v_add_co_u32_e32 v2, vcc, s0, v2
	s_cmp_lg_u64 vcc, 0
	s_addc_u32 s0, s6, s1
	v_readfirstlane_b32 s7, v2
	s_mul_i32 s6, s27, s0
	s_mul_hi_u32 s8, s27, s7
	s_mul_hi_u32 s1, s27, s0
	s_add_u32 s6, s8, s6
	s_addc_u32 s1, 0, s1
	s_mul_hi_u32 s9, s83, s7
	s_mul_i32 s7, s83, s7
	s_add_u32 s6, s6, s7
	s_mul_hi_u32 s8, s83, s0
	s_addc_u32 s1, s1, s9
	s_addc_u32 s6, s8, 0
	s_mul_i32 s0, s83, s0
	s_add_u32 s0, s1, s0
	s_addc_u32 s1, 0, s6
	s_mul_hi_u32 s6, s84, s0
	s_mul_i32 s0, s84, s0
	s_mul_i32 s1, s84, s1
	v_mov_b32_e32 v2, s0
	s_add_i32 s6, s6, s1
	v_sub_co_u32_e32 v2, vcc, s27, v2
	s_cmp_lg_u64 vcc, 0
	s_subb_u32 s0, s83, s6
	v_subrev_co_u32_e32 v5, vcc, s84, v2
	s_cmp_lg_u64 vcc, 0
	s_subb_u32 s1, s0, 0
	v_subrev_co_u32_e32 v6, vcc, s84, v5
	s_cmp_lg_u64 vcc, 0
	s_subb_u32 s6, s1, 0
	v_cmp_le_u32_e32 vcc, s84, v5
	s_cmp_eq_u32 s1, 0
	v_cndmask_b32_e64 v7, 0, -1, vcc
	s_cselect_b64 vcc, -1, 0
	v_cndmask_b32_e32 v7, -1, v7, vcc
	v_mov_b32_e32 v8, s1
	v_mov_b32_e32 v9, s6
	v_cmp_ne_u32_e32 vcc, 0, v7
	v_cndmask_b32_e32 v7, v8, v9, vcc
	v_cndmask_b32_e32 v5, v5, v6, vcc
	v_cmp_le_u32_e32 vcc, s84, v2
	s_cmp_eq_u32 s0, 0
	v_cndmask_b32_e64 v6, 0, -1, vcc
	s_cselect_b64 vcc, -1, 0
	v_cndmask_b32_e32 v6, -1, v6, vcc
	v_mov_b32_e32 v8, s0
	v_cmp_ne_u32_e32 vcc, 0, v6
	v_cndmask_b32_e32 v7, v8, v7, vcc
	v_cndmask_b32_e32 v6, v2, v5, vcc
	s_cbranch_execnz .LBB102_259
.LBB102_258:                            ;   in Loop: Header=BB102_22 Depth=1
	v_cvt_f32_u32_e32 v2, s84
	s_sub_i32 s0, 0, s84
	v_rcp_iflag_f32_e32 v2, v2
	v_mul_f32_e32 v2, 0x4f7ffffe, v2
	v_cvt_u32_f32_e32 v2, v2
	v_mul_lo_u32 v5, s0, v2
	v_mul_hi_u32 v5, v2, v5
	v_add_u32_e32 v2, v2, v5
	v_mul_hi_u32 v2, s27, v2
	v_mul_lo_u32 v2, v2, s84
	v_sub_u32_e32 v2, s27, v2
	v_subrev_u32_e32 v5, s84, v2
	v_cmp_le_u32_e32 vcc, s84, v2
	v_cndmask_b32_e32 v2, v2, v5, vcc
	v_subrev_u32_e32 v5, s84, v2
	v_cmp_le_u32_e32 vcc, s84, v2
	v_cndmask_b32_e32 v2, v2, v5, vcc
	v_pk_mov_b32 v[6:7], v[2:3], v[2:3] op_sel:[0,1]
.LBB102_259:                            ;   in Loop: Header=BB102_22 Depth=1
	v_mov_b32_e32 v2, s83
	v_sub_co_u32_e32 v10, vcc, s27, v6
	v_subb_co_u32_e32 v11, vcc, v2, v7, vcc
	v_cmp_gt_u64_e32 vcc, v[10:11], v[0:1]
	s_mov_b64 s[20:21], 0
                                        ; implicit-def: $vgpr8_vgpr9
	s_and_saveexec_b64 s[0:1], vcc
	s_cbranch_execz .LBB102_268
; %bb.260:                              ;   in Loop: Header=BB102_22 Depth=1
	v_pk_mov_b32 v[12:13], v[0:1], v[0:1] op_sel:[0,1]
                                        ; implicit-def: $sgpr8_sgpr9
	s_branch .LBB102_262
.LBB102_261:                            ;   in Loop: Header=BB102_262 Depth=2
	s_or_b64 exec, exec, s[6:7]
	s_waitcnt lgkmcnt(0)
	s_barrier
	s_waitcnt vmcnt(0)
	ds_read_b128 v[6:9], v3 offset:3072
	v_mov_b32_e32 v2, s85
	v_add_co_u32_e32 v12, vcc, s84, v12
	v_addc_co_u32_e32 v13, vcc, v13, v2, vcc
	s_waitcnt lgkmcnt(0)
	v_readfirstlane_b32 s7, v7
	v_readfirstlane_b32 s6, v6
	s_cmp_lg_u64 s[6:7], 0
	s_cselect_b64 s[6:7], -1, 0
	v_cmp_ge_u64_e32 vcc, v[12:13], v[10:11]
	s_or_b64 s[42:43], vcc, s[6:7]
	s_and_b64 s[42:43], exec, s[42:43]
	s_or_b64 s[20:21], s[42:43], s[20:21]
	s_andn2_b64 s[8:9], s[8:9], exec
	s_and_b64 s[6:7], s[6:7], exec
	s_or_b64 s[8:9], s[8:9], s[6:7]
	s_barrier
	s_andn2_b64 exec, exec, s[20:21]
	s_cbranch_execz .LBB102_267
.LBB102_262:                            ;   Parent Loop BB102_22 Depth=1
                                        ; =>  This Inner Loop Header: Depth=2
	v_cmp_gt_u64_e32 vcc, s[52:53], v[12:13]
	v_pk_mov_b32 v[6:7], 0, 0
	s_and_saveexec_b64 s[42:43], vcc
	s_cbranch_execz .LBB102_264
; %bb.263:                              ;   in Loop: Header=BB102_262 Depth=2
	v_mul_lo_u32 v2, v13, s80
	v_mul_lo_u32 v5, v12, s81
	v_mad_u64_u32 v[6:7], s[6:7], v12, s80, 0
	v_add3_u32 v7, v7, v5, v2
	v_lshlrev_b64 v[6:7], 3, v[6:7]
	v_mov_b32_e32 v2, s26
	v_add_co_u32_e64 v6, s[6:7], s33, v6
	v_addc_co_u32_e64 v7, s[6:7], v2, v7, s[6:7]
	global_load_dwordx2 v[6:7], v[6:7], off
.LBB102_264:                            ;   in Loop: Header=BB102_262 Depth=2
	s_or_b64 exec, exec, s[42:43]
	s_and_saveexec_b64 s[6:7], vcc
	s_cbranch_execz .LBB102_261
; %bb.265:                              ;   in Loop: Header=BB102_262 Depth=2
	s_waitcnt vmcnt(0)
	v_xor_b32_e32 v2, 0x80000000, v7
	v_and_b32_e32 v9, s73, v2
	v_and_b32_e32 v8, s72, v6
	v_cmp_eq_u64_e32 vcc, s[60:61], v[8:9]
	s_and_b64 exec, exec, vcc
	s_cbranch_execz .LBB102_261
; %bb.266:                              ;   in Loop: Header=BB102_262 Depth=2
	v_mov_b32_e32 v5, v3
	ds_write_b128 v3, v[4:7] offset:3072
	s_branch .LBB102_261
.LBB102_267:                            ;   in Loop: Header=BB102_22 Depth=1
	s_or_b64 exec, exec, s[20:21]
	s_and_b64 s[20:21], s[8:9], exec
.LBB102_268:                            ;   in Loop: Header=BB102_22 Depth=1
	s_or_b64 exec, exec, s[0:1]
	s_mov_b64 s[8:9], -1
	s_mov_b64 s[0:1], 0
	s_mov_b64 s[6:7], 0
.LBB102_269:                            ;   in Loop: Header=BB102_22 Depth=1
	s_mov_b64 s[44:45], 0
                                        ; implicit-def: $sgpr48
                                        ; implicit-def: $sgpr46_sgpr47
	s_and_saveexec_b64 s[42:43], s[20:21]
	s_cbranch_execz .LBB102_282
; %bb.270:                              ;   in Loop: Header=BB102_22 Depth=1
	s_xor_b64 s[18:19], s[18:19], -1
	s_mov_b64 s[46:47], 1
	s_andn2_b64 vcc, exec, s[18:19]
	s_mov_b32 s48, 1
	s_cbranch_vccnz .LBB102_281
; %bb.271:                              ;   in Loop: Header=BB102_22 Depth=1
	s_waitcnt vmcnt(0)
	v_pk_mov_b32 v[6:7], s[10:11], s[10:11] op_sel:[0,1]
	v_cmp_gt_u64_e32 vcc, s[92:93], v[6:7]
	s_cbranch_vccnz .LBB102_277
; %bb.272:                              ;   in Loop: Header=BB102_22 Depth=1
	ds_read_b64 v[6:7], v3 offset:5120
	s_waitcnt lgkmcnt(0)
	v_cmp_ne_u64_e32 vcc, 0, v[6:7]
	s_cbranch_vccnz .LBB102_276
; %bb.273:                              ;   in Loop: Header=BB102_22 Depth=1
	s_mov_b64 s[18:19], exec
	v_readlane_b32 s20, v50, 28
	v_readlane_b32 s21, v50, 29
	s_and_b64 s[20:21], s[18:19], s[20:21]
	s_mov_b64 exec, s[20:21]
	s_cbranch_execz .LBB102_275
; %bb.274:                              ;   in Loop: Header=BB102_22 Depth=1
	v_pk_mov_b32 v[6:7], s[10:11], s[10:11] op_sel:[0,1]
	ds_write_b64 v3, v[6:7] offset:5128
.LBB102_275:                            ;   in Loop: Header=BB102_22 Depth=1
	s_or_b64 exec, exec, s[18:19]
	s_waitcnt lgkmcnt(0)
	s_barrier
.LBB102_276:                            ;   in Loop: Header=BB102_22 Depth=1
	s_or_b64 s[18:19], s[60:61], s[12:13]
	s_or_b64 s[12:13], s[72:73], s[12:13]
	s_mov_b64 s[20:21], 0
	s_mov_b32 s48, 8
	s_branch .LBB102_278
.LBB102_277:                            ;   in Loop: Header=BB102_22 Depth=1
	s_mov_b64 s[20:21], -1
                                        ; implicit-def: $sgpr48
                                        ; implicit-def: $sgpr18_sgpr19
                                        ; implicit-def: $sgpr12_sgpr13
.LBB102_278:                            ;   in Loop: Header=BB102_22 Depth=1
	s_andn2_b64 vcc, exec, s[20:21]
	s_cbranch_vccnz .LBB102_280
; %bb.279:                              ;   in Loop: Header=BB102_22 Depth=1
	s_sub_u32 s92, s92, s10
	s_subb_u32 s93, s93, s11
	s_mov_b32 s48, 8
	s_mov_b64 s[18:19], s[60:61]
	s_mov_b64 s[12:13], s[72:73]
.LBB102_280:                            ;   in Loop: Header=BB102_22 Depth=1
	s_mov_b64 s[46:47], s[92:93]
	s_mov_b64 s[60:61], s[18:19]
	;; [unrolled: 1-line block ×3, first 2 shown]
.LBB102_281:                            ;   in Loop: Header=BB102_22 Depth=1
	s_mov_b64 s[44:45], exec
.LBB102_282:                            ;   in Loop: Header=BB102_22 Depth=1
	s_or_b64 exec, exec, s[42:43]
	s_mov_b64 s[92:93], s[46:47]
.LBB102_283:                            ;   in Loop: Header=BB102_22 Depth=1
	s_andn2_b64 s[10:11], s[34:35], exec
	s_and_b64 s[0:1], s[0:1], exec
	s_or_b64 s[34:35], s[10:11], s[0:1]
	s_andn2_b64 s[0:1], s[38:39], exec
	s_and_b64 s[8:9], s[8:9], exec
	s_or_b64 s[38:39], s[0:1], s[8:9]
	;; [unrolled: 3-line block ×3, first 2 shown]
	s_and_b64 s[0:1], s[44:45], exec
.LBB102_284:                            ;   in Loop: Header=BB102_22 Depth=1
	s_or_b64 exec, exec, s[40:41]
.LBB102_285:                            ;   in Loop: Header=BB102_22 Depth=1
	s_andn2_b64 s[6:7], s[24:25], exec
	s_and_b64 s[8:9], s[34:35], exec
	s_or_b64 s[24:25], s[6:7], s[8:9]
	s_andn2_b64 s[6:7], s[28:29], exec
	s_and_b64 s[8:9], s[38:39], exec
	s_or_b64 s[28:29], s[6:7], s[8:9]
	s_andn2_b64 s[6:7], s[22:23], exec
	s_and_b64 s[8:9], s[36:37], exec
	s_or_b64 s[22:23], s[6:7], s[8:9]
	s_and_b64 s[0:1], s[0:1], exec
.LBB102_286:                            ;   in Loop: Header=BB102_22 Depth=1
	s_or_b64 exec, exec, s[30:31]
	s_and_saveexec_b64 s[6:7], s[0:1]
	s_xor_b64 s[0:1], exec, s[6:7]
	s_cbranch_execz .LBB102_20
.LBB102_287:                            ;   in Loop: Header=BB102_22 Depth=1
	s_and_b32 s6, s48, -9
	s_cmp_eq_u32 s6, 0
	s_cbranch_scc1 .LBB102_18
; %bb.288:                              ;   in Loop: Header=BB102_22 Depth=1
	s_mov_b64 s[6:7], -1
                                        ; implicit-def: $sgpr72_sgpr73
                                        ; implicit-def: $sgpr92_sgpr93
                                        ; implicit-def: $sgpr94
                                        ; implicit-def: $sgpr95
	s_mov_b64 s[8:9], -1
	s_branch .LBB102_19
.LBB102_289:                            ;   in Loop: Header=BB102_22 Depth=1
                                        ; implicit-def: $vgpr6_vgpr7
	s_branch .LBB102_241
.LBB102_290:                            ;   in Loop: Header=BB102_22 Depth=1
                                        ; implicit-def: $vgpr6_vgpr7
	s_branch .LBB102_258
.LBB102_291:
	s_or_b64 exec, exec, s[86:87]
	s_xor_b64 s[8:9], s[78:79], -1
	s_xor_b64 s[0:1], s[70:71], -1
	;; [unrolled: 1-line block ×3, first 2 shown]
	s_mov_b64 s[4:5], 0
	s_and_saveexec_b64 s[2:3], s[0:1]
	s_xor_b64 s[0:1], exec, s[2:3]
	s_cbranch_execnz .LBB102_296
; %bb.292:
	s_andn2_saveexec_b64 s[0:1], s[0:1]
	s_cbranch_execnz .LBB102_309
.LBB102_293:
	s_or_b64 exec, exec, s[0:1]
	s_and_saveexec_b64 s[0:1], s[4:5]
.LBB102_294:
	; divergent unreachable
.LBB102_295:
	s_endpgm
.LBB102_296:
	s_and_saveexec_b64 s[2:3], s[8:9]
	s_xor_b64 s[4:5], exec, s[2:3]
	s_cbranch_execz .LBB102_307
; %bb.297:
	s_and_saveexec_b64 s[2:3], s[6:7]
	s_xor_b64 s[6:7], exec, s[2:3]
; %bb.298:
	v_xor_b32_e32 v7, 0x80000000, v7
	v_pk_mov_b32 v[8:9], v[6:7], v[6:7] op_sel:[0,1]
; %bb.299:
	s_or_b64 exec, exec, s[6:7]
	v_readlane_b32 s8, v50, 12
	v_readlane_b32 s2, v50, 4
	;; [unrolled: 1-line block ×4, first 2 shown]
	s_mov_b32 s14, s2
	s_mul_i32 s2, s2, s9
	s_mul_hi_u32 s3, s14, s8
	s_add_i32 s3, s3, s2
	s_mul_i32 s2, s14, s8
	v_readlane_b32 s12, v50, 6
	v_readlane_b32 s16, v50, 24
	;; [unrolled: 1-line block ×3, first 2 shown]
	s_sub_u32 s2, s12, s2
	v_readlane_b32 s18, v50, 26
	v_readlane_b32 s19, v50, 27
	s_subb_u32 s3, s13, s3
	s_mul_i32 s6, s2, s19
	s_mul_hi_u32 s7, s2, s18
	v_readlane_b32 s10, v50, 14
	v_readlane_b32 s11, v50, 15
	v_readlane_b32 s17, v50, 25
	s_add_i32 s6, s7, s6
	s_mul_i32 s3, s3, s18
	s_add_i32 s3, s6, s3
	s_mul_i32 s6, s14, s17
	s_mul_hi_u32 s7, s14, s16
	s_mul_i32 s8, s12, s11
	s_mul_hi_u32 s9, s12, s10
	s_mul_i32 s2, s2, s18
	s_add_i32 s7, s7, s6
	s_add_i32 s9, s9, s8
	s_mul_i32 s8, s12, s10
	v_readlane_b32 s18, v50, 34
	v_readlane_b32 s12, v50, 22
	s_sub_u32 s8, s18, s8
	v_readlane_b32 s13, v50, 23
	s_subb_u32 s9, 0, s9
	s_mul_i32 s10, s8, s13
	s_mul_hi_u32 s11, s8, s12
	s_mul_i32 s6, s14, s16
	s_add_i32 s10, s11, s10
	s_mul_i32 s9, s9, s12
	s_add_i32 s9, s10, s9
	s_lshl_b64 s[6:7], s[6:7], 3
	v_readlane_b32 s10, v50, 32
	v_readlane_b32 s11, v50, 33
	s_add_u32 s6, s10, s6
	s_addc_u32 s7, s11, s7
	s_lshl_b64 s[2:3], s[2:3], 3
	s_mul_i32 s8, s8, s12
	s_add_u32 s6, s6, s2
	s_addc_u32 s7, s7, s3
	s_lshl_b64 s[2:3], s[8:9], 3
	s_add_u32 s2, s6, s2
	s_addc_u32 s3, s7, s3
	v_mov_b32_e32 v2, 0
	v_readlane_b32 s19, v50, 35
	global_store_dwordx2 v2, v[8:9], s[2:3]
	s_mov_b64 s[6:7], exec
	v_readlane_b32 s2, v50, 36
	v_readlane_b32 s3, v50, 37
	s_and_b64 s[2:3], s[6:7], s[2:3]
	s_mov_b64 exec, s[2:3]
	s_cbranch_execz .LBB102_306
; %bb.300:
	s_mov_b64 s[2:3], 0
	v_mov_b32_e32 v4, s26
                                        ; implicit-def: $sgpr8_sgpr9
                                        ; implicit-def: $sgpr12_sgpr13
                                        ; implicit-def: $sgpr10_sgpr11
	s_branch .LBB102_302
.LBB102_301:                            ;   in Loop: Header=BB102_302 Depth=1
	s_or_b64 exec, exec, s[14:15]
	s_and_b64 s[14:15], exec, s[12:13]
	s_or_b64 s[2:3], s[14:15], s[2:3]
	s_andn2_b64 s[8:9], s[8:9], exec
	s_and_b64 s[14:15], s[10:11], exec
	s_or_b64 s[8:9], s[8:9], s[14:15]
	s_andn2_b64 exec, exec, s[2:3]
	s_cbranch_execz .LBB102_304
.LBB102_302:                            ; =>This Inner Loop Header: Depth=1
	v_pk_mov_b32 v[2:3], v[0:1], v[0:1] op_sel:[0,1]
	v_mul_lo_u32 v5, v3, s80
	v_mul_lo_u32 v6, v2, s81
	v_mad_u64_u32 v[0:1], s[14:15], v2, s80, 0
	v_add3_u32 v1, v1, v6, v5
	v_lshlrev_b64 v[0:1], 3, v[0:1]
	v_add_co_u32_e32 v0, vcc, s33, v0
	v_addc_co_u32_e32 v1, vcc, v4, v1, vcc
	global_load_dwordx2 v[0:1], v[0:1], off
	s_or_b64 s[10:11], s[10:11], exec
	s_or_b64 s[12:13], s[12:13], exec
	s_waitcnt vmcnt(0)
	v_cmp_ne_u64_e32 vcc, v[0:1], v[8:9]
                                        ; implicit-def: $vgpr0_vgpr1
	s_and_saveexec_b64 s[14:15], vcc
	s_cbranch_execz .LBB102_301
; %bb.303:                              ;   in Loop: Header=BB102_302 Depth=1
	v_mov_b32_e32 v1, s85
	v_add_co_u32_e32 v0, vcc, s84, v2
	v_addc_co_u32_e32 v1, vcc, v3, v1, vcc
	v_cmp_le_u64_e32 vcc, s[52:53], v[0:1]
	s_andn2_b64 s[12:13], s[12:13], exec
	s_and_b64 s[16:17], vcc, exec
	s_andn2_b64 s[10:11], s[10:11], exec
	s_or_b64 s[12:13], s[12:13], s[16:17]
	s_branch .LBB102_301
.LBB102_304:
	s_or_b64 exec, exec, s[2:3]
	s_and_saveexec_b64 s[2:3], s[8:9]
	s_xor_b64 s[2:3], exec, s[2:3]
	s_cbranch_execz .LBB102_306
; %bb.305:
	v_readlane_b32 s12, v50, 0
	v_readlane_b32 s2, v50, 10
	;; [unrolled: 1-line block ×4, first 2 shown]
	s_mov_b32 s10, s2
	s_mul_i32 s2, s2, s13
	s_mul_hi_u32 s3, s10, s12
	s_add_i32 s3, s3, s2
	s_mul_i32 s2, s10, s12
	v_readlane_b32 s12, v50, 8
	v_readlane_b32 s20, v50, 18
	;; [unrolled: 1-line block ×3, first 2 shown]
	s_sub_u32 s2, s12, s2
	v_readlane_b32 s22, v50, 20
	v_readlane_b32 s23, v50, 21
	s_subb_u32 s3, s13, s3
	s_mul_i32 s8, s2, s23
	s_mul_hi_u32 s9, s2, s22
	v_readlane_b32 s21, v50, 19
	s_add_i32 s8, s9, s8
	s_mul_i32 s3, s3, s22
	v_readlane_b32 s14, v50, 2
	v_readlane_b32 s15, v50, 3
	s_add_i32 s3, s8, s3
	s_mul_i32 s8, s10, s21
	s_mul_hi_u32 s9, s10, s20
	s_add_i32 s9, s9, s8
	s_mul_i32 s8, s10, s20
	s_mul_i32 s10, s12, s15
	s_mul_hi_u32 s11, s12, s14
	s_add_i32 s11, s11, s10
	s_mul_i32 s10, s12, s14
	v_readlane_b32 s14, v50, 16
	s_sub_u32 s10, s18, s10
	v_readlane_b32 s15, v50, 17
	s_subb_u32 s11, 0, s11
	s_mul_i32 s12, s10, s15
	s_mul_hi_u32 s13, s10, s14
	s_add_i32 s12, s13, s12
	s_mul_i32 s11, s11, s14
	s_add_i32 s11, s12, s11
	s_lshl_b64 s[8:9], s[8:9], 3
	v_readlane_b32 s12, v50, 30
	s_mul_i32 s2, s2, s22
	v_readlane_b32 s13, v50, 31
	s_add_u32 s8, s12, s8
	s_addc_u32 s9, s13, s9
	s_lshl_b64 s[2:3], s[2:3], 3
	s_mul_i32 s10, s10, s14
	s_add_u32 s8, s8, s2
	s_addc_u32 s9, s9, s3
	s_lshl_b64 s[2:3], s[10:11], 3
	s_add_u32 s2, s8, s2
	s_addc_u32 s3, s9, s3
	v_mov_b32_e32 v0, 0
	global_store_dwordx2 v0, v[2:3], s[2:3]
.LBB102_306:
	s_or_b64 exec, exec, s[6:7]
.LBB102_307:
	s_or_saveexec_b64 s[2:3], s[4:5]
	s_mov_b64 s[4:5], 0
	s_xor_b64 exec, exec, s[2:3]
	s_cbranch_execnz .LBB102_310
.LBB102_308:
	s_or_b64 exec, exec, s[2:3]
	s_and_b64 s[4:5], s[4:5], exec
	s_andn2_saveexec_b64 s[0:1], s[0:1]
	s_cbranch_execz .LBB102_293
.LBB102_309:
	s_or_b64 s[4:5], s[4:5], exec
	s_trap 2
	s_or_b64 exec, exec, s[0:1]
	s_and_saveexec_b64 s[0:1], s[4:5]
	s_cbranch_execnz .LBB102_294
	s_branch .LBB102_295
.LBB102_310:
	s_mov_b64 s[4:5], exec
	s_trap 2
	s_branch .LBB102_308
	.section	.rodata,"a",@progbits
	.p2align	6, 0x0
	.amdhsa_kernel _ZN2at6native12_GLOBAL__N_112gatherMedianIlmLi3EEEvNS_4cuda6detail10TensorInfoIT_T0_EENS5_IlS7_EENS5_IKS6_S7_EES7_S7_S7_b
		.amdhsa_group_segment_fixed_size 5152
		.amdhsa_private_segment_fixed_size 0
		.amdhsa_kernarg_size 1536
		.amdhsa_user_sgpr_count 6
		.amdhsa_user_sgpr_private_segment_buffer 1
		.amdhsa_user_sgpr_dispatch_ptr 0
		.amdhsa_user_sgpr_queue_ptr 0
		.amdhsa_user_sgpr_kernarg_segment_ptr 1
		.amdhsa_user_sgpr_dispatch_id 0
		.amdhsa_user_sgpr_flat_scratch_init 0
		.amdhsa_user_sgpr_kernarg_preload_length 0
		.amdhsa_user_sgpr_kernarg_preload_offset 0
		.amdhsa_user_sgpr_private_segment_size 0
		.amdhsa_uses_dynamic_stack 0
		.amdhsa_system_sgpr_private_segment_wavefront_offset 0
		.amdhsa_system_sgpr_workgroup_id_x 1
		.amdhsa_system_sgpr_workgroup_id_y 1
		.amdhsa_system_sgpr_workgroup_id_z 1
		.amdhsa_system_sgpr_workgroup_info 0
		.amdhsa_system_vgpr_workitem_id 0
		.amdhsa_next_free_vgpr 51
		.amdhsa_next_free_sgpr 96
		.amdhsa_accum_offset 52
		.amdhsa_reserve_vcc 1
		.amdhsa_reserve_flat_scratch 0
		.amdhsa_float_round_mode_32 0
		.amdhsa_float_round_mode_16_64 0
		.amdhsa_float_denorm_mode_32 3
		.amdhsa_float_denorm_mode_16_64 3
		.amdhsa_dx10_clamp 1
		.amdhsa_ieee_mode 1
		.amdhsa_fp16_overflow 0
		.amdhsa_tg_split 0
		.amdhsa_exception_fp_ieee_invalid_op 0
		.amdhsa_exception_fp_denorm_src 0
		.amdhsa_exception_fp_ieee_div_zero 0
		.amdhsa_exception_fp_ieee_overflow 0
		.amdhsa_exception_fp_ieee_underflow 0
		.amdhsa_exception_fp_ieee_inexact 0
		.amdhsa_exception_int_div_zero 0
	.end_amdhsa_kernel
	.section	.text._ZN2at6native12_GLOBAL__N_112gatherMedianIlmLi3EEEvNS_4cuda6detail10TensorInfoIT_T0_EENS5_IlS7_EENS5_IKS6_S7_EES7_S7_S7_b,"axG",@progbits,_ZN2at6native12_GLOBAL__N_112gatherMedianIlmLi3EEEvNS_4cuda6detail10TensorInfoIT_T0_EENS5_IlS7_EENS5_IKS6_S7_EES7_S7_S7_b,comdat
.Lfunc_end102:
	.size	_ZN2at6native12_GLOBAL__N_112gatherMedianIlmLi3EEEvNS_4cuda6detail10TensorInfoIT_T0_EENS5_IlS7_EENS5_IKS6_S7_EES7_S7_S7_b, .Lfunc_end102-_ZN2at6native12_GLOBAL__N_112gatherMedianIlmLi3EEEvNS_4cuda6detail10TensorInfoIT_T0_EENS5_IlS7_EENS5_IKS6_S7_EES7_S7_S7_b
                                        ; -- End function
	.section	.AMDGPU.csdata,"",@progbits
; Kernel info:
; codeLenInByte = 17016
; NumSgprs: 100
; NumVgprs: 51
; NumAgprs: 0
; TotalNumVgprs: 51
; ScratchSize: 0
; MemoryBound: 0
; FloatMode: 240
; IeeeMode: 1
; LDSByteSize: 5152 bytes/workgroup (compile time only)
; SGPRBlocks: 12
; VGPRBlocks: 6
; NumSGPRsForWavesPerEU: 100
; NumVGPRsForWavesPerEU: 51
; AccumOffset: 52
; Occupancy: 8
; WaveLimiterHint : 1
; COMPUTE_PGM_RSRC2:SCRATCH_EN: 0
; COMPUTE_PGM_RSRC2:USER_SGPR: 6
; COMPUTE_PGM_RSRC2:TRAP_HANDLER: 0
; COMPUTE_PGM_RSRC2:TGID_X_EN: 1
; COMPUTE_PGM_RSRC2:TGID_Y_EN: 1
; COMPUTE_PGM_RSRC2:TGID_Z_EN: 1
; COMPUTE_PGM_RSRC2:TIDIG_COMP_CNT: 0
; COMPUTE_PGM_RSRC3_GFX90A:ACCUM_OFFSET: 12
; COMPUTE_PGM_RSRC3_GFX90A:TG_SPLIT: 0
	.section	.text._ZN2at6native12_GLOBAL__N_112gatherMedianIlmLin1EEEvNS_4cuda6detail10TensorInfoIT_T0_EENS5_IlS7_EENS5_IKS6_S7_EES7_S7_S7_b,"axG",@progbits,_ZN2at6native12_GLOBAL__N_112gatherMedianIlmLin1EEEvNS_4cuda6detail10TensorInfoIT_T0_EENS5_IlS7_EENS5_IKS6_S7_EES7_S7_S7_b,comdat
	.globl	_ZN2at6native12_GLOBAL__N_112gatherMedianIlmLin1EEEvNS_4cuda6detail10TensorInfoIT_T0_EENS5_IlS7_EENS5_IKS6_S7_EES7_S7_S7_b ; -- Begin function _ZN2at6native12_GLOBAL__N_112gatherMedianIlmLin1EEEvNS_4cuda6detail10TensorInfoIT_T0_EENS5_IlS7_EENS5_IKS6_S7_EES7_S7_S7_b
	.p2align	8
	.type	_ZN2at6native12_GLOBAL__N_112gatherMedianIlmLin1EEEvNS_4cuda6detail10TensorInfoIT_T0_EENS5_IlS7_EENS5_IKS6_S7_EES7_S7_S7_b,@function
_ZN2at6native12_GLOBAL__N_112gatherMedianIlmLin1EEEvNS_4cuda6detail10TensorInfoIT_T0_EENS5_IlS7_EENS5_IKS6_S7_EES7_S7_S7_b: ; @_ZN2at6native12_GLOBAL__N_112gatherMedianIlmLin1EEEvNS_4cuda6detail10TensorInfoIT_T0_EENS5_IlS7_EENS5_IKS6_S7_EES7_S7_S7_b
; %bb.0:
	s_load_dwordx4 s[52:55], s[4:5], 0x4e0
	s_load_dwordx2 s[2:3], s[4:5], 0x500
	s_add_u32 s10, s4, 0x500
	s_addc_u32 s11, s5, 0
	s_mov_b32 s9, 0
	s_waitcnt lgkmcnt(0)
	v_mov_b32_e32 v2, s54
	s_mul_i32 s0, s3, s8
	s_add_i32 s0, s0, s7
	s_mul_i32 s0, s0, s2
	v_mov_b32_e32 v3, s55
	s_add_i32 s8, s0, s6
	v_cmp_ge_u64_e32 vcc, s[8:9], v[2:3]
	s_cbranch_vccnz .LBB103_308
; %bb.1:
	s_load_dword s0, s[4:5], 0x198
	s_load_dwordx2 s[56:57], s[4:5], 0x4f0
	s_mov_b64 s[26:27], 0
	s_mov_b64 s[20:21], s[8:9]
	s_waitcnt lgkmcnt(0)
	s_cmp_lt_i32 s0, 2
	s_cbranch_scc1 .LBB103_9
; %bb.2:
	s_mov_b32 s12, 0
	s_add_i32 s3, s0, 1
	s_add_i32 s0, s0, -1
	s_mov_b32 s1, s12
	s_lshl_b64 s[0:1], s[0:1], 3
	s_add_u32 s0, s0, s4
	s_addc_u32 s1, s1, s5
	s_add_u32 s14, s0, 8
	s_addc_u32 s15, s1, 0
	s_mov_b64 s[16:17], s[8:9]
.LBB103_3:                              ; =>This Inner Loop Header: Depth=1
	s_load_dwordx2 s[18:19], s[14:15], 0x0
	s_waitcnt lgkmcnt(0)
	s_or_b64 s[0:1], s[16:17], s[18:19]
	s_mov_b32 s13, s1
	s_cmp_lg_u64 s[12:13], 0
	s_cbranch_scc0 .LBB103_8
; %bb.4:                                ;   in Loop: Header=BB103_3 Depth=1
	v_cvt_f32_u32_e32 v1, s18
	v_cvt_f32_u32_e32 v2, s19
	s_sub_u32 s0, 0, s18
	s_subb_u32 s1, 0, s19
	v_mac_f32_e32 v1, 0x4f800000, v2
	v_rcp_f32_e32 v1, v1
	v_mul_f32_e32 v1, 0x5f7ffffc, v1
	v_mul_f32_e32 v2, 0x2f800000, v1
	v_trunc_f32_e32 v2, v2
	v_mac_f32_e32 v1, 0xcf800000, v2
	v_cvt_u32_f32_e32 v2, v2
	v_cvt_u32_f32_e32 v1, v1
	v_readfirstlane_b32 s7, v2
	v_readfirstlane_b32 s13, v1
	s_mul_i32 s20, s0, s7
	s_mul_hi_u32 s22, s0, s13
	s_mul_i32 s21, s1, s13
	s_add_i32 s20, s22, s20
	s_mul_i32 s23, s0, s13
	s_add_i32 s20, s20, s21
	s_mul_hi_u32 s21, s13, s20
	s_mul_i32 s22, s13, s20
	s_mul_hi_u32 s13, s13, s23
	s_add_u32 s13, s13, s22
	s_addc_u32 s21, 0, s21
	s_mul_hi_u32 s24, s7, s23
	s_mul_i32 s23, s7, s23
	s_add_u32 s13, s13, s23
	s_mul_hi_u32 s22, s7, s20
	s_addc_u32 s13, s21, s24
	s_addc_u32 s21, s22, 0
	s_mul_i32 s20, s7, s20
	s_add_u32 s13, s13, s20
	s_addc_u32 s20, 0, s21
	v_add_co_u32_e32 v1, vcc, s13, v1
	s_cmp_lg_u64 vcc, 0
	s_addc_u32 s7, s7, s20
	v_readfirstlane_b32 s20, v1
	s_mul_i32 s13, s0, s7
	s_mul_hi_u32 s21, s0, s20
	s_add_i32 s13, s21, s13
	s_mul_i32 s1, s1, s20
	s_add_i32 s13, s13, s1
	s_mul_i32 s0, s0, s20
	s_mul_hi_u32 s21, s7, s0
	s_mul_i32 s22, s7, s0
	s_mul_i32 s24, s20, s13
	s_mul_hi_u32 s0, s20, s0
	s_mul_hi_u32 s23, s20, s13
	s_add_u32 s0, s0, s24
	s_addc_u32 s20, 0, s23
	s_add_u32 s0, s0, s22
	s_mul_hi_u32 s1, s7, s13
	s_addc_u32 s0, s20, s21
	s_addc_u32 s1, s1, 0
	s_mul_i32 s13, s7, s13
	s_add_u32 s0, s0, s13
	s_addc_u32 s1, 0, s1
	v_add_co_u32_e32 v1, vcc, s0, v1
	s_cmp_lg_u64 vcc, 0
	s_addc_u32 s0, s7, s1
	v_readfirstlane_b32 s13, v1
	s_mul_i32 s7, s16, s0
	s_mul_hi_u32 s20, s16, s13
	s_mul_hi_u32 s1, s16, s0
	s_add_u32 s7, s20, s7
	s_addc_u32 s1, 0, s1
	s_mul_hi_u32 s21, s17, s13
	s_mul_i32 s13, s17, s13
	s_add_u32 s7, s7, s13
	s_mul_hi_u32 s20, s17, s0
	s_addc_u32 s1, s1, s21
	s_addc_u32 s7, s20, 0
	s_mul_i32 s0, s17, s0
	s_add_u32 s13, s1, s0
	s_addc_u32 s7, 0, s7
	s_mul_i32 s0, s18, s7
	s_mul_hi_u32 s1, s18, s13
	s_add_i32 s0, s1, s0
	s_mul_i32 s1, s19, s13
	s_add_i32 s20, s0, s1
	s_mul_i32 s1, s18, s13
	v_mov_b32_e32 v1, s1
	s_sub_i32 s0, s17, s20
	v_sub_co_u32_e32 v1, vcc, s16, v1
	s_cmp_lg_u64 vcc, 0
	s_subb_u32 s21, s0, s19
	v_subrev_co_u32_e64 v2, s[0:1], s18, v1
	s_cmp_lg_u64 s[0:1], 0
	s_subb_u32 s0, s21, 0
	s_cmp_ge_u32 s0, s19
	v_readfirstlane_b32 s21, v2
	s_cselect_b32 s1, -1, 0
	s_cmp_ge_u32 s21, s18
	s_cselect_b32 s21, -1, 0
	s_cmp_eq_u32 s0, s19
	s_cselect_b32 s0, s21, s1
	s_add_u32 s1, s13, 1
	s_addc_u32 s21, s7, 0
	s_add_u32 s22, s13, 2
	s_addc_u32 s23, s7, 0
	s_cmp_lg_u32 s0, 0
	s_cselect_b32 s0, s22, s1
	s_cselect_b32 s1, s23, s21
	s_cmp_lg_u64 vcc, 0
	s_subb_u32 s20, s17, s20
	s_cmp_ge_u32 s20, s19
	v_readfirstlane_b32 s22, v1
	s_cselect_b32 s21, -1, 0
	s_cmp_ge_u32 s22, s18
	s_cselect_b32 s22, -1, 0
	s_cmp_eq_u32 s20, s19
	s_cselect_b32 s20, s22, s21
	s_cmp_lg_u32 s20, 0
	s_cselect_b32 s21, s1, s7
	s_cselect_b32 s20, s0, s13
	s_cbranch_execnz .LBB103_6
.LBB103_5:                              ;   in Loop: Header=BB103_3 Depth=1
	v_cvt_f32_u32_e32 v1, s18
	s_sub_i32 s0, 0, s18
	s_mov_b32 s21, s12
	v_rcp_iflag_f32_e32 v1, v1
	v_mul_f32_e32 v1, 0x4f7ffffe, v1
	v_cvt_u32_f32_e32 v1, v1
	v_readfirstlane_b32 s1, v1
	s_mul_i32 s0, s0, s1
	s_mul_hi_u32 s0, s1, s0
	s_add_i32 s1, s1, s0
	s_mul_hi_u32 s0, s16, s1
	s_mul_i32 s7, s0, s18
	s_sub_i32 s7, s16, s7
	s_add_i32 s1, s0, 1
	s_sub_i32 s13, s7, s18
	s_cmp_ge_u32 s7, s18
	s_cselect_b32 s0, s1, s0
	s_cselect_b32 s7, s13, s7
	s_add_i32 s1, s0, 1
	s_cmp_ge_u32 s7, s18
	s_cselect_b32 s20, s1, s0
.LBB103_6:                              ;   in Loop: Header=BB103_3 Depth=1
	s_mul_i32 s0, s20, s19
	s_mul_hi_u32 s1, s20, s18
	s_add_i32 s7, s1, s0
	s_load_dwordx2 s[0:1], s[14:15], 0xc8
	s_mul_i32 s13, s21, s18
	s_add_i32 s7, s7, s13
	s_mul_i32 s13, s20, s18
	s_sub_u32 s13, s16, s13
	s_subb_u32 s7, s17, s7
	s_waitcnt lgkmcnt(0)
	s_mul_i32 s7, s0, s7
	s_mul_hi_u32 s16, s0, s13
	s_add_i32 s7, s16, s7
	s_mul_i32 s1, s1, s13
	s_add_i32 s7, s7, s1
	s_mul_i32 s0, s0, s13
	s_add_u32 s26, s0, s26
	s_addc_u32 s27, s7, s27
	s_add_i32 s3, s3, -1
	s_add_u32 s14, s14, -8
	s_addc_u32 s15, s15, -1
	s_cmp_gt_u32 s3, 2
	s_cbranch_scc0 .LBB103_9
; %bb.7:                                ;   in Loop: Header=BB103_3 Depth=1
	s_mov_b64 s[16:17], s[20:21]
	s_branch .LBB103_3
.LBB103_8:                              ;   in Loop: Header=BB103_3 Depth=1
                                        ; implicit-def: $sgpr20_sgpr21
	s_branch .LBB103_5
.LBB103_9:
                                        ; implicit-def: $vgpr66 : SGPR spill to VGPR lane
	s_load_dword s0, s[4:5], 0x338
	s_load_dwordx2 s[12:13], s[4:5], 0xd0
	v_writelane_b32 v66, s26, 0
	v_writelane_b32 v66, s27, 1
	;; [unrolled: 1-line block ×4, first 2 shown]
	s_waitcnt lgkmcnt(0)
	v_writelane_b32 v66, s12, 4
	v_writelane_b32 v66, s13, 5
	s_add_u32 s12, s4, 0x1a0
	s_addc_u32 s13, s5, 0
	s_mov_b64 s[14:15], 0
	v_writelane_b32 v66, s14, 6
	s_cmp_lt_i32 s0, 2
	s_mov_b64 s[64:65], s[8:9]
	v_writelane_b32 v66, s15, 7
	s_cbranch_scc1 .LBB103_17
; %bb.10:
	s_mov_b32 s14, 0
	s_add_i32 s3, s0, 1
	s_add_i32 s0, s0, -1
	s_mov_b32 s1, s14
	s_lshl_b64 s[0:1], s[0:1], 3
	s_add_u32 s0, s0, s12
	s_addc_u32 s1, s1, s13
	s_add_u32 s16, s0, 8
	s_addc_u32 s17, s1, 0
	s_mov_b64 s[0:1], 0
	v_writelane_b32 v66, s0, 6
	s_mov_b64 s[18:19], s[8:9]
	v_writelane_b32 v66, s1, 7
.LBB103_11:                             ; =>This Inner Loop Header: Depth=1
	s_load_dwordx2 s[20:21], s[16:17], 0x0
	s_waitcnt lgkmcnt(0)
	s_or_b64 s[0:1], s[18:19], s[20:21]
	s_mov_b32 s15, s1
	s_cmp_lg_u64 s[14:15], 0
	s_cbranch_scc0 .LBB103_16
; %bb.12:                               ;   in Loop: Header=BB103_11 Depth=1
	v_cvt_f32_u32_e32 v1, s20
	v_cvt_f32_u32_e32 v2, s21
	s_sub_u32 s0, 0, s20
	s_subb_u32 s1, 0, s21
	v_mac_f32_e32 v1, 0x4f800000, v2
	v_rcp_f32_e32 v1, v1
	v_mul_f32_e32 v1, 0x5f7ffffc, v1
	v_mul_f32_e32 v2, 0x2f800000, v1
	v_trunc_f32_e32 v2, v2
	v_mac_f32_e32 v1, 0xcf800000, v2
	v_cvt_u32_f32_e32 v2, v2
	v_cvt_u32_f32_e32 v1, v1
	v_readfirstlane_b32 s7, v2
	v_readfirstlane_b32 s15, v1
	s_mul_i32 s22, s0, s7
	s_mul_hi_u32 s24, s0, s15
	s_mul_i32 s23, s1, s15
	s_add_i32 s22, s24, s22
	s_mul_i32 s25, s0, s15
	s_add_i32 s22, s22, s23
	s_mul_hi_u32 s23, s15, s22
	s_mul_i32 s24, s15, s22
	s_mul_hi_u32 s15, s15, s25
	s_add_u32 s15, s15, s24
	s_addc_u32 s23, 0, s23
	s_mul_hi_u32 s26, s7, s25
	s_mul_i32 s25, s7, s25
	s_add_u32 s15, s15, s25
	s_mul_hi_u32 s24, s7, s22
	s_addc_u32 s15, s23, s26
	s_addc_u32 s23, s24, 0
	s_mul_i32 s22, s7, s22
	s_add_u32 s15, s15, s22
	s_addc_u32 s22, 0, s23
	v_add_co_u32_e32 v1, vcc, s15, v1
	s_cmp_lg_u64 vcc, 0
	s_addc_u32 s7, s7, s22
	v_readfirstlane_b32 s22, v1
	s_mul_i32 s15, s0, s7
	s_mul_hi_u32 s23, s0, s22
	s_add_i32 s15, s23, s15
	s_mul_i32 s1, s1, s22
	s_add_i32 s15, s15, s1
	s_mul_i32 s0, s0, s22
	s_mul_hi_u32 s23, s7, s0
	s_mul_i32 s24, s7, s0
	s_mul_i32 s26, s22, s15
	s_mul_hi_u32 s0, s22, s0
	s_mul_hi_u32 s25, s22, s15
	s_add_u32 s0, s0, s26
	s_addc_u32 s22, 0, s25
	s_add_u32 s0, s0, s24
	s_mul_hi_u32 s1, s7, s15
	s_addc_u32 s0, s22, s23
	s_addc_u32 s1, s1, 0
	s_mul_i32 s15, s7, s15
	s_add_u32 s0, s0, s15
	s_addc_u32 s1, 0, s1
	v_add_co_u32_e32 v1, vcc, s0, v1
	s_cmp_lg_u64 vcc, 0
	s_addc_u32 s0, s7, s1
	v_readfirstlane_b32 s15, v1
	s_mul_i32 s7, s18, s0
	s_mul_hi_u32 s22, s18, s15
	s_mul_hi_u32 s1, s18, s0
	s_add_u32 s7, s22, s7
	s_addc_u32 s1, 0, s1
	s_mul_hi_u32 s23, s19, s15
	s_mul_i32 s15, s19, s15
	s_add_u32 s7, s7, s15
	s_mul_hi_u32 s22, s19, s0
	s_addc_u32 s1, s1, s23
	s_addc_u32 s7, s22, 0
	s_mul_i32 s0, s19, s0
	s_add_u32 s15, s1, s0
	s_addc_u32 s7, 0, s7
	s_mul_i32 s0, s20, s7
	s_mul_hi_u32 s1, s20, s15
	s_add_i32 s0, s1, s0
	s_mul_i32 s1, s21, s15
	s_add_i32 s22, s0, s1
	s_mul_i32 s1, s20, s15
	v_mov_b32_e32 v1, s1
	s_sub_i32 s0, s19, s22
	v_sub_co_u32_e32 v1, vcc, s18, v1
	s_cmp_lg_u64 vcc, 0
	s_subb_u32 s23, s0, s21
	v_subrev_co_u32_e64 v2, s[0:1], s20, v1
	s_cmp_lg_u64 s[0:1], 0
	s_subb_u32 s0, s23, 0
	s_cmp_ge_u32 s0, s21
	v_readfirstlane_b32 s23, v2
	s_cselect_b32 s1, -1, 0
	s_cmp_ge_u32 s23, s20
	s_cselect_b32 s23, -1, 0
	s_cmp_eq_u32 s0, s21
	s_cselect_b32 s0, s23, s1
	s_add_u32 s1, s15, 1
	s_addc_u32 s23, s7, 0
	s_add_u32 s24, s15, 2
	s_addc_u32 s25, s7, 0
	s_cmp_lg_u32 s0, 0
	s_cselect_b32 s0, s24, s1
	s_cselect_b32 s1, s25, s23
	s_cmp_lg_u64 vcc, 0
	s_subb_u32 s22, s19, s22
	s_cmp_ge_u32 s22, s21
	v_readfirstlane_b32 s24, v1
	s_cselect_b32 s23, -1, 0
	s_cmp_ge_u32 s24, s20
	s_cselect_b32 s24, -1, 0
	s_cmp_eq_u32 s22, s21
	s_cselect_b32 s22, s24, s23
	s_cmp_lg_u32 s22, 0
	s_cselect_b32 s65, s1, s7
	s_cselect_b32 s64, s0, s15
	s_cbranch_execnz .LBB103_14
.LBB103_13:                             ;   in Loop: Header=BB103_11 Depth=1
	v_cvt_f32_u32_e32 v1, s20
	s_sub_i32 s0, 0, s20
	s_mov_b32 s65, s14
	v_rcp_iflag_f32_e32 v1, v1
	v_mul_f32_e32 v1, 0x4f7ffffe, v1
	v_cvt_u32_f32_e32 v1, v1
	v_readfirstlane_b32 s1, v1
	s_mul_i32 s0, s0, s1
	s_mul_hi_u32 s0, s1, s0
	s_add_i32 s1, s1, s0
	s_mul_hi_u32 s0, s18, s1
	s_mul_i32 s7, s0, s20
	s_sub_i32 s7, s18, s7
	s_add_i32 s1, s0, 1
	s_sub_i32 s15, s7, s20
	s_cmp_ge_u32 s7, s20
	s_cselect_b32 s0, s1, s0
	s_cselect_b32 s7, s15, s7
	s_add_i32 s1, s0, 1
	s_cmp_ge_u32 s7, s20
	s_cselect_b32 s64, s1, s0
.LBB103_14:                             ;   in Loop: Header=BB103_11 Depth=1
	s_mul_i32 s0, s64, s21
	s_mul_hi_u32 s1, s64, s20
	s_add_i32 s7, s1, s0
	s_load_dwordx2 s[0:1], s[16:17], 0xc8
	s_mul_i32 s15, s65, s20
	s_add_i32 s7, s7, s15
	s_mul_i32 s15, s64, s20
	s_sub_u32 s15, s18, s15
	s_subb_u32 s7, s19, s7
	s_waitcnt lgkmcnt(0)
	s_mul_i32 s7, s0, s7
	s_mul_hi_u32 s18, s0, s15
	s_add_i32 s7, s18, s7
	s_mul_i32 s1, s1, s15
	s_add_i32 s7, s7, s1
	s_mul_i32 s0, s0, s15
	v_readlane_b32 s18, v66, 6
	v_readlane_b32 s19, v66, 7
	s_add_u32 s18, s0, s18
	s_addc_u32 s19, s7, s19
	s_add_i32 s3, s3, -1
	s_add_u32 s16, s16, -8
	s_addc_u32 s17, s17, -1
	v_writelane_b32 v66, s18, 6
	s_cmp_gt_u32 s3, 2
	v_writelane_b32 v66, s19, 7
	s_cbranch_scc0 .LBB103_17
; %bb.15:                               ;   in Loop: Header=BB103_11 Depth=1
	s_mov_b64 s[18:19], s[64:65]
	s_branch .LBB103_11
.LBB103_16:                             ;   in Loop: Header=BB103_11 Depth=1
                                        ; implicit-def: $sgpr64_sgpr65
	s_branch .LBB103_13
.LBB103_17:
	s_load_dword s7, s[4:5], 0x4d8
	s_load_dwordx2 s[0:1], s[12:13], 0xd0
                                        ; kill: killed $sgpr12 killed $sgpr13
	s_mov_b64 s[12:13], 0
	s_waitcnt lgkmcnt(0)
	v_writelane_b32 v66, s0, 8
	v_writelane_b32 v66, s1, 9
	s_add_u32 s0, s4, 0x340
	s_addc_u32 s1, s5, 0
	s_cmp_lt_i32 s7, 2
	s_cbranch_scc1 .LBB103_25
; %bb.18:
	s_mov_b32 s14, 0
	s_add_i32 s12, s7, -1
	s_mov_b32 s13, s14
	s_add_i32 s3, s7, 1
	s_lshl_b64 s[12:13], s[12:13], 3
	s_add_u32 s0, s12, s0
	s_addc_u32 s1, s13, s1
	s_add_u32 s16, s0, 8
	s_addc_u32 s17, s1, 0
	s_mov_b64 s[12:13], 0
.LBB103_19:                             ; =>This Inner Loop Header: Depth=1
	s_load_dwordx2 s[18:19], s[16:17], 0x0
	s_waitcnt lgkmcnt(0)
	s_or_b64 s[0:1], s[8:9], s[18:19]
	s_mov_b32 s15, s1
	s_cmp_lg_u64 s[14:15], 0
	s_cbranch_scc0 .LBB103_24
; %bb.20:                               ;   in Loop: Header=BB103_19 Depth=1
	v_cvt_f32_u32_e32 v1, s18
	v_cvt_f32_u32_e32 v2, s19
	s_sub_u32 s0, 0, s18
	s_subb_u32 s1, 0, s19
	v_mac_f32_e32 v1, 0x4f800000, v2
	v_rcp_f32_e32 v1, v1
	v_mul_f32_e32 v1, 0x5f7ffffc, v1
	v_mul_f32_e32 v2, 0x2f800000, v1
	v_trunc_f32_e32 v2, v2
	v_mac_f32_e32 v1, 0xcf800000, v2
	v_cvt_u32_f32_e32 v2, v2
	v_cvt_u32_f32_e32 v1, v1
	v_readfirstlane_b32 s7, v2
	v_readfirstlane_b32 s15, v1
	s_mul_i32 s20, s0, s7
	s_mul_hi_u32 s22, s0, s15
	s_mul_i32 s21, s1, s15
	s_add_i32 s20, s22, s20
	s_mul_i32 s23, s0, s15
	s_add_i32 s20, s20, s21
	s_mul_hi_u32 s21, s15, s20
	s_mul_i32 s22, s15, s20
	s_mul_hi_u32 s15, s15, s23
	s_add_u32 s15, s15, s22
	s_addc_u32 s21, 0, s21
	s_mul_hi_u32 s24, s7, s23
	s_mul_i32 s23, s7, s23
	s_add_u32 s15, s15, s23
	s_mul_hi_u32 s22, s7, s20
	s_addc_u32 s15, s21, s24
	s_addc_u32 s21, s22, 0
	s_mul_i32 s20, s7, s20
	s_add_u32 s15, s15, s20
	s_addc_u32 s20, 0, s21
	v_add_co_u32_e32 v1, vcc, s15, v1
	s_cmp_lg_u64 vcc, 0
	s_addc_u32 s7, s7, s20
	v_readfirstlane_b32 s20, v1
	s_mul_i32 s15, s0, s7
	s_mul_hi_u32 s21, s0, s20
	s_add_i32 s15, s21, s15
	s_mul_i32 s1, s1, s20
	s_add_i32 s15, s15, s1
	s_mul_i32 s0, s0, s20
	s_mul_hi_u32 s21, s7, s0
	s_mul_i32 s22, s7, s0
	s_mul_i32 s24, s20, s15
	s_mul_hi_u32 s0, s20, s0
	s_mul_hi_u32 s23, s20, s15
	s_add_u32 s0, s0, s24
	s_addc_u32 s20, 0, s23
	s_add_u32 s0, s0, s22
	s_mul_hi_u32 s1, s7, s15
	s_addc_u32 s0, s20, s21
	s_addc_u32 s1, s1, 0
	s_mul_i32 s15, s7, s15
	s_add_u32 s0, s0, s15
	s_addc_u32 s1, 0, s1
	v_add_co_u32_e32 v1, vcc, s0, v1
	s_cmp_lg_u64 vcc, 0
	s_addc_u32 s0, s7, s1
	v_readfirstlane_b32 s15, v1
	s_mul_i32 s7, s8, s0
	s_mul_hi_u32 s20, s8, s15
	s_mul_hi_u32 s1, s8, s0
	s_add_u32 s7, s20, s7
	s_addc_u32 s1, 0, s1
	s_mul_hi_u32 s21, s9, s15
	s_mul_i32 s15, s9, s15
	s_add_u32 s7, s7, s15
	s_mul_hi_u32 s20, s9, s0
	s_addc_u32 s1, s1, s21
	s_addc_u32 s7, s20, 0
	s_mul_i32 s0, s9, s0
	s_add_u32 s15, s1, s0
	s_addc_u32 s7, 0, s7
	s_mul_i32 s0, s18, s7
	s_mul_hi_u32 s1, s18, s15
	s_add_i32 s0, s1, s0
	s_mul_i32 s1, s19, s15
	s_add_i32 s20, s0, s1
	s_mul_i32 s1, s18, s15
	v_mov_b32_e32 v1, s1
	s_sub_i32 s0, s9, s20
	v_sub_co_u32_e32 v1, vcc, s8, v1
	s_cmp_lg_u64 vcc, 0
	s_subb_u32 s21, s0, s19
	v_subrev_co_u32_e64 v2, s[0:1], s18, v1
	s_cmp_lg_u64 s[0:1], 0
	s_subb_u32 s0, s21, 0
	s_cmp_ge_u32 s0, s19
	v_readfirstlane_b32 s21, v2
	s_cselect_b32 s1, -1, 0
	s_cmp_ge_u32 s21, s18
	s_cselect_b32 s21, -1, 0
	s_cmp_eq_u32 s0, s19
	s_cselect_b32 s0, s21, s1
	s_add_u32 s1, s15, 1
	s_addc_u32 s21, s7, 0
	s_add_u32 s22, s15, 2
	s_addc_u32 s23, s7, 0
	s_cmp_lg_u32 s0, 0
	s_cselect_b32 s0, s22, s1
	s_cselect_b32 s1, s23, s21
	s_cmp_lg_u64 vcc, 0
	s_subb_u32 s20, s9, s20
	s_cmp_ge_u32 s20, s19
	v_readfirstlane_b32 s22, v1
	s_cselect_b32 s21, -1, 0
	s_cmp_ge_u32 s22, s18
	s_cselect_b32 s22, -1, 0
	s_cmp_eq_u32 s20, s19
	s_cselect_b32 s20, s22, s21
	s_cmp_lg_u32 s20, 0
	s_cselect_b32 s21, s1, s7
	s_cselect_b32 s20, s0, s15
	s_cbranch_execnz .LBB103_22
.LBB103_21:                             ;   in Loop: Header=BB103_19 Depth=1
	v_cvt_f32_u32_e32 v1, s18
	s_sub_i32 s0, 0, s18
	s_mov_b32 s21, s14
	v_rcp_iflag_f32_e32 v1, v1
	v_mul_f32_e32 v1, 0x4f7ffffe, v1
	v_cvt_u32_f32_e32 v1, v1
	v_readfirstlane_b32 s1, v1
	s_mul_i32 s0, s0, s1
	s_mul_hi_u32 s0, s1, s0
	s_add_i32 s1, s1, s0
	s_mul_hi_u32 s0, s8, s1
	s_mul_i32 s7, s0, s18
	s_sub_i32 s7, s8, s7
	s_add_i32 s1, s0, 1
	s_sub_i32 s15, s7, s18
	s_cmp_ge_u32 s7, s18
	s_cselect_b32 s0, s1, s0
	s_cselect_b32 s7, s15, s7
	s_add_i32 s1, s0, 1
	s_cmp_ge_u32 s7, s18
	s_cselect_b32 s20, s1, s0
.LBB103_22:                             ;   in Loop: Header=BB103_19 Depth=1
	s_mul_i32 s0, s20, s19
	s_mul_hi_u32 s1, s20, s18
	s_add_i32 s7, s1, s0
	s_load_dwordx2 s[0:1], s[16:17], 0xc8
	s_mul_i32 s15, s21, s18
	s_add_i32 s7, s7, s15
	s_mul_i32 s15, s20, s18
	s_sub_u32 s8, s8, s15
	s_subb_u32 s7, s9, s7
	s_waitcnt lgkmcnt(0)
	s_mul_i32 s7, s0, s7
	s_mul_hi_u32 s9, s0, s8
	s_add_i32 s7, s9, s7
	s_mul_i32 s1, s1, s8
	s_add_i32 s7, s7, s1
	s_mul_i32 s0, s0, s8
	s_add_u32 s12, s0, s12
	s_addc_u32 s13, s7, s13
	s_add_i32 s3, s3, -1
	s_add_u32 s16, s16, -8
	s_addc_u32 s17, s17, -1
	s_cmp_gt_u32 s3, 2
	s_cbranch_scc0 .LBB103_26
; %bb.23:                               ;   in Loop: Header=BB103_19 Depth=1
	s_mov_b64 s[8:9], s[20:21]
	s_branch .LBB103_19
.LBB103_24:                             ;   in Loop: Header=BB103_19 Depth=1
                                        ; implicit-def: $sgpr20_sgpr21
	s_branch .LBB103_21
.LBB103_25:
	s_mov_b64 s[20:21], s[8:9]
.LBB103_26:
	s_load_dwordx2 s[8:9], s[4:5], 0x410
	s_load_dwordx2 s[0:1], s[4:5], 0x340
	v_cmp_eq_u32_e64 s[16:17], 0, v0
	s_mov_b64 s[14:15], exec
	v_writelane_b32 v66, s16, 10
	v_writelane_b32 v66, s17, 11
	s_and_b64 s[16:17], s[14:15], s[16:17]
	s_mov_b64 exec, s[16:17]
	s_cbranch_execz .LBB103_28
; %bb.27:
	v_mov_b32_e32 v2, 0
	v_mov_b32_e32 v3, v2
	ds_write_b64 v2, v[2:3] offset:5136
.LBB103_28:
	s_or_b64 exec, exec, s[14:15]
	s_load_dwordx2 s[14:15], s[4:5], 0x0
	v_mov_b32_e32 v3, 0
	s_waitcnt lgkmcnt(0)
	s_barrier
	v_writelane_b32 v66, s14, 12
	v_writelane_b32 v66, s15, 13
	s_load_dwordx2 s[14:15], s[4:5], 0x1a0
	s_waitcnt lgkmcnt(0)
	s_barrier
	ds_read_b64 v[4:5], v3 offset:5136
	v_writelane_b32 v66, s14, 14
	v_writelane_b32 v66, s15, 15
	s_waitcnt lgkmcnt(0)
	v_readfirstlane_b32 s14, v4
	v_readfirstlane_b32 s15, v5
	s_mov_b64 s[16:17], exec
	v_readlane_b32 s18, v66, 10
	v_readlane_b32 s19, v66, 11
	s_and_b64 s[18:19], s[16:17], s[18:19]
	s_mov_b64 exec, s[18:19]
	s_cbranch_execz .LBB103_30
; %bb.29:
	v_mov_b32_e32 v4, s52
	v_mov_b32_e32 v5, s53
	v_mov_b32_e32 v2, v3
	ds_write_b32 v3, v3 offset:5144
	ds_write_b128 v3, v[2:5] offset:5120
.LBB103_30:
	s_or_b64 exec, exec, s[16:17]
	s_load_dword s3, s[4:5], 0x4f8
	v_cmp_lt_i64_e64 s[4:5], s[14:15], 1
	s_mul_i32 s7, s8, s21
	v_mov_b32_e32 v1, v3
	v_mbcnt_lo_u32_b32 v2, -1, 0
	s_waitcnt lgkmcnt(0)
	s_bitcmp1_b32 s3, 0
	s_cselect_b64 s[16:17], -1, 0
	s_not_b64 s[14:15], s[14:15]
	s_or_b64 s[4:5], s[16:17], s[4:5]
	s_add_u32 s14, s14, s52
	s_addc_u32 s15, s15, s53
	s_lshr_b64 s[14:15], s[14:15], 1
	s_add_u32 s3, s14, 1
	s_addc_u32 s14, s15, 0
	s_and_b64 s[4:5], s[4:5], exec
	s_cselect_b32 s84, s3, s52
	s_mul_hi_u32 s3, s8, s20
	s_cselect_b32 s85, s14, s53
	s_add_i32 s3, s3, s7
	s_mul_i32 s4, s9, s20
	s_add_i32 s5, s3, s4
	s_mul_i32 s4, s8, s20
	s_lshl_b64 s[14:15], s[4:5], 3
	s_lshl_b64 s[72:73], s[12:13], 3
	s_add_u32 s12, s0, s14
	s_addc_u32 s13, s1, s15
	s_add_u32 s3, s12, s72
	v_writelane_b32 v66, s3, 16
	v_cmp_gt_u64_e64 s[8:9], s[52:53], v[0:1]
	v_writelane_b32 v66, s8, 17
	v_mbcnt_hi_u32_b32 v48, -1, v2
	v_writelane_b32 v66, s9, 18
	v_cmp_gt_u32_e32 vcc, 64, v0
	v_cmp_gt_i32_e64 s[8:9], 4, v48
	s_addc_u32 s81, s13, s73
	s_and_b64 s[78:79], vcc, s[8:9]
	v_cmp_gt_u32_e64 s[8:9], 2, v0
	v_mov_b32_e32 v4, 0x180
	v_writelane_b32 v66, s8, 19
	v_mov_b32_e32 v5, 0
	v_writelane_b32 v66, s9, 20
	v_cmp_gt_u64_e64 s[8:9], s[52:53], v[4:5]
	v_writelane_b32 v66, s8, 21
	v_writelane_b32 v66, s9, 22
	v_mad_u64_u32 v[4:5], s[8:9], v0, s56, 0
	v_mov_b32_e32 v2, v5
	v_mad_u64_u32 v[6:7], s[8:9], v0, s57, v[2:3]
	v_mov_b32_e32 v5, v6
	v_lshlrev_b64 v[6:7], 3, v[4:5]
	s_barrier
	v_add_co_u32_e32 v20, vcc, s3, v6
	s_load_dword s3, s[10:11], 0xc
	v_mov_b32_e32 v2, s81
	v_lshlrev_b64 v[8:9], v48, -1
	v_lshlrev_b32_e32 v53, 5, v0
	v_addc_co_u32_e32 v21, vcc, v2, v7, vcc
	s_waitcnt lgkmcnt(0)
	s_and_b32 s33, s3, 0xffff
	s_bfe_u32 s5, s3, 0xa0006
	v_cmp_gt_u16_e64 s[8:9], s3, 63
	v_writelane_b32 v66, s8, 23
	s_add_u32 s3, s33, -1
	v_writelane_b32 v66, s9, 24
	s_addc_u32 s7, 0, -1
	v_writelane_b32 v66, s3, 25
	s_add_u32 s3, s3, s52
	s_addc_u32 s49, s7, s53
	s_cmp_lt_u32 s6, s2
	s_cselect_b32 s2, 12, 18
	s_add_u32 s86, s10, s2
	v_writelane_b32 v66, s3, 26
	s_addc_u32 s87, s11, 0
	s_add_i32 s2, s5, -1
	s_bfe_u32 s3, s33, 0x30006
	s_cmp_gt_u32 s2, 6
	v_writelane_b32 v66, s7, 27
	s_cselect_b64 s[6:7], -1, 0
	v_writelane_b32 v66, s6, 28
	s_and_b32 s5, s5, 0x3f8
	v_writelane_b32 v66, s7, 29
	s_cmp_lg_u32 s3, 0
	v_writelane_b32 v66, s3, 30
	s_cselect_b64 s[2:3], -1, 0
	v_writelane_b32 v66, s2, 31
	v_writelane_b32 v66, s3, 32
	s_add_u32 s2, s14, s72
	s_addc_u32 s3, s15, s73
	s_add_u32 s2, s0, s2
	s_addc_u32 s3, s1, s3
	v_writelane_b32 v66, s2, 33
	v_writelane_b32 v66, s3, 34
	s_lshl_b64 s[2:3], s[56:57], 3
	v_lshrrev_b32_e32 v2, 4, v0
	v_not_b32_e32 v25, v9
	v_not_b32_e32 v24, v8
	v_writelane_b32 v66, s2, 35
	v_or_b32_e32 v10, 24, v53
	v_pk_mov_b32 v[8:9], s[12:13], s[12:13] op_sel:[0,1]
	v_and_b32_e32 v51, 60, v2
	v_lshlrev_b32_e32 v2, 2, v48
	v_writelane_b32 v66, s3, 36
	v_mad_u64_u32 v[26:27], s[2:3], s56, v10, v[8:9]
	v_and_b32_e32 v52, 0x100, v2
	v_mov_b32_e32 v2, v27
	v_mad_u64_u32 v[10:11], s[2:3], s57, v10, v[2:3]
	s_lshl_b64 s[2:3], s[56:57], 5
	v_mov_b32_e32 v27, v10
	v_writelane_b32 v66, s2, 37
	v_or_b32_e32 v10, 16, v53
	v_writelane_b32 v66, s3, 38
	v_mad_u64_u32 v[28:29], s[2:3], s56, v10, v[8:9]
	v_mov_b32_e32 v2, v29
	v_mad_u64_u32 v[10:11], s[2:3], s57, v10, v[2:3]
	v_mov_b32_e32 v29, v10
	v_or_b32_e32 v10, 8, v53
	s_lshl_b32 s60, s33, 3
	v_mad_u64_u32 v[30:31], s[2:3], s56, v10, v[8:9]
	s_add_u32 s0, s0, s72
	v_mov_b32_e32 v2, v31
	v_lshlrev_b64 v[4:5], 5, v[4:5]
	s_addc_u32 s1, s1, s73
	v_mad_u64_u32 v[8:9], s[2:3], s57, v10, v[2:3]
	v_mov_b32_e32 v2, s13
	v_add_co_u32_e32 v32, vcc, s12, v4
	s_add_u32 s0, s0, s14
	v_addc_co_u32_e32 v33, vcc, v2, v5, vcc
	v_mov_b32_e32 v2, 0xc00
	s_addc_u32 s1, s1, s15
	v_lshl_or_b32 v54, v48, 3, v2
	v_mov_b32_e32 v2, s1
	v_add_co_u32_e32 v18, vcc, s0, v6
	s_mul_i32 s0, s57, s33
	s_mul_hi_u32 s1, s56, s33
	s_add_i32 s1, s1, s0
	s_mul_i32 s0, s56, s33
	s_lshl_b64 s[74:75], s[0:1], 3
	s_mov_b32 s0, 0
	v_cmp_eq_u32_e64 s[50:51], 0, v48
	v_writelane_b32 v66, s0, 39
	v_writelane_b32 v66, s50, 40
	;; [unrolled: 1-line block ×5, first 2 shown]
	s_mov_b32 s77, 0
	v_lshlrev_b32_e32 v49, 3, v0
	v_writelane_b32 v66, s86, 44
	v_add_u32_e32 v50, 0xc00, v49
	v_lshlrev_b32_e32 v22, 2, v0
	v_mov_b32_e32 v23, v3
	s_mov_b32 s80, s77
	v_mov_b32_e32 v31, v8
	v_addc_co_u32_e32 v19, vcc, v2, v7, vcc
	s_mov_b32 s61, 62
	s_mov_b64 s[66:67], 0
	v_pk_mov_b32 v[8:9], 0, 0
	v_mov_b32_e32 v4, 1
	v_mov_b32_e32 v55, 0x4f800000
	s_mov_b64 s[82:83], 0
	s_mov_b64 s[0:1], 0
	v_writelane_b32 v66, s87, 45
                                        ; implicit-def: $sgpr38_sgpr39
                                        ; implicit-def: $sgpr70_sgpr71
                                        ; implicit-def: $sgpr92_sgpr93
                                        ; implicit-def: $sgpr44_sgpr45
                                        ; implicit-def: $sgpr88_sgpr89
                                        ; implicit-def: $sgpr54_sgpr55
	v_writelane_b32 v66, s5, 46
	s_branch .LBB103_35
.LBB103_31:                             ;   in Loop: Header=BB103_35 Depth=1
	v_readlane_b32 s4, v66, 39
	s_xor_b32 s4, s4, 1
	s_add_i32 s14, s61, -2
	s_cmp_eq_u32 s61, 0
	s_mov_b64 s[6:7], 0
	s_cselect_b64 s[10:11], -1, 0
	s_mov_b32 s61, s14
	v_writelane_b32 v66, s4, 39
.LBB103_32:                             ;   in Loop: Header=BB103_35 Depth=1
	s_andn2_b64 s[14:15], s[22:23], exec
	s_and_b64 s[6:7], s[6:7], exec
	s_or_b64 s[22:23], s[14:15], s[6:7]
	s_andn2_b64 s[24:25], s[24:25], exec
	s_andn2_b64 s[20:21], s[20:21], exec
	s_orn2_b64 s[14:15], s[10:11], exec
.LBB103_33:                             ;   in Loop: Header=BB103_35 Depth=1
	s_or_b64 exec, exec, s[2:3]
	s_andn2_b64 s[2:3], s[54:55], exec
	s_and_b64 s[6:7], s[22:23], exec
	s_or_b64 s[54:55], s[2:3], s[6:7]
	s_andn2_b64 s[2:3], s[88:89], exec
	s_and_b64 s[6:7], s[24:25], exec
	s_or_b64 s[88:89], s[2:3], s[6:7]
	;; [unrolled: 3-line block ×3, first 2 shown]
	s_orn2_b64 s[14:15], s[14:15], exec
.LBB103_34:                             ;   in Loop: Header=BB103_35 Depth=1
	s_or_b64 exec, exec, s[12:13]
	s_and_b64 s[2:3], exec, s[14:15]
	s_or_b64 s[66:67], s[2:3], s[66:67]
	s_andn2_b64 s[2:3], s[92:93], exec
	s_and_b64 s[6:7], s[54:55], exec
	s_or_b64 s[92:93], s[2:3], s[6:7]
	s_andn2_b64 s[2:3], s[70:71], exec
	s_and_b64 s[6:7], s[88:89], exec
	;; [unrolled: 3-line block ×3, first 2 shown]
	s_waitcnt vmcnt(0)
	v_pk_mov_b32 v[6:7], s[82:83], s[82:83] op_sel:[0,1]
	s_or_b64 s[38:39], s[2:3], s[6:7]
	s_andn2_b64 exec, exec, s[66:67]
	s_cbranch_execz .LBB103_304
.LBB103_35:                             ; =>This Loop Header: Depth=1
                                        ;     Child Loop BB103_43 Depth 2
                                        ;     Child Loop BB103_58 Depth 2
	;; [unrolled: 1-line block ×16, first 2 shown]
	ds_read_b128 v[10:13], v3 offset:5120
	s_waitcnt lgkmcnt(0)
	v_readfirstlane_b32 s3, v11
	v_readfirstlane_b32 s2, v10
	s_cmp_lg_u64 s[2:3], 0
	s_cbranch_scc1 .LBB103_65
; %bb.36:                               ;   in Loop: Header=BB103_35 Depth=1
	v_readlane_b32 s2, v66, 21
	v_readlane_b32 s3, v66, 22
	s_and_b64 vcc, exec, s[2:3]
	s_cbranch_vccz .LBB103_51
; %bb.37:                               ;   in Loop: Header=BB103_35 Depth=1
	s_mov_b64 s[2:3], 0x181
	v_cmp_gt_u64_e32 vcc, s[2:3], v[12:13]
	s_mov_b64 s[2:3], 0
	s_mov_b64 s[6:7], 0
	s_cbranch_vccz .LBB103_52
; %bb.38:                               ;   in Loop: Header=BB103_35 Depth=1
	v_pk_mov_b32 v[6:7], 0, 0
	s_mov_b64 s[6:7], exec
	v_readlane_b32 s10, v66, 17
	v_readlane_b32 s11, v66, 18
	s_and_b64 s[10:11], s[6:7], s[10:11]
	s_mov_b64 exec, s[10:11]
	s_cbranch_execz .LBB103_40
; %bb.39:                               ;   in Loop: Header=BB103_35 Depth=1
	global_load_dwordx2 v[6:7], v[20:21], off
.LBB103_40:                             ;   in Loop: Header=BB103_35 Depth=1
	s_or_b64 exec, exec, s[6:7]
	s_mov_b64 s[12:13], exec
	v_readlane_b32 s6, v66, 17
	v_readlane_b32 s7, v66, 18
	s_and_b64 s[6:7], s[12:13], s[6:7]
	s_mov_b64 exec, s[6:7]
	s_cbranch_execz .LBB103_168
; %bb.41:                               ;   in Loop: Header=BB103_35 Depth=1
	global_load_ushort v2, v3, s[86:87]
	v_readlane_b32 s6, v66, 33
	v_readlane_b32 s7, v66, 34
	v_pk_mov_b32 v[10:11], s[6:7], s[6:7] op_sel:[0,1]
	v_readlane_b32 s8, v66, 35
	v_readlane_b32 s9, v66, 36
	s_mov_b64 s[14:15], 0
	s_waitcnt vmcnt(0)
	v_readfirstlane_b32 s6, v2
	s_and_b32 s6, 0xffff, s6
	v_add_u32_e32 v5, s6, v0
	s_mul_i32 s10, s9, s6
	s_mul_hi_u32 s11, s8, s6
	s_mul_i32 s22, s8, s6
	v_mad_u64_u32 v[10:11], s[6:7], s8, v5, v[10:11]
	v_mov_b32_e32 v12, v11
	v_mad_u64_u32 v[12:13], s[6:7], s9, v5, v[12:13]
	s_add_i32 s23, s11, s10
	v_mov_b32_e32 v11, v12
	v_pk_mov_b32 v[12:13], v[0:1], v[0:1] op_sel:[0,1]
	s_branch .LBB103_43
.LBB103_42:                             ;   in Loop: Header=BB103_43 Depth=2
	s_or_b64 exec, exec, s[6:7]
	s_waitcnt lgkmcnt(0)
	v_mov_b32_e32 v5, s23
	v_add_co_u32_e32 v10, vcc, s22, v10
	v_addc_co_u32_e32 v11, vcc, v11, v5, vcc
	s_waitcnt vmcnt(0)
	v_pk_mov_b32 v[6:7], v[14:15], v[14:15] op_sel:[0,1]
	s_andn2_b64 exec, exec, s[14:15]
	s_cbranch_execz .LBB103_168
.LBB103_43:                             ;   Parent Loop BB103_35 Depth=1
                                        ; =>  This Inner Loop Header: Depth=2
	v_add_co_u32_sdwa v12, vcc, v12, v2 dst_sel:DWORD dst_unused:UNUSED_PAD src0_sel:DWORD src1_sel:WORD_0
	v_addc_co_u32_e32 v13, vcc, 0, v13, vcc
	v_cmp_gt_u64_e64 s[6:7], s[52:53], v[12:13]
	v_cmp_le_u64_e32 vcc, s[52:53], v[12:13]
	v_pk_mov_b32 v[14:15], 0, 0
	s_and_saveexec_b64 s[10:11], s[6:7]
	s_cbranch_execz .LBB103_45
; %bb.44:                               ;   in Loop: Header=BB103_43 Depth=2
	global_load_dwordx2 v[14:15], v[10:11], off
.LBB103_45:                             ;   in Loop: Header=BB103_43 Depth=2
	s_or_b64 exec, exec, s[10:11]
	v_xor_b32_e32 v5, 0x80000000, v7
	v_and_b32_e32 v17, s1, v5
	v_and_b32_e32 v16, s0, v6
	v_cmp_eq_u64_e64 s[10:11], s[82:83], v[16:17]
	s_cmp_lg_u64 s[10:11], 0
	s_cselect_b64 s[6:7], -1, 0
	s_and_b64 s[6:7], s[50:51], s[6:7]
	v_mov_b32_e32 v5, 0
	s_and_saveexec_b64 s[16:17], s[6:7]
	s_cbranch_execz .LBB103_49
; %bb.46:                               ;   in Loop: Header=BB103_43 Depth=2
	s_mov_b64 s[20:21], exec
	v_mbcnt_lo_u32_b32 v5, s20, 0
	v_mbcnt_hi_u32_b32 v5, s21, v5
	s_bcnt1_i32_b64 s24, s[10:11]
	v_cmp_eq_u32_e64 s[6:7], 0, v5
                                        ; implicit-def: $vgpr16
	s_and_saveexec_b64 s[18:19], s[6:7]
	s_cbranch_execz .LBB103_48
; %bb.47:                               ;   in Loop: Header=BB103_43 Depth=2
	s_bcnt1_i32_b64 s6, s[20:21]
	s_mul_i32 s6, s24, s6
	v_mov_b32_e32 v16, s6
	ds_add_rtn_u32 v16, v3, v16 offset:5144
.LBB103_48:                             ;   in Loop: Header=BB103_43 Depth=2
	s_or_b64 exec, exec, s[18:19]
	s_waitcnt lgkmcnt(0)
	v_readfirstlane_b32 s6, v16
	v_mov_b32_e32 v16, s6
	v_mad_u32_u24 v5, s24, v5, v16
.LBB103_49:                             ;   in Loop: Header=BB103_43 Depth=2
	s_or_b64 exec, exec, s[16:17]
	ds_bpermute_b32 v5, v52, v5
	s_and_b64 s[6:7], exec, vcc
	s_or_b64 s[14:15], s[6:7], s[14:15]
	s_and_saveexec_b64 s[6:7], s[10:11]
	s_cbranch_execz .LBB103_42
; %bb.50:                               ;   in Loop: Header=BB103_43 Depth=2
	v_and_b32_e32 v17, s10, v24
	v_and_b32_e32 v16, s11, v25
	v_bcnt_u32_b32 v17, v17, 0
	v_bcnt_u32_b32 v16, v16, v17
	v_lshlrev_b32_e32 v16, 3, v16
	s_waitcnt lgkmcnt(0)
	v_lshl_add_u32 v5, v5, 3, v16
	ds_write_b64 v5, v[6:7]
	s_branch .LBB103_42
.LBB103_51:                             ;   in Loop: Header=BB103_35 Depth=1
	s_mov_b64 s[2:3], -1
	s_mov_b64 s[6:7], 0
.LBB103_52:                             ;   in Loop: Header=BB103_35 Depth=1
	s_and_b64 vcc, exec, s[2:3]
	s_cbranch_vccz .LBB103_63
.LBB103_53:                             ;   in Loop: Header=BB103_35 Depth=1
	s_waitcnt vmcnt(0)
	v_pk_mov_b32 v[6:7], 0, 0
	s_mov_b64 s[2:3], exec
	v_readlane_b32 s6, v66, 17
	v_readlane_b32 s7, v66, 18
	s_and_b64 s[6:7], s[2:3], s[6:7]
	s_mov_b64 exec, s[6:7]
	s_cbranch_execz .LBB103_55
; %bb.54:                               ;   in Loop: Header=BB103_35 Depth=1
	global_load_dwordx2 v[6:7], v[20:21], off
.LBB103_55:                             ;   in Loop: Header=BB103_35 Depth=1
	s_or_b64 exec, exec, s[2:3]
	s_mov_b64 s[2:3], exec
	v_readlane_b32 s6, v66, 17
	v_readlane_b32 s7, v66, 18
	s_and_b64 s[6:7], s[2:3], s[6:7]
	s_mov_b64 exec, s[6:7]
	s_cbranch_execz .LBB103_60
; %bb.56:                               ;   in Loop: Header=BB103_35 Depth=1
	global_load_ushort v2, v3, s[86:87]
	v_readlane_b32 s6, v66, 33
	v_readlane_b32 s7, v66, 34
	v_pk_mov_b32 v[10:11], s[6:7], s[6:7] op_sel:[0,1]
	v_readlane_b32 s8, v66, 35
	v_readlane_b32 s9, v66, 36
	s_mov_b64 s[10:11], 0
	v_mov_b32_e32 v5, v49
	s_waitcnt vmcnt(0)
	v_readfirstlane_b32 s6, v2
	s_and_b32 s6, 0xffff, s6
	v_add_u32_e32 v13, s6, v0
	s_lshl_b32 s14, s6, 3
	s_mul_i32 s12, s9, s6
	s_mul_hi_u32 s13, s8, s6
	s_mul_i32 s15, s8, s6
	v_mad_u64_u32 v[10:11], s[6:7], s8, v13, v[10:11]
	v_mov_b32_e32 v12, v11
	v_mad_u64_u32 v[12:13], s[6:7], s9, v13, v[12:13]
	s_add_i32 s16, s13, s12
	v_mov_b32_e32 v11, v12
	v_pk_mov_b32 v[12:13], v[0:1], v[0:1] op_sel:[0,1]
	s_branch .LBB103_58
.LBB103_57:                             ;   in Loop: Header=BB103_58 Depth=2
	s_or_b64 exec, exec, s[12:13]
	s_and_b64 s[6:7], exec, vcc
	ds_write_b64 v5, v[6:7]
	v_mov_b32_e32 v6, s16
	v_add_co_u32_e32 v10, vcc, s15, v10
	s_or_b64 s[10:11], s[6:7], s[10:11]
	v_add_u32_e32 v5, s14, v5
	v_addc_co_u32_e32 v11, vcc, v11, v6, vcc
	s_waitcnt vmcnt(0)
	v_pk_mov_b32 v[6:7], v[14:15], v[14:15] op_sel:[0,1]
	s_andn2_b64 exec, exec, s[10:11]
	s_cbranch_execz .LBB103_60
.LBB103_58:                             ;   Parent Loop BB103_35 Depth=1
                                        ; =>  This Inner Loop Header: Depth=2
	v_add_co_u32_sdwa v12, vcc, v12, v2 dst_sel:DWORD dst_unused:UNUSED_PAD src0_sel:DWORD src1_sel:WORD_0
	v_addc_co_u32_e32 v13, vcc, 0, v13, vcc
	v_cmp_gt_u64_e64 s[6:7], s[52:53], v[12:13]
	v_cmp_le_u64_e32 vcc, s[52:53], v[12:13]
	v_pk_mov_b32 v[14:15], 0, 0
	s_and_saveexec_b64 s[12:13], s[6:7]
	s_cbranch_execz .LBB103_57
; %bb.59:                               ;   in Loop: Header=BB103_58 Depth=2
	global_load_dwordx2 v[14:15], v[10:11], off
	s_branch .LBB103_57
.LBB103_60:                             ;   in Loop: Header=BB103_35 Depth=1
	s_or_b64 exec, exec, s[2:3]
	s_waitcnt lgkmcnt(0)
	s_barrier
	s_mov_b64 s[2:3], exec
	v_readlane_b32 s6, v66, 10
	v_readlane_b32 s7, v66, 11
	s_and_b64 s[6:7], s[2:3], s[6:7]
	s_mov_b64 exec, s[6:7]
	s_cbranch_execz .LBB103_62
; %bb.61:                               ;   in Loop: Header=BB103_35 Depth=1
	s_waitcnt vmcnt(0)
	v_pk_mov_b32 v[6:7], s[52:53], s[52:53] op_sel:[0,1]
	ds_write_b64 v3, v[6:7] offset:5120
.LBB103_62:                             ;   in Loop: Header=BB103_35 Depth=1
	s_or_b64 exec, exec, s[2:3]
	s_mov_b64 s[6:7], -1
	s_waitcnt lgkmcnt(0)
	s_barrier
                                        ; implicit-def: $sgpr2_sgpr3
.LBB103_63:                             ;   in Loop: Header=BB103_35 Depth=1
	s_and_b64 vcc, exec, s[6:7]
	s_cbranch_vccz .LBB103_65
; %bb.64:                               ;   in Loop: Header=BB103_35 Depth=1
	s_waitcnt vmcnt(0)
	ds_read_b64 v[6:7], v3 offset:5120
	s_waitcnt lgkmcnt(0)
	v_readfirstlane_b32 s2, v6
.LBB103_65:                             ;   in Loop: Header=BB103_35 Depth=1
	s_cmp_lt_i32 s2, 1
	s_cbranch_scc0 .LBB103_80
; %bb.66:                               ;   in Loop: Header=BB103_35 Depth=1
	global_load_ushort v2, v3, s[86:87]
	s_mov_b32 s6, s77
	s_mov_b32 s7, s53
	s_waitcnt vmcnt(0)
	v_readfirstlane_b32 s3, v2
	s_and_b32 s3, s3, 0xffff
	s_lshl_b32 s76, s3, 2
	s_cmp_lg_u64 s[6:7], 0
	s_cbranch_scc0 .LBB103_100
; %bb.67:                               ;   in Loop: Header=BB103_35 Depth=1
	v_cvt_f32_u32_e32 v2, s76
	s_sub_u32 s6, 0, s76
	s_subb_u32 s7, 0, 0
	v_mac_f32_e32 v2, 0, v55
	v_rcp_f32_e32 v2, v2
	v_mul_f32_e32 v2, 0x5f7ffffc, v2
	v_mul_f32_e32 v5, 0x2f800000, v2
	v_trunc_f32_e32 v5, v5
	v_mac_f32_e32 v2, 0xcf800000, v5
	v_cvt_u32_f32_e32 v5, v5
	v_cvt_u32_f32_e32 v2, v2
	v_readfirstlane_b32 s10, v5
	v_readfirstlane_b32 s11, v2
	s_mul_i32 s12, s6, s10
	s_mul_hi_u32 s14, s6, s11
	s_mul_i32 s13, s7, s11
	s_add_i32 s12, s14, s12
	s_mul_i32 s15, s6, s11
	s_add_i32 s12, s12, s13
	s_mul_hi_u32 s14, s11, s15
	s_mul_hi_u32 s13, s11, s12
	s_mul_i32 s11, s11, s12
	s_add_u32 s11, s14, s11
	s_addc_u32 s13, 0, s13
	s_mul_hi_u32 s16, s10, s15
	s_mul_i32 s15, s10, s15
	s_add_u32 s11, s11, s15
	s_mul_hi_u32 s14, s10, s12
	s_addc_u32 s11, s13, s16
	s_addc_u32 s13, s14, 0
	s_mul_i32 s12, s10, s12
	s_add_u32 s11, s11, s12
	s_addc_u32 s12, 0, s13
	v_add_co_u32_e32 v2, vcc, s11, v2
	s_cmp_lg_u64 vcc, 0
	s_addc_u32 s10, s10, s12
	v_readfirstlane_b32 s12, v2
	s_mul_i32 s11, s6, s10
	s_mul_hi_u32 s13, s6, s12
	s_add_i32 s11, s13, s11
	s_mul_i32 s7, s7, s12
	s_add_i32 s11, s11, s7
	s_mul_i32 s6, s6, s12
	s_mul_hi_u32 s13, s10, s6
	s_mul_i32 s14, s10, s6
	s_mul_i32 s16, s12, s11
	s_mul_hi_u32 s6, s12, s6
	s_mul_hi_u32 s15, s12, s11
	s_add_u32 s6, s6, s16
	s_addc_u32 s12, 0, s15
	s_add_u32 s6, s6, s14
	s_mul_hi_u32 s7, s10, s11
	s_addc_u32 s6, s12, s13
	s_addc_u32 s7, s7, 0
	s_mul_i32 s11, s10, s11
	s_add_u32 s6, s6, s11
	s_addc_u32 s7, 0, s7
	v_add_co_u32_e32 v2, vcc, s6, v2
	s_cmp_lg_u64 vcc, 0
	s_addc_u32 s6, s10, s7
	v_readfirstlane_b32 s11, v2
	s_mul_i32 s10, s52, s6
	s_mul_hi_u32 s12, s52, s11
	s_mul_hi_u32 s7, s52, s6
	s_add_u32 s10, s12, s10
	s_addc_u32 s7, 0, s7
	s_mul_hi_u32 s13, s53, s11
	s_mul_i32 s11, s53, s11
	s_add_u32 s10, s10, s11
	s_mul_hi_u32 s12, s53, s6
	s_addc_u32 s7, s7, s13
	s_addc_u32 s10, s12, 0
	s_mul_i32 s6, s53, s6
	s_add_u32 s6, s7, s6
	s_addc_u32 s7, 0, s10
	s_mul_hi_u32 s10, s76, s6
	s_mul_i32 s6, s76, s6
	s_mul_i32 s7, s76, s7
	v_mov_b32_e32 v2, s6
	s_add_i32 s10, s10, s7
	v_sub_co_u32_e32 v2, vcc, s52, v2
	s_cmp_lg_u64 vcc, 0
	s_subb_u32 s6, s53, s10
	v_subrev_co_u32_e32 v5, vcc, s76, v2
	s_cmp_lg_u64 vcc, 0
	s_subb_u32 s7, s6, 0
	v_subrev_co_u32_e32 v6, vcc, s76, v5
	s_cmp_lg_u64 vcc, 0
	s_subb_u32 s10, s7, 0
	v_cmp_le_u32_e32 vcc, s76, v5
	s_cmp_eq_u32 s7, 0
	v_cndmask_b32_e64 v7, 0, -1, vcc
	s_cselect_b64 vcc, -1, 0
	v_cndmask_b32_e32 v7, -1, v7, vcc
	v_mov_b32_e32 v10, s7
	v_mov_b32_e32 v11, s10
	v_cmp_ne_u32_e32 vcc, 0, v7
	v_cndmask_b32_e32 v7, v10, v11, vcc
	v_cndmask_b32_e32 v5, v5, v6, vcc
	v_cmp_le_u32_e32 vcc, s76, v2
	s_cmp_eq_u32 s6, 0
	v_cndmask_b32_e64 v6, 0, -1, vcc
	s_cselect_b64 vcc, -1, 0
	v_cndmask_b32_e32 v6, -1, v6, vcc
	v_mov_b32_e32 v10, s6
	v_cmp_ne_u32_e32 vcc, 0, v6
	v_cndmask_b32_e32 v7, v10, v7, vcc
	v_cndmask_b32_e32 v6, v2, v5, vcc
	s_cbranch_execnz .LBB103_69
.LBB103_68:                             ;   in Loop: Header=BB103_35 Depth=1
	v_cvt_f32_u32_e32 v2, s76
	s_sub_i32 s6, 0, s76
	v_rcp_iflag_f32_e32 v2, v2
	v_mul_f32_e32 v2, 0x4f7ffffe, v2
	v_cvt_u32_f32_e32 v2, v2
	v_mul_lo_u32 v5, s6, v2
	v_mul_hi_u32 v5, v2, v5
	v_add_u32_e32 v2, v2, v5
	v_mul_hi_u32 v2, s52, v2
	v_mul_lo_u32 v2, v2, s76
	v_sub_u32_e32 v2, s52, v2
	v_subrev_u32_e32 v5, s76, v2
	v_cmp_le_u32_e32 vcc, s76, v2
	v_cndmask_b32_e32 v2, v2, v5, vcc
	v_subrev_u32_e32 v5, s76, v2
	v_cmp_le_u32_e32 vcc, s76, v2
	v_cndmask_b32_e32 v2, v2, v5, vcc
	v_pk_mov_b32 v[6:7], v[2:3], v[2:3] op_sel:[0,1]
.LBB103_69:                             ;   in Loop: Header=BB103_35 Depth=1
	v_mov_b32_e32 v2, s53
	v_sub_co_u32_e32 v6, vcc, s52, v6
	v_subb_co_u32_e32 v7, vcc, v2, v7, vcc
	v_pk_mov_b32 v[10:11], 0, 0
	v_cmp_gt_u64_e32 vcc, v[6:7], v[22:23]
	s_mov_b64 s[94:95], 0
	v_pk_mov_b32 v[12:13], v[10:11], v[10:11] op_sel:[0,1]
	v_pk_mov_b32 v[14:15], v[10:11], v[10:11] op_sel:[0,1]
	;; [unrolled: 1-line block ×3, first 2 shown]
	s_and_saveexec_b64 s[26:27], vcc
	s_cbranch_execz .LBB103_73
; %bb.70:                               ;   in Loop: Header=BB103_35 Depth=1
	v_readlane_b32 s10, v66, 37
	v_readlane_b32 s11, v66, 38
	s_mul_i32 s6, s11, s3
	s_mul_hi_u32 s7, s10, s3
	s_mov_b64 s[4:5], s[38:39]
	s_mov_b64 s[62:63], s[44:45]
	s_mov_b32 s9, s49
	s_mov_b64 s[90:91], s[84:85]
	s_mov_b64 s[58:59], s[64:65]
	s_mov_b32 s8, s61
	s_and_b32 s61, s61, 0xfe
	s_add_i32 s64, s7, s6
	s_mul_i32 s65, s10, s3
	v_pk_mov_b32 v[34:35], v[32:33], v[32:33] op_sel:[0,1]
	v_pk_mov_b32 v[36:37], v[30:31], v[30:31] op_sel:[0,1]
	;; [unrolled: 1-line block ×4, first 2 shown]
	s_mov_b64 s[68:69], 0
	s_mov_b64 s[78:79], 0
	;; [unrolled: 1-line block ×4, first 2 shown]
	v_pk_mov_b32 v[42:43], v[22:23], v[22:23] op_sel:[0,1]
.LBB103_71:                             ;   Parent Loop BB103_35 Depth=1
                                        ; =>  This Inner Loop Header: Depth=2
	v_mov_b32_e32 v2, s73
	v_add_co_u32_e32 v10, vcc, s72, v36
	v_add_co_u32_e64 v12, s[10:11], s72, v38
	v_add_co_u32_e64 v14, s[12:13], s72, v40
	v_add_co_u32_e64 v56, s[18:19], s72, v34
	v_addc_co_u32_e64 v57, s[18:19], v35, v2, s[18:19]
	v_addc_co_u32_e32 v11, vcc, v37, v2, vcc
	v_addc_co_u32_e64 v13, vcc, v39, v2, s[10:11]
	v_addc_co_u32_e64 v15, vcc, v41, v2, s[12:13]
	global_load_dwordx2 v[56:57], v[56:57], off
	s_nop 0
	global_load_dwordx2 v[10:11], v[10:11], off
	s_nop 0
	;; [unrolled: 2-line block ×3, first 2 shown]
	global_load_dwordx2 v[14:15], v[14:15], off
	v_mov_b32_e32 v5, s64
	v_add_co_u32_e64 v40, s[6:7], s65, v40
	v_add_co_u32_e64 v36, s[16:17], s65, v36
	v_mov_b32_e32 v17, v3
	v_add_co_u32_e64 v38, s[14:15], s65, v38
	v_addc_co_u32_e64 v41, vcc, v41, v5, s[6:7]
	v_addc_co_u32_e64 v37, vcc, v37, v5, s[16:17]
	v_mov_b32_e32 v45, v3
	v_addc_co_u32_e64 v39, vcc, v39, v5, s[14:15]
	v_mov_b32_e32 v47, v3
	v_add_co_u32_e64 v34, s[20:21], s65, v34
	v_addc_co_u32_e64 v35, vcc, v35, v5, s[20:21]
	v_add_co_u32_e64 v42, s[22:23], s76, v42
	v_addc_co_u32_e64 v43, s[22:23], 0, v43, s[22:23]
	v_cmp_ge_u64_e32 vcc, v[42:43], v[6:7]
	s_waitcnt vmcnt(3)
	v_xor_b32_e32 v57, 0x80000000, v57
	s_waitcnt vmcnt(2)
	v_xor_b32_e32 v11, 0x80000000, v11
	v_and_b32_e32 v58, s0, v56
	v_and_b32_e32 v59, s1, v57
	v_lshrrev_b64 v[56:57], s61, v[56:57]
	s_waitcnt vmcnt(1)
	v_xor_b32_e32 v13, 0x80000000, v13
	v_and_b32_e32 v60, s0, v10
	v_and_b32_e32 v61, s1, v11
	v_lshrrev_b64 v[10:11], s61, v[10:11]
	v_and_b32_e32 v2, 3, v56
	s_waitcnt vmcnt(0)
	v_xor_b32_e32 v15, 0x80000000, v15
	v_and_b32_e32 v62, s0, v12
	v_and_b32_e32 v63, s1, v13
	v_lshrrev_b64 v[12:13], s61, v[12:13]
	v_cmp_eq_u64_e64 s[16:17], s[82:83], v[58:59]
	v_and_b32_e32 v16, 3, v10
	v_cmp_eq_u64_e64 s[6:7], 0, v[2:3]
	v_and_b32_e32 v64, s0, v14
	v_and_b32_e32 v65, s1, v15
	v_lshrrev_b64 v[14:15], s61, v[14:15]
	v_cmp_eq_u64_e64 s[14:15], s[82:83], v[60:61]
	v_and_b32_e32 v44, 3, v12
	v_cmp_eq_u64_e64 s[28:29], 0, v[16:17]
	s_and_b64 s[6:7], s[16:17], s[6:7]
	v_cmp_eq_u64_e64 s[12:13], s[82:83], v[62:63]
	v_and_b32_e32 v46, 3, v14
	v_cmp_eq_u64_e64 s[30:31], 0, v[44:45]
	v_cmp_eq_u64_e64 s[36:37], 1, v[2:3]
	;; [unrolled: 1-line block ×4, first 2 shown]
	v_cndmask_b32_e64 v2, 0, 1, s[6:7]
	s_and_b64 s[6:7], s[14:15], s[28:29]
	v_cmp_eq_u64_e64 s[10:11], s[82:83], v[64:65]
	v_cmp_eq_u64_e64 s[34:35], 0, v[46:47]
	v_cndmask_b32_e64 v5, 0, 1, s[6:7]
	s_and_b64 s[6:7], s[12:13], s[30:31]
	v_cndmask_b32_e64 v10, 0, 1, s[6:7]
	s_and_b64 s[6:7], s[10:11], s[34:35]
	v_cndmask_b32_e64 v11, 0, 1, s[6:7]
	v_cmp_ne_u32_e64 s[6:7], 0, v2
	v_cmp_ne_u32_e64 s[28:29], 0, v5
	v_cmp_ne_u32_e64 s[30:31], 0, v10
	v_cmp_ne_u32_e64 s[34:35], 0, v11
	s_bcnt1_i32_b64 s6, s[6:7]
	s_bcnt1_i32_b64 s7, s[28:29]
	s_bcnt1_i32_b64 s28, s[30:31]
	s_bcnt1_i32_b64 s29, s[34:35]
	s_add_u32 s6, s6, s84
	s_addc_u32 s30, 0, s85
	s_add_u32 s6, s6, s7
	s_addc_u32 s7, s30, 0
	s_add_u32 s6, s6, s28
	s_addc_u32 s7, s7, 0
	s_add_u32 s84, s6, s29
	v_cmp_eq_u64_e64 s[38:39], 1, v[16:17]
	s_addc_u32 s85, s7, 0
	s_and_b64 s[6:7], s[16:17], s[36:37]
	v_cmp_eq_u64_e64 s[40:41], 1, v[44:45]
	v_cndmask_b32_e64 v2, 0, 1, s[6:7]
	s_and_b64 s[6:7], s[14:15], s[38:39]
	v_cmp_eq_u64_e64 s[42:43], 1, v[46:47]
	v_cndmask_b32_e64 v5, 0, 1, s[6:7]
	s_and_b64 s[6:7], s[12:13], s[40:41]
	v_cndmask_b32_e64 v12, 0, 1, s[6:7]
	s_and_b64 s[6:7], s[10:11], s[42:43]
	v_cndmask_b32_e64 v13, 0, 1, s[6:7]
	v_cmp_ne_u32_e64 s[6:7], 0, v2
	v_cmp_ne_u32_e64 s[28:29], 0, v5
	v_cmp_ne_u32_e64 s[30:31], 0, v12
	v_cmp_ne_u32_e64 s[34:35], 0, v13
	s_bcnt1_i32_b64 s6, s[6:7]
	s_bcnt1_i32_b64 s7, s[28:29]
	s_bcnt1_i32_b64 s28, s[30:31]
	s_bcnt1_i32_b64 s29, s[34:35]
	s_add_u32 s6, s6, s86
	s_addc_u32 s30, 0, s87
	s_add_u32 s6, s6, s7
	s_addc_u32 s7, s30, 0
	s_add_u32 s6, s6, s28
	s_addc_u32 s7, s7, 0
	s_add_u32 s86, s6, s29
	v_cmp_eq_u64_e64 s[46:47], 2, v[16:17]
	s_addc_u32 s87, s7, 0
	s_and_b64 s[6:7], s[16:17], s[44:45]
	v_cmp_eq_u64_e64 s[48:49], 2, v[44:45]
	v_cndmask_b32_e64 v2, 0, 1, s[6:7]
	s_and_b64 s[6:7], s[14:15], s[46:47]
	;; [unrolled: 27-line block ×3, first 2 shown]
	v_cmp_eq_u64_e64 s[18:19], 3, v[46:47]
	v_cndmask_b32_e64 v5, 0, 1, s[6:7]
	s_and_b64 s[6:7], s[12:13], s[20:21]
	v_cndmask_b32_e64 v16, 0, 1, s[6:7]
	s_and_b64 s[6:7], s[10:11], s[18:19]
	v_cndmask_b32_e64 v17, 0, 1, s[6:7]
	v_cmp_ne_u32_e64 s[6:7], 0, v2
	v_cmp_ne_u32_e64 s[10:11], 0, v5
	;; [unrolled: 1-line block ×4, first 2 shown]
	s_bcnt1_i32_b64 s6, s[6:7]
	s_bcnt1_i32_b64 s7, s[10:11]
	;; [unrolled: 1-line block ×4, first 2 shown]
	s_add_u32 s6, s6, s68
	s_addc_u32 s12, 0, s69
	s_add_u32 s6, s6, s7
	s_addc_u32 s7, s12, 0
	;; [unrolled: 2-line block ×4, first 2 shown]
	v_pk_mov_b32 v[10:11], s[84:85], s[84:85] op_sel:[0,1]
	v_pk_mov_b32 v[12:13], s[86:87], s[86:87] op_sel:[0,1]
	;; [unrolled: 1-line block ×3, first 2 shown]
	s_or_b64 s[94:95], vcc, s[94:95]
	v_pk_mov_b32 v[16:17], s[68:69], s[68:69] op_sel:[0,1]
	s_andn2_b64 exec, exec, s[94:95]
	s_cbranch_execnz .LBB103_71
; %bb.72:                               ;   in Loop: Header=BB103_35 Depth=1
	s_or_b64 exec, exec, s[94:95]
	v_readlane_b32 s50, v66, 40
	v_readlane_b32 s78, v66, 42
	;; [unrolled: 1-line block ×3, first 2 shown]
	s_mov_b64 s[64:65], s[58:59]
	v_readlane_b32 s51, v66, 41
	v_readlane_b32 s79, v66, 43
	s_mov_b64 s[84:85], s[90:91]
	s_mov_b32 s49, s9
	v_readlane_b32 s87, v66, 45
	s_mov_b32 s61, s8
	s_mov_b64 s[44:45], s[62:63]
	s_mov_b64 s[38:39], s[4:5]
.LBB103_73:                             ;   in Loop: Header=BB103_35 Depth=1
	s_or_b64 exec, exec, s[26:27]
	v_add_co_u32_e32 v6, vcc, v6, v0
	v_addc_co_u32_e32 v7, vcc, 0, v7, vcc
	v_cmp_gt_u64_e32 vcc, s[52:53], v[6:7]
	v_pk_mov_b32 v[34:35], 0, 0
	s_and_saveexec_b64 s[10:11], vcc
	v_readlane_b32 s4, v66, 16
	v_readlane_b32 s5, v66, 46
	s_cbranch_execz .LBB103_75
; %bb.74:                               ;   in Loop: Header=BB103_35 Depth=1
	v_mul_lo_u32 v2, v7, s56
	v_mul_lo_u32 v5, v6, s57
	v_mad_u64_u32 v[34:35], s[6:7], v6, s56, 0
	v_add3_u32 v35, v35, v5, v2
	v_lshlrev_b64 v[34:35], 3, v[34:35]
	v_mov_b32_e32 v2, s81
	v_add_co_u32_e64 v34, s[6:7], s4, v34
	v_addc_co_u32_e64 v35, s[6:7], v2, v35, s[6:7]
	global_load_dwordx2 v[34:35], v[34:35], off
.LBB103_75:                             ;   in Loop: Header=BB103_35 Depth=1
	s_or_b64 exec, exec, s[10:11]
	s_and_saveexec_b64 s[10:11], vcc
	s_cbranch_execz .LBB103_82
; %bb.76:                               ;   in Loop: Header=BB103_35 Depth=1
	s_and_b32 s16, s61, 0xfe
	s_mov_b64 s[12:13], 0
	s_branch .LBB103_78
.LBB103_77:                             ;   in Loop: Header=BB103_78 Depth=2
	s_or_b64 exec, exec, s[14:15]
	s_waitcnt vmcnt(0)
	v_xor_b32_e32 v35, 0x80000000, v35
	v_and_b32_e32 v39, s1, v35
	v_and_b32_e32 v38, s0, v34
	v_lshrrev_b64 v[34:35], s16, v[34:35]
	s_and_b64 s[6:7], exec, vcc
	v_and_b32_e32 v2, 3, v34
	s_or_b64 s[12:13], s[6:7], s[12:13]
	v_cmp_eq_u64_e32 vcc, s[82:83], v[38:39]
	v_cmp_eq_u64_e64 s[6:7], 0, v[2:3]
	s_and_b64 s[6:7], vcc, s[6:7]
	v_cndmask_b32_e64 v5, 0, 1, s[6:7]
	v_cmp_ne_u32_e64 s[6:7], 0, v5
	s_bcnt1_i32_b64 s6, s[6:7]
	v_add_co_u32_e64 v10, s[6:7], s6, v10
	v_addc_co_u32_e64 v11, s[6:7], 0, v11, s[6:7]
	v_cmp_eq_u64_e64 s[6:7], 1, v[2:3]
	s_and_b64 s[6:7], vcc, s[6:7]
	v_cndmask_b32_e64 v5, 0, 1, s[6:7]
	v_cmp_ne_u32_e64 s[6:7], 0, v5
	s_bcnt1_i32_b64 s6, s[6:7]
	v_add_co_u32_e64 v12, s[6:7], s6, v12
	v_addc_co_u32_e64 v13, s[6:7], 0, v13, s[6:7]
	;; [unrolled: 7-line block ×3, first 2 shown]
	v_cmp_eq_u64_e64 s[6:7], 3, v[2:3]
	s_and_b64 s[6:7], vcc, s[6:7]
	v_cndmask_b32_e64 v2, 0, 1, s[6:7]
	v_cmp_ne_u32_e32 vcc, 0, v2
	s_bcnt1_i32_b64 s6, vcc
	v_add_co_u32_e32 v16, vcc, s6, v16
	v_addc_co_u32_e32 v17, vcc, 0, v17, vcc
	v_pk_mov_b32 v[34:35], v[36:37], v[36:37] op_sel:[0,1]
	s_andn2_b64 exec, exec, s[12:13]
	s_cbranch_execz .LBB103_81
.LBB103_78:                             ;   Parent Loop BB103_35 Depth=1
                                        ; =>  This Inner Loop Header: Depth=2
	v_mov_b32_e32 v2, s77
	v_add_co_u32_e32 v6, vcc, s3, v6
	v_addc_co_u32_e32 v7, vcc, v7, v2, vcc
	v_cmp_gt_u64_e64 s[6:7], s[52:53], v[6:7]
	v_cmp_le_u64_e32 vcc, s[52:53], v[6:7]
	v_pk_mov_b32 v[36:37], 0, 0
	s_and_saveexec_b64 s[14:15], s[6:7]
	s_cbranch_execz .LBB103_77
; %bb.79:                               ;   in Loop: Header=BB103_78 Depth=2
	v_mul_lo_u32 v2, v7, s56
	v_mul_lo_u32 v5, v6, s57
	v_mad_u64_u32 v[36:37], s[6:7], v6, s56, 0
	v_add3_u32 v37, v37, v5, v2
	v_lshlrev_b64 v[36:37], 3, v[36:37]
	v_mov_b32_e32 v2, s81
	v_add_co_u32_e64 v36, s[6:7], s4, v36
	v_addc_co_u32_e64 v37, s[6:7], v2, v37, s[6:7]
	global_load_dwordx2 v[36:37], v[36:37], off
	s_branch .LBB103_77
.LBB103_80:                             ;   in Loop: Header=BB103_35 Depth=1
                                        ; implicit-def: $vgpr16_vgpr17
                                        ; implicit-def: $vgpr12_vgpr13
	s_cbranch_execnz .LBB103_83
	s_branch .LBB103_92
.LBB103_81:                             ;   in Loop: Header=BB103_35 Depth=1
	s_or_b64 exec, exec, s[12:13]
.LBB103_82:                             ;   in Loop: Header=BB103_35 Depth=1
	s_or_b64 exec, exec, s[10:11]
	s_branch .LBB103_92
.LBB103_83:                             ;   in Loop: Header=BB103_35 Depth=1
	global_load_ushort v2, v3, s[86:87]
	v_pk_mov_b32 v[10:11], 0, 0
	s_mov_b64 s[26:27], 0
	v_pk_mov_b32 v[12:13], v[10:11], v[10:11] op_sel:[0,1]
	v_pk_mov_b32 v[14:15], v[10:11], v[10:11] op_sel:[0,1]
	;; [unrolled: 1-line block ×3, first 2 shown]
	s_waitcnt vmcnt(0)
	v_readfirstlane_b32 s3, v2
	s_and_b32 s3, 0xffff, s3
	s_lshl_b32 s3, s3, 2
	v_cvt_f32_u32_e32 v5, s3
	s_sub_i32 s6, 0, s3
	v_rcp_iflag_f32_e32 v5, v5
	v_mul_f32_e32 v5, 0x4f7ffffe, v5
	v_cvt_u32_f32_e32 v6, v5
	v_and_b32_e32 v5, 0xffff, v2
	v_readfirstlane_b32 s7, v6
	s_mul_i32 s6, s6, s7
	s_mul_hi_u32 s6, s7, s6
	s_add_i32 s7, s7, s6
	s_mul_hi_u32 s6, s2, s7
	s_mul_i32 s6, s6, s3
	s_sub_i32 s6, s2, s6
	s_sub_i32 s7, s6, s3
	s_cmp_ge_u32 s6, s3
	s_cselect_b32 s6, s7, s6
	s_sub_i32 s7, s6, s3
	s_cmp_ge_u32 s6, s3
	s_cselect_b32 s6, s7, s6
	s_sub_i32 s76, s2, s6
	v_cmp_gt_u32_e32 vcc, s76, v22
	s_and_saveexec_b64 s[68:69], vcc
	s_cbranch_execz .LBB103_87
; %bb.84:                               ;   in Loop: Header=BB103_35 Depth=1
	s_mov_b64 s[58:59], s[54:55]
	s_mov_b64 s[54:55], s[88:89]
	;; [unrolled: 1-line block ×5, first 2 shown]
	s_mov_b32 s9, s49
	s_mov_b64 s[88:89], s[84:85]
	s_mov_b32 s8, s61
	s_and_b32 s61, s61, 0xfe
	v_lshlrev_b32_e32 v40, 5, v5
	v_mov_b32_e32 v41, v53
	s_mov_b64 s[78:79], 0
	s_mov_b64 s[84:85], 0
	s_mov_b64 s[86:87], 0
	s_mov_b64 s[94:95], 0
	v_pk_mov_b32 v[6:7], v[22:23], v[22:23] op_sel:[0,1]
.LBB103_85:                             ;   Parent Loop BB103_35 Depth=1
                                        ; =>  This Inner Loop Header: Depth=2
	ds_read_b128 v[14:17], v41
	ds_read_b128 v[10:13], v41 offset:16
	v_mov_b32_e32 v35, v3
	v_mov_b32_e32 v37, v3
	;; [unrolled: 1-line block ×3, first 2 shown]
	s_waitcnt lgkmcnt(1)
	v_xor_b32_e32 v15, 0x80000000, v15
	v_xor_b32_e32 v17, 0x80000000, v17
	v_and_b32_e32 v42, s0, v14
	v_and_b32_e32 v43, s1, v15
	v_lshrrev_b64 v[14:15], s61, v[14:15]
	s_waitcnt lgkmcnt(0)
	v_xor_b32_e32 v11, 0x80000000, v11
	v_and_b32_e32 v44, s0, v16
	v_and_b32_e32 v45, s1, v17
	v_lshrrev_b64 v[16:17], s61, v[16:17]
	v_and_b32_e32 v2, 3, v14
	v_xor_b32_e32 v13, 0x80000000, v13
	v_and_b32_e32 v46, s0, v10
	v_and_b32_e32 v47, s1, v11
	v_lshrrev_b64 v[10:11], s61, v[10:11]
	v_cmp_eq_u64_e64 s[16:17], s[82:83], v[42:43]
	v_and_b32_e32 v34, 3, v16
	v_cmp_eq_u64_e64 s[6:7], 0, v[2:3]
	v_and_b32_e32 v56, s0, v12
	v_and_b32_e32 v57, s1, v13
	v_lshrrev_b64 v[12:13], s61, v[12:13]
	v_cmp_eq_u64_e64 s[14:15], s[82:83], v[44:45]
	v_and_b32_e32 v36, 3, v10
	v_cmp_eq_u64_e64 s[28:29], 0, v[34:35]
	s_and_b64 s[6:7], s[16:17], s[6:7]
	v_cmp_eq_u64_e64 s[12:13], s[82:83], v[46:47]
	v_and_b32_e32 v38, 3, v12
	v_cmp_eq_u64_e64 s[30:31], 0, v[36:37]
	v_cmp_eq_u64_e64 s[36:37], 1, v[2:3]
	;; [unrolled: 1-line block ×4, first 2 shown]
	v_cndmask_b32_e64 v2, 0, 1, s[6:7]
	s_and_b64 s[6:7], s[14:15], s[28:29]
	v_cmp_eq_u64_e64 s[10:11], s[82:83], v[56:57]
	v_cmp_eq_u64_e64 s[34:35], 0, v[38:39]
	v_cndmask_b32_e64 v10, 0, 1, s[6:7]
	s_and_b64 s[6:7], s[12:13], s[30:31]
	v_cndmask_b32_e64 v11, 0, 1, s[6:7]
	s_and_b64 s[6:7], s[10:11], s[34:35]
	v_cndmask_b32_e64 v12, 0, 1, s[6:7]
	v_cmp_ne_u32_e64 s[6:7], 0, v2
	v_cmp_ne_u32_e64 s[28:29], 0, v10
	v_cmp_ne_u32_e64 s[30:31], 0, v11
	v_cmp_ne_u32_e64 s[34:35], 0, v12
	s_bcnt1_i32_b64 s6, s[6:7]
	s_bcnt1_i32_b64 s7, s[28:29]
	s_bcnt1_i32_b64 s28, s[30:31]
	s_bcnt1_i32_b64 s29, s[34:35]
	s_add_u32 s6, s6, s94
	s_addc_u32 s30, 0, s95
	s_add_u32 s6, s6, s7
	s_addc_u32 s7, s30, 0
	s_add_u32 s6, s6, s28
	s_addc_u32 s7, s7, 0
	s_add_u32 s94, s6, s29
	v_cmp_eq_u64_e64 s[38:39], 1, v[34:35]
	s_addc_u32 s95, s7, 0
	s_and_b64 s[6:7], s[16:17], s[36:37]
	v_cmp_eq_u64_e64 s[40:41], 1, v[36:37]
	v_cndmask_b32_e64 v2, 0, 1, s[6:7]
	s_and_b64 s[6:7], s[14:15], s[38:39]
	v_cmp_eq_u64_e64 s[42:43], 1, v[38:39]
	v_cndmask_b32_e64 v12, 0, 1, s[6:7]
	s_and_b64 s[6:7], s[12:13], s[40:41]
	v_cndmask_b32_e64 v13, 0, 1, s[6:7]
	s_and_b64 s[6:7], s[10:11], s[42:43]
	v_cndmask_b32_e64 v14, 0, 1, s[6:7]
	v_cmp_ne_u32_e64 s[6:7], 0, v2
	v_cmp_ne_u32_e64 s[28:29], 0, v12
	v_cmp_ne_u32_e64 s[30:31], 0, v13
	v_cmp_ne_u32_e64 s[34:35], 0, v14
	s_bcnt1_i32_b64 s6, s[6:7]
	s_bcnt1_i32_b64 s7, s[28:29]
	s_bcnt1_i32_b64 s28, s[30:31]
	s_bcnt1_i32_b64 s29, s[34:35]
	s_add_u32 s6, s6, s86
	s_addc_u32 s30, 0, s87
	s_add_u32 s6, s6, s7
	s_addc_u32 s7, s30, 0
	s_add_u32 s6, s6, s28
	s_addc_u32 s7, s7, 0
	s_add_u32 s86, s6, s29
	v_cmp_eq_u64_e64 s[46:47], 2, v[34:35]
	s_addc_u32 s87, s7, 0
	s_and_b64 s[6:7], s[16:17], s[44:45]
	v_cmp_eq_u64_e64 s[48:49], 2, v[36:37]
	v_cndmask_b32_e64 v2, 0, 1, s[6:7]
	s_and_b64 s[6:7], s[14:15], s[46:47]
	;; [unrolled: 27-line block ×3, first 2 shown]
	v_cmp_eq_u64_e64 s[18:19], 3, v[38:39]
	v_cndmask_b32_e64 v16, 0, 1, s[6:7]
	s_and_b64 s[6:7], s[12:13], s[20:21]
	v_cndmask_b32_e64 v17, 0, 1, s[6:7]
	s_and_b64 s[6:7], s[10:11], s[18:19]
	v_cndmask_b32_e64 v34, 0, 1, s[6:7]
	v_cmp_ne_u32_e64 s[6:7], 0, v2
	v_cmp_ne_u32_e64 s[10:11], 0, v16
	;; [unrolled: 1-line block ×4, first 2 shown]
	s_bcnt1_i32_b64 s6, s[6:7]
	s_bcnt1_i32_b64 s7, s[10:11]
	;; [unrolled: 1-line block ×4, first 2 shown]
	s_add_u32 s6, s6, s78
	s_addc_u32 s12, 0, s79
	s_add_u32 s6, s6, s7
	s_addc_u32 s7, s12, 0
	s_add_u32 s6, s6, s10
	v_add_co_u32_e32 v6, vcc, s3, v6
	s_addc_u32 s7, s7, 0
	v_addc_co_u32_e32 v7, vcc, 0, v7, vcc
	s_add_u32 s78, s6, s11
	v_cmp_le_u64_e32 vcc, s[76:77], v[6:7]
	s_addc_u32 s79, s7, 0
	v_add_u32_e32 v41, v41, v40
	v_pk_mov_b32 v[10:11], s[94:95], s[94:95] op_sel:[0,1]
	v_pk_mov_b32 v[12:13], s[86:87], s[86:87] op_sel:[0,1]
	;; [unrolled: 1-line block ×3, first 2 shown]
	s_or_b64 s[26:27], vcc, s[26:27]
	v_pk_mov_b32 v[16:17], s[78:79], s[78:79] op_sel:[0,1]
	s_andn2_b64 exec, exec, s[26:27]
	s_cbranch_execnz .LBB103_85
; %bb.86:                               ;   in Loop: Header=BB103_35 Depth=1
	s_or_b64 exec, exec, s[26:27]
	v_readlane_b32 s50, v66, 40
	v_readlane_b32 s78, v66, 42
	;; [unrolled: 1-line block ×5, first 2 shown]
	s_mov_b64 s[84:85], s[88:89]
	s_mov_b32 s49, s9
	v_readlane_b32 s87, v66, 45
	s_mov_b32 s61, s8
	s_mov_b64 s[44:45], s[62:63]
	s_mov_b64 s[38:39], s[70:71]
	s_mov_b64 s[70:71], s[4:5]
	v_readlane_b32 s5, v66, 46
	s_mov_b64 s[88:89], s[54:55]
	s_mov_b64 s[54:55], s[58:59]
.LBB103_87:                             ;   in Loop: Header=BB103_35 Depth=1
	s_or_b64 exec, exec, s[68:69]
	v_add_u32_e32 v2, s76, v0
	v_cmp_gt_u32_e32 vcc, s2, v2
	s_and_saveexec_b64 s[18:19], vcc
	s_cbranch_execz .LBB103_91
; %bb.88:                               ;   in Loop: Header=BB103_35 Depth=1
	s_and_b32 s76, s2, 0x7fffffff
	s_and_b32 s20, s61, 0xfe
	v_lshlrev_b32_e32 v34, 3, v2
	v_lshlrev_b32_e32 v35, 3, v5
	s_mov_b64 s[2:3], 0
	v_pk_mov_b32 v[6:7], v[2:3], v[2:3] op_sel:[0,1]
.LBB103_89:                             ;   Parent Loop BB103_35 Depth=1
                                        ; =>  This Inner Loop Header: Depth=2
	ds_read_b64 v[36:37], v34
	v_add_co_u32_e32 v6, vcc, v6, v5
	v_addc_co_u32_e32 v7, vcc, 0, v7, vcc
	s_waitcnt lgkmcnt(0)
	v_xor_b32_e32 v37, 0x80000000, v37
	v_and_b32_e32 v38, s0, v36
	v_and_b32_e32 v39, s1, v37
	v_lshrrev_b64 v[36:37], s20, v[36:37]
	v_and_b32_e32 v2, 3, v36
	v_cmp_eq_u64_e64 s[6:7], s[82:83], v[38:39]
	v_cmp_eq_u64_e64 s[10:11], 0, v[2:3]
	;; [unrolled: 1-line block ×3, first 2 shown]
	s_and_b64 s[10:11], s[6:7], s[10:11]
	v_cmp_eq_u64_e64 s[14:15], 2, v[2:3]
	v_cmp_eq_u64_e64 s[16:17], 3, v[2:3]
	v_cndmask_b32_e64 v2, 0, 1, s[10:11]
	s_and_b64 s[10:11], s[6:7], s[12:13]
	v_cndmask_b32_e64 v36, 0, 1, s[10:11]
	s_and_b64 s[10:11], s[6:7], s[14:15]
	s_and_b64 s[6:7], s[6:7], s[16:17]
	v_cndmask_b32_e64 v37, 0, 1, s[10:11]
	v_cndmask_b32_e64 v38, 0, 1, s[6:7]
	v_cmp_ne_u32_e64 s[6:7], 0, v2
	v_cmp_ne_u32_e64 s[10:11], 0, v36
	;; [unrolled: 1-line block ×4, first 2 shown]
	v_cmp_le_u64_e32 vcc, s[76:77], v[6:7]
	s_bcnt1_i32_b64 s6, s[6:7]
	s_bcnt1_i32_b64 s7, s[10:11]
	;; [unrolled: 1-line block ×4, first 2 shown]
	s_or_b64 s[2:3], vcc, s[2:3]
	v_add_co_u32_e32 v10, vcc, s6, v10
	v_addc_co_u32_e32 v11, vcc, 0, v11, vcc
	v_add_co_u32_e32 v12, vcc, s7, v12
	v_addc_co_u32_e32 v13, vcc, 0, v13, vcc
	;; [unrolled: 2-line block ×3, first 2 shown]
	v_add_co_u32_e32 v16, vcc, s11, v16
	v_add_u32_e32 v34, v34, v35
	v_addc_co_u32_e32 v17, vcc, 0, v17, vcc
	s_andn2_b64 exec, exec, s[2:3]
	s_cbranch_execnz .LBB103_89
; %bb.90:                               ;   in Loop: Header=BB103_35 Depth=1
	s_or_b64 exec, exec, s[2:3]
.LBB103_91:                             ;   in Loop: Header=BB103_35 Depth=1
	s_or_b64 exec, exec, s[18:19]
.LBB103_92:                             ;   in Loop: Header=BB103_35 Depth=1
	v_readlane_b32 s2, v66, 39
	s_lshl_b32 s6, s2, 6
	s_and_saveexec_b64 s[2:3], s[50:51]
	s_cbranch_execz .LBB103_94
; %bb.93:                               ;   in Loop: Header=BB103_35 Depth=1
	v_or_b32_e32 v2, s6, v51
	v_lshlrev_b32_e32 v2, 3, v2
	ds_write_b128 v2, v[10:13] offset:3072
	ds_write_b128 v2, v[14:17] offset:3088
.LBB103_94:                             ;   in Loop: Header=BB103_35 Depth=1
	s_or_b64 exec, exec, s[2:3]
	s_waitcnt lgkmcnt(0)
	s_barrier
	s_and_saveexec_b64 s[2:3], s[78:79]
	s_cbranch_execz .LBB103_106
; %bb.95:                               ;   in Loop: Header=BB103_35 Depth=1
	v_readlane_b32 s10, v66, 23
	v_readlane_b32 s11, v66, 24
	s_andn2_b64 vcc, exec, s[10:11]
	s_waitcnt vmcnt(0)
	v_pk_mov_b32 v[6:7], 0, 0
	s_cbranch_vccnz .LBB103_105
; %bb.96:                               ;   in Loop: Header=BB103_35 Depth=1
	v_readlane_b32 s8, v66, 28
	v_readlane_b32 s9, v66, 29
	s_andn2_b64 vcc, exec, s[8:9]
	s_cbranch_vccnz .LBB103_101
; %bb.97:                               ;   in Loop: Header=BB103_35 Depth=1
	v_readlane_b32 s4, v66, 39
	v_lshl_add_u32 v2, s4, 9, v54
	s_mov_b32 s7, 0
	v_pk_mov_b32 v[6:7], 0, 0
.LBB103_98:                             ;   Parent Loop BB103_35 Depth=1
                                        ; =>  This Inner Loop Header: Depth=2
	ds_read2_b64 v[10:13], v2 offset1:4
	ds_read2_b64 v[14:17], v2 offset0:8 offset1:12
	ds_read2_b64 v[34:37], v2 offset0:16 offset1:20
	;; [unrolled: 1-line block ×3, first 2 shown]
	s_add_i32 s7, s7, 8
	s_waitcnt lgkmcnt(3)
	v_add_co_u32_e32 v5, vcc, v10, v6
	v_addc_co_u32_e32 v6, vcc, v11, v7, vcc
	v_add_co_u32_e32 v5, vcc, v12, v5
	v_addc_co_u32_e32 v6, vcc, v13, v6, vcc
	s_waitcnt lgkmcnt(2)
	v_add_co_u32_e32 v5, vcc, v14, v5
	v_addc_co_u32_e32 v6, vcc, v15, v6, vcc
	v_add_co_u32_e32 v5, vcc, v16, v5
	v_addc_co_u32_e32 v6, vcc, v17, v6, vcc
	s_waitcnt lgkmcnt(1)
	v_add_co_u32_e32 v5, vcc, v34, v5
	v_addc_co_u32_e32 v6, vcc, v35, v6, vcc
	v_add_co_u32_e32 v5, vcc, v36, v5
	v_addc_co_u32_e32 v6, vcc, v37, v6, vcc
	s_waitcnt lgkmcnt(0)
	v_add_co_u32_e32 v5, vcc, v38, v5
	v_addc_co_u32_e32 v7, vcc, v39, v6, vcc
	v_add_co_u32_e32 v6, vcc, v40, v5
	v_add_u32_e32 v2, 0x100, v2
	s_cmp_eq_u32 s5, s7
	v_addc_co_u32_e32 v7, vcc, v41, v7, vcc
	s_cbranch_scc0 .LBB103_98
; %bb.99:                               ;   in Loop: Header=BB103_35 Depth=1
	s_mov_b32 s7, s5
	s_branch .LBB103_102
.LBB103_100:                            ;   in Loop: Header=BB103_35 Depth=1
                                        ; implicit-def: $vgpr6_vgpr7
	s_branch .LBB103_68
.LBB103_101:                            ;   in Loop: Header=BB103_35 Depth=1
	s_mov_b32 s7, 0
	v_pk_mov_b32 v[6:7], 0, 0
.LBB103_102:                            ;   in Loop: Header=BB103_35 Depth=1
	v_readlane_b32 s8, v66, 31
	v_readlane_b32 s9, v66, 32
	s_andn2_b64 vcc, exec, s[8:9]
	s_cbranch_vccnz .LBB103_105
; %bb.103:                              ;   in Loop: Header=BB103_35 Depth=1
	v_readlane_b32 s4, v66, 39
	s_lshl_b32 s10, s4, 9
	s_lshl_b32 s7, s7, 5
	s_add_i32 s10, s10, s7
	v_add_u32_e32 v2, s10, v54
	v_readlane_b32 s7, v66, 30
.LBB103_104:                            ;   Parent Loop BB103_35 Depth=1
                                        ; =>  This Inner Loop Header: Depth=2
	ds_read_b64 v[10:11], v2
	s_add_i32 s7, s7, -1
	v_add_u32_e32 v2, 32, v2
	s_cmp_lg_u32 s7, 0
	s_waitcnt lgkmcnt(0)
	v_add_co_u32_e32 v6, vcc, v10, v6
	v_addc_co_u32_e32 v7, vcc, v11, v7, vcc
	s_cbranch_scc1 .LBB103_104
.LBB103_105:                            ;   in Loop: Header=BB103_35 Depth=1
	v_add_lshl_u32 v2, s6, v48, 3
	ds_write_b64 v2, v[6:7] offset:3072
.LBB103_106:                            ;   in Loop: Header=BB103_35 Depth=1
	s_or_b64 exec, exec, s[2:3]
	s_lshl_b32 s2, s6, 3
	v_mov_b32_e32 v2, s2
	s_waitcnt lgkmcnt(0)
	s_barrier
	ds_read_b128 v[10:13], v2 offset:3072
	ds_read_b128 v[14:17], v2 offset:3088
	s_and_b32 s42, s61, 0xfe
	s_lshl_b64 s[10:11], 3, s42
	s_not_b64 s[18:19], s[10:11]
	s_waitcnt lgkmcnt(1)
	v_readfirstlane_b32 s3, v11
	v_readfirstlane_b32 s2, v10
	s_cmp_eq_u64 s[2:3], 1
	s_cselect_b64 s[12:13], -1, 0
	s_cmp_eq_u64 s[84:85], 1
	s_cselect_b64 s[14:15], -1, 0
	s_and_b64 s[20:21], s[12:13], s[14:15]
	v_readfirstlane_b32 s30, v12
	v_readfirstlane_b32 s31, v13
	s_waitcnt lgkmcnt(0)
	v_readfirstlane_b32 s16, v14
	v_readfirstlane_b32 s17, v15
	;; [unrolled: 1-line block ×4, first 2 shown]
	s_mov_b64 s[14:15], -1
	s_and_b64 vcc, exec, s[20:21]
	s_cbranch_vccz .LBB103_121
; %bb.107:                              ;   in Loop: Header=BB103_35 Depth=1
	s_waitcnt vmcnt(0)
	ds_read_b64 v[6:7], v3 offset:5120
	s_waitcnt lgkmcnt(0)
	s_barrier
	v_readfirstlane_b32 s12, v6
	v_readfirstlane_b32 s13, v7
	s_mov_b64 s[22:23], exec
	v_readlane_b32 s24, v66, 19
	v_readlane_b32 s25, v66, 20
	s_and_b64 s[24:25], s[22:23], s[24:25]
	s_mov_b64 exec, s[24:25]
	s_cbranch_execz .LBB103_109
; %bb.108:                              ;   in Loop: Header=BB103_35 Depth=1
	v_mov_b32_e32 v2, v3
	ds_write_b64 v50, v[2:3]
.LBB103_109:                            ;   in Loop: Header=BB103_35 Depth=1
	s_or_b64 exec, exec, s[22:23]
	s_and_b64 s[82:83], s[82:83], s[18:19]
	s_or_b64 s[0:1], s[0:1], s[10:11]
	s_cmp_eq_u64 s[12:13], 0
	s_waitcnt lgkmcnt(0)
	s_barrier
	s_cbranch_scc1 .LBB103_122
; %bb.110:                              ;   in Loop: Header=BB103_35 Depth=1
	v_readlane_b32 s22, v66, 25
	s_add_u32 s26, s22, s12
	v_readlane_b32 s22, v66, 27
	s_addc_u32 s23, s22, s13
	s_mov_b32 s22, s77
	s_cmp_lg_u64 s[22:23], 0
	s_cbranch_scc0 .LBB103_167
; %bb.111:                              ;   in Loop: Header=BB103_35 Depth=1
	v_cvt_f32_u32_e32 v2, s33
	s_sub_u32 s22, 0, s33
	s_subb_u32 s24, 0, 0
	v_mac_f32_e32 v2, 0, v55
	v_rcp_f32_e32 v2, v2
	v_mul_f32_e32 v2, 0x5f7ffffc, v2
	v_mul_f32_e32 v5, 0x2f800000, v2
	v_trunc_f32_e32 v5, v5
	v_mac_f32_e32 v2, 0xcf800000, v5
	v_cvt_u32_f32_e32 v5, v5
	v_cvt_u32_f32_e32 v2, v2
	v_readfirstlane_b32 s25, v5
	v_readfirstlane_b32 s27, v2
	s_mul_i32 s28, s22, s25
	s_mul_hi_u32 s34, s22, s27
	s_mul_i32 s29, s24, s27
	s_add_i32 s28, s34, s28
	s_mul_i32 s35, s22, s27
	s_add_i32 s28, s28, s29
	s_mul_hi_u32 s34, s27, s35
	s_mul_hi_u32 s29, s27, s28
	s_mul_i32 s27, s27, s28
	s_add_u32 s27, s34, s27
	s_addc_u32 s29, 0, s29
	s_mul_hi_u32 s36, s25, s35
	s_mul_i32 s35, s25, s35
	s_add_u32 s27, s27, s35
	s_mul_hi_u32 s34, s25, s28
	s_addc_u32 s27, s29, s36
	s_addc_u32 s29, s34, 0
	s_mul_i32 s28, s25, s28
	s_add_u32 s27, s27, s28
	s_addc_u32 s28, 0, s29
	v_add_co_u32_e32 v2, vcc, s27, v2
	s_cmp_lg_u64 vcc, 0
	s_addc_u32 s25, s25, s28
	v_readfirstlane_b32 s28, v2
	s_mul_i32 s27, s22, s25
	s_mul_hi_u32 s29, s22, s28
	s_add_i32 s27, s29, s27
	s_mul_i32 s24, s24, s28
	s_add_i32 s27, s27, s24
	s_mul_i32 s22, s22, s28
	s_mul_hi_u32 s29, s25, s22
	s_mul_i32 s34, s25, s22
	s_mul_i32 s36, s28, s27
	s_mul_hi_u32 s22, s28, s22
	s_mul_hi_u32 s35, s28, s27
	s_add_u32 s22, s22, s36
	s_addc_u32 s28, 0, s35
	s_add_u32 s22, s22, s34
	s_mul_hi_u32 s24, s25, s27
	s_addc_u32 s22, s28, s29
	s_addc_u32 s24, s24, 0
	s_mul_i32 s27, s25, s27
	s_add_u32 s22, s22, s27
	s_addc_u32 s24, 0, s24
	v_add_co_u32_e32 v2, vcc, s22, v2
	s_cmp_lg_u64 vcc, 0
	s_addc_u32 s22, s25, s24
	v_readfirstlane_b32 s27, v2
	s_mul_i32 s25, s26, s22
	s_mul_hi_u32 s28, s26, s27
	s_mul_hi_u32 s24, s26, s22
	s_add_u32 s25, s28, s25
	s_addc_u32 s24, 0, s24
	s_mul_hi_u32 s29, s23, s27
	s_mul_i32 s27, s23, s27
	s_add_u32 s25, s25, s27
	s_mul_hi_u32 s28, s23, s22
	s_addc_u32 s24, s24, s29
	s_addc_u32 s25, s28, 0
	s_mul_i32 s22, s23, s22
	s_add_u32 s22, s24, s22
	s_addc_u32 s24, 0, s25
	s_mul_hi_u32 s25, s33, s22
	s_mul_i32 s22, s33, s22
	s_mul_i32 s24, s33, s24
	v_mov_b32_e32 v2, s22
	s_add_i32 s25, s25, s24
	v_sub_co_u32_e32 v2, vcc, s26, v2
	s_cmp_lg_u64 vcc, 0
	s_subb_u32 s22, s23, s25
	v_subrev_co_u32_e32 v5, vcc, s33, v2
	s_cmp_lg_u64 vcc, 0
	s_subb_u32 s24, s22, 0
	v_subrev_co_u32_e32 v6, vcc, s33, v5
	s_cmp_lg_u64 vcc, 0
	s_subb_u32 s25, s24, 0
	v_cmp_le_u32_e32 vcc, s33, v5
	s_cmp_eq_u32 s24, 0
	v_cndmask_b32_e64 v7, 0, -1, vcc
	s_cselect_b64 vcc, -1, 0
	v_cndmask_b32_e32 v7, -1, v7, vcc
	v_mov_b32_e32 v8, s24
	v_mov_b32_e32 v9, s25
	v_cmp_ne_u32_e32 vcc, 0, v7
	v_cndmask_b32_e32 v7, v8, v9, vcc
	v_cndmask_b32_e32 v5, v5, v6, vcc
	v_cmp_le_u32_e32 vcc, s33, v2
	s_cmp_eq_u32 s22, 0
	v_cndmask_b32_e64 v6, 0, -1, vcc
	s_cselect_b64 vcc, -1, 0
	v_cndmask_b32_e32 v6, -1, v6, vcc
	v_mov_b32_e32 v8, s22
	v_cmp_ne_u32_e32 vcc, 0, v6
	v_cndmask_b32_e32 v7, v8, v7, vcc
	v_cndmask_b32_e32 v6, v2, v5, vcc
	s_cbranch_execnz .LBB103_113
.LBB103_112:                            ;   in Loop: Header=BB103_35 Depth=1
	v_cvt_f32_u32_e32 v2, s33
	s_sub_i32 s22, 0, s33
	v_rcp_iflag_f32_e32 v2, v2
	v_mul_f32_e32 v2, 0x4f7ffffe, v2
	v_cvt_u32_f32_e32 v2, v2
	v_mul_lo_u32 v5, s22, v2
	v_mul_hi_u32 v5, v2, v5
	v_add_u32_e32 v2, v2, v5
	v_mul_hi_u32 v2, s26, v2
	v_mul_lo_u32 v2, v2, s33
	v_sub_u32_e32 v2, s26, v2
	v_subrev_u32_e32 v5, s33, v2
	v_cmp_le_u32_e32 vcc, s33, v2
	v_cndmask_b32_e32 v2, v2, v5, vcc
	v_subrev_u32_e32 v5, s33, v2
	v_cmp_le_u32_e32 vcc, s33, v2
	v_cndmask_b32_e32 v2, v2, v5, vcc
	v_pk_mov_b32 v[6:7], v[2:3], v[2:3] op_sel:[0,1]
.LBB103_113:                            ;   in Loop: Header=BB103_35 Depth=1
	v_mov_b32_e32 v2, s23
	v_sub_co_u32_e32 v10, vcc, s26, v6
	v_subb_co_u32_e32 v11, vcc, v2, v7, vcc
	v_cmp_gt_u64_e32 vcc, v[10:11], v[0:1]
	s_mov_b64 s[22:23], 0
                                        ; implicit-def: $vgpr8_vgpr9
	s_and_saveexec_b64 s[24:25], vcc
	s_cbranch_execz .LBB103_124
; %bb.114:                              ;   in Loop: Header=BB103_35 Depth=1
	s_mov_b64 s[26:27], 0
	v_mov_b32_e32 v2, v49
	v_pk_mov_b32 v[12:13], v[0:1], v[0:1] op_sel:[0,1]
                                        ; implicit-def: $sgpr22_sgpr23
	s_branch .LBB103_116
.LBB103_115:                            ;   in Loop: Header=BB103_116 Depth=2
	s_or_b64 exec, exec, s[28:29]
	s_waitcnt lgkmcnt(0)
	s_barrier
	ds_read_b128 v[6:9], v3 offset:3072
	v_mov_b32_e32 v5, s80
	v_add_co_u32_e32 v12, vcc, s33, v12
	v_addc_co_u32_e32 v13, vcc, v13, v5, vcc
	s_waitcnt lgkmcnt(0)
	v_readfirstlane_b32 s29, v7
	v_readfirstlane_b32 s28, v6
	s_cmp_lg_u64 s[28:29], 0
	s_cselect_b64 s[28:29], -1, 0
	v_cmp_ge_u64_e32 vcc, v[12:13], v[10:11]
	s_or_b64 s[34:35], vcc, s[28:29]
	s_and_b64 s[34:35], exec, s[34:35]
	s_or_b64 s[26:27], s[34:35], s[26:27]
	s_andn2_b64 s[22:23], s[22:23], exec
	s_and_b64 s[28:29], s[28:29], exec
	v_add_u32_e32 v2, s60, v2
	s_or_b64 s[22:23], s[22:23], s[28:29]
	s_barrier
	s_andn2_b64 exec, exec, s[26:27]
	s_cbranch_execz .LBB103_123
.LBB103_116:                            ;   Parent Loop BB103_35 Depth=1
                                        ; =>  This Inner Loop Header: Depth=2
	v_cmp_gt_u64_e32 vcc, s[12:13], v[12:13]
	v_pk_mov_b32 v[6:7], 0, 0
	s_and_saveexec_b64 s[28:29], vcc
	s_cbranch_execz .LBB103_118
; %bb.117:                              ;   in Loop: Header=BB103_116 Depth=2
	ds_read_b64 v[6:7], v2
.LBB103_118:                            ;   in Loop: Header=BB103_116 Depth=2
	s_or_b64 exec, exec, s[28:29]
	s_and_saveexec_b64 s[28:29], vcc
	s_cbranch_execz .LBB103_115
; %bb.119:                              ;   in Loop: Header=BB103_116 Depth=2
	s_waitcnt lgkmcnt(0)
	v_xor_b32_e32 v5, 0x80000000, v7
	v_and_b32_e32 v9, s1, v5
	v_and_b32_e32 v8, s0, v6
	v_cmp_eq_u64_e32 vcc, s[82:83], v[8:9]
	s_and_b64 exec, exec, vcc
	s_cbranch_execz .LBB103_115
; %bb.120:                              ;   in Loop: Header=BB103_116 Depth=2
	v_mov_b32_e32 v5, v3
	ds_write_b128 v3, v[4:7] offset:3072
	s_branch .LBB103_115
.LBB103_121:                            ;   in Loop: Header=BB103_35 Depth=1
	s_mov_b64 s[22:23], -1
                                        ; implicit-def: $sgpr12_sgpr13
                                        ; implicit-def: $sgpr26_sgpr27
                                        ; implicit-def: $sgpr24_sgpr25
	s_branch .LBB103_138
.LBB103_122:                            ;   in Loop: Header=BB103_35 Depth=1
	s_mov_b64 s[12:13], -1
	s_mov_b64 s[22:23], 0
                                        ; implicit-def: $sgpr24_sgpr25
                                        ; implicit-def: $vgpr8_vgpr9
	s_mov_b64 s[26:27], s[12:13]
	s_cbranch_execnz .LBB103_125
	s_branch .LBB103_138
.LBB103_123:                            ;   in Loop: Header=BB103_35 Depth=1
	s_or_b64 exec, exec, s[26:27]
	s_and_b64 s[22:23], s[22:23], exec
.LBB103_124:                            ;   in Loop: Header=BB103_35 Depth=1
	s_or_b64 exec, exec, s[24:25]
	s_mov_b64 s[24:25], -1
	s_mov_b64 s[12:13], 0
	s_mov_b64 s[26:27], s[12:13]
	s_branch .LBB103_138
.LBB103_125:                            ;   in Loop: Header=BB103_35 Depth=1
	s_mov_b32 s48, s77
	s_cmp_lg_u64 s[48:49], 0
	s_cbranch_scc0 .LBB103_171
; %bb.126:                              ;   in Loop: Header=BB103_35 Depth=1
	v_cvt_f32_u32_e32 v2, s33
	s_sub_u32 s12, 0, s33
	s_subb_u32 s13, 0, 0
	v_mac_f32_e32 v2, 0, v55
	v_rcp_f32_e32 v2, v2
	v_mul_f32_e32 v2, 0x5f7ffffc, v2
	v_mul_f32_e32 v5, 0x2f800000, v2
	v_trunc_f32_e32 v5, v5
	v_mac_f32_e32 v2, 0xcf800000, v5
	v_cvt_u32_f32_e32 v5, v5
	v_cvt_u32_f32_e32 v2, v2
	v_readfirstlane_b32 s22, v5
	v_readfirstlane_b32 s23, v2
	s_mul_i32 s24, s12, s22
	s_mul_hi_u32 s26, s12, s23
	s_mul_i32 s25, s13, s23
	s_add_i32 s24, s26, s24
	s_mul_i32 s27, s12, s23
	s_add_i32 s24, s24, s25
	s_mul_hi_u32 s26, s23, s27
	s_mul_hi_u32 s25, s23, s24
	s_mul_i32 s23, s23, s24
	s_add_u32 s23, s26, s23
	s_addc_u32 s25, 0, s25
	s_mul_hi_u32 s28, s22, s27
	s_mul_i32 s27, s22, s27
	s_add_u32 s23, s23, s27
	s_mul_hi_u32 s26, s22, s24
	s_addc_u32 s23, s25, s28
	s_addc_u32 s25, s26, 0
	s_mul_i32 s24, s22, s24
	s_add_u32 s23, s23, s24
	s_addc_u32 s24, 0, s25
	v_add_co_u32_e32 v2, vcc, s23, v2
	s_cmp_lg_u64 vcc, 0
	s_addc_u32 s22, s22, s24
	v_readfirstlane_b32 s24, v2
	s_mul_i32 s23, s12, s22
	s_mul_hi_u32 s25, s12, s24
	s_add_i32 s23, s25, s23
	s_mul_i32 s13, s13, s24
	s_add_i32 s23, s23, s13
	s_mul_i32 s12, s12, s24
	s_mul_hi_u32 s25, s22, s12
	s_mul_i32 s26, s22, s12
	s_mul_i32 s28, s24, s23
	s_mul_hi_u32 s12, s24, s12
	s_mul_hi_u32 s27, s24, s23
	s_add_u32 s12, s12, s28
	s_addc_u32 s24, 0, s27
	s_add_u32 s12, s12, s26
	s_mul_hi_u32 s13, s22, s23
	s_addc_u32 s12, s24, s25
	s_addc_u32 s13, s13, 0
	s_mul_i32 s23, s22, s23
	s_add_u32 s12, s12, s23
	s_addc_u32 s13, 0, s13
	v_add_co_u32_e32 v2, vcc, s12, v2
	s_cmp_lg_u64 vcc, 0
	s_addc_u32 s12, s22, s13
	v_readlane_b32 s26, v66, 26
	v_readfirstlane_b32 s23, v2
	s_mul_i32 s22, s26, s12
	s_mul_hi_u32 s24, s26, s23
	s_mul_hi_u32 s13, s26, s12
	s_add_u32 s22, s24, s22
	s_addc_u32 s13, 0, s13
	s_mul_hi_u32 s25, s49, s23
	s_mul_i32 s23, s49, s23
	s_add_u32 s22, s22, s23
	s_mul_hi_u32 s24, s49, s12
	s_addc_u32 s13, s13, s25
	s_addc_u32 s22, s24, 0
	s_mul_i32 s12, s49, s12
	s_add_u32 s12, s13, s12
	s_addc_u32 s13, 0, s22
	s_mul_hi_u32 s22, s33, s12
	s_mul_i32 s12, s33, s12
	s_mul_i32 s13, s33, s13
	v_mov_b32_e32 v2, s12
	s_add_i32 s22, s22, s13
	v_sub_co_u32_e32 v2, vcc, s26, v2
	s_cmp_lg_u64 vcc, 0
	s_subb_u32 s12, s49, s22
	v_subrev_co_u32_e32 v5, vcc, s33, v2
	s_cmp_lg_u64 vcc, 0
	s_subb_u32 s13, s12, 0
	v_subrev_co_u32_e32 v6, vcc, s33, v5
	s_cmp_lg_u64 vcc, 0
	s_subb_u32 s22, s13, 0
	v_cmp_le_u32_e32 vcc, s33, v5
	s_cmp_eq_u32 s13, 0
	v_cndmask_b32_e64 v7, 0, -1, vcc
	s_cselect_b64 vcc, -1, 0
	v_cndmask_b32_e32 v7, -1, v7, vcc
	v_mov_b32_e32 v8, s13
	v_mov_b32_e32 v9, s22
	v_cmp_ne_u32_e32 vcc, 0, v7
	v_cndmask_b32_e32 v7, v8, v9, vcc
	v_cndmask_b32_e32 v5, v5, v6, vcc
	v_cmp_le_u32_e32 vcc, s33, v2
	s_cmp_eq_u32 s12, 0
	v_cndmask_b32_e64 v6, 0, -1, vcc
	s_cselect_b64 vcc, -1, 0
	v_cndmask_b32_e32 v6, -1, v6, vcc
	v_mov_b32_e32 v8, s12
	v_cmp_ne_u32_e32 vcc, 0, v6
	v_cndmask_b32_e32 v7, v8, v7, vcc
	v_cndmask_b32_e32 v6, v2, v5, vcc
	s_cbranch_execnz .LBB103_128
.LBB103_127:                            ;   in Loop: Header=BB103_35 Depth=1
	v_cvt_f32_u32_e32 v2, s33
	s_sub_i32 s12, 0, s33
	v_rcp_iflag_f32_e32 v2, v2
	v_mul_f32_e32 v2, 0x4f7ffffe, v2
	v_cvt_u32_f32_e32 v2, v2
	v_mul_lo_u32 v5, s12, v2
	v_mul_hi_u32 v5, v2, v5
	v_add_u32_e32 v2, v2, v5
	v_readlane_b32 s12, v66, 26
	v_mul_hi_u32 v2, s12, v2
	v_mul_lo_u32 v2, v2, s33
	v_sub_u32_e32 v2, s12, v2
	v_subrev_u32_e32 v5, s33, v2
	v_cmp_le_u32_e32 vcc, s33, v2
	v_cndmask_b32_e32 v2, v2, v5, vcc
	v_subrev_u32_e32 v5, s33, v2
	v_cmp_le_u32_e32 vcc, s33, v2
	v_cndmask_b32_e32 v2, v2, v5, vcc
	v_pk_mov_b32 v[6:7], v[2:3], v[2:3] op_sel:[0,1]
.LBB103_128:                            ;   in Loop: Header=BB103_35 Depth=1
	v_readlane_b32 s12, v66, 26
	v_mov_b32_e32 v2, s49
	v_sub_co_u32_e32 v10, vcc, s12, v6
	v_subb_co_u32_e32 v11, vcc, v2, v7, vcc
	v_cmp_gt_u64_e32 vcc, v[10:11], v[0:1]
	s_mov_b64 s[22:23], 0
                                        ; implicit-def: $vgpr8_vgpr9
	s_and_saveexec_b64 s[12:13], vcc
	s_cbranch_execz .LBB103_137
; %bb.129:                              ;   in Loop: Header=BB103_35 Depth=1
	s_mov_b64 s[24:25], 0
	v_pk_mov_b32 v[12:13], v[18:19], v[18:19] op_sel:[0,1]
	v_pk_mov_b32 v[14:15], v[0:1], v[0:1] op_sel:[0,1]
                                        ; implicit-def: $sgpr22_sgpr23
	s_branch .LBB103_131
.LBB103_130:                            ;   in Loop: Header=BB103_131 Depth=2
	s_or_b64 exec, exec, s[26:27]
	s_waitcnt lgkmcnt(0)
	s_barrier
	s_waitcnt vmcnt(0)
	ds_read_b128 v[6:9], v3 offset:3072
	v_mov_b32_e32 v2, s80
	v_add_co_u32_e32 v14, vcc, s33, v14
	v_addc_co_u32_e32 v15, vcc, v15, v2, vcc
	s_waitcnt lgkmcnt(0)
	v_readfirstlane_b32 s27, v7
	v_readfirstlane_b32 s26, v6
	s_cmp_lg_u64 s[26:27], 0
	s_cselect_b64 s[26:27], -1, 0
	v_cmp_ge_u64_e32 vcc, v[14:15], v[10:11]
	s_or_b64 s[28:29], vcc, s[26:27]
	s_and_b64 s[28:29], exec, s[28:29]
	s_or_b64 s[24:25], s[28:29], s[24:25]
	v_mov_b32_e32 v2, s75
	v_add_co_u32_e32 v12, vcc, s74, v12
	s_andn2_b64 s[22:23], s[22:23], exec
	s_and_b64 s[26:27], s[26:27], exec
	v_addc_co_u32_e32 v13, vcc, v13, v2, vcc
	s_or_b64 s[22:23], s[22:23], s[26:27]
	s_barrier
	s_andn2_b64 exec, exec, s[24:25]
	s_cbranch_execz .LBB103_136
.LBB103_131:                            ;   Parent Loop BB103_35 Depth=1
                                        ; =>  This Inner Loop Header: Depth=2
	v_cmp_gt_u64_e32 vcc, s[52:53], v[14:15]
	v_pk_mov_b32 v[6:7], 0, 0
	s_and_saveexec_b64 s[26:27], vcc
	s_cbranch_execz .LBB103_133
; %bb.132:                              ;   in Loop: Header=BB103_131 Depth=2
	global_load_dwordx2 v[6:7], v[12:13], off
.LBB103_133:                            ;   in Loop: Header=BB103_131 Depth=2
	s_or_b64 exec, exec, s[26:27]
	s_and_saveexec_b64 s[26:27], vcc
	s_cbranch_execz .LBB103_130
; %bb.134:                              ;   in Loop: Header=BB103_131 Depth=2
	s_waitcnt vmcnt(0)
	v_xor_b32_e32 v2, 0x80000000, v7
	v_and_b32_e32 v9, s1, v2
	v_and_b32_e32 v8, s0, v6
	v_cmp_eq_u64_e32 vcc, s[82:83], v[8:9]
	s_and_b64 exec, exec, vcc
	s_cbranch_execz .LBB103_130
; %bb.135:                              ;   in Loop: Header=BB103_131 Depth=2
	v_mov_b32_e32 v5, v3
	ds_write_b128 v3, v[4:7] offset:3072
	s_branch .LBB103_130
.LBB103_136:                            ;   in Loop: Header=BB103_35 Depth=1
	s_or_b64 exec, exec, s[24:25]
	s_and_b64 s[22:23], s[22:23], exec
.LBB103_137:                            ;   in Loop: Header=BB103_35 Depth=1
	s_or_b64 exec, exec, s[12:13]
	s_mov_b64 s[26:27], -1
	s_mov_b64 s[12:13], 0
	s_mov_b64 s[24:25], 0
.LBB103_138:                            ;   in Loop: Header=BB103_35 Depth=1
	s_andn2_b64 s[8:9], s[54:55], exec
	s_and_b64 s[12:13], s[12:13], exec
	s_or_b64 s[54:55], s[8:9], s[12:13]
	s_andn2_b64 s[12:13], s[88:89], exec
	s_and_b64 s[26:27], s[26:27], exec
	s_or_b64 s[88:89], s[12:13], s[26:27]
	;; [unrolled: 3-line block ×3, first 2 shown]
	s_and_saveexec_b64 s[12:13], s[22:23]
	s_cbranch_execz .LBB103_34
; %bb.139:                              ;   in Loop: Header=BB103_35 Depth=1
	s_xor_b64 s[14:15], s[20:21], -1
	s_andn2_b64 vcc, exec, s[14:15]
	s_mov_b32 s48, 1
	s_cbranch_vccnz .LBB103_150
; %bb.140:                              ;   in Loop: Header=BB103_35 Depth=1
	s_waitcnt vmcnt(0)
	v_pk_mov_b32 v[6:7], s[2:3], s[2:3] op_sel:[0,1]
	v_cmp_gt_u64_e32 vcc, s[84:85], v[6:7]
	s_mov_b64 s[20:21], -1
                                        ; implicit-def: $sgpr48
                                        ; implicit-def: $sgpr14_sgpr15
                                        ; implicit-def: $sgpr22_sgpr23
	s_cbranch_vccnz .LBB103_146
; %bb.141:                              ;   in Loop: Header=BB103_35 Depth=1
	ds_read_b64 v[6:7], v3 offset:5120
	s_waitcnt lgkmcnt(0)
	v_cmp_ne_u64_e32 vcc, 0, v[6:7]
	s_cbranch_vccnz .LBB103_145
; %bb.142:                              ;   in Loop: Header=BB103_35 Depth=1
	s_mov_b64 s[14:15], exec
	v_readlane_b32 s20, v66, 10
	v_readlane_b32 s21, v66, 11
	s_and_b64 s[20:21], s[14:15], s[20:21]
	s_mov_b64 exec, s[20:21]
	s_cbranch_execz .LBB103_144
; %bb.143:                              ;   in Loop: Header=BB103_35 Depth=1
	v_pk_mov_b32 v[6:7], s[2:3], s[2:3] op_sel:[0,1]
	ds_write_b64 v3, v[6:7] offset:5128
.LBB103_144:                            ;   in Loop: Header=BB103_35 Depth=1
	s_or_b64 exec, exec, s[14:15]
	s_waitcnt lgkmcnt(0)
	s_barrier
.LBB103_145:                            ;   in Loop: Header=BB103_35 Depth=1
	s_and_b64 s[14:15], s[82:83], s[18:19]
	s_or_b64 s[22:23], s[0:1], s[10:11]
	s_mov_b64 s[20:21], 0
	s_mov_b32 s48, 8
.LBB103_146:                            ;   in Loop: Header=BB103_35 Depth=1
	s_andn2_b64 vcc, exec, s[20:21]
	s_cbranch_vccnz .LBB103_148
; %bb.147:                              ;   in Loop: Header=BB103_35 Depth=1
	s_sub_u32 s84, s84, s2
	s_subb_u32 s85, s85, s3
	s_mov_b64 s[20:21], -1
	s_mov_b32 s48, 0
	s_mov_b64 s[14:15], s[82:83]
	s_mov_b64 s[22:23], s[0:1]
.LBB103_148:                            ;   in Loop: Header=BB103_35 Depth=1
	s_mov_b64 s[0:1], s[22:23]
	s_mov_b64 s[82:83], s[14:15]
	s_mov_b64 s[14:15], -1
	s_and_b64 vcc, exec, s[20:21]
	s_cbranch_vccnz .LBB103_151
.LBB103_149:                            ;   in Loop: Header=BB103_35 Depth=1
	s_mov_b64 s[34:35], -1
                                        ; implicit-def: $sgpr20_sgpr21
                                        ; implicit-def: $sgpr24_sgpr25
                                        ; implicit-def: $sgpr22_sgpr23
	s_and_saveexec_b64 s[2:3], s[34:35]
	s_xor_b64 s[2:3], exec, s[2:3]
	s_cbranch_execz .LBB103_33
	s_branch .LBB103_300
.LBB103_150:                            ;   in Loop: Header=BB103_35 Depth=1
	s_mov_b64 s[84:85], 1
	s_mov_b64 s[14:15], -1
	s_branch .LBB103_149
.LBB103_151:                            ;   in Loop: Header=BB103_35 Depth=1
	s_cmp_eq_u64 s[30:31], 1
	s_cselect_b64 s[2:3], -1, 0
	s_cmp_eq_u64 s[84:85], 1
	s_cselect_b64 s[20:21], -1, 0
	s_and_b64 s[2:3], s[2:3], s[20:21]
	s_mov_b64 s[26:27], -1
	s_and_b64 vcc, exec, s[2:3]
	s_cbranch_vccz .LBB103_166
; %bb.152:                              ;   in Loop: Header=BB103_35 Depth=1
	s_waitcnt vmcnt(0)
	ds_read_b64 v[6:7], v3 offset:5120
	s_waitcnt lgkmcnt(0)
	s_barrier
	v_readfirstlane_b32 s20, v6
	v_readfirstlane_b32 s21, v7
	s_mov_b64 s[22:23], exec
	v_readlane_b32 s24, v66, 19
	v_readlane_b32 s25, v66, 20
	s_and_b64 s[24:25], s[22:23], s[24:25]
	s_mov_b64 exec, s[24:25]
	s_cbranch_execz .LBB103_154
; %bb.153:                              ;   in Loop: Header=BB103_35 Depth=1
	v_mov_b32_e32 v2, v3
	ds_write_b64 v50, v[2:3]
.LBB103_154:                            ;   in Loop: Header=BB103_35 Depth=1
	s_or_b64 exec, exec, s[22:23]
	s_lshl_b64 s[22:23], 1, s42
	s_and_b64 s[24:25], s[82:83], s[18:19]
	s_or_b64 s[82:83], s[24:25], s[22:23]
	s_or_b64 s[0:1], s[0:1], s[10:11]
	s_cmp_eq_u64 s[20:21], 0
	s_waitcnt lgkmcnt(0)
	s_barrier
	s_cbranch_scc1 .LBB103_172
; %bb.155:                              ;   in Loop: Header=BB103_35 Depth=1
	v_readlane_b32 s22, v66, 25
	s_add_u32 s26, s22, s20
	v_readlane_b32 s22, v66, 27
	s_addc_u32 s23, s22, s21
	s_mov_b32 s22, s77
	s_cmp_lg_u64 s[22:23], 0
	s_cbranch_scc0 .LBB103_217
; %bb.156:                              ;   in Loop: Header=BB103_35 Depth=1
	v_cvt_f32_u32_e32 v2, s33
	s_sub_u32 s22, 0, s33
	s_subb_u32 s24, 0, 0
	v_mac_f32_e32 v2, 0, v55
	v_rcp_f32_e32 v2, v2
	v_mul_f32_e32 v2, 0x5f7ffffc, v2
	v_mul_f32_e32 v5, 0x2f800000, v2
	v_trunc_f32_e32 v5, v5
	v_mac_f32_e32 v2, 0xcf800000, v5
	v_cvt_u32_f32_e32 v5, v5
	v_cvt_u32_f32_e32 v2, v2
	v_readfirstlane_b32 s25, v5
	v_readfirstlane_b32 s27, v2
	s_mul_i32 s28, s22, s25
	s_mul_hi_u32 s34, s22, s27
	s_mul_i32 s29, s24, s27
	s_add_i32 s28, s34, s28
	s_mul_i32 s35, s22, s27
	s_add_i32 s28, s28, s29
	s_mul_hi_u32 s34, s27, s35
	s_mul_hi_u32 s29, s27, s28
	s_mul_i32 s27, s27, s28
	s_add_u32 s27, s34, s27
	s_addc_u32 s29, 0, s29
	s_mul_hi_u32 s36, s25, s35
	s_mul_i32 s35, s25, s35
	s_add_u32 s27, s27, s35
	s_mul_hi_u32 s34, s25, s28
	s_addc_u32 s27, s29, s36
	s_addc_u32 s29, s34, 0
	s_mul_i32 s28, s25, s28
	s_add_u32 s27, s27, s28
	s_addc_u32 s28, 0, s29
	v_add_co_u32_e32 v2, vcc, s27, v2
	s_cmp_lg_u64 vcc, 0
	s_addc_u32 s25, s25, s28
	v_readfirstlane_b32 s28, v2
	s_mul_i32 s27, s22, s25
	s_mul_hi_u32 s29, s22, s28
	s_add_i32 s27, s29, s27
	s_mul_i32 s24, s24, s28
	s_add_i32 s27, s27, s24
	s_mul_i32 s22, s22, s28
	s_mul_hi_u32 s29, s25, s22
	s_mul_i32 s34, s25, s22
	s_mul_i32 s36, s28, s27
	s_mul_hi_u32 s22, s28, s22
	s_mul_hi_u32 s35, s28, s27
	s_add_u32 s22, s22, s36
	s_addc_u32 s28, 0, s35
	s_add_u32 s22, s22, s34
	s_mul_hi_u32 s24, s25, s27
	s_addc_u32 s22, s28, s29
	s_addc_u32 s24, s24, 0
	s_mul_i32 s27, s25, s27
	s_add_u32 s22, s22, s27
	s_addc_u32 s24, 0, s24
	v_add_co_u32_e32 v2, vcc, s22, v2
	s_cmp_lg_u64 vcc, 0
	s_addc_u32 s22, s25, s24
	v_readfirstlane_b32 s27, v2
	s_mul_i32 s25, s26, s22
	s_mul_hi_u32 s28, s26, s27
	s_mul_hi_u32 s24, s26, s22
	s_add_u32 s25, s28, s25
	s_addc_u32 s24, 0, s24
	s_mul_hi_u32 s29, s23, s27
	s_mul_i32 s27, s23, s27
	s_add_u32 s25, s25, s27
	s_mul_hi_u32 s28, s23, s22
	s_addc_u32 s24, s24, s29
	s_addc_u32 s25, s28, 0
	s_mul_i32 s22, s23, s22
	s_add_u32 s22, s24, s22
	s_addc_u32 s24, 0, s25
	s_mul_hi_u32 s25, s33, s22
	s_mul_i32 s22, s33, s22
	s_mul_i32 s24, s33, s24
	v_mov_b32_e32 v2, s22
	s_add_i32 s25, s25, s24
	v_sub_co_u32_e32 v2, vcc, s26, v2
	s_cmp_lg_u64 vcc, 0
	s_subb_u32 s22, s23, s25
	v_subrev_co_u32_e32 v5, vcc, s33, v2
	s_cmp_lg_u64 vcc, 0
	s_subb_u32 s24, s22, 0
	v_subrev_co_u32_e32 v6, vcc, s33, v5
	s_cmp_lg_u64 vcc, 0
	s_subb_u32 s25, s24, 0
	v_cmp_le_u32_e32 vcc, s33, v5
	s_cmp_eq_u32 s24, 0
	v_cndmask_b32_e64 v7, 0, -1, vcc
	s_cselect_b64 vcc, -1, 0
	v_cndmask_b32_e32 v7, -1, v7, vcc
	v_mov_b32_e32 v8, s24
	v_mov_b32_e32 v9, s25
	v_cmp_ne_u32_e32 vcc, 0, v7
	v_cndmask_b32_e32 v7, v8, v9, vcc
	v_cndmask_b32_e32 v5, v5, v6, vcc
	v_cmp_le_u32_e32 vcc, s33, v2
	s_cmp_eq_u32 s22, 0
	v_cndmask_b32_e64 v6, 0, -1, vcc
	s_cselect_b64 vcc, -1, 0
	v_cndmask_b32_e32 v6, -1, v6, vcc
	v_mov_b32_e32 v8, s22
	v_cmp_ne_u32_e32 vcc, 0, v6
	v_cndmask_b32_e32 v7, v8, v7, vcc
	v_cndmask_b32_e32 v6, v2, v5, vcc
	s_cbranch_execnz .LBB103_158
.LBB103_157:                            ;   in Loop: Header=BB103_35 Depth=1
	v_cvt_f32_u32_e32 v2, s33
	s_sub_i32 s22, 0, s33
	v_rcp_iflag_f32_e32 v2, v2
	v_mul_f32_e32 v2, 0x4f7ffffe, v2
	v_cvt_u32_f32_e32 v2, v2
	v_mul_lo_u32 v5, s22, v2
	v_mul_hi_u32 v5, v2, v5
	v_add_u32_e32 v2, v2, v5
	v_mul_hi_u32 v2, s26, v2
	v_mul_lo_u32 v2, v2, s33
	v_sub_u32_e32 v2, s26, v2
	v_subrev_u32_e32 v5, s33, v2
	v_cmp_le_u32_e32 vcc, s33, v2
	v_cndmask_b32_e32 v2, v2, v5, vcc
	v_subrev_u32_e32 v5, s33, v2
	v_cmp_le_u32_e32 vcc, s33, v2
	v_cndmask_b32_e32 v2, v2, v5, vcc
	v_pk_mov_b32 v[6:7], v[2:3], v[2:3] op_sel:[0,1]
.LBB103_158:                            ;   in Loop: Header=BB103_35 Depth=1
	v_mov_b32_e32 v2, s23
	v_sub_co_u32_e32 v10, vcc, s26, v6
	v_subb_co_u32_e32 v11, vcc, v2, v7, vcc
	v_cmp_gt_u64_e32 vcc, v[10:11], v[0:1]
	s_mov_b64 s[26:27], 0
                                        ; implicit-def: $vgpr8_vgpr9
	s_and_saveexec_b64 s[22:23], vcc
	s_cbranch_execz .LBB103_174
; %bb.159:                              ;   in Loop: Header=BB103_35 Depth=1
	v_mov_b32_e32 v2, v49
	v_pk_mov_b32 v[12:13], v[0:1], v[0:1] op_sel:[0,1]
                                        ; implicit-def: $sgpr24_sgpr25
	s_branch .LBB103_161
.LBB103_160:                            ;   in Loop: Header=BB103_161 Depth=2
	s_or_b64 exec, exec, s[28:29]
	s_waitcnt lgkmcnt(0)
	s_barrier
	ds_read_b128 v[6:9], v3 offset:3072
	v_mov_b32_e32 v5, s80
	v_add_co_u32_e32 v12, vcc, s33, v12
	v_addc_co_u32_e32 v13, vcc, v13, v5, vcc
	s_waitcnt lgkmcnt(0)
	v_readfirstlane_b32 s29, v7
	v_readfirstlane_b32 s28, v6
	s_cmp_lg_u64 s[28:29], 0
	s_cselect_b64 s[28:29], -1, 0
	v_cmp_ge_u64_e32 vcc, v[12:13], v[10:11]
	s_or_b64 s[34:35], vcc, s[28:29]
	s_and_b64 s[34:35], exec, s[34:35]
	s_or_b64 s[26:27], s[34:35], s[26:27]
	s_andn2_b64 s[24:25], s[24:25], exec
	s_and_b64 s[28:29], s[28:29], exec
	v_add_u32_e32 v2, s60, v2
	s_or_b64 s[24:25], s[24:25], s[28:29]
	s_barrier
	s_andn2_b64 exec, exec, s[26:27]
	s_cbranch_execz .LBB103_173
.LBB103_161:                            ;   Parent Loop BB103_35 Depth=1
                                        ; =>  This Inner Loop Header: Depth=2
	v_cmp_gt_u64_e32 vcc, s[20:21], v[12:13]
	v_pk_mov_b32 v[6:7], 0, 0
	s_and_saveexec_b64 s[28:29], vcc
	s_cbranch_execz .LBB103_163
; %bb.162:                              ;   in Loop: Header=BB103_161 Depth=2
	ds_read_b64 v[6:7], v2
.LBB103_163:                            ;   in Loop: Header=BB103_161 Depth=2
	s_or_b64 exec, exec, s[28:29]
	s_and_saveexec_b64 s[28:29], vcc
	s_cbranch_execz .LBB103_160
; %bb.164:                              ;   in Loop: Header=BB103_161 Depth=2
	s_waitcnt lgkmcnt(0)
	v_xor_b32_e32 v5, 0x80000000, v7
	v_and_b32_e32 v9, s1, v5
	v_and_b32_e32 v8, s0, v6
	v_cmp_eq_u64_e32 vcc, s[82:83], v[8:9]
	s_and_b64 exec, exec, vcc
	s_cbranch_execz .LBB103_160
; %bb.165:                              ;   in Loop: Header=BB103_161 Depth=2
	v_mov_b32_e32 v5, v3
	ds_write_b128 v3, v[4:7] offset:3072
	s_branch .LBB103_160
.LBB103_166:                            ;   in Loop: Header=BB103_35 Depth=1
                                        ; implicit-def: $sgpr22_sgpr23
                                        ; implicit-def: $sgpr24_sgpr25
                                        ; implicit-def: $sgpr20_sgpr21
	s_branch .LBB103_188
.LBB103_167:                            ;   in Loop: Header=BB103_35 Depth=1
                                        ; implicit-def: $vgpr6_vgpr7
	s_branch .LBB103_112
.LBB103_168:                            ;   in Loop: Header=BB103_35 Depth=1
	s_or_b64 exec, exec, s[12:13]
	s_barrier
	s_mov_b64 s[6:7], exec
	v_readlane_b32 s10, v66, 10
	v_readlane_b32 s11, v66, 11
	s_and_b64 s[10:11], s[6:7], s[10:11]
	s_mov_b64 exec, s[10:11]
	s_cbranch_execz .LBB103_170
; %bb.169:                              ;   in Loop: Header=BB103_35 Depth=1
	s_waitcnt vmcnt(0)
	ds_read_b32 v6, v3 offset:5144
	s_waitcnt lgkmcnt(0)
	v_ashrrev_i32_e32 v7, 31, v6
	ds_write_b64 v3, v[6:7] offset:5120
.LBB103_170:                            ;   in Loop: Header=BB103_35 Depth=1
	s_or_b64 exec, exec, s[6:7]
	s_waitcnt lgkmcnt(0)
	s_barrier
	s_mov_b64 s[6:7], -1
	s_and_b64 vcc, exec, s[2:3]
	s_cbranch_vccnz .LBB103_53
	s_branch .LBB103_63
.LBB103_171:                            ;   in Loop: Header=BB103_35 Depth=1
                                        ; implicit-def: $vgpr6_vgpr7
	s_branch .LBB103_127
.LBB103_172:                            ;   in Loop: Header=BB103_35 Depth=1
	s_mov_b64 s[22:23], -1
	s_mov_b64 s[26:27], 0
                                        ; implicit-def: $sgpr20_sgpr21
                                        ; implicit-def: $vgpr8_vgpr9
	s_mov_b64 s[24:25], s[22:23]
	s_cbranch_execnz .LBB103_175
	s_branch .LBB103_188
.LBB103_173:                            ;   in Loop: Header=BB103_35 Depth=1
	s_or_b64 exec, exec, s[26:27]
	s_and_b64 s[26:27], s[24:25], exec
.LBB103_174:                            ;   in Loop: Header=BB103_35 Depth=1
	s_or_b64 exec, exec, s[22:23]
	s_mov_b64 s[20:21], -1
	s_mov_b64 s[22:23], 0
	s_mov_b64 s[24:25], s[22:23]
	s_branch .LBB103_188
.LBB103_175:                            ;   in Loop: Header=BB103_35 Depth=1
	s_mov_b32 s48, s77
	s_cmp_lg_u64 s[48:49], 0
	s_cbranch_scc0 .LBB103_218
; %bb.176:                              ;   in Loop: Header=BB103_35 Depth=1
	v_cvt_f32_u32_e32 v2, s33
	s_sub_u32 s20, 0, s33
	s_subb_u32 s21, 0, 0
	v_mac_f32_e32 v2, 0, v55
	v_rcp_f32_e32 v2, v2
	v_mul_f32_e32 v2, 0x5f7ffffc, v2
	v_mul_f32_e32 v5, 0x2f800000, v2
	v_trunc_f32_e32 v5, v5
	v_mac_f32_e32 v2, 0xcf800000, v5
	v_cvt_u32_f32_e32 v5, v5
	v_cvt_u32_f32_e32 v2, v2
	v_readfirstlane_b32 s22, v5
	v_readfirstlane_b32 s23, v2
	s_mul_i32 s24, s20, s22
	s_mul_hi_u32 s26, s20, s23
	s_mul_i32 s25, s21, s23
	s_add_i32 s24, s26, s24
	s_mul_i32 s27, s20, s23
	s_add_i32 s24, s24, s25
	s_mul_hi_u32 s26, s23, s27
	s_mul_hi_u32 s25, s23, s24
	s_mul_i32 s23, s23, s24
	s_add_u32 s23, s26, s23
	s_addc_u32 s25, 0, s25
	s_mul_hi_u32 s28, s22, s27
	s_mul_i32 s27, s22, s27
	s_add_u32 s23, s23, s27
	s_mul_hi_u32 s26, s22, s24
	s_addc_u32 s23, s25, s28
	s_addc_u32 s25, s26, 0
	s_mul_i32 s24, s22, s24
	s_add_u32 s23, s23, s24
	s_addc_u32 s24, 0, s25
	v_add_co_u32_e32 v2, vcc, s23, v2
	s_cmp_lg_u64 vcc, 0
	s_addc_u32 s22, s22, s24
	v_readfirstlane_b32 s24, v2
	s_mul_i32 s23, s20, s22
	s_mul_hi_u32 s25, s20, s24
	s_add_i32 s23, s25, s23
	s_mul_i32 s21, s21, s24
	s_add_i32 s23, s23, s21
	s_mul_i32 s20, s20, s24
	s_mul_hi_u32 s25, s22, s20
	s_mul_i32 s26, s22, s20
	s_mul_i32 s28, s24, s23
	s_mul_hi_u32 s20, s24, s20
	s_mul_hi_u32 s27, s24, s23
	s_add_u32 s20, s20, s28
	s_addc_u32 s24, 0, s27
	s_add_u32 s20, s20, s26
	s_mul_hi_u32 s21, s22, s23
	s_addc_u32 s20, s24, s25
	s_addc_u32 s21, s21, 0
	s_mul_i32 s23, s22, s23
	s_add_u32 s20, s20, s23
	s_addc_u32 s21, 0, s21
	v_add_co_u32_e32 v2, vcc, s20, v2
	s_cmp_lg_u64 vcc, 0
	s_addc_u32 s20, s22, s21
	v_readlane_b32 s26, v66, 26
	v_readfirstlane_b32 s23, v2
	s_mul_i32 s22, s26, s20
	s_mul_hi_u32 s24, s26, s23
	s_mul_hi_u32 s21, s26, s20
	s_add_u32 s22, s24, s22
	s_addc_u32 s21, 0, s21
	s_mul_hi_u32 s25, s49, s23
	s_mul_i32 s23, s49, s23
	s_add_u32 s22, s22, s23
	s_mul_hi_u32 s24, s49, s20
	s_addc_u32 s21, s21, s25
	s_addc_u32 s22, s24, 0
	s_mul_i32 s20, s49, s20
	s_add_u32 s20, s21, s20
	s_addc_u32 s21, 0, s22
	s_mul_hi_u32 s22, s33, s20
	s_mul_i32 s20, s33, s20
	s_mul_i32 s21, s33, s21
	v_mov_b32_e32 v2, s20
	s_add_i32 s22, s22, s21
	v_sub_co_u32_e32 v2, vcc, s26, v2
	s_cmp_lg_u64 vcc, 0
	s_subb_u32 s20, s49, s22
	v_subrev_co_u32_e32 v5, vcc, s33, v2
	s_cmp_lg_u64 vcc, 0
	s_subb_u32 s21, s20, 0
	v_subrev_co_u32_e32 v6, vcc, s33, v5
	s_cmp_lg_u64 vcc, 0
	s_subb_u32 s22, s21, 0
	v_cmp_le_u32_e32 vcc, s33, v5
	s_cmp_eq_u32 s21, 0
	v_cndmask_b32_e64 v7, 0, -1, vcc
	s_cselect_b64 vcc, -1, 0
	v_cndmask_b32_e32 v7, -1, v7, vcc
	v_mov_b32_e32 v8, s21
	v_mov_b32_e32 v9, s22
	v_cmp_ne_u32_e32 vcc, 0, v7
	v_cndmask_b32_e32 v7, v8, v9, vcc
	v_cndmask_b32_e32 v5, v5, v6, vcc
	v_cmp_le_u32_e32 vcc, s33, v2
	s_cmp_eq_u32 s20, 0
	v_cndmask_b32_e64 v6, 0, -1, vcc
	s_cselect_b64 vcc, -1, 0
	v_cndmask_b32_e32 v6, -1, v6, vcc
	v_mov_b32_e32 v8, s20
	v_cmp_ne_u32_e32 vcc, 0, v6
	v_cndmask_b32_e32 v7, v8, v7, vcc
	v_cndmask_b32_e32 v6, v2, v5, vcc
	s_cbranch_execnz .LBB103_178
.LBB103_177:                            ;   in Loop: Header=BB103_35 Depth=1
	v_cvt_f32_u32_e32 v2, s33
	s_sub_i32 s20, 0, s33
	v_rcp_iflag_f32_e32 v2, v2
	v_mul_f32_e32 v2, 0x4f7ffffe, v2
	v_cvt_u32_f32_e32 v2, v2
	v_mul_lo_u32 v5, s20, v2
	v_mul_hi_u32 v5, v2, v5
	v_add_u32_e32 v2, v2, v5
	v_readlane_b32 s20, v66, 26
	v_mul_hi_u32 v2, s20, v2
	v_mul_lo_u32 v2, v2, s33
	v_sub_u32_e32 v2, s20, v2
	v_subrev_u32_e32 v5, s33, v2
	v_cmp_le_u32_e32 vcc, s33, v2
	v_cndmask_b32_e32 v2, v2, v5, vcc
	v_subrev_u32_e32 v5, s33, v2
	v_cmp_le_u32_e32 vcc, s33, v2
	v_cndmask_b32_e32 v2, v2, v5, vcc
	v_pk_mov_b32 v[6:7], v[2:3], v[2:3] op_sel:[0,1]
.LBB103_178:                            ;   in Loop: Header=BB103_35 Depth=1
	v_readlane_b32 s20, v66, 26
	v_mov_b32_e32 v2, s49
	v_sub_co_u32_e32 v10, vcc, s20, v6
	v_subb_co_u32_e32 v11, vcc, v2, v7, vcc
	v_cmp_gt_u64_e32 vcc, v[10:11], v[0:1]
	s_mov_b64 s[26:27], 0
                                        ; implicit-def: $vgpr8_vgpr9
	s_and_saveexec_b64 s[20:21], vcc
	s_cbranch_execz .LBB103_187
; %bb.179:                              ;   in Loop: Header=BB103_35 Depth=1
	s_mov_b64 s[24:25], 0
	v_pk_mov_b32 v[12:13], v[18:19], v[18:19] op_sel:[0,1]
	v_pk_mov_b32 v[14:15], v[0:1], v[0:1] op_sel:[0,1]
                                        ; implicit-def: $sgpr22_sgpr23
	s_branch .LBB103_181
.LBB103_180:                            ;   in Loop: Header=BB103_181 Depth=2
	s_or_b64 exec, exec, s[26:27]
	s_waitcnt lgkmcnt(0)
	s_barrier
	s_waitcnt vmcnt(0)
	ds_read_b128 v[6:9], v3 offset:3072
	v_mov_b32_e32 v2, s80
	v_add_co_u32_e32 v14, vcc, s33, v14
	v_addc_co_u32_e32 v15, vcc, v15, v2, vcc
	s_waitcnt lgkmcnt(0)
	v_readfirstlane_b32 s27, v7
	v_readfirstlane_b32 s26, v6
	s_cmp_lg_u64 s[26:27], 0
	s_cselect_b64 s[26:27], -1, 0
	v_cmp_ge_u64_e32 vcc, v[14:15], v[10:11]
	s_or_b64 s[28:29], vcc, s[26:27]
	s_and_b64 s[28:29], exec, s[28:29]
	s_or_b64 s[24:25], s[28:29], s[24:25]
	v_mov_b32_e32 v2, s75
	v_add_co_u32_e32 v12, vcc, s74, v12
	s_andn2_b64 s[22:23], s[22:23], exec
	s_and_b64 s[26:27], s[26:27], exec
	v_addc_co_u32_e32 v13, vcc, v13, v2, vcc
	s_or_b64 s[22:23], s[22:23], s[26:27]
	s_barrier
	s_andn2_b64 exec, exec, s[24:25]
	s_cbranch_execz .LBB103_186
.LBB103_181:                            ;   Parent Loop BB103_35 Depth=1
                                        ; =>  This Inner Loop Header: Depth=2
	v_cmp_gt_u64_e32 vcc, s[52:53], v[14:15]
	v_pk_mov_b32 v[6:7], 0, 0
	s_and_saveexec_b64 s[26:27], vcc
	s_cbranch_execz .LBB103_183
; %bb.182:                              ;   in Loop: Header=BB103_181 Depth=2
	global_load_dwordx2 v[6:7], v[12:13], off
.LBB103_183:                            ;   in Loop: Header=BB103_181 Depth=2
	s_or_b64 exec, exec, s[26:27]
	s_and_saveexec_b64 s[26:27], vcc
	s_cbranch_execz .LBB103_180
; %bb.184:                              ;   in Loop: Header=BB103_181 Depth=2
	s_waitcnt vmcnt(0)
	v_xor_b32_e32 v2, 0x80000000, v7
	v_and_b32_e32 v9, s1, v2
	v_and_b32_e32 v8, s0, v6
	v_cmp_eq_u64_e32 vcc, s[82:83], v[8:9]
	s_and_b64 exec, exec, vcc
	s_cbranch_execz .LBB103_180
; %bb.185:                              ;   in Loop: Header=BB103_181 Depth=2
	v_mov_b32_e32 v5, v3
	ds_write_b128 v3, v[4:7] offset:3072
	s_branch .LBB103_180
.LBB103_186:                            ;   in Loop: Header=BB103_35 Depth=1
	s_or_b64 exec, exec, s[24:25]
	s_and_b64 s[26:27], s[22:23], exec
.LBB103_187:                            ;   in Loop: Header=BB103_35 Depth=1
	s_or_b64 exec, exec, s[20:21]
	s_mov_b64 s[24:25], -1
	s_mov_b64 s[22:23], 0
	s_mov_b64 s[20:21], 0
.LBB103_188:                            ;   in Loop: Header=BB103_35 Depth=1
	s_mov_b64 s[34:35], 0
                                        ; implicit-def: $sgpr48
	s_and_saveexec_b64 s[28:29], s[26:27]
	s_cbranch_execz .LBB103_299
; %bb.189:                              ;   in Loop: Header=BB103_35 Depth=1
	s_xor_b64 s[2:3], s[2:3], -1
	s_andn2_b64 vcc, exec, s[2:3]
	s_mov_b32 s48, 1
	s_cbranch_vccnz .LBB103_200
; %bb.190:                              ;   in Loop: Header=BB103_35 Depth=1
	s_waitcnt vmcnt(0)
	v_pk_mov_b32 v[6:7], s[30:31], s[30:31] op_sel:[0,1]
	v_cmp_gt_u64_e32 vcc, s[84:85], v[6:7]
	s_mov_b64 s[2:3], -1
                                        ; implicit-def: $sgpr48
                                        ; implicit-def: $sgpr26_sgpr27
                                        ; implicit-def: $sgpr34_sgpr35
	s_cbranch_vccnz .LBB103_196
; %bb.191:                              ;   in Loop: Header=BB103_35 Depth=1
	ds_read_b64 v[6:7], v3 offset:5120
	s_waitcnt lgkmcnt(0)
	v_cmp_ne_u64_e32 vcc, 0, v[6:7]
	s_cbranch_vccnz .LBB103_195
; %bb.192:                              ;   in Loop: Header=BB103_35 Depth=1
	s_mov_b64 s[2:3], exec
	v_readlane_b32 s26, v66, 10
	v_readlane_b32 s27, v66, 11
	s_and_b64 s[26:27], s[2:3], s[26:27]
	s_mov_b64 exec, s[26:27]
	s_cbranch_execz .LBB103_194
; %bb.193:                              ;   in Loop: Header=BB103_35 Depth=1
	v_pk_mov_b32 v[6:7], s[30:31], s[30:31] op_sel:[0,1]
	ds_write_b64 v3, v[6:7] offset:5128
.LBB103_194:                            ;   in Loop: Header=BB103_35 Depth=1
	s_or_b64 exec, exec, s[2:3]
	s_waitcnt lgkmcnt(0)
	s_barrier
.LBB103_195:                            ;   in Loop: Header=BB103_35 Depth=1
	s_lshl_b64 s[2:3], 1, s42
	s_and_b64 s[26:27], s[82:83], s[18:19]
	s_or_b64 s[26:27], s[26:27], s[2:3]
	s_or_b64 s[34:35], s[0:1], s[10:11]
	s_mov_b64 s[2:3], 0
	s_mov_b32 s48, 8
.LBB103_196:                            ;   in Loop: Header=BB103_35 Depth=1
	s_andn2_b64 vcc, exec, s[2:3]
	s_cbranch_vccnz .LBB103_198
; %bb.197:                              ;   in Loop: Header=BB103_35 Depth=1
	s_sub_u32 s84, s84, s30
	s_subb_u32 s85, s85, s31
	s_mov_b64 s[2:3], -1
	s_mov_b32 s48, 0
	s_mov_b64 s[26:27], s[82:83]
	s_mov_b64 s[34:35], s[0:1]
.LBB103_198:                            ;   in Loop: Header=BB103_35 Depth=1
	s_mov_b64 s[0:1], s[34:35]
	s_mov_b64 s[82:83], s[26:27]
	s_andn2_b64 vcc, exec, s[2:3]
	s_mov_b64 s[40:41], -1
	s_cbranch_vccz .LBB103_201
.LBB103_199:                            ;   in Loop: Header=BB103_35 Depth=1
                                        ; implicit-def: $sgpr30_sgpr31
                                        ; implicit-def: $sgpr34_sgpr35
                                        ; implicit-def: $sgpr2_sgpr3
	s_branch .LBB103_298
.LBB103_200:                            ;   in Loop: Header=BB103_35 Depth=1
	s_mov_b64 s[84:85], 1
	s_mov_b64 s[40:41], -1
	s_cbranch_execnz .LBB103_199
.LBB103_201:                            ;   in Loop: Header=BB103_35 Depth=1
	s_cmp_eq_u64 s[16:17], 1
	s_cselect_b64 s[2:3], -1, 0
	s_cmp_eq_u64 s[84:85], 1
	s_cselect_b64 s[26:27], -1, 0
	s_mov_b64 s[62:63], s[38:39]
	s_and_b64 s[38:39], s[2:3], s[26:27]
	s_mov_b64 s[26:27], -1
	s_and_b64 vcc, exec, s[38:39]
	s_cbranch_vccz .LBB103_216
; %bb.202:                              ;   in Loop: Header=BB103_35 Depth=1
	s_waitcnt vmcnt(0)
	ds_read_b64 v[6:7], v3 offset:5120
	s_waitcnt lgkmcnt(0)
	s_barrier
	v_readfirstlane_b32 s2, v6
	v_readfirstlane_b32 s3, v7
	s_mov_b64 s[26:27], exec
	v_readlane_b32 s30, v66, 19
	v_readlane_b32 s31, v66, 20
	s_and_b64 s[30:31], s[26:27], s[30:31]
	s_mov_b64 exec, s[30:31]
	s_cbranch_execz .LBB103_204
; %bb.203:                              ;   in Loop: Header=BB103_35 Depth=1
	v_mov_b32_e32 v2, v3
	ds_write_b64 v50, v[2:3]
.LBB103_204:                            ;   in Loop: Header=BB103_35 Depth=1
	s_or_b64 exec, exec, s[26:27]
	s_lshl_b64 s[26:27], 2, s42
	s_and_b64 s[30:31], s[82:83], s[18:19]
	s_or_b64 s[82:83], s[30:31], s[26:27]
	s_or_b64 s[0:1], s[0:1], s[10:11]
	s_cmp_eq_u64 s[2:3], 0
	s_waitcnt lgkmcnt(0)
	s_barrier
	s_cbranch_scc1 .LBB103_219
; %bb.205:                              ;   in Loop: Header=BB103_35 Depth=1
	v_readlane_b32 s26, v66, 25
	s_add_u32 s34, s26, s2
	v_readlane_b32 s26, v66, 27
	s_addc_u32 s27, s26, s3
	s_mov_b32 s26, s77
	s_cmp_lg_u64 s[26:27], 0
	s_cbranch_scc0 .LBB103_264
; %bb.206:                              ;   in Loop: Header=BB103_35 Depth=1
	v_cvt_f32_u32_e32 v2, s33
	s_sub_u32 s26, 0, s33
	s_subb_u32 s30, 0, 0
	v_mac_f32_e32 v2, 0, v55
	v_rcp_f32_e32 v2, v2
	v_mul_f32_e32 v2, 0x5f7ffffc, v2
	v_mul_f32_e32 v5, 0x2f800000, v2
	v_trunc_f32_e32 v5, v5
	v_mac_f32_e32 v2, 0xcf800000, v5
	v_cvt_u32_f32_e32 v5, v5
	v_cvt_u32_f32_e32 v2, v2
	v_readfirstlane_b32 s31, v5
	v_readfirstlane_b32 s35, v2
	s_mul_i32 s36, s26, s31
	s_mul_hi_u32 s40, s26, s35
	s_mul_i32 s37, s30, s35
	s_add_i32 s36, s40, s36
	s_mul_i32 s41, s26, s35
	s_add_i32 s36, s36, s37
	s_mul_hi_u32 s40, s35, s41
	s_mul_hi_u32 s37, s35, s36
	s_mul_i32 s35, s35, s36
	s_add_u32 s35, s40, s35
	s_addc_u32 s37, 0, s37
	s_mul_hi_u32 s43, s31, s41
	s_mul_i32 s41, s31, s41
	s_add_u32 s35, s35, s41
	s_mul_hi_u32 s40, s31, s36
	s_addc_u32 s35, s37, s43
	s_addc_u32 s37, s40, 0
	s_mul_i32 s36, s31, s36
	s_add_u32 s35, s35, s36
	s_addc_u32 s36, 0, s37
	v_add_co_u32_e32 v2, vcc, s35, v2
	s_cmp_lg_u64 vcc, 0
	s_addc_u32 s31, s31, s36
	v_readfirstlane_b32 s36, v2
	s_mul_i32 s35, s26, s31
	s_mul_hi_u32 s37, s26, s36
	s_add_i32 s35, s37, s35
	s_mul_i32 s30, s30, s36
	s_add_i32 s35, s35, s30
	s_mul_i32 s26, s26, s36
	s_mul_hi_u32 s37, s31, s26
	s_mul_i32 s40, s31, s26
	s_mul_i32 s43, s36, s35
	s_mul_hi_u32 s26, s36, s26
	s_mul_hi_u32 s41, s36, s35
	s_add_u32 s26, s26, s43
	s_addc_u32 s36, 0, s41
	s_add_u32 s26, s26, s40
	s_mul_hi_u32 s30, s31, s35
	s_addc_u32 s26, s36, s37
	s_addc_u32 s30, s30, 0
	s_mul_i32 s35, s31, s35
	s_add_u32 s26, s26, s35
	s_addc_u32 s30, 0, s30
	v_add_co_u32_e32 v2, vcc, s26, v2
	s_cmp_lg_u64 vcc, 0
	s_addc_u32 s26, s31, s30
	v_readfirstlane_b32 s35, v2
	s_mul_i32 s31, s34, s26
	s_mul_hi_u32 s36, s34, s35
	s_mul_hi_u32 s30, s34, s26
	s_add_u32 s31, s36, s31
	s_addc_u32 s30, 0, s30
	s_mul_hi_u32 s37, s27, s35
	s_mul_i32 s35, s27, s35
	s_add_u32 s31, s31, s35
	s_mul_hi_u32 s36, s27, s26
	s_addc_u32 s30, s30, s37
	s_addc_u32 s31, s36, 0
	s_mul_i32 s26, s27, s26
	s_add_u32 s26, s30, s26
	s_addc_u32 s30, 0, s31
	s_mul_hi_u32 s31, s33, s26
	s_mul_i32 s26, s33, s26
	s_mul_i32 s30, s33, s30
	v_mov_b32_e32 v2, s26
	s_add_i32 s31, s31, s30
	v_sub_co_u32_e32 v2, vcc, s34, v2
	s_cmp_lg_u64 vcc, 0
	s_subb_u32 s26, s27, s31
	v_subrev_co_u32_e32 v5, vcc, s33, v2
	s_cmp_lg_u64 vcc, 0
	s_subb_u32 s30, s26, 0
	v_subrev_co_u32_e32 v6, vcc, s33, v5
	s_cmp_lg_u64 vcc, 0
	s_subb_u32 s31, s30, 0
	v_cmp_le_u32_e32 vcc, s33, v5
	s_cmp_eq_u32 s30, 0
	v_cndmask_b32_e64 v7, 0, -1, vcc
	s_cselect_b64 vcc, -1, 0
	v_cndmask_b32_e32 v7, -1, v7, vcc
	v_mov_b32_e32 v8, s30
	v_mov_b32_e32 v9, s31
	v_cmp_ne_u32_e32 vcc, 0, v7
	v_cndmask_b32_e32 v7, v8, v9, vcc
	v_cndmask_b32_e32 v5, v5, v6, vcc
	v_cmp_le_u32_e32 vcc, s33, v2
	s_cmp_eq_u32 s26, 0
	v_cndmask_b32_e64 v6, 0, -1, vcc
	s_cselect_b64 vcc, -1, 0
	v_cndmask_b32_e32 v6, -1, v6, vcc
	v_mov_b32_e32 v8, s26
	v_cmp_ne_u32_e32 vcc, 0, v6
	v_cndmask_b32_e32 v7, v8, v7, vcc
	v_cndmask_b32_e32 v6, v2, v5, vcc
	s_cbranch_execnz .LBB103_208
.LBB103_207:                            ;   in Loop: Header=BB103_35 Depth=1
	v_cvt_f32_u32_e32 v2, s33
	s_sub_i32 s26, 0, s33
	v_rcp_iflag_f32_e32 v2, v2
	v_mul_f32_e32 v2, 0x4f7ffffe, v2
	v_cvt_u32_f32_e32 v2, v2
	v_mul_lo_u32 v5, s26, v2
	v_mul_hi_u32 v5, v2, v5
	v_add_u32_e32 v2, v2, v5
	v_mul_hi_u32 v2, s34, v2
	v_mul_lo_u32 v2, v2, s33
	v_sub_u32_e32 v2, s34, v2
	v_subrev_u32_e32 v5, s33, v2
	v_cmp_le_u32_e32 vcc, s33, v2
	v_cndmask_b32_e32 v2, v2, v5, vcc
	v_subrev_u32_e32 v5, s33, v2
	v_cmp_le_u32_e32 vcc, s33, v2
	v_cndmask_b32_e32 v2, v2, v5, vcc
	v_pk_mov_b32 v[6:7], v[2:3], v[2:3] op_sel:[0,1]
.LBB103_208:                            ;   in Loop: Header=BB103_35 Depth=1
	v_mov_b32_e32 v2, s27
	v_sub_co_u32_e32 v10, vcc, s34, v6
	v_subb_co_u32_e32 v11, vcc, v2, v7, vcc
	v_cmp_gt_u64_e32 vcc, v[10:11], v[0:1]
	s_mov_b64 s[26:27], 0
                                        ; implicit-def: $vgpr8_vgpr9
	s_and_saveexec_b64 s[30:31], vcc
	s_cbranch_execz .LBB103_221
; %bb.209:                              ;   in Loop: Header=BB103_35 Depth=1
	s_mov_b64 s[34:35], 0
	v_mov_b32_e32 v2, v49
	v_pk_mov_b32 v[12:13], v[0:1], v[0:1] op_sel:[0,1]
                                        ; implicit-def: $sgpr26_sgpr27
	s_branch .LBB103_211
.LBB103_210:                            ;   in Loop: Header=BB103_211 Depth=2
	s_or_b64 exec, exec, s[36:37]
	s_waitcnt lgkmcnt(0)
	s_barrier
	ds_read_b128 v[6:9], v3 offset:3072
	v_mov_b32_e32 v5, s80
	v_add_co_u32_e32 v12, vcc, s33, v12
	v_addc_co_u32_e32 v13, vcc, v13, v5, vcc
	s_waitcnt lgkmcnt(0)
	v_readfirstlane_b32 s37, v7
	v_readfirstlane_b32 s36, v6
	s_cmp_lg_u64 s[36:37], 0
	s_cselect_b64 s[36:37], -1, 0
	v_cmp_ge_u64_e32 vcc, v[12:13], v[10:11]
	s_or_b64 s[40:41], vcc, s[36:37]
	s_and_b64 s[40:41], exec, s[40:41]
	s_or_b64 s[34:35], s[40:41], s[34:35]
	s_andn2_b64 s[26:27], s[26:27], exec
	s_and_b64 s[36:37], s[36:37], exec
	v_add_u32_e32 v2, s60, v2
	s_or_b64 s[26:27], s[26:27], s[36:37]
	s_barrier
	s_andn2_b64 exec, exec, s[34:35]
	s_cbranch_execz .LBB103_220
.LBB103_211:                            ;   Parent Loop BB103_35 Depth=1
                                        ; =>  This Inner Loop Header: Depth=2
	v_cmp_gt_u64_e32 vcc, s[2:3], v[12:13]
	v_pk_mov_b32 v[6:7], 0, 0
	s_and_saveexec_b64 s[36:37], vcc
	s_cbranch_execz .LBB103_213
; %bb.212:                              ;   in Loop: Header=BB103_211 Depth=2
	ds_read_b64 v[6:7], v2
.LBB103_213:                            ;   in Loop: Header=BB103_211 Depth=2
	s_or_b64 exec, exec, s[36:37]
	s_and_saveexec_b64 s[36:37], vcc
	s_cbranch_execz .LBB103_210
; %bb.214:                              ;   in Loop: Header=BB103_211 Depth=2
	s_waitcnt lgkmcnt(0)
	v_xor_b32_e32 v5, 0x80000000, v7
	v_and_b32_e32 v9, s1, v5
	v_and_b32_e32 v8, s0, v6
	v_cmp_eq_u64_e32 vcc, s[82:83], v[8:9]
	s_and_b64 exec, exec, vcc
	s_cbranch_execz .LBB103_210
; %bb.215:                              ;   in Loop: Header=BB103_211 Depth=2
	v_mov_b32_e32 v5, v3
	ds_write_b128 v3, v[4:7] offset:3072
	s_branch .LBB103_210
.LBB103_216:                            ;   in Loop: Header=BB103_35 Depth=1
                                        ; implicit-def: $sgpr2_sgpr3
                                        ; implicit-def: $sgpr34_sgpr35
                                        ; implicit-def: $sgpr30_sgpr31
	s_branch .LBB103_235
.LBB103_217:                            ;   in Loop: Header=BB103_35 Depth=1
                                        ; implicit-def: $vgpr6_vgpr7
	s_branch .LBB103_157
.LBB103_218:                            ;   in Loop: Header=BB103_35 Depth=1
                                        ; implicit-def: $vgpr6_vgpr7
	s_branch .LBB103_177
.LBB103_219:                            ;   in Loop: Header=BB103_35 Depth=1
	s_mov_b64 s[2:3], -1
	s_mov_b64 s[26:27], 0
                                        ; implicit-def: $sgpr30_sgpr31
                                        ; implicit-def: $vgpr8_vgpr9
	s_mov_b64 s[34:35], s[2:3]
	s_cbranch_execnz .LBB103_222
	s_branch .LBB103_235
.LBB103_220:                            ;   in Loop: Header=BB103_35 Depth=1
	s_or_b64 exec, exec, s[34:35]
	s_and_b64 s[26:27], s[26:27], exec
.LBB103_221:                            ;   in Loop: Header=BB103_35 Depth=1
	s_or_b64 exec, exec, s[30:31]
	s_mov_b64 s[30:31], -1
	s_mov_b64 s[2:3], 0
	s_mov_b64 s[34:35], s[2:3]
	s_branch .LBB103_235
.LBB103_222:                            ;   in Loop: Header=BB103_35 Depth=1
	s_mov_b32 s48, s77
	s_cmp_lg_u64 s[48:49], 0
	s_cbranch_scc0 .LBB103_265
; %bb.223:                              ;   in Loop: Header=BB103_35 Depth=1
	v_cvt_f32_u32_e32 v2, s33
	s_sub_u32 s2, 0, s33
	s_subb_u32 s3, 0, 0
	v_mac_f32_e32 v2, 0, v55
	v_rcp_f32_e32 v2, v2
	v_mul_f32_e32 v2, 0x5f7ffffc, v2
	v_mul_f32_e32 v5, 0x2f800000, v2
	v_trunc_f32_e32 v5, v5
	v_mac_f32_e32 v2, 0xcf800000, v5
	v_cvt_u32_f32_e32 v5, v5
	v_cvt_u32_f32_e32 v2, v2
	v_readfirstlane_b32 s26, v5
	v_readfirstlane_b32 s27, v2
	s_mul_i32 s30, s2, s26
	s_mul_hi_u32 s34, s2, s27
	s_mul_i32 s31, s3, s27
	s_add_i32 s30, s34, s30
	s_mul_i32 s35, s2, s27
	s_add_i32 s30, s30, s31
	s_mul_hi_u32 s34, s27, s35
	s_mul_hi_u32 s31, s27, s30
	s_mul_i32 s27, s27, s30
	s_add_u32 s27, s34, s27
	s_addc_u32 s31, 0, s31
	s_mul_hi_u32 s36, s26, s35
	s_mul_i32 s35, s26, s35
	s_add_u32 s27, s27, s35
	s_mul_hi_u32 s34, s26, s30
	s_addc_u32 s27, s31, s36
	s_addc_u32 s31, s34, 0
	s_mul_i32 s30, s26, s30
	s_add_u32 s27, s27, s30
	s_addc_u32 s30, 0, s31
	v_add_co_u32_e32 v2, vcc, s27, v2
	s_cmp_lg_u64 vcc, 0
	s_addc_u32 s26, s26, s30
	v_readfirstlane_b32 s30, v2
	s_mul_i32 s27, s2, s26
	s_mul_hi_u32 s31, s2, s30
	s_add_i32 s27, s31, s27
	s_mul_i32 s3, s3, s30
	s_add_i32 s27, s27, s3
	s_mul_i32 s2, s2, s30
	s_mul_hi_u32 s31, s26, s2
	s_mul_i32 s34, s26, s2
	s_mul_i32 s36, s30, s27
	s_mul_hi_u32 s2, s30, s2
	s_mul_hi_u32 s35, s30, s27
	s_add_u32 s2, s2, s36
	s_addc_u32 s30, 0, s35
	s_add_u32 s2, s2, s34
	s_mul_hi_u32 s3, s26, s27
	s_addc_u32 s2, s30, s31
	s_addc_u32 s3, s3, 0
	s_mul_i32 s27, s26, s27
	s_add_u32 s2, s2, s27
	s_addc_u32 s3, 0, s3
	v_add_co_u32_e32 v2, vcc, s2, v2
	s_cmp_lg_u64 vcc, 0
	s_addc_u32 s2, s26, s3
	v_readlane_b32 s34, v66, 26
	v_readfirstlane_b32 s27, v2
	s_mul_i32 s26, s34, s2
	s_mul_hi_u32 s30, s34, s27
	s_mul_hi_u32 s3, s34, s2
	s_add_u32 s26, s30, s26
	s_addc_u32 s3, 0, s3
	s_mul_hi_u32 s31, s49, s27
	s_mul_i32 s27, s49, s27
	s_add_u32 s26, s26, s27
	s_mul_hi_u32 s30, s49, s2
	s_addc_u32 s3, s3, s31
	s_addc_u32 s26, s30, 0
	s_mul_i32 s2, s49, s2
	s_add_u32 s2, s3, s2
	s_addc_u32 s3, 0, s26
	s_mul_hi_u32 s26, s33, s2
	s_mul_i32 s2, s33, s2
	s_mul_i32 s3, s33, s3
	v_mov_b32_e32 v2, s2
	s_add_i32 s26, s26, s3
	v_sub_co_u32_e32 v2, vcc, s34, v2
	s_cmp_lg_u64 vcc, 0
	s_subb_u32 s2, s49, s26
	v_subrev_co_u32_e32 v5, vcc, s33, v2
	s_cmp_lg_u64 vcc, 0
	s_subb_u32 s3, s2, 0
	v_subrev_co_u32_e32 v6, vcc, s33, v5
	s_cmp_lg_u64 vcc, 0
	s_subb_u32 s26, s3, 0
	v_cmp_le_u32_e32 vcc, s33, v5
	s_cmp_eq_u32 s3, 0
	v_cndmask_b32_e64 v7, 0, -1, vcc
	s_cselect_b64 vcc, -1, 0
	v_cndmask_b32_e32 v7, -1, v7, vcc
	v_mov_b32_e32 v8, s3
	v_mov_b32_e32 v9, s26
	v_cmp_ne_u32_e32 vcc, 0, v7
	v_cndmask_b32_e32 v7, v8, v9, vcc
	v_cndmask_b32_e32 v5, v5, v6, vcc
	v_cmp_le_u32_e32 vcc, s33, v2
	s_cmp_eq_u32 s2, 0
	v_cndmask_b32_e64 v6, 0, -1, vcc
	s_cselect_b64 vcc, -1, 0
	v_cndmask_b32_e32 v6, -1, v6, vcc
	v_mov_b32_e32 v8, s2
	v_cmp_ne_u32_e32 vcc, 0, v6
	v_cndmask_b32_e32 v7, v8, v7, vcc
	v_cndmask_b32_e32 v6, v2, v5, vcc
	s_cbranch_execnz .LBB103_225
.LBB103_224:                            ;   in Loop: Header=BB103_35 Depth=1
	v_cvt_f32_u32_e32 v2, s33
	s_sub_i32 s2, 0, s33
	v_rcp_iflag_f32_e32 v2, v2
	v_mul_f32_e32 v2, 0x4f7ffffe, v2
	v_cvt_u32_f32_e32 v2, v2
	v_mul_lo_u32 v5, s2, v2
	v_mul_hi_u32 v5, v2, v5
	v_add_u32_e32 v2, v2, v5
	v_readlane_b32 s2, v66, 26
	v_mul_hi_u32 v2, s2, v2
	v_mul_lo_u32 v2, v2, s33
	v_sub_u32_e32 v2, s2, v2
	v_subrev_u32_e32 v5, s33, v2
	v_cmp_le_u32_e32 vcc, s33, v2
	v_cndmask_b32_e32 v2, v2, v5, vcc
	v_subrev_u32_e32 v5, s33, v2
	v_cmp_le_u32_e32 vcc, s33, v2
	v_cndmask_b32_e32 v2, v2, v5, vcc
	v_pk_mov_b32 v[6:7], v[2:3], v[2:3] op_sel:[0,1]
.LBB103_225:                            ;   in Loop: Header=BB103_35 Depth=1
	v_readlane_b32 s2, v66, 26
	v_mov_b32_e32 v2, s49
	v_sub_co_u32_e32 v10, vcc, s2, v6
	v_subb_co_u32_e32 v11, vcc, v2, v7, vcc
	v_cmp_gt_u64_e32 vcc, v[10:11], v[0:1]
	s_mov_b64 s[26:27], 0
                                        ; implicit-def: $vgpr8_vgpr9
	s_and_saveexec_b64 s[2:3], vcc
	s_cbranch_execz .LBB103_234
; %bb.226:                              ;   in Loop: Header=BB103_35 Depth=1
	s_mov_b64 s[30:31], 0
	v_pk_mov_b32 v[12:13], v[18:19], v[18:19] op_sel:[0,1]
	v_pk_mov_b32 v[14:15], v[0:1], v[0:1] op_sel:[0,1]
                                        ; implicit-def: $sgpr26_sgpr27
	s_branch .LBB103_228
.LBB103_227:                            ;   in Loop: Header=BB103_228 Depth=2
	s_or_b64 exec, exec, s[34:35]
	s_waitcnt lgkmcnt(0)
	s_barrier
	s_waitcnt vmcnt(0)
	ds_read_b128 v[6:9], v3 offset:3072
	v_mov_b32_e32 v2, s80
	v_add_co_u32_e32 v14, vcc, s33, v14
	v_addc_co_u32_e32 v15, vcc, v15, v2, vcc
	s_waitcnt lgkmcnt(0)
	v_readfirstlane_b32 s35, v7
	v_readfirstlane_b32 s34, v6
	s_cmp_lg_u64 s[34:35], 0
	s_cselect_b64 s[34:35], -1, 0
	v_cmp_ge_u64_e32 vcc, v[14:15], v[10:11]
	s_or_b64 s[36:37], vcc, s[34:35]
	s_and_b64 s[36:37], exec, s[36:37]
	s_or_b64 s[30:31], s[36:37], s[30:31]
	v_mov_b32_e32 v2, s75
	v_add_co_u32_e32 v12, vcc, s74, v12
	s_andn2_b64 s[26:27], s[26:27], exec
	s_and_b64 s[34:35], s[34:35], exec
	v_addc_co_u32_e32 v13, vcc, v13, v2, vcc
	s_or_b64 s[26:27], s[26:27], s[34:35]
	s_barrier
	s_andn2_b64 exec, exec, s[30:31]
	s_cbranch_execz .LBB103_233
.LBB103_228:                            ;   Parent Loop BB103_35 Depth=1
                                        ; =>  This Inner Loop Header: Depth=2
	v_cmp_gt_u64_e32 vcc, s[52:53], v[14:15]
	v_pk_mov_b32 v[6:7], 0, 0
	s_and_saveexec_b64 s[34:35], vcc
	s_cbranch_execz .LBB103_230
; %bb.229:                              ;   in Loop: Header=BB103_228 Depth=2
	global_load_dwordx2 v[6:7], v[12:13], off
.LBB103_230:                            ;   in Loop: Header=BB103_228 Depth=2
	s_or_b64 exec, exec, s[34:35]
	s_and_saveexec_b64 s[34:35], vcc
	s_cbranch_execz .LBB103_227
; %bb.231:                              ;   in Loop: Header=BB103_228 Depth=2
	s_waitcnt vmcnt(0)
	v_xor_b32_e32 v2, 0x80000000, v7
	v_and_b32_e32 v9, s1, v2
	v_and_b32_e32 v8, s0, v6
	v_cmp_eq_u64_e32 vcc, s[82:83], v[8:9]
	s_and_b64 exec, exec, vcc
	s_cbranch_execz .LBB103_227
; %bb.232:                              ;   in Loop: Header=BB103_228 Depth=2
	v_mov_b32_e32 v5, v3
	ds_write_b128 v3, v[4:7] offset:3072
	s_branch .LBB103_227
.LBB103_233:                            ;   in Loop: Header=BB103_35 Depth=1
	s_or_b64 exec, exec, s[30:31]
	s_and_b64 s[26:27], s[26:27], exec
.LBB103_234:                            ;   in Loop: Header=BB103_35 Depth=1
	s_or_b64 exec, exec, s[2:3]
	s_mov_b64 s[34:35], -1
	s_mov_b64 s[2:3], 0
	s_mov_b64 s[30:31], 0
.LBB103_235:                            ;   in Loop: Header=BB103_35 Depth=1
	s_mov_b64 s[40:41], 0
                                        ; implicit-def: $sgpr48
	s_and_saveexec_b64 s[36:37], s[26:27]
	s_cbranch_execz .LBB103_297
; %bb.236:                              ;   in Loop: Header=BB103_35 Depth=1
	s_xor_b64 s[26:27], s[38:39], -1
	s_andn2_b64 vcc, exec, s[26:27]
	s_mov_b32 s48, 1
	s_cbranch_vccnz .LBB103_247
; %bb.237:                              ;   in Loop: Header=BB103_35 Depth=1
	s_waitcnt vmcnt(0)
	v_pk_mov_b32 v[6:7], s[16:17], s[16:17] op_sel:[0,1]
	v_cmp_gt_u64_e32 vcc, s[84:85], v[6:7]
	s_mov_b64 s[26:27], -1
                                        ; implicit-def: $sgpr48
                                        ; implicit-def: $sgpr38_sgpr39
                                        ; implicit-def: $sgpr40_sgpr41
	s_cbranch_vccnz .LBB103_243
; %bb.238:                              ;   in Loop: Header=BB103_35 Depth=1
	ds_read_b64 v[6:7], v3 offset:5120
	s_waitcnt lgkmcnt(0)
	v_cmp_ne_u64_e32 vcc, 0, v[6:7]
	s_cbranch_vccnz .LBB103_242
; %bb.239:                              ;   in Loop: Header=BB103_35 Depth=1
	s_mov_b64 s[26:27], exec
	v_readlane_b32 s38, v66, 10
	v_readlane_b32 s39, v66, 11
	s_and_b64 s[38:39], s[26:27], s[38:39]
	s_mov_b64 exec, s[38:39]
	s_cbranch_execz .LBB103_241
; %bb.240:                              ;   in Loop: Header=BB103_35 Depth=1
	v_pk_mov_b32 v[6:7], s[16:17], s[16:17] op_sel:[0,1]
	ds_write_b64 v3, v[6:7] offset:5128
.LBB103_241:                            ;   in Loop: Header=BB103_35 Depth=1
	s_or_b64 exec, exec, s[26:27]
	s_waitcnt lgkmcnt(0)
	s_barrier
.LBB103_242:                            ;   in Loop: Header=BB103_35 Depth=1
	s_lshl_b64 s[26:27], 2, s42
	s_and_b64 s[18:19], s[82:83], s[18:19]
	s_or_b64 s[38:39], s[18:19], s[26:27]
	s_or_b64 s[40:41], s[0:1], s[10:11]
	s_mov_b64 s[26:27], 0
	s_mov_b32 s48, 8
.LBB103_243:                            ;   in Loop: Header=BB103_35 Depth=1
	s_mov_b64 s[8:9], s[44:45]
	s_andn2_b64 vcc, exec, s[26:27]
	s_cbranch_vccnz .LBB103_245
; %bb.244:                              ;   in Loop: Header=BB103_35 Depth=1
	s_sub_u32 s84, s84, s16
	s_subb_u32 s85, s85, s17
	s_mov_b64 s[26:27], -1
	s_mov_b32 s48, 0
	s_mov_b64 s[38:39], s[82:83]
	s_mov_b64 s[40:41], s[0:1]
.LBB103_245:                            ;   in Loop: Header=BB103_35 Depth=1
	s_mov_b64 s[0:1], s[40:41]
	s_mov_b64 s[82:83], s[38:39]
	s_andn2_b64 vcc, exec, s[26:27]
	s_mov_b64 s[44:45], -1
	s_cbranch_vccz .LBB103_248
.LBB103_246:                            ;   in Loop: Header=BB103_35 Depth=1
                                        ; implicit-def: $sgpr18_sgpr19
                                        ; implicit-def: $sgpr38_sgpr39
                                        ; implicit-def: $sgpr26_sgpr27
	s_branch .LBB103_296
.LBB103_247:                            ;   in Loop: Header=BB103_35 Depth=1
	s_mov_b64 s[8:9], s[44:45]
	s_mov_b64 s[84:85], 1
	s_mov_b64 s[44:45], -1
	s_cbranch_execnz .LBB103_246
.LBB103_248:                            ;   in Loop: Header=BB103_35 Depth=1
	s_cmp_eq_u64 s[6:7], 1
	s_cselect_b64 s[16:17], -1, 0
	s_cmp_eq_u64 s[84:85], 1
	s_cselect_b64 s[18:19], -1, 0
	s_and_b64 s[16:17], s[16:17], s[18:19]
	s_mov_b64 s[40:41], -1
	s_and_b64 vcc, exec, s[16:17]
	s_cbranch_vccz .LBB103_263
; %bb.249:                              ;   in Loop: Header=BB103_35 Depth=1
	s_waitcnt vmcnt(0)
	ds_read_b64 v[6:7], v3 offset:5120
	s_waitcnt lgkmcnt(0)
	s_barrier
	v_readfirstlane_b32 s18, v6
	v_readfirstlane_b32 s19, v7
	s_mov_b64 s[26:27], exec
	v_readlane_b32 s38, v66, 19
	v_readlane_b32 s39, v66, 20
	s_and_b64 s[38:39], s[26:27], s[38:39]
	s_mov_b64 exec, s[38:39]
	s_cbranch_execz .LBB103_251
; %bb.250:                              ;   in Loop: Header=BB103_35 Depth=1
	v_mov_b32_e32 v2, v3
	ds_write_b64 v50, v[2:3]
.LBB103_251:                            ;   in Loop: Header=BB103_35 Depth=1
	s_or_b64 exec, exec, s[26:27]
	s_or_b64 s[82:83], s[82:83], s[10:11]
	s_or_b64 s[0:1], s[0:1], s[10:11]
	s_cmp_eq_u64 s[18:19], 0
	s_waitcnt lgkmcnt(0)
	s_barrier
	s_cbranch_scc1 .LBB103_266
; %bb.252:                              ;   in Loop: Header=BB103_35 Depth=1
	v_readlane_b32 s26, v66, 25
	s_add_u32 s40, s26, s18
	v_readlane_b32 s26, v66, 27
	s_addc_u32 s27, s26, s19
	s_mov_b32 s26, s77
	s_cmp_lg_u64 s[26:27], 0
	s_cbranch_scc0 .LBB103_302
; %bb.253:                              ;   in Loop: Header=BB103_35 Depth=1
	v_cvt_f32_u32_e32 v2, s33
	s_sub_u32 s26, 0, s33
	s_subb_u32 s38, 0, 0
	v_mac_f32_e32 v2, 0, v55
	v_rcp_f32_e32 v2, v2
	v_mul_f32_e32 v2, 0x5f7ffffc, v2
	v_mul_f32_e32 v5, 0x2f800000, v2
	v_trunc_f32_e32 v5, v5
	v_mac_f32_e32 v2, 0xcf800000, v5
	v_cvt_u32_f32_e32 v5, v5
	v_cvt_u32_f32_e32 v2, v2
	v_readfirstlane_b32 s39, v5
	v_readfirstlane_b32 s41, v2
	s_mul_i32 s42, s26, s39
	s_mul_hi_u32 s44, s26, s41
	s_mul_i32 s43, s38, s41
	s_add_i32 s42, s44, s42
	s_mul_i32 s45, s26, s41
	s_add_i32 s42, s42, s43
	s_mul_hi_u32 s44, s41, s45
	s_mul_hi_u32 s43, s41, s42
	s_mul_i32 s41, s41, s42
	s_add_u32 s41, s44, s41
	s_addc_u32 s43, 0, s43
	s_mul_hi_u32 s46, s39, s45
	s_mul_i32 s45, s39, s45
	s_add_u32 s41, s41, s45
	s_mul_hi_u32 s44, s39, s42
	s_addc_u32 s41, s43, s46
	s_addc_u32 s43, s44, 0
	s_mul_i32 s42, s39, s42
	s_add_u32 s41, s41, s42
	s_addc_u32 s42, 0, s43
	v_add_co_u32_e32 v2, vcc, s41, v2
	s_cmp_lg_u64 vcc, 0
	s_addc_u32 s39, s39, s42
	v_readfirstlane_b32 s42, v2
	s_mul_i32 s41, s26, s39
	s_mul_hi_u32 s43, s26, s42
	s_add_i32 s41, s43, s41
	s_mul_i32 s38, s38, s42
	s_add_i32 s41, s41, s38
	s_mul_i32 s26, s26, s42
	s_mul_hi_u32 s43, s39, s26
	s_mul_i32 s44, s39, s26
	s_mul_i32 s46, s42, s41
	s_mul_hi_u32 s26, s42, s26
	s_mul_hi_u32 s45, s42, s41
	s_add_u32 s26, s26, s46
	s_addc_u32 s42, 0, s45
	s_add_u32 s26, s26, s44
	s_mul_hi_u32 s38, s39, s41
	s_addc_u32 s26, s42, s43
	s_addc_u32 s38, s38, 0
	s_mul_i32 s41, s39, s41
	s_add_u32 s26, s26, s41
	s_addc_u32 s38, 0, s38
	v_add_co_u32_e32 v2, vcc, s26, v2
	s_cmp_lg_u64 vcc, 0
	s_addc_u32 s26, s39, s38
	v_readfirstlane_b32 s41, v2
	s_mul_i32 s39, s40, s26
	s_mul_hi_u32 s42, s40, s41
	s_mul_hi_u32 s38, s40, s26
	s_add_u32 s39, s42, s39
	s_addc_u32 s38, 0, s38
	s_mul_hi_u32 s43, s27, s41
	s_mul_i32 s41, s27, s41
	s_add_u32 s39, s39, s41
	s_mul_hi_u32 s42, s27, s26
	s_addc_u32 s38, s38, s43
	s_addc_u32 s39, s42, 0
	s_mul_i32 s26, s27, s26
	s_add_u32 s26, s38, s26
	s_addc_u32 s38, 0, s39
	s_mul_hi_u32 s39, s33, s26
	s_mul_i32 s26, s33, s26
	s_mul_i32 s38, s33, s38
	v_mov_b32_e32 v2, s26
	s_add_i32 s39, s39, s38
	v_sub_co_u32_e32 v2, vcc, s40, v2
	s_cmp_lg_u64 vcc, 0
	s_subb_u32 s26, s27, s39
	v_subrev_co_u32_e32 v5, vcc, s33, v2
	s_cmp_lg_u64 vcc, 0
	s_subb_u32 s38, s26, 0
	v_subrev_co_u32_e32 v6, vcc, s33, v5
	s_cmp_lg_u64 vcc, 0
	s_subb_u32 s39, s38, 0
	v_cmp_le_u32_e32 vcc, s33, v5
	s_cmp_eq_u32 s38, 0
	v_cndmask_b32_e64 v7, 0, -1, vcc
	s_cselect_b64 vcc, -1, 0
	v_cndmask_b32_e32 v7, -1, v7, vcc
	v_mov_b32_e32 v8, s38
	v_mov_b32_e32 v9, s39
	v_cmp_ne_u32_e32 vcc, 0, v7
	v_cndmask_b32_e32 v7, v8, v9, vcc
	v_cndmask_b32_e32 v5, v5, v6, vcc
	v_cmp_le_u32_e32 vcc, s33, v2
	s_cmp_eq_u32 s26, 0
	v_cndmask_b32_e64 v6, 0, -1, vcc
	s_cselect_b64 vcc, -1, 0
	v_cndmask_b32_e32 v6, -1, v6, vcc
	v_mov_b32_e32 v8, s26
	v_cmp_ne_u32_e32 vcc, 0, v6
	v_cndmask_b32_e32 v7, v8, v7, vcc
	v_cndmask_b32_e32 v6, v2, v5, vcc
	s_cbranch_execnz .LBB103_255
.LBB103_254:                            ;   in Loop: Header=BB103_35 Depth=1
	v_cvt_f32_u32_e32 v2, s33
	s_sub_i32 s26, 0, s33
	v_rcp_iflag_f32_e32 v2, v2
	v_mul_f32_e32 v2, 0x4f7ffffe, v2
	v_cvt_u32_f32_e32 v2, v2
	v_mul_lo_u32 v5, s26, v2
	v_mul_hi_u32 v5, v2, v5
	v_add_u32_e32 v2, v2, v5
	v_mul_hi_u32 v2, s40, v2
	v_mul_lo_u32 v2, v2, s33
	v_sub_u32_e32 v2, s40, v2
	v_subrev_u32_e32 v5, s33, v2
	v_cmp_le_u32_e32 vcc, s33, v2
	v_cndmask_b32_e32 v2, v2, v5, vcc
	v_subrev_u32_e32 v5, s33, v2
	v_cmp_le_u32_e32 vcc, s33, v2
	v_cndmask_b32_e32 v2, v2, v5, vcc
	v_pk_mov_b32 v[6:7], v[2:3], v[2:3] op_sel:[0,1]
.LBB103_255:                            ;   in Loop: Header=BB103_35 Depth=1
	v_mov_b32_e32 v2, s27
	v_sub_co_u32_e32 v10, vcc, s40, v6
	v_subb_co_u32_e32 v11, vcc, v2, v7, vcc
	v_cmp_gt_u64_e32 vcc, v[10:11], v[0:1]
	s_mov_b64 s[40:41], 0
                                        ; implicit-def: $vgpr8_vgpr9
	s_and_saveexec_b64 s[26:27], vcc
	s_cbranch_execz .LBB103_268
; %bb.256:                              ;   in Loop: Header=BB103_35 Depth=1
	v_mov_b32_e32 v2, v49
	v_pk_mov_b32 v[12:13], v[0:1], v[0:1] op_sel:[0,1]
                                        ; implicit-def: $sgpr38_sgpr39
	s_branch .LBB103_258
.LBB103_257:                            ;   in Loop: Header=BB103_258 Depth=2
	s_or_b64 exec, exec, s[42:43]
	s_waitcnt lgkmcnt(0)
	s_barrier
	ds_read_b128 v[6:9], v3 offset:3072
	v_mov_b32_e32 v5, s80
	v_add_co_u32_e32 v12, vcc, s33, v12
	v_addc_co_u32_e32 v13, vcc, v13, v5, vcc
	s_waitcnt lgkmcnt(0)
	v_readfirstlane_b32 s43, v7
	v_readfirstlane_b32 s42, v6
	s_cmp_lg_u64 s[42:43], 0
	s_cselect_b64 s[42:43], -1, 0
	v_cmp_ge_u64_e32 vcc, v[12:13], v[10:11]
	s_or_b64 s[44:45], vcc, s[42:43]
	s_and_b64 s[44:45], exec, s[44:45]
	s_or_b64 s[40:41], s[44:45], s[40:41]
	s_andn2_b64 s[38:39], s[38:39], exec
	s_and_b64 s[42:43], s[42:43], exec
	v_add_u32_e32 v2, s60, v2
	s_or_b64 s[38:39], s[38:39], s[42:43]
	s_barrier
	s_andn2_b64 exec, exec, s[40:41]
	s_cbranch_execz .LBB103_267
.LBB103_258:                            ;   Parent Loop BB103_35 Depth=1
                                        ; =>  This Inner Loop Header: Depth=2
	v_cmp_gt_u64_e32 vcc, s[18:19], v[12:13]
	v_pk_mov_b32 v[6:7], 0, 0
	s_and_saveexec_b64 s[42:43], vcc
	s_cbranch_execz .LBB103_260
; %bb.259:                              ;   in Loop: Header=BB103_258 Depth=2
	ds_read_b64 v[6:7], v2
.LBB103_260:                            ;   in Loop: Header=BB103_258 Depth=2
	s_or_b64 exec, exec, s[42:43]
	s_and_saveexec_b64 s[42:43], vcc
	s_cbranch_execz .LBB103_257
; %bb.261:                              ;   in Loop: Header=BB103_258 Depth=2
	s_waitcnt lgkmcnt(0)
	v_xor_b32_e32 v5, 0x80000000, v7
	v_and_b32_e32 v9, s1, v5
	v_and_b32_e32 v8, s0, v6
	v_cmp_eq_u64_e32 vcc, s[82:83], v[8:9]
	s_and_b64 exec, exec, vcc
	s_cbranch_execz .LBB103_257
; %bb.262:                              ;   in Loop: Header=BB103_258 Depth=2
	v_mov_b32_e32 v5, v3
	ds_write_b128 v3, v[4:7] offset:3072
	s_branch .LBB103_257
.LBB103_263:                            ;   in Loop: Header=BB103_35 Depth=1
                                        ; implicit-def: $sgpr18_sgpr19
                                        ; implicit-def: $sgpr38_sgpr39
                                        ; implicit-def: $sgpr26_sgpr27
	s_branch .LBB103_282
.LBB103_264:                            ;   in Loop: Header=BB103_35 Depth=1
                                        ; implicit-def: $vgpr6_vgpr7
	s_branch .LBB103_207
.LBB103_265:                            ;   in Loop: Header=BB103_35 Depth=1
                                        ; implicit-def: $vgpr6_vgpr7
	s_branch .LBB103_224
.LBB103_266:                            ;   in Loop: Header=BB103_35 Depth=1
	s_mov_b64 s[18:19], -1
	s_mov_b64 s[40:41], 0
                                        ; implicit-def: $sgpr26_sgpr27
                                        ; implicit-def: $vgpr8_vgpr9
	s_mov_b64 s[38:39], s[18:19]
	s_cbranch_execnz .LBB103_269
	s_branch .LBB103_282
.LBB103_267:                            ;   in Loop: Header=BB103_35 Depth=1
	s_or_b64 exec, exec, s[40:41]
	s_and_b64 s[40:41], s[38:39], exec
.LBB103_268:                            ;   in Loop: Header=BB103_35 Depth=1
	s_or_b64 exec, exec, s[26:27]
	s_mov_b64 s[26:27], -1
	s_mov_b64 s[18:19], 0
	s_mov_b64 s[38:39], s[18:19]
	s_branch .LBB103_282
.LBB103_269:                            ;   in Loop: Header=BB103_35 Depth=1
	s_mov_b32 s48, s77
	s_cmp_lg_u64 s[48:49], 0
	s_cbranch_scc0 .LBB103_303
; %bb.270:                              ;   in Loop: Header=BB103_35 Depth=1
	v_cvt_f32_u32_e32 v2, s33
	s_sub_u32 s18, 0, s33
	s_subb_u32 s19, 0, 0
	v_mac_f32_e32 v2, 0, v55
	v_rcp_f32_e32 v2, v2
	v_mul_f32_e32 v2, 0x5f7ffffc, v2
	v_mul_f32_e32 v5, 0x2f800000, v2
	v_trunc_f32_e32 v5, v5
	v_mac_f32_e32 v2, 0xcf800000, v5
	v_cvt_u32_f32_e32 v5, v5
	v_cvt_u32_f32_e32 v2, v2
	v_readfirstlane_b32 s26, v5
	v_readfirstlane_b32 s27, v2
	s_mul_i32 s38, s18, s26
	s_mul_hi_u32 s40, s18, s27
	s_mul_i32 s39, s19, s27
	s_add_i32 s38, s40, s38
	s_mul_i32 s41, s18, s27
	s_add_i32 s38, s38, s39
	s_mul_hi_u32 s40, s27, s41
	s_mul_hi_u32 s39, s27, s38
	s_mul_i32 s27, s27, s38
	s_add_u32 s27, s40, s27
	s_addc_u32 s39, 0, s39
	s_mul_hi_u32 s42, s26, s41
	s_mul_i32 s41, s26, s41
	s_add_u32 s27, s27, s41
	s_mul_hi_u32 s40, s26, s38
	s_addc_u32 s27, s39, s42
	s_addc_u32 s39, s40, 0
	s_mul_i32 s38, s26, s38
	s_add_u32 s27, s27, s38
	s_addc_u32 s38, 0, s39
	v_add_co_u32_e32 v2, vcc, s27, v2
	s_cmp_lg_u64 vcc, 0
	s_addc_u32 s26, s26, s38
	v_readfirstlane_b32 s38, v2
	s_mul_i32 s27, s18, s26
	s_mul_hi_u32 s39, s18, s38
	s_add_i32 s27, s39, s27
	s_mul_i32 s19, s19, s38
	s_add_i32 s27, s27, s19
	s_mul_i32 s18, s18, s38
	s_mul_hi_u32 s39, s26, s18
	s_mul_i32 s40, s26, s18
	s_mul_i32 s42, s38, s27
	s_mul_hi_u32 s18, s38, s18
	s_mul_hi_u32 s41, s38, s27
	s_add_u32 s18, s18, s42
	s_addc_u32 s38, 0, s41
	s_add_u32 s18, s18, s40
	s_mul_hi_u32 s19, s26, s27
	s_addc_u32 s18, s38, s39
	s_addc_u32 s19, s19, 0
	s_mul_i32 s27, s26, s27
	s_add_u32 s18, s18, s27
	s_addc_u32 s19, 0, s19
	v_add_co_u32_e32 v2, vcc, s18, v2
	s_cmp_lg_u64 vcc, 0
	s_addc_u32 s18, s26, s19
	v_readlane_b32 s40, v66, 26
	v_readfirstlane_b32 s27, v2
	s_mul_i32 s26, s40, s18
	s_mul_hi_u32 s38, s40, s27
	s_mul_hi_u32 s19, s40, s18
	s_add_u32 s26, s38, s26
	s_addc_u32 s19, 0, s19
	s_mul_hi_u32 s39, s49, s27
	s_mul_i32 s27, s49, s27
	s_add_u32 s26, s26, s27
	s_mul_hi_u32 s38, s49, s18
	s_addc_u32 s19, s19, s39
	s_addc_u32 s26, s38, 0
	s_mul_i32 s18, s49, s18
	s_add_u32 s18, s19, s18
	s_addc_u32 s19, 0, s26
	s_mul_hi_u32 s26, s33, s18
	s_mul_i32 s18, s33, s18
	s_mul_i32 s19, s33, s19
	v_mov_b32_e32 v2, s18
	s_add_i32 s26, s26, s19
	v_sub_co_u32_e32 v2, vcc, s40, v2
	s_cmp_lg_u64 vcc, 0
	s_subb_u32 s18, s49, s26
	v_subrev_co_u32_e32 v5, vcc, s33, v2
	s_cmp_lg_u64 vcc, 0
	s_subb_u32 s19, s18, 0
	v_subrev_co_u32_e32 v6, vcc, s33, v5
	s_cmp_lg_u64 vcc, 0
	s_subb_u32 s26, s19, 0
	v_cmp_le_u32_e32 vcc, s33, v5
	s_cmp_eq_u32 s19, 0
	v_cndmask_b32_e64 v7, 0, -1, vcc
	s_cselect_b64 vcc, -1, 0
	v_cndmask_b32_e32 v7, -1, v7, vcc
	v_mov_b32_e32 v8, s19
	v_mov_b32_e32 v9, s26
	v_cmp_ne_u32_e32 vcc, 0, v7
	v_cndmask_b32_e32 v7, v8, v9, vcc
	v_cndmask_b32_e32 v5, v5, v6, vcc
	v_cmp_le_u32_e32 vcc, s33, v2
	s_cmp_eq_u32 s18, 0
	v_cndmask_b32_e64 v6, 0, -1, vcc
	s_cselect_b64 vcc, -1, 0
	v_cndmask_b32_e32 v6, -1, v6, vcc
	v_mov_b32_e32 v8, s18
	v_cmp_ne_u32_e32 vcc, 0, v6
	v_cndmask_b32_e32 v7, v8, v7, vcc
	v_cndmask_b32_e32 v6, v2, v5, vcc
	s_cbranch_execnz .LBB103_272
.LBB103_271:                            ;   in Loop: Header=BB103_35 Depth=1
	v_cvt_f32_u32_e32 v2, s33
	s_sub_i32 s18, 0, s33
	v_rcp_iflag_f32_e32 v2, v2
	v_mul_f32_e32 v2, 0x4f7ffffe, v2
	v_cvt_u32_f32_e32 v2, v2
	v_mul_lo_u32 v5, s18, v2
	v_mul_hi_u32 v5, v2, v5
	v_add_u32_e32 v2, v2, v5
	v_readlane_b32 s18, v66, 26
	v_mul_hi_u32 v2, s18, v2
	v_mul_lo_u32 v2, v2, s33
	v_sub_u32_e32 v2, s18, v2
	v_subrev_u32_e32 v5, s33, v2
	v_cmp_le_u32_e32 vcc, s33, v2
	v_cndmask_b32_e32 v2, v2, v5, vcc
	v_subrev_u32_e32 v5, s33, v2
	v_cmp_le_u32_e32 vcc, s33, v2
	v_cndmask_b32_e32 v2, v2, v5, vcc
	v_pk_mov_b32 v[6:7], v[2:3], v[2:3] op_sel:[0,1]
.LBB103_272:                            ;   in Loop: Header=BB103_35 Depth=1
	v_readlane_b32 s18, v66, 26
	v_mov_b32_e32 v2, s49
	v_sub_co_u32_e32 v10, vcc, s18, v6
	v_subb_co_u32_e32 v11, vcc, v2, v7, vcc
	v_cmp_gt_u64_e32 vcc, v[10:11], v[0:1]
	s_mov_b64 s[40:41], 0
                                        ; implicit-def: $vgpr8_vgpr9
	s_and_saveexec_b64 s[18:19], vcc
	s_cbranch_execz .LBB103_281
; %bb.273:                              ;   in Loop: Header=BB103_35 Depth=1
	s_mov_b64 s[38:39], 0
	v_pk_mov_b32 v[12:13], v[18:19], v[18:19] op_sel:[0,1]
	v_pk_mov_b32 v[14:15], v[0:1], v[0:1] op_sel:[0,1]
                                        ; implicit-def: $sgpr26_sgpr27
	s_branch .LBB103_275
.LBB103_274:                            ;   in Loop: Header=BB103_275 Depth=2
	s_or_b64 exec, exec, s[40:41]
	s_waitcnt lgkmcnt(0)
	s_barrier
	s_waitcnt vmcnt(0)
	ds_read_b128 v[6:9], v3 offset:3072
	v_mov_b32_e32 v2, s80
	v_add_co_u32_e32 v14, vcc, s33, v14
	v_addc_co_u32_e32 v15, vcc, v15, v2, vcc
	s_waitcnt lgkmcnt(0)
	v_readfirstlane_b32 s41, v7
	v_readfirstlane_b32 s40, v6
	s_cmp_lg_u64 s[40:41], 0
	s_cselect_b64 s[40:41], -1, 0
	v_cmp_ge_u64_e32 vcc, v[14:15], v[10:11]
	s_or_b64 s[42:43], vcc, s[40:41]
	s_and_b64 s[42:43], exec, s[42:43]
	s_or_b64 s[38:39], s[42:43], s[38:39]
	v_mov_b32_e32 v2, s75
	v_add_co_u32_e32 v12, vcc, s74, v12
	s_andn2_b64 s[26:27], s[26:27], exec
	s_and_b64 s[40:41], s[40:41], exec
	v_addc_co_u32_e32 v13, vcc, v13, v2, vcc
	s_or_b64 s[26:27], s[26:27], s[40:41]
	s_barrier
	s_andn2_b64 exec, exec, s[38:39]
	s_cbranch_execz .LBB103_280
.LBB103_275:                            ;   Parent Loop BB103_35 Depth=1
                                        ; =>  This Inner Loop Header: Depth=2
	v_cmp_gt_u64_e32 vcc, s[52:53], v[14:15]
	v_pk_mov_b32 v[6:7], 0, 0
	s_and_saveexec_b64 s[40:41], vcc
	s_cbranch_execz .LBB103_277
; %bb.276:                              ;   in Loop: Header=BB103_275 Depth=2
	global_load_dwordx2 v[6:7], v[12:13], off
.LBB103_277:                            ;   in Loop: Header=BB103_275 Depth=2
	s_or_b64 exec, exec, s[40:41]
	s_and_saveexec_b64 s[40:41], vcc
	s_cbranch_execz .LBB103_274
; %bb.278:                              ;   in Loop: Header=BB103_275 Depth=2
	s_waitcnt vmcnt(0)
	v_xor_b32_e32 v2, 0x80000000, v7
	v_and_b32_e32 v9, s1, v2
	v_and_b32_e32 v8, s0, v6
	v_cmp_eq_u64_e32 vcc, s[82:83], v[8:9]
	s_and_b64 exec, exec, vcc
	s_cbranch_execz .LBB103_274
; %bb.279:                              ;   in Loop: Header=BB103_275 Depth=2
	v_mov_b32_e32 v5, v3
	ds_write_b128 v3, v[4:7] offset:3072
	s_branch .LBB103_274
.LBB103_280:                            ;   in Loop: Header=BB103_35 Depth=1
	s_or_b64 exec, exec, s[38:39]
	s_and_b64 s[40:41], s[26:27], exec
.LBB103_281:                            ;   in Loop: Header=BB103_35 Depth=1
	s_or_b64 exec, exec, s[18:19]
	s_mov_b64 s[38:39], -1
	s_mov_b64 s[18:19], 0
	s_mov_b64 s[26:27], 0
.LBB103_282:                            ;   in Loop: Header=BB103_35 Depth=1
	s_mov_b64 s[44:45], 0
                                        ; implicit-def: $sgpr48
                                        ; implicit-def: $sgpr46_sgpr47
	s_and_saveexec_b64 s[42:43], s[40:41]
	s_cbranch_execz .LBB103_295
; %bb.283:                              ;   in Loop: Header=BB103_35 Depth=1
	s_xor_b64 s[16:17], s[16:17], -1
	s_mov_b64 s[46:47], 1
	s_andn2_b64 vcc, exec, s[16:17]
	s_mov_b32 s48, 1
	s_cbranch_vccnz .LBB103_294
; %bb.284:                              ;   in Loop: Header=BB103_35 Depth=1
	s_waitcnt vmcnt(0)
	v_pk_mov_b32 v[6:7], s[6:7], s[6:7] op_sel:[0,1]
	v_cmp_gt_u64_e32 vcc, s[84:85], v[6:7]
	s_cbranch_vccnz .LBB103_290
; %bb.285:                              ;   in Loop: Header=BB103_35 Depth=1
	ds_read_b64 v[6:7], v3 offset:5120
	s_waitcnt lgkmcnt(0)
	v_cmp_ne_u64_e32 vcc, 0, v[6:7]
	s_cbranch_vccnz .LBB103_289
; %bb.286:                              ;   in Loop: Header=BB103_35 Depth=1
	s_mov_b64 s[16:17], exec
	v_readlane_b32 s40, v66, 10
	v_readlane_b32 s41, v66, 11
	s_and_b64 s[40:41], s[16:17], s[40:41]
	s_mov_b64 exec, s[40:41]
	s_cbranch_execz .LBB103_288
; %bb.287:                              ;   in Loop: Header=BB103_35 Depth=1
	v_pk_mov_b32 v[6:7], s[6:7], s[6:7] op_sel:[0,1]
	ds_write_b64 v3, v[6:7] offset:5128
.LBB103_288:                            ;   in Loop: Header=BB103_35 Depth=1
	s_or_b64 exec, exec, s[16:17]
	s_waitcnt lgkmcnt(0)
	s_barrier
.LBB103_289:                            ;   in Loop: Header=BB103_35 Depth=1
	s_or_b64 s[16:17], s[82:83], s[10:11]
	s_or_b64 s[10:11], s[0:1], s[10:11]
	s_mov_b64 s[40:41], 0
	s_mov_b32 s48, 8
	s_branch .LBB103_291
.LBB103_290:                            ;   in Loop: Header=BB103_35 Depth=1
	s_mov_b64 s[40:41], -1
                                        ; implicit-def: $sgpr48
                                        ; implicit-def: $sgpr16_sgpr17
                                        ; implicit-def: $sgpr10_sgpr11
.LBB103_291:                            ;   in Loop: Header=BB103_35 Depth=1
	s_andn2_b64 vcc, exec, s[40:41]
	s_cbranch_vccnz .LBB103_293
; %bb.292:                              ;   in Loop: Header=BB103_35 Depth=1
	s_sub_u32 s84, s84, s6
	s_subb_u32 s85, s85, s7
	s_mov_b32 s48, 8
	s_mov_b64 s[16:17], s[82:83]
	s_mov_b64 s[10:11], s[0:1]
.LBB103_293:                            ;   in Loop: Header=BB103_35 Depth=1
	s_mov_b64 s[46:47], s[84:85]
	s_mov_b64 s[82:83], s[16:17]
	;; [unrolled: 1-line block ×3, first 2 shown]
.LBB103_294:                            ;   in Loop: Header=BB103_35 Depth=1
	s_mov_b64 s[44:45], exec
.LBB103_295:                            ;   in Loop: Header=BB103_35 Depth=1
	s_or_b64 exec, exec, s[42:43]
	s_mov_b64 s[84:85], s[46:47]
.LBB103_296:                            ;   in Loop: Header=BB103_35 Depth=1
	s_andn2_b64 s[2:3], s[2:3], exec
	s_and_b64 s[6:7], s[18:19], exec
	s_or_b64 s[2:3], s[2:3], s[6:7]
	s_andn2_b64 s[6:7], s[34:35], exec
	s_and_b64 s[10:11], s[38:39], exec
	s_or_b64 s[34:35], s[6:7], s[10:11]
	s_andn2_b64 s[6:7], s[30:31], exec
	s_and_b64 s[10:11], s[26:27], exec
	s_or_b64 s[30:31], s[6:7], s[10:11]
	s_and_b64 s[40:41], s[44:45], exec
	s_mov_b64 s[44:45], s[8:9]
.LBB103_297:                            ;   in Loop: Header=BB103_35 Depth=1
	s_or_b64 exec, exec, s[36:37]
	s_mov_b64 s[38:39], s[62:63]
.LBB103_298:                            ;   in Loop: Header=BB103_35 Depth=1
	s_andn2_b64 s[6:7], s[22:23], exec
	s_and_b64 s[2:3], s[2:3], exec
	s_or_b64 s[22:23], s[6:7], s[2:3]
	s_andn2_b64 s[2:3], s[24:25], exec
	s_and_b64 s[6:7], s[34:35], exec
	s_or_b64 s[24:25], s[2:3], s[6:7]
	;; [unrolled: 3-line block ×3, first 2 shown]
	s_and_b64 s[34:35], s[40:41], exec
.LBB103_299:                            ;   in Loop: Header=BB103_35 Depth=1
	s_or_b64 exec, exec, s[28:29]
	s_and_saveexec_b64 s[2:3], s[34:35]
	s_xor_b64 s[2:3], exec, s[2:3]
	s_cbranch_execz .LBB103_33
.LBB103_300:                            ;   in Loop: Header=BB103_35 Depth=1
	s_and_b32 s6, s48, -9
	s_cmp_eq_u32 s6, 0
	s_cbranch_scc1 .LBB103_31
; %bb.301:                              ;   in Loop: Header=BB103_35 Depth=1
	s_mov_b64 s[6:7], -1
                                        ; implicit-def: $sgpr0_sgpr1
                                        ; implicit-def: $sgpr84_sgpr85
                                        ; implicit-def: $sgpr61
                                        ; implicit-def: $sgpr4
                                        ; kill: killed $sgpr4
	s_mov_b64 s[10:11], -1
	s_branch .LBB103_32
.LBB103_302:                            ;   in Loop: Header=BB103_35 Depth=1
                                        ; implicit-def: $vgpr6_vgpr7
	s_branch .LBB103_254
.LBB103_303:                            ;   in Loop: Header=BB103_35 Depth=1
                                        ; implicit-def: $vgpr6_vgpr7
	s_branch .LBB103_271
.LBB103_304:
	s_or_b64 exec, exec, s[66:67]
	s_xor_b64 s[6:7], s[70:71], -1
	s_xor_b64 s[0:1], s[38:39], -1
	;; [unrolled: 1-line block ×3, first 2 shown]
	s_mov_b64 s[2:3], 0
	s_and_saveexec_b64 s[8:9], s[0:1]
	s_xor_b64 s[0:1], exec, s[8:9]
	s_cbranch_execnz .LBB103_309
; %bb.305:
	s_andn2_saveexec_b64 s[0:1], s[0:1]
	s_cbranch_execnz .LBB103_322
.LBB103_306:
	s_or_b64 exec, exec, s[0:1]
	s_and_saveexec_b64 s[0:1], s[2:3]
.LBB103_307:
	; divergent unreachable
.LBB103_308:
	s_endpgm
.LBB103_309:
	s_and_saveexec_b64 s[2:3], s[6:7]
	s_xor_b64 s[2:3], exec, s[2:3]
	s_cbranch_execz .LBB103_320
; %bb.310:
	s_and_saveexec_b64 s[6:7], s[4:5]
	s_xor_b64 s[4:5], exec, s[6:7]
; %bb.311:
	v_xor_b32_e32 v7, 0x80000000, v7
	v_pk_mov_b32 v[8:9], v[6:7], v[6:7] op_sel:[0,1]
; %bb.312:
	s_or_b64 exec, exec, s[4:5]
	v_readlane_b32 s6, v66, 2
	v_readlane_b32 s7, v66, 3
	;; [unrolled: 1-line block ×4, first 2 shown]
	s_mul_i32 s4, s8, s7
	s_mul_hi_u32 s5, s8, s6
	s_add_i32 s4, s5, s4
	s_mul_i32 s5, s9, s6
	s_add_i32 s5, s4, s5
	s_mul_i32 s4, s8, s6
	s_lshl_b64 s[4:5], s[4:5], 3
	v_readlane_b32 s6, v66, 12
	v_readlane_b32 s7, v66, 13
	s_add_u32 s6, s6, s4
	s_addc_u32 s7, s7, s5
	v_readlane_b32 s4, v66, 0
	v_readlane_b32 s5, v66, 1
	s_lshl_b64 s[4:5], s[4:5], 3
	s_add_u32 s4, s6, s4
	s_addc_u32 s5, s7, s5
	v_mov_b32_e32 v2, 0
	s_nop 0
	global_store_dwordx2 v2, v[8:9], s[4:5]
	s_mov_b64 s[4:5], exec
	v_readlane_b32 s6, v66, 17
	v_readlane_b32 s7, v66, 18
	s_and_b64 s[6:7], s[4:5], s[6:7]
	s_mov_b64 exec, s[6:7]
	s_cbranch_execz .LBB103_319
; %bb.313:
	s_mov_b64 s[6:7], 0
                                        ; implicit-def: $sgpr8_sgpr9
                                        ; implicit-def: $sgpr12_sgpr13
                                        ; implicit-def: $sgpr10_sgpr11
	s_branch .LBB103_315
.LBB103_314:                            ;   in Loop: Header=BB103_315 Depth=1
	s_or_b64 exec, exec, s[14:15]
	s_and_b64 s[14:15], exec, s[12:13]
	s_or_b64 s[6:7], s[14:15], s[6:7]
	s_andn2_b64 s[8:9], s[8:9], exec
	s_and_b64 s[14:15], s[10:11], exec
	s_or_b64 s[8:9], s[8:9], s[14:15]
	s_andn2_b64 exec, exec, s[6:7]
	s_cbranch_execz .LBB103_317
.LBB103_315:                            ; =>This Inner Loop Header: Depth=1
	global_load_dwordx2 v[4:5], v[18:19], off
	v_pk_mov_b32 v[2:3], v[0:1], v[0:1] op_sel:[0,1]
	s_or_b64 s[10:11], s[10:11], exec
	s_or_b64 s[12:13], s[12:13], exec
                                        ; implicit-def: $vgpr0_vgpr1
	s_waitcnt vmcnt(0)
	v_cmp_ne_u64_e32 vcc, v[4:5], v[8:9]
	s_and_saveexec_b64 s[14:15], vcc
	s_cbranch_execz .LBB103_314
; %bb.316:                              ;   in Loop: Header=BB103_315 Depth=1
	v_mov_b32_e32 v1, s80
	v_add_co_u32_e32 v0, vcc, s33, v2
	v_addc_co_u32_e32 v1, vcc, v3, v1, vcc
	v_mov_b32_e32 v4, s75
	v_add_co_u32_e32 v18, vcc, s74, v18
	v_addc_co_u32_e32 v19, vcc, v19, v4, vcc
	v_cmp_le_u64_e32 vcc, s[52:53], v[0:1]
	s_andn2_b64 s[12:13], s[12:13], exec
	s_and_b64 s[16:17], vcc, exec
	s_andn2_b64 s[10:11], s[10:11], exec
	s_or_b64 s[12:13], s[12:13], s[16:17]
	s_branch .LBB103_314
.LBB103_317:
	s_or_b64 exec, exec, s[6:7]
	s_and_saveexec_b64 s[6:7], s[8:9]
	s_xor_b64 s[6:7], exec, s[6:7]
	s_cbranch_execz .LBB103_319
; %bb.318:
	v_readlane_b32 s8, v66, 8
	v_readlane_b32 s9, v66, 9
	s_mul_i32 s6, s8, s65
	s_mul_hi_u32 s7, s8, s64
	s_add_i32 s6, s7, s6
	s_mul_i32 s7, s9, s64
	s_add_i32 s7, s6, s7
	s_mul_i32 s6, s8, s64
	s_lshl_b64 s[6:7], s[6:7], 3
	v_readlane_b32 s8, v66, 14
	v_readlane_b32 s9, v66, 15
	s_add_u32 s8, s8, s6
	s_addc_u32 s9, s9, s7
	v_readlane_b32 s6, v66, 6
	v_readlane_b32 s7, v66, 7
	s_lshl_b64 s[6:7], s[6:7], 3
	s_add_u32 s6, s8, s6
	s_addc_u32 s7, s9, s7
	v_mov_b32_e32 v0, 0
	s_nop 0
	global_store_dwordx2 v0, v[2:3], s[6:7]
.LBB103_319:
	s_or_b64 exec, exec, s[4:5]
.LBB103_320:
	s_or_saveexec_b64 s[2:3], s[2:3]
	s_mov_b64 s[4:5], 0
	s_xor_b64 exec, exec, s[2:3]
	s_cbranch_execnz .LBB103_323
.LBB103_321:
	s_or_b64 exec, exec, s[2:3]
	s_and_b64 s[2:3], s[4:5], exec
	s_andn2_saveexec_b64 s[0:1], s[0:1]
	s_cbranch_execz .LBB103_306
.LBB103_322:
	s_or_b64 s[2:3], s[2:3], exec
	s_trap 2
	s_or_b64 exec, exec, s[0:1]
	s_and_saveexec_b64 s[0:1], s[2:3]
	s_cbranch_execnz .LBB103_307
	s_branch .LBB103_308
.LBB103_323:
	s_mov_b64 s[4:5], exec
	s_trap 2
	s_branch .LBB103_321
	.section	.rodata,"a",@progbits
	.p2align	6, 0x0
	.amdhsa_kernel _ZN2at6native12_GLOBAL__N_112gatherMedianIlmLin1EEEvNS_4cuda6detail10TensorInfoIT_T0_EENS5_IlS7_EENS5_IKS6_S7_EES7_S7_S7_b
		.amdhsa_group_segment_fixed_size 5152
		.amdhsa_private_segment_fixed_size 0
		.amdhsa_kernarg_size 1536
		.amdhsa_user_sgpr_count 6
		.amdhsa_user_sgpr_private_segment_buffer 1
		.amdhsa_user_sgpr_dispatch_ptr 0
		.amdhsa_user_sgpr_queue_ptr 0
		.amdhsa_user_sgpr_kernarg_segment_ptr 1
		.amdhsa_user_sgpr_dispatch_id 0
		.amdhsa_user_sgpr_flat_scratch_init 0
		.amdhsa_user_sgpr_kernarg_preload_length 0
		.amdhsa_user_sgpr_kernarg_preload_offset 0
		.amdhsa_user_sgpr_private_segment_size 0
		.amdhsa_uses_dynamic_stack 0
		.amdhsa_system_sgpr_private_segment_wavefront_offset 0
		.amdhsa_system_sgpr_workgroup_id_x 1
		.amdhsa_system_sgpr_workgroup_id_y 1
		.amdhsa_system_sgpr_workgroup_id_z 1
		.amdhsa_system_sgpr_workgroup_info 0
		.amdhsa_system_vgpr_workitem_id 0
		.amdhsa_next_free_vgpr 67
		.amdhsa_next_free_sgpr 96
		.amdhsa_accum_offset 68
		.amdhsa_reserve_vcc 1
		.amdhsa_reserve_flat_scratch 0
		.amdhsa_float_round_mode_32 0
		.amdhsa_float_round_mode_16_64 0
		.amdhsa_float_denorm_mode_32 3
		.amdhsa_float_denorm_mode_16_64 3
		.amdhsa_dx10_clamp 1
		.amdhsa_ieee_mode 1
		.amdhsa_fp16_overflow 0
		.amdhsa_tg_split 0
		.amdhsa_exception_fp_ieee_invalid_op 0
		.amdhsa_exception_fp_denorm_src 0
		.amdhsa_exception_fp_ieee_div_zero 0
		.amdhsa_exception_fp_ieee_overflow 0
		.amdhsa_exception_fp_ieee_underflow 0
		.amdhsa_exception_fp_ieee_inexact 0
		.amdhsa_exception_int_div_zero 0
	.end_amdhsa_kernel
	.section	.text._ZN2at6native12_GLOBAL__N_112gatherMedianIlmLin1EEEvNS_4cuda6detail10TensorInfoIT_T0_EENS5_IlS7_EENS5_IKS6_S7_EES7_S7_S7_b,"axG",@progbits,_ZN2at6native12_GLOBAL__N_112gatherMedianIlmLin1EEEvNS_4cuda6detail10TensorInfoIT_T0_EENS5_IlS7_EENS5_IKS6_S7_EES7_S7_S7_b,comdat
.Lfunc_end103:
	.size	_ZN2at6native12_GLOBAL__N_112gatherMedianIlmLin1EEEvNS_4cuda6detail10TensorInfoIT_T0_EENS5_IlS7_EENS5_IKS6_S7_EES7_S7_S7_b, .Lfunc_end103-_ZN2at6native12_GLOBAL__N_112gatherMedianIlmLin1EEEvNS_4cuda6detail10TensorInfoIT_T0_EENS5_IlS7_EENS5_IKS6_S7_EES7_S7_S7_b
                                        ; -- End function
	.section	.AMDGPU.csdata,"",@progbits
; Kernel info:
; codeLenInByte = 18628
; NumSgprs: 100
; NumVgprs: 67
; NumAgprs: 0
; TotalNumVgprs: 67
; ScratchSize: 0
; MemoryBound: 0
; FloatMode: 240
; IeeeMode: 1
; LDSByteSize: 5152 bytes/workgroup (compile time only)
; SGPRBlocks: 12
; VGPRBlocks: 8
; NumSGPRsForWavesPerEU: 100
; NumVGPRsForWavesPerEU: 67
; AccumOffset: 68
; Occupancy: 7
; WaveLimiterHint : 1
; COMPUTE_PGM_RSRC2:SCRATCH_EN: 0
; COMPUTE_PGM_RSRC2:USER_SGPR: 6
; COMPUTE_PGM_RSRC2:TRAP_HANDLER: 0
; COMPUTE_PGM_RSRC2:TGID_X_EN: 1
; COMPUTE_PGM_RSRC2:TGID_Y_EN: 1
; COMPUTE_PGM_RSRC2:TGID_Z_EN: 1
; COMPUTE_PGM_RSRC2:TIDIG_COMP_CNT: 0
; COMPUTE_PGM_RSRC3_GFX90A:ACCUM_OFFSET: 16
; COMPUTE_PGM_RSRC3_GFX90A:TG_SPLIT: 0
	.section	.text._ZN2at6native12_GLOBAL__N_112gatherMedianIsjLi1EEEvNS_4cuda6detail10TensorInfoIT_T0_EENS5_IlS7_EENS5_IKS6_S7_EES7_S7_S7_b,"axG",@progbits,_ZN2at6native12_GLOBAL__N_112gatherMedianIsjLi1EEEvNS_4cuda6detail10TensorInfoIT_T0_EENS5_IlS7_EENS5_IKS6_S7_EES7_S7_S7_b,comdat
	.globl	_ZN2at6native12_GLOBAL__N_112gatherMedianIsjLi1EEEvNS_4cuda6detail10TensorInfoIT_T0_EENS5_IlS7_EENS5_IKS6_S7_EES7_S7_S7_b ; -- Begin function _ZN2at6native12_GLOBAL__N_112gatherMedianIsjLi1EEEvNS_4cuda6detail10TensorInfoIT_T0_EENS5_IlS7_EENS5_IKS6_S7_EES7_S7_S7_b
	.p2align	8
	.type	_ZN2at6native12_GLOBAL__N_112gatherMedianIsjLi1EEEvNS_4cuda6detail10TensorInfoIT_T0_EENS5_IlS7_EENS5_IKS6_S7_EES7_S7_S7_b,@function
_ZN2at6native12_GLOBAL__N_112gatherMedianIsjLi1EEEvNS_4cuda6detail10TensorInfoIT_T0_EENS5_IlS7_EENS5_IKS6_S7_EES7_S7_S7_b: ; @_ZN2at6native12_GLOBAL__N_112gatherMedianIsjLi1EEEvNS_4cuda6detail10TensorInfoIT_T0_EENS5_IlS7_EENS5_IKS6_S7_EES7_S7_S7_b
; %bb.0:
	s_load_dwordx2 s[12:13], s[4:5], 0x298
	s_load_dwordx4 s[56:59], s[4:5], 0x288
	s_add_u32 s10, s4, 0x298
	s_addc_u32 s11, s5, 0
	s_waitcnt lgkmcnt(0)
	s_mul_i32 s0, s13, s8
	s_add_i32 s0, s0, s7
	s_mul_i32 s0, s0, s12
	s_add_i32 s7, s0, s6
	s_cmp_ge_u32 s7, s57
	s_cbranch_scc1 .LBB104_250
; %bb.1:
	v_cmp_eq_u32_e64 s[0:1], 0, v0
	s_mov_b64 s[2:3], exec
                                        ; implicit-def: $vgpr48 : SGPR spill to VGPR lane
	v_writelane_b32 v48, s0, 0
	v_writelane_b32 v48, s1, 1
	s_and_b64 s[0:1], s[2:3], s[0:1]
	s_mov_b64 exec, s[0:1]
	s_cbranch_execz .LBB104_3
; %bb.2:
	v_mov_b32_e32 v2, 0
	v_mov_b32_e32 v3, v2
	ds_write_b64 v2, v[2:3] offset:4096
.LBB104_3:
	s_or_b64 exec, exec, s[2:3]
	v_mov_b32_e32 v1, 0
	s_waitcnt lgkmcnt(0)
	s_barrier
	s_barrier
	ds_read_b64 v[2:3], v1 offset:4096
	s_load_dwordx2 s[2:3], s[4:5], 0x1b0
	s_bitcmp1_b32 s59, 0
	s_cselect_b64 s[0:1], -1, 0
	s_waitcnt lgkmcnt(0)
	v_cmp_gt_i64_e32 vcc, 1, v[2:3]
	s_or_b64 s[0:1], s[0:1], vcc
	s_andn2_b64 vcc, exec, s[0:1]
	s_mov_b32 s1, s56
	s_cbranch_vccnz .LBB104_5
; %bb.4:
	v_not_b32_e32 v1, v2
	v_not_b32_e32 v2, v3
	v_add_co_u32_e32 v1, vcc, s56, v1
	v_addc_co_u32_e32 v2, vcc, 0, v2, vcc
	v_lshrrev_b32_e32 v3, 31, v2
	v_add_co_u32_e32 v1, vcc, v1, v3
	v_addc_co_u32_e32 v2, vcc, 0, v2, vcc
	v_alignbit_b32 v1, v2, v1, 1
	v_readfirstlane_b32 s0, v1
	s_add_i32 s1, s0, 1
.LBB104_5:
	s_load_dword s0, s[4:5], 0x21c
	s_load_dwordx2 s[8:9], s[4:5], 0xd8
	s_waitcnt lgkmcnt(0)
	v_writelane_b32 v48, s8, 2
	v_writelane_b32 v48, s9, 3
	s_load_dwordx2 s[8:9], s[4:5], 0x0
	s_waitcnt lgkmcnt(0)
	v_writelane_b32 v48, s8, 4
	v_writelane_b32 v48, s9, 5
	s_mov_b64 s[8:9], exec
	v_readlane_b32 s14, v48, 0
	v_readlane_b32 s15, v48, 1
	s_and_b64 s[14:15], s[8:9], s[14:15]
	s_mov_b64 exec, s[14:15]
	s_cbranch_execz .LBB104_7
; %bb.6:
	v_mov_b32_e32 v2, 0
	v_mov_b32_e32 v3, s56
	ds_write_b32 v2, v2 offset:4112
	ds_write_b64 v2, v[2:3] offset:4104
.LBB104_7:
	s_or_b64 exec, exec, s[8:9]
	s_load_dword s8, s[4:5], 0x144
                                        ; kill: killed $sgpr4 killed $sgpr5
	s_mov_b32 s64, 0
	s_waitcnt lgkmcnt(0)
	s_barrier
	v_writelane_b32 v48, s8, 6
	s_load_dword s8, s[4:5], 0x6c
	s_mul_i32 s4, s0, s7
	s_load_dword s0, s[10:11], 0xc
	s_mov_b32 s5, s64
	s_lshl_b64 s[4:5], s[4:5], 1
	s_waitcnt lgkmcnt(0)
	v_writelane_b32 v48, s8, 7
	s_add_u32 s59, s2, s4
	v_writelane_b32 v48, s7, 8
	s_addc_u32 s33, s3, s5
	v_cmp_gt_u32_e64 s[2:3], s56, v0
	v_mbcnt_lo_u32_b32 v1, -1, 0
	v_writelane_b32 v48, s2, 9
	s_and_b32 s57, s0, 0xffff
	v_mbcnt_hi_u32_b32 v13, -1, v1
	v_writelane_b32 v48, s3, 10
	s_bfe_u32 s8, s0, 0xa0006
	v_cmp_gt_u32_e32 vcc, 64, v0
	v_cmp_gt_i32_e64 s[4:5], 4, v13
	s_add_i32 s0, s57, -1
	s_lshl_b32 s78, s57, 2
	s_and_b64 s[66:67], vcc, s[4:5]
	v_writelane_b32 v48, s0, 11
	s_add_i32 s0, s0, s56
	s_cmpk_gt_u32 s56, 0x600
	s_cselect_b64 s[2:3], -1, 0
	v_writelane_b32 v48, s2, 12
	s_cmp_gt_u32 s57, 63
	v_writelane_b32 v48, s3, 13
	s_cselect_b64 s[2:3], -1, 0
	v_writelane_b32 v48, s2, 14
	s_cmp_lt_u32 s6, s12
	v_writelane_b32 v48, s3, 15
	s_cselect_b32 s2, 12, 18
	s_add_u32 s2, s10, s2
	v_mov_b32_e32 v9, 0
	s_addc_u32 s3, s11, 0
	v_writelane_b32 v48, s2, 16
	v_mul_lo_u32 v6, v0, s58
	v_mov_b32_e32 v7, v9
	v_writelane_b32 v48, s3, 17
	s_add_i32 s2, s8, -2
	v_lshlrev_b64 v[2:3], 1, v[6:7]
	s_lshr_b32 s3, s2, 1
	v_mov_b32_e32 v7, s33
	v_add_co_u32_e32 v10, vcc, s59, v2
	s_add_i32 s3, s3, 1
	v_addc_co_u32_e32 v11, vcc, v7, v3, vcc
	v_lshlrev_b64 v[2:3], v13, -1
	s_cmpk_gt_u32 s57, 0x7f
	v_not_b32_e32 v12, v2
	v_cvt_f32_u32_e32 v2, s78
	s_cselect_b64 s[4:5], -1, 0
	s_and_b32 s9, s8, 0x3fe
	s_and_b32 s10, s3, 7
	v_writelane_b32 v48, s4, 18
	s_cmp_gt_u32 s2, 13
	v_writelane_b32 v48, s5, 19
	s_cselect_b64 s[12:13], -1, 0
	v_writelane_b32 v48, s12, 20
	v_rcp_iflag_f32_e32 v2, v2
	v_writelane_b32 v48, s13, 21
	s_and_b32 s2, s3, -8
	v_writelane_b32 v48, s2, 22
	s_cmp_lg_u32 s10, 0
	v_writelane_b32 v48, s10, 23
	s_cselect_b64 s[2:3], -1, 0
	v_writelane_b32 v48, s2, 24
	v_mul_f32_e32 v2, 0x4f7ffffe, v2
	v_writelane_b32 v48, s3, 25
	v_cvt_u32_f32_e32 v2, v2
	v_writelane_b32 v48, s8, 26
	s_cmp_lg_u32 s9, s8
	v_writelane_b32 v48, s9, 27
	s_cselect_b64 s[2:3], -1, 0
	v_writelane_b32 v48, s2, 28
	v_writelane_b32 v48, s3, 29
	s_sub_i32 s2, 0, s78
	v_readfirstlane_b32 s3, v2
	s_mul_i32 s2, s2, s3
	s_mul_hi_u32 s2, s3, s2
	s_add_i32 s79, s3, s2
	v_cvt_f32_u32_e32 v2, s57
	s_mul_hi_u32 s2, s56, s79
	s_mul_i32 s2, s2, s78
	s_sub_i32 s2, s56, s2
	s_sub_i32 s3, s2, s78
	v_rcp_iflag_f32_e32 v5, v2
	s_cmp_ge_u32 s2, s78
	s_cselect_b32 s2, s3, s2
	s_sub_i32 s3, s2, s78
	s_cmp_ge_u32 s2, s78
	v_mul_f32_e32 v5, 0x4f7ffffe, v5
	s_cselect_b32 s2, s3, s2
	v_cvt_u32_f32_e32 v5, v5
	v_lshlrev_b32_e32 v16, 2, v0
	s_sub_i32 s72, s56, s2
	v_cmp_gt_u32_e64 s[8:9], s72, v16
	v_writelane_b32 v48, s8, 30
	v_writelane_b32 v48, s9, 31
	s_sub_i32 s3, 0, s57
	v_readfirstlane_b32 s8, v5
	s_mul_i32 s3, s3, s8
	s_mul_hi_u32 s3, s8, s3
	s_add_i32 s3, s8, s3
	v_writelane_b32 v48, s3, 32
	s_mul_hi_u32 s3, s0, s3
	s_mul_i32 s3, s3, s57
	s_sub_i32 s3, s0, s3
	s_sub_i32 s8, s3, s57
	v_add_u32_e32 v21, s72, v0
	s_cmp_ge_u32 s3, s57
	v_lshrrev_b32_e32 v1, 4, v0
	v_mul_lo_u32 v8, v21, s58
	s_cselect_b32 s3, s8, s3
	v_and_b32_e32 v19, 60, v1
	v_not_b32_e32 v1, v3
	v_lshlrev_b64 v[2:3], 1, v[8:9]
	s_sub_i32 s8, s3, s57
	v_add_co_u32_e32 v14, vcc, s59, v2
	s_cmp_ge_u32 s3, s57
	v_mul_lo_u32 v2, s58, v16
	s_cselect_b32 s3, s8, s3
	v_add_u32_e32 v22, s58, v2
	v_or_b32_e32 v2, 2, v16
	s_sub_i32 s74, s0, s3
	v_mul_lo_u32 v23, s58, v2
	v_or_b32_e32 v2, 3, v16
	s_add_i32 s0, s57, s56
	v_mul_lo_u32 v24, s58, v2
	v_add_u32_e32 v2, s0, v0
	v_lshlrev_b32_e32 v17, 1, v0
	v_lshlrev_b32_e32 v4, 2, v13
	v_mov_b32_e32 v8, s33
	v_cmp_gt_u32_e64 s[8:9], s74, v0
	s_mul_i32 s80, s58, s57
	v_subrev_u32_e32 v2, s2, v2
	v_cmp_eq_u32_e64 s[4:5], 0, v13
	v_cmp_gt_u32_e64 s[6:7], 2, v0
	v_add_u32_e32 v18, 0xc00, v17
	v_and_b32_e32 v20, 0x100, v4
	v_cmp_gt_u32_e64 s[10:11], s56, v21
	v_addc_co_u32_e32 v15, vcc, v8, v3, vcc
	v_writelane_b32 v48, s8, 33
	s_lshl_b32 s75, s80, 2
	v_lshlrev_b32_e32 v25, 2, v6
	v_mul_lo_u32 v26, s58, v2
	v_lshlrev_b32_e32 v27, 3, v0
	s_lshl_b32 s12, s57, 3
	s_lshl_b32 s13, s57, 1
	v_or_b32_e32 v28, 0xc00, v4
	s_mov_b32 s69, 14
	s_mov_b64 s[82:83], 0
	s_mov_b32 s68, 0x8000
	v_mov_b32_e32 v29, 0xc00
	v_mov_b32_e32 v30, 0x5040100
	v_mov_b32_e32 v31, 0
	s_mov_b32 s2, 0
	s_mov_b32 s0, 0
	;; [unrolled: 1-line block ×3, first 2 shown]
	v_writelane_b32 v48, s9, 34
                                        ; implicit-def: $sgpr84_sgpr85
                                        ; implicit-def: $sgpr88_sgpr89
                                        ; implicit-def: $sgpr86_sgpr87
                                        ; implicit-def: $sgpr90_sgpr91
                                        ; implicit-def: $sgpr92_sgpr93
                                        ; implicit-def: $sgpr94_sgpr95
	s_branch .LBB104_12
.LBB104_8:                              ;   in Loop: Header=BB104_12 Depth=1
	s_xor_b32 s2, s2, 1
	s_add_i32 s1, s69, -2
	s_cmp_eq_u32 s69, 0
	s_mov_b64 s[18:19], 0
	s_cselect_b64 s[26:27], -1, 0
	s_mov_b32 s69, s1
.LBB104_9:                              ;   in Loop: Header=BB104_12 Depth=1
	s_andn2_b64 s[8:9], s[22:23], exec
	s_and_b64 s[18:19], s[18:19], exec
	s_or_b64 s[22:23], s[8:9], s[18:19]
	s_andn2_b64 s[24:25], s[24:25], exec
	s_andn2_b64 s[20:21], s[20:21], exec
	s_orn2_b64 s[18:19], s[26:27], exec
	s_mov_b32 s1, s35
.LBB104_10:                             ;   in Loop: Header=BB104_12 Depth=1
	s_or_b64 exec, exec, s[14:15]
	s_andn2_b64 s[8:9], s[94:95], exec
	s_and_b64 s[14:15], s[22:23], exec
	s_or_b64 s[94:95], s[8:9], s[14:15]
	s_andn2_b64 s[8:9], s[92:93], exec
	s_and_b64 s[14:15], s[24:25], exec
	s_or_b64 s[92:93], s[8:9], s[14:15]
	;; [unrolled: 3-line block ×3, first 2 shown]
	s_orn2_b64 s[18:19], s[18:19], exec
.LBB104_11:                             ;   in Loop: Header=BB104_12 Depth=1
	s_or_b64 exec, exec, s[16:17]
	s_and_b64 s[8:9], exec, s[18:19]
	s_or_b64 s[82:83], s[8:9], s[82:83]
	s_andn2_b64 s[8:9], s[86:87], exec
	s_and_b64 s[14:15], s[94:95], exec
	s_or_b64 s[86:87], s[8:9], s[14:15]
	s_andn2_b64 s[8:9], s[88:89], exec
	s_and_b64 s[14:15], s[92:93], exec
	;; [unrolled: 3-line block ×3, first 2 shown]
	v_mov_b32_e32 v2, s0
	s_or_b64 s[84:85], s[8:9], s[14:15]
	s_andn2_b64 exec, exec, s[82:83]
	s_cbranch_execz .LBB104_246
.LBB104_12:                             ; =>This Loop Header: Depth=1
                                        ;     Child Loop BB104_17 Depth 2
                                        ;     Child Loop BB104_35 Depth 2
	;; [unrolled: 1-line block ×17, first 2 shown]
	ds_read_b64 v[2:3], v9 offset:4104
	s_waitcnt lgkmcnt(0)
	v_readfirstlane_b32 s65, v2
	s_cmp_lg_u32 s65, 0
	s_cbranch_scc1 .LBB104_42
; %bb.13:                               ;   in Loop: Header=BB104_12 Depth=1
	v_readlane_b32 s8, v48, 12
	v_readlane_b32 s9, v48, 13
	s_and_b64 vcc, exec, s[8:9]
	s_cbranch_vccz .LBB104_25
; %bb.14:                               ;   in Loop: Header=BB104_12 Depth=1
	s_movk_i32 s8, 0x601
	v_cmp_gt_u32_e32 vcc, s8, v3
	s_mov_b64 s[18:19], 0
	s_mov_b64 s[14:15], 0
	s_cbranch_vccz .LBB104_26
; %bb.15:                               ;   in Loop: Header=BB104_12 Depth=1
	v_readlane_b32 s8, v48, 16
	v_readlane_b32 s9, v48, 17
	s_nop 4
	global_load_ushort v2, v9, s[8:9]
	global_load_ushort v4, v[10:11], off
	s_mov_b64 s[20:21], 0
	s_waitcnt vmcnt(1)
	v_add_u32_e32 v5, v0, v2
	v_mul_lo_u32 v3, s58, v2
	v_mul_lo_u32 v8, s58, v5
	v_mov_b32_e32 v5, v0
	s_branch .LBB104_17
.LBB104_16:                             ;   in Loop: Header=BB104_17 Depth=2
	s_or_b64 exec, exec, s[16:17]
	v_add_u32_e32 v8, v8, v3
	v_mov_b32_e32 v4, v32
	s_andn2_b64 exec, exec, s[20:21]
	s_cbranch_execz .LBB104_27
.LBB104_17:                             ;   Parent Loop BB104_12 Depth=1
                                        ; =>  This Inner Loop Header: Depth=2
	v_add_u32_e32 v5, v5, v2
	v_cmp_gt_u32_e64 s[14:15], s56, v5
	v_cmp_le_u32_e32 vcc, s56, v5
	s_waitcnt lgkmcnt(0)
	v_mov_b32_e32 v33, 0
	v_mov_b32_e32 v32, 0
	s_and_saveexec_b64 s[16:17], s[14:15]
	s_cbranch_execz .LBB104_19
; %bb.18:                               ;   in Loop: Header=BB104_17 Depth=2
	v_lshlrev_b64 v[34:35], 1, v[8:9]
	v_add_co_u32_e64 v34, s[14:15], s59, v34
	v_addc_co_u32_e64 v35, s[14:15], v7, v35, s[14:15]
	global_load_ushort v32, v[34:35], off
.LBB104_19:                             ;   in Loop: Header=BB104_17 Depth=2
	s_or_b64 exec, exec, s[16:17]
	s_waitcnt vmcnt(0)
	v_add_u32_sdwa v34, sext(v4), s68 dst_sel:DWORD dst_unused:UNUSED_PAD src0_sel:WORD_0 src1_sel:DWORD
	v_and_b32_e32 v34, s3, v34
	v_cmp_eq_u32_e64 s[14:15], s0, v34
	s_cmp_lg_u64 s[14:15], 0
	s_cselect_b64 s[8:9], -1, 0
	s_and_b64 s[8:9], s[4:5], s[8:9]
	s_and_saveexec_b64 s[22:23], s[8:9]
	s_cbranch_execz .LBB104_23
; %bb.20:                               ;   in Loop: Header=BB104_17 Depth=2
	s_mov_b64 s[26:27], exec
	v_mbcnt_lo_u32_b32 v33, s26, 0
	v_mbcnt_hi_u32_b32 v33, s27, v33
	s_bcnt1_i32_b64 s8, s[14:15]
	v_cmp_eq_u32_e64 s[16:17], 0, v33
                                        ; implicit-def: $vgpr34
	s_and_saveexec_b64 s[24:25], s[16:17]
	s_cbranch_execz .LBB104_22
; %bb.21:                               ;   in Loop: Header=BB104_17 Depth=2
	s_bcnt1_i32_b64 s9, s[26:27]
	s_mul_i32 s9, s8, s9
	v_mov_b32_e32 v34, s9
	ds_add_rtn_u32 v34, v9, v34 offset:4112
.LBB104_22:                             ;   in Loop: Header=BB104_17 Depth=2
	s_or_b64 exec, exec, s[24:25]
	s_waitcnt lgkmcnt(0)
	v_readfirstlane_b32 s9, v34
	v_mov_b32_e32 v34, s9
	v_mad_u32_u24 v33, s8, v33, v34
.LBB104_23:                             ;   in Loop: Header=BB104_17 Depth=2
	s_or_b64 exec, exec, s[22:23]
	ds_bpermute_b32 v33, v20, v33
	s_and_b64 s[8:9], exec, vcc
	s_or_b64 s[20:21], s[8:9], s[20:21]
	s_and_saveexec_b64 s[16:17], s[14:15]
	s_cbranch_execz .LBB104_16
; %bb.24:                               ;   in Loop: Header=BB104_17 Depth=2
	v_and_b32_e32 v35, s14, v12
	v_and_b32_e32 v34, s15, v1
	v_bcnt_u32_b32 v35, v35, 0
	v_bcnt_u32_b32 v34, v34, v35
	v_lshlrev_b32_e32 v34, 1, v34
	s_waitcnt lgkmcnt(0)
	v_lshl_add_u32 v33, v33, 1, v34
	ds_write_b16 v33, v4
	s_branch .LBB104_16
.LBB104_25:                             ;   in Loop: Header=BB104_12 Depth=1
	s_mov_b64 s[14:15], 0
                                        ; implicit-def: $sgpr65
	s_cbranch_execnz .LBB104_30
	s_branch .LBB104_40
.LBB104_26:                             ;   in Loop: Header=BB104_12 Depth=1
	s_mov_b32 s65, 0
	s_and_b64 vcc, exec, s[18:19]
	s_cbranch_vccnz .LBB104_30
	s_branch .LBB104_40
.LBB104_27:                             ;   in Loop: Header=BB104_12 Depth=1
	s_or_b64 exec, exec, s[20:21]
	s_waitcnt lgkmcnt(0)
	s_barrier
	s_mov_b64 s[14:15], exec
	v_readlane_b32 s8, v48, 0
	v_readlane_b32 s9, v48, 1
	s_and_b64 s[8:9], s[14:15], s[8:9]
	s_mov_b64 exec, s[8:9]
	s_cbranch_execz .LBB104_29
; %bb.28:                               ;   in Loop: Header=BB104_12 Depth=1
	ds_read_b32 v2, v9 offset:4112
	s_waitcnt lgkmcnt(0)
	ds_write_b32 v9, v2 offset:4104
.LBB104_29:                             ;   in Loop: Header=BB104_12 Depth=1
	s_or_b64 exec, exec, s[14:15]
	s_waitcnt lgkmcnt(0)
	s_barrier
	s_mov_b64 s[14:15], -1
	s_mov_b32 s65, 0
	s_and_b64 vcc, exec, s[18:19]
	s_cbranch_vccz .LBB104_40
.LBB104_30:                             ;   in Loop: Header=BB104_12 Depth=1
	v_mov_b32_e32 v2, 0
	s_mov_b64 s[14:15], exec
	v_readlane_b32 s8, v48, 9
	v_readlane_b32 s9, v48, 10
	s_and_b64 s[8:9], s[14:15], s[8:9]
	s_mov_b64 exec, s[8:9]
	s_cbranch_execz .LBB104_32
; %bb.31:                               ;   in Loop: Header=BB104_12 Depth=1
	global_load_ushort v2, v[10:11], off
.LBB104_32:                             ;   in Loop: Header=BB104_12 Depth=1
	s_or_b64 exec, exec, s[14:15]
	s_mov_b64 s[16:17], exec
	v_readlane_b32 s8, v48, 9
	v_readlane_b32 s9, v48, 10
	s_and_b64 s[8:9], s[16:17], s[8:9]
	s_mov_b64 exec, s[8:9]
	s_cbranch_execz .LBB104_37
; %bb.33:                               ;   in Loop: Header=BB104_12 Depth=1
	v_readlane_b32 s8, v48, 16
	v_readlane_b32 s9, v48, 17
	s_mov_b64 s[18:19], 0
	v_mov_b32_e32 v4, v17
	v_mov_b32_e32 v33, v0
	s_nop 1
	global_load_ushort v3, v9, s[8:9]
	s_waitcnt vmcnt(0)
	v_add_u32_e32 v8, v0, v3
	v_lshlrev_b32_e32 v5, 1, v3
	v_mul_lo_u32 v32, s58, v3
	v_mul_lo_u32 v8, s58, v8
	s_branch .LBB104_35
.LBB104_34:                             ;   in Loop: Header=BB104_35 Depth=2
	s_or_b64 exec, exec, s[20:21]
	s_and_b64 s[8:9], exec, vcc
	s_or_b64 s[18:19], s[8:9], s[18:19]
	ds_write_b16 v4, v2
	v_add_u32_e32 v4, v4, v5
	v_add_u32_e32 v8, v8, v32
	s_waitcnt vmcnt(0)
	v_mov_b32_e32 v2, v34
	s_andn2_b64 exec, exec, s[18:19]
	s_cbranch_execz .LBB104_37
.LBB104_35:                             ;   Parent Loop BB104_12 Depth=1
                                        ; =>  This Inner Loop Header: Depth=2
	v_add_u32_e32 v33, v33, v3
	v_cmp_gt_u32_e64 s[14:15], s56, v33
	v_cmp_le_u32_e32 vcc, s56, v33
	v_mov_b32_e32 v34, 0
	s_and_saveexec_b64 s[20:21], s[14:15]
	s_cbranch_execz .LBB104_34
; %bb.36:                               ;   in Loop: Header=BB104_35 Depth=2
	v_lshlrev_b64 v[34:35], 1, v[8:9]
	v_mov_b32_e32 v36, s33
	v_add_co_u32_e64 v34, s[14:15], s59, v34
	v_addc_co_u32_e64 v35, s[14:15], v36, v35, s[14:15]
	global_load_ushort v34, v[34:35], off
	s_branch .LBB104_34
.LBB104_37:                             ;   in Loop: Header=BB104_12 Depth=1
	s_or_b64 exec, exec, s[16:17]
	s_waitcnt lgkmcnt(0)
	s_barrier
	s_mov_b64 s[14:15], exec
	v_readlane_b32 s8, v48, 0
	v_readlane_b32 s9, v48, 1
	s_and_b64 s[8:9], s[14:15], s[8:9]
	s_mov_b64 exec, s[8:9]
	s_cbranch_execz .LBB104_39
; %bb.38:                               ;   in Loop: Header=BB104_12 Depth=1
	s_waitcnt vmcnt(0)
	v_mov_b32_e32 v2, s56
	ds_write_b32 v9, v2 offset:4104
.LBB104_39:                             ;   in Loop: Header=BB104_12 Depth=1
	s_or_b64 exec, exec, s[14:15]
	s_mov_b64 s[14:15], -1
	s_waitcnt lgkmcnt(0)
	s_barrier
                                        ; implicit-def: $sgpr65
.LBB104_40:                             ;   in Loop: Header=BB104_12 Depth=1
	s_and_b64 vcc, exec, s[14:15]
	s_cbranch_vccz .LBB104_42
; %bb.41:                               ;   in Loop: Header=BB104_12 Depth=1
	s_waitcnt vmcnt(0)
	ds_read_b32 v2, v9 offset:4104
	s_waitcnt lgkmcnt(0)
	v_readfirstlane_b32 s65, v2
.LBB104_42:                             ;   in Loop: Header=BB104_12 Depth=1
	s_cmp_lt_i32 s65, 1
	s_cbranch_scc0 .LBB104_54
; %bb.43:                               ;   in Loop: Header=BB104_12 Depth=1
	s_waitcnt vmcnt(0)
	v_mov_b32_e32 v2, 0
	s_mov_b32 s48, 0
	v_mov_b32_e32 v3, 0
	v_mov_b32_e32 v4, v2
	;; [unrolled: 1-line block ×3, first 2 shown]
	s_mov_b64 s[44:45], exec
	v_readlane_b32 s8, v48, 30
	v_readlane_b32 s9, v48, 31
	s_and_b64 s[8:9], s[44:45], s[8:9]
	s_mov_b64 exec, s[8:9]
	s_cbranch_execz .LBB104_47
; %bb.44:                               ;   in Loop: Header=BB104_12 Depth=1
	s_and_b32 s49, s69, 0xfe
	s_mov_b64 s[46:47], 0
	s_mov_b32 s50, 0
	s_mov_b32 s51, 0
	;; [unrolled: 1-line block ×4, first 2 shown]
	v_mov_b32_e32 v32, v16
.LBB104_45:                             ;   Parent Loop BB104_12 Depth=1
                                        ; =>  This Inner Loop Header: Depth=2
	v_add_u32_e32 v8, s48, v25
	v_lshlrev_b64 v[2:3], 1, v[8:9]
	v_mov_b32_e32 v33, s33
	v_add_u32_e32 v8, s48, v22
	v_add_co_u32_e64 v2, s[14:15], s59, v2
	v_lshlrev_b64 v[4:5], 1, v[8:9]
	v_addc_co_u32_e64 v3, s[14:15], v33, v3, s[14:15]
	v_add_u32_e32 v8, s48, v23
	v_add_co_u32_e64 v4, s[14:15], s59, v4
	v_lshlrev_b64 v[34:35], 1, v[8:9]
	v_add_u32_e32 v8, s48, v24
	v_addc_co_u32_e64 v5, s[14:15], v33, v5, s[14:15]
	global_load_sshort v36, v[2:3], off
	v_lshlrev_b64 v[2:3], 1, v[8:9]
	global_load_sshort v8, v[4:5], off
	v_add_co_u32_e64 v4, s[14:15], s59, v34
	v_addc_co_u32_e64 v5, s[14:15], v33, v35, s[14:15]
	global_load_sshort v4, v[4:5], off
	v_add_co_u32_e64 v2, s[14:15], s59, v2
	v_addc_co_u32_e64 v3, s[14:15], v33, v3, s[14:15]
	global_load_sshort v2, v[2:3], off
	v_add_u32_e32 v32, s78, v32
	v_cmp_le_u32_e32 vcc, s72, v32
	s_add_i32 s48, s48, s75
	s_waitcnt vmcnt(3)
	v_add_u32_e32 v3, 0x8000, v36
	s_waitcnt vmcnt(2)
	v_add_u32_e32 v5, 0x8000, v8
	v_and_b32_e32 v8, s3, v3
	v_bfe_u32 v3, v3, s49, 2
	v_cmp_eq_u32_e64 s[14:15], s0, v8
	v_cmp_eq_u32_e64 s[16:17], 0, v3
	v_and_b32_e32 v8, s3, v5
	v_bfe_u32 v5, v5, s49, 2
	v_cmp_eq_u32_e64 s[18:19], 1, v3
	s_and_b64 s[8:9], s[14:15], s[16:17]
	v_cmp_eq_u32_e64 s[20:21], 2, v3
	v_cmp_eq_u32_e64 s[26:27], 0, v5
	v_cmp_eq_u32_e64 s[28:29], 1, v5
	v_cmp_eq_u32_e64 s[30:31], 2, v5
	v_cmp_eq_u32_e64 s[34:35], 3, v5
	v_cndmask_b32_e64 v5, 0, 1, s[8:9]
	s_and_b64 s[8:9], s[14:15], s[18:19]
	v_cmp_eq_u32_e64 s[22:23], 3, v3
	v_cmp_eq_u32_e64 s[24:25], s0, v8
	v_cndmask_b32_e64 v8, 0, 1, s[8:9]
	s_and_b64 s[8:9], s[14:15], s[20:21]
	s_waitcnt vmcnt(1)
	v_add_u32_e32 v4, 0x8000, v4
	v_cndmask_b32_e64 v33, 0, 1, s[8:9]
	s_and_b64 s[8:9], s[14:15], s[22:23]
	v_and_b32_e32 v3, s3, v4
	v_bfe_u32 v4, v4, s49, 2
	v_cndmask_b32_e64 v34, 0, 1, s[8:9]
	s_and_b64 s[8:9], s[24:25], s[26:27]
	v_cmp_eq_u32_e64 s[16:17], 0, v4
	v_cmp_eq_u32_e64 s[18:19], 1, v4
	;; [unrolled: 1-line block ×4, first 2 shown]
	v_cndmask_b32_e64 v4, 0, 1, s[8:9]
	s_and_b64 s[8:9], s[24:25], s[28:29]
	v_cmp_ne_u32_e64 s[36:37], 0, v5
	v_cndmask_b32_e64 v5, 0, 1, s[8:9]
	s_and_b64 s[8:9], s[24:25], s[30:31]
	s_waitcnt vmcnt(0)
	v_add_u32_e32 v2, 0x8000, v2
	v_cmp_eq_u32_e64 s[14:15], s0, v3
	v_cmp_ne_u32_e64 s[26:27], 0, v8
	v_cndmask_b32_e64 v8, 0, 1, s[8:9]
	s_and_b64 s[8:9], s[24:25], s[34:35]
	v_and_b32_e32 v3, s3, v2
	v_bfe_u32 v2, v2, s49, 2
	v_cmp_ne_u32_e64 s[28:29], 0, v33
	v_cndmask_b32_e64 v33, 0, 1, s[8:9]
	s_and_b64 s[8:9], s[14:15], s[16:17]
	v_cmp_eq_u32_e64 s[34:35], 0, v2
	v_cmp_eq_u32_e64 s[38:39], 1, v2
	;; [unrolled: 1-line block ×4, first 2 shown]
	v_cndmask_b32_e64 v2, 0, 1, s[8:9]
	s_and_b64 s[8:9], s[14:15], s[18:19]
	v_cmp_eq_u32_e64 s[24:25], s0, v3
	v_cndmask_b32_e64 v3, 0, 1, s[8:9]
	s_and_b64 s[8:9], s[14:15], s[20:21]
	s_bcnt1_i32_b64 s54, s[36:37]
	v_cmp_ne_u32_e64 s[36:37], 0, v4
	v_cndmask_b32_e64 v4, 0, 1, s[8:9]
	s_and_b64 s[8:9], s[14:15], s[22:23]
	v_cmp_ne_u32_e64 s[16:17], 0, v5
	v_cndmask_b32_e64 v5, 0, 1, s[8:9]
	s_and_b64 s[8:9], s[24:25], s[34:35]
	;; [unrolled: 3-line block ×3, first 2 shown]
	v_cmp_ne_u32_e64 s[30:31], 0, v34
	s_bcnt1_i32_b64 s26, s[26:27]
	s_bcnt1_i32_b64 s27, s[28:29]
	v_cmp_ne_u32_e64 s[18:19], 0, v8
	s_bcnt1_i32_b64 s29, s[16:17]
	v_cmp_ne_u32_e64 s[16:17], 0, v3
	v_cndmask_b32_e64 v3, 0, 1, s[8:9]
	s_and_b64 s[8:9], s[24:25], s[40:41]
	s_bcnt1_i32_b64 s28, s[30:31]
	v_cmp_ne_u32_e64 s[20:21], 0, v33
	s_bcnt1_i32_b64 s30, s[18:19]
	v_cmp_ne_u32_e64 s[18:19], 0, v4
	v_cndmask_b32_e64 v4, 0, 1, s[8:9]
	s_and_b64 s[8:9], s[24:25], s[42:43]
	s_bcnt1_i32_b64 s22, s[36:37]
	s_add_i32 s23, s53, s54
	s_add_i32 s26, s52, s26
	;; [unrolled: 1-line block ×3, first 2 shown]
	s_bcnt1_i32_b64 s31, s[20:21]
	v_cmp_ne_u32_e64 s[20:21], 0, v5
	v_cndmask_b32_e64 v5, 0, 1, s[8:9]
	s_add_i32 s8, s50, s28
	s_bcnt1_i32_b64 s9, s[14:15]
	v_cmp_ne_u32_e64 s[14:15], 0, v2
	s_add_i32 s22, s23, s22
	s_bcnt1_i32_b64 s23, s[16:17]
	v_cmp_ne_u32_e64 s[16:17], 0, v3
	;; [unrolled: 3-line block ×4, first 2 shown]
	s_add_i32 s8, s8, s31
	s_bcnt1_i32_b64 s14, s[14:15]
	s_add_i32 s9, s22, s9
	s_bcnt1_i32_b64 s15, s[16:17]
	;; [unrolled: 2-line block ×4, first 2 shown]
	s_add_i32 s8, s8, s27
	s_add_i32 s53, s9, s14
	;; [unrolled: 1-line block ×5, first 2 shown]
	s_or_b64 s[46:47], vcc, s[46:47]
	v_mov_b32_e32 v2, s53
	v_mov_b32_e32 v3, s52
	;; [unrolled: 1-line block ×4, first 2 shown]
	s_andn2_b64 exec, exec, s[46:47]
	s_cbranch_execnz .LBB104_45
; %bb.46:                               ;   in Loop: Header=BB104_12 Depth=1
	s_or_b64 exec, exec, s[46:47]
.LBB104_47:                             ;   in Loop: Header=BB104_12 Depth=1
	s_or_b64 exec, exec, s[44:45]
	v_mov_b32_e32 v32, 0
	s_and_saveexec_b64 s[14:15], s[10:11]
	s_cbranch_execz .LBB104_49
; %bb.48:                               ;   in Loop: Header=BB104_12 Depth=1
	global_load_ushort v32, v[14:15], off
.LBB104_49:                             ;   in Loop: Header=BB104_12 Depth=1
	s_or_b64 exec, exec, s[14:15]
	s_mov_b64 s[16:17], 0
	s_mov_b64 s[60:61], 0
	s_and_saveexec_b64 s[18:19], s[10:11]
	s_cbranch_execz .LBB104_56
; %bb.50:                               ;   in Loop: Header=BB104_12 Depth=1
	s_and_b32 s8, s69, 0xfe
	s_mov_b64 s[20:21], 0
	v_mov_b32_e32 v8, v26
	v_mov_b32_e32 v33, v21
	s_branch .LBB104_52
.LBB104_51:                             ;   in Loop: Header=BB104_52 Depth=2
	s_or_b64 exec, exec, s[22:23]
	s_waitcnt vmcnt(0)
	v_add_u32_sdwa v32, sext(v32), s68 dst_sel:DWORD dst_unused:UNUSED_PAD src0_sel:WORD_0 src1_sel:DWORD
	s_and_b64 s[14:15], exec, vcc
	v_and_b32_e32 v35, s3, v32
	v_bfe_u32 v32, v32, s8, 2
	s_or_b64 s[20:21], s[14:15], s[20:21]
	v_cmp_eq_u32_e32 vcc, s0, v35
	v_cmp_eq_u32_e64 s[14:15], 0, v32
	s_and_b64 s[14:15], vcc, s[14:15]
	v_cndmask_b32_e64 v35, 0, 1, s[14:15]
	v_cmp_ne_u32_e64 s[14:15], 0, v35
	s_bcnt1_i32_b64 s9, s[14:15]
	v_cmp_eq_u32_e64 s[14:15], 1, v32
	s_and_b64 s[14:15], vcc, s[14:15]
	v_cndmask_b32_e64 v35, 0, 1, s[14:15]
	v_cmp_ne_u32_e64 s[14:15], 0, v35
	v_add_u32_e32 v2, s9, v2
	s_bcnt1_i32_b64 s9, s[14:15]
	v_cmp_eq_u32_e64 s[14:15], 2, v32
	s_and_b64 s[14:15], vcc, s[14:15]
	v_cndmask_b32_e64 v35, 0, 1, s[14:15]
	v_cmp_ne_u32_e64 s[14:15], 0, v35
	v_add_u32_e32 v3, s9, v3
	s_bcnt1_i32_b64 s9, s[14:15]
	v_cmp_eq_u32_e64 s[14:15], 3, v32
	s_and_b64 s[14:15], vcc, s[14:15]
	v_cndmask_b32_e64 v32, 0, 1, s[14:15]
	v_cmp_ne_u32_e32 vcc, 0, v32
	v_add_u32_e32 v4, s9, v4
	s_bcnt1_i32_b64 s9, vcc
	v_add_u32_e32 v5, s9, v5
	v_add_u32_e32 v8, s80, v8
	v_mov_b32_e32 v32, v34
	s_andn2_b64 exec, exec, s[20:21]
	s_cbranch_execz .LBB104_55
.LBB104_52:                             ;   Parent Loop BB104_12 Depth=1
                                        ; =>  This Inner Loop Header: Depth=2
	v_add_u32_e32 v33, s57, v33
	v_cmp_gt_u32_e64 s[14:15], s56, v33
	v_cmp_le_u32_e32 vcc, s56, v33
	v_mov_b32_e32 v34, 0
	s_and_saveexec_b64 s[22:23], s[14:15]
	s_cbranch_execz .LBB104_51
; %bb.53:                               ;   in Loop: Header=BB104_52 Depth=2
	v_lshlrev_b64 v[34:35], 1, v[8:9]
	v_mov_b32_e32 v36, s33
	v_add_co_u32_e64 v34, s[14:15], s59, v34
	v_addc_co_u32_e64 v35, s[14:15], v36, v35, s[14:15]
	global_load_ushort v34, v[34:35], off
	s_branch .LBB104_51
.LBB104_54:                             ;   in Loop: Header=BB104_12 Depth=1
	s_mov_b64 s[60:61], 0
                                        ; implicit-def: $vgpr5
	s_cbranch_execnz .LBB104_57
	s_branch .LBB104_66
.LBB104_55:                             ;   in Loop: Header=BB104_12 Depth=1
	s_or_b64 exec, exec, s[20:21]
	s_mov_b64 s[60:61], exec
.LBB104_56:                             ;   in Loop: Header=BB104_12 Depth=1
	s_or_b64 exec, exec, s[18:19]
	s_and_b64 vcc, exec, s[16:17]
	s_cbranch_vccz .LBB104_66
.LBB104_57:                             ;   in Loop: Header=BB104_12 Depth=1
	s_mul_hi_u32 s8, s65, s79
	s_mul_i32 s8, s8, s78
	s_sub_i32 s8, s65, s8
	s_sub_i32 s9, s8, s78
	s_cmp_ge_u32 s8, s78
	s_cselect_b32 s8, s9, s8
	s_sub_i32 s9, s8, s78
	s_cmp_ge_u32 s8, s78
	s_cselect_b32 s8, s9, s8
	s_sub_i32 s81, s65, s8
	v_cmp_gt_u32_e32 vcc, s81, v16
	s_mov_b32 s70, 0
	s_waitcnt vmcnt(0)
	v_mov_b32_e32 v2, 0
	v_mov_b32_e32 v3, 0
	;; [unrolled: 1-line block ×4, first 2 shown]
	s_and_saveexec_b64 s[62:63], vcc
	s_cbranch_execz .LBB104_61
; %bb.58:                               ;   in Loop: Header=BB104_12 Depth=1
	s_and_b32 s73, s69, 0xfe
	s_mov_b64 s[76:77], 0
	v_mov_b32_e32 v8, v27
	s_mov_b32 s71, 0
	s_mov_b32 s8, 0
	;; [unrolled: 1-line block ×3, first 2 shown]
	v_mov_b32_e32 v32, v16
.LBB104_59:                             ;   Parent Loop BB104_12 Depth=1
                                        ; =>  This Inner Loop Header: Depth=2
	ds_read_b64 v[2:3], v8
	v_add_u32_e32 v32, s78, v32
	v_cmp_le_u32_e32 vcc, s81, v32
	v_add_u32_e32 v8, s12, v8
	s_waitcnt lgkmcnt(0)
	v_add_u32_sdwa v4, sext(v2), s68 dst_sel:DWORD dst_unused:UNUSED_PAD src0_sel:WORD_0 src1_sel:DWORD
	v_add_u32_sdwa v2, sext(v2), s68 dst_sel:DWORD dst_unused:UNUSED_PAD src0_sel:WORD_1 src1_sel:DWORD
	v_and_b32_e32 v33, s3, v4
	v_bfe_u32 v4, v4, s73, 2
	v_add_u32_sdwa v5, sext(v3), s68 dst_sel:DWORD dst_unused:UNUSED_PAD src0_sel:WORD_0 src1_sel:DWORD
	v_and_b32_e32 v34, s3, v2
	v_bfe_u32 v2, v2, s73, 2
	v_cmp_eq_u32_e64 s[14:15], s0, v33
	v_cmp_eq_u32_e64 s[22:23], 0, v4
	v_add_u32_sdwa v3, sext(v3), s68 dst_sel:DWORD dst_unused:UNUSED_PAD src0_sel:WORD_1 src1_sel:DWORD
	v_and_b32_e32 v35, s3, v5
	v_bfe_u32 v5, v5, s73, 2
	v_cmp_eq_u32_e64 s[16:17], s0, v34
	v_cmp_eq_u32_e64 s[24:25], 0, v2
	s_and_b64 s[22:23], s[14:15], s[22:23]
	v_and_b32_e32 v36, s3, v3
	v_bfe_u32 v3, v3, s73, 2
	v_cmp_eq_u32_e64 s[18:19], s0, v35
	v_cmp_eq_u32_e64 s[26:27], 0, v5
	;; [unrolled: 1-line block ×5, first 2 shown]
	v_cndmask_b32_e64 v2, 0, 1, s[22:23]
	s_and_b64 s[22:23], s[16:17], s[24:25]
	v_cmp_eq_u32_e64 s[20:21], s0, v36
	v_cmp_eq_u32_e64 s[28:29], 0, v3
	;; [unrolled: 1-line block ×5, first 2 shown]
	v_cndmask_b32_e64 v3, 0, 1, s[22:23]
	s_and_b64 s[22:23], s[18:19], s[26:27]
	v_cmp_eq_u32_e64 s[30:31], 1, v4
	v_cmp_eq_u32_e64 s[40:41], 2, v4
	;; [unrolled: 1-line block ×3, first 2 shown]
	v_cndmask_b32_e64 v4, 0, 1, s[22:23]
	s_and_b64 s[22:23], s[20:21], s[28:29]
	v_cmp_eq_u32_e64 s[36:37], 1, v5
	v_cmp_eq_u32_e64 s[44:45], 2, v5
	;; [unrolled: 1-line block ×3, first 2 shown]
	v_cndmask_b32_e64 v5, 0, 1, s[22:23]
	s_and_b64 s[22:23], s[14:15], s[30:31]
	v_cndmask_b32_e64 v33, 0, 1, s[22:23]
	s_and_b64 s[22:23], s[16:17], s[34:35]
	;; [unrolled: 2-line block ×5, first 2 shown]
	s_and_b64 s[14:15], s[14:15], s[48:49]
	v_cndmask_b32_e64 v37, 0, 1, s[22:23]
	s_and_b64 s[22:23], s[16:17], s[42:43]
	v_cndmask_b32_e64 v41, 0, 1, s[14:15]
	;; [unrolled: 2-line block ×7, first 2 shown]
	v_cndmask_b32_e64 v44, 0, 1, s[14:15]
	v_cmp_ne_u32_e64 s[14:15], 0, v2
	v_cmp_ne_u32_e64 s[16:17], 0, v3
	;; [unrolled: 1-line block ×11, first 2 shown]
	s_bcnt1_i32_b64 s14, s[14:15]
	s_bcnt1_i32_b64 s15, s[16:17]
	;; [unrolled: 1-line block ×8, first 2 shown]
	v_cmp_ne_u32_e64 s[28:29], 0, v36
	v_cmp_ne_u32_e64 s[36:37], 0, v39
	;; [unrolled: 1-line block ×3, first 2 shown]
	s_bcnt1_i32_b64 s19, s[24:25]
	s_bcnt1_i32_b64 s23, s[34:35]
	;; [unrolled: 1-line block ×3, first 2 shown]
	s_add_i32 s9, s9, s14
	s_add_i32 s8, s8, s18
	;; [unrolled: 1-line block ×4, first 2 shown]
	v_cmp_ne_u32_e64 s[38:39], 0, v40
	v_cmp_ne_u32_e64 s[46:47], 0, v44
	s_bcnt1_i32_b64 s21, s[28:29]
	s_bcnt1_i32_b64 s24, s[36:37]
	;; [unrolled: 1-line block ×3, first 2 shown]
	s_add_i32 s9, s9, s15
	s_add_i32 s8, s8, s19
	;; [unrolled: 1-line block ×4, first 2 shown]
	s_bcnt1_i32_b64 s25, s[38:39]
	s_bcnt1_i32_b64 s29, s[46:47]
	s_add_i32 s9, s9, s16
	s_add_i32 s8, s8, s20
	s_add_i32 s14, s14, s24
	s_add_i32 s15, s15, s28
	s_add_i32 s9, s9, s17
	s_add_i32 s8, s8, s21
	s_add_i32 s71, s14, s25
	s_add_i32 s70, s15, s29
	s_or_b64 s[76:77], vcc, s[76:77]
	v_mov_b32_e32 v2, s9
	v_mov_b32_e32 v3, s8
	v_mov_b32_e32 v4, s71
	v_mov_b32_e32 v5, s70
	s_andn2_b64 exec, exec, s[76:77]
	s_cbranch_execnz .LBB104_59
; %bb.60:                               ;   in Loop: Header=BB104_12 Depth=1
	s_or_b64 exec, exec, s[76:77]
.LBB104_61:                             ;   in Loop: Header=BB104_12 Depth=1
	s_or_b64 exec, exec, s[62:63]
	v_add_u32_e32 v8, s81, v0
	v_cmp_gt_u32_e32 vcc, s65, v8
	s_and_saveexec_b64 s[24:25], vcc
	s_cbranch_execz .LBB104_65
; %bb.62:                               ;   in Loop: Header=BB104_12 Depth=1
	s_and_b32 s8, s69, 0xfe
	v_lshlrev_b32_e32 v32, 1, v8
	s_mov_b64 s[26:27], 0
.LBB104_63:                             ;   Parent Loop BB104_12 Depth=1
                                        ; =>  This Inner Loop Header: Depth=2
	ds_read_i16 v33, v32
	v_add_u32_e32 v8, s57, v8
	v_cmp_le_u32_e32 vcc, s65, v8
	v_add_u32_e32 v32, s13, v32
	s_waitcnt lgkmcnt(0)
	v_add_u32_e32 v33, 0x8000, v33
	v_and_b32_e32 v34, s3, v33
	v_bfe_u32 v33, v33, s8, 2
	v_cmp_eq_u32_e64 s[14:15], s0, v34
	v_cmp_eq_u32_e64 s[16:17], 0, v33
	;; [unrolled: 1-line block ×3, first 2 shown]
	s_and_b64 s[16:17], s[14:15], s[16:17]
	v_cmp_eq_u32_e64 s[20:21], 2, v33
	v_cmp_eq_u32_e64 s[22:23], 3, v33
	v_cndmask_b32_e64 v33, 0, 1, s[16:17]
	s_and_b64 s[16:17], s[14:15], s[18:19]
	v_cndmask_b32_e64 v34, 0, 1, s[16:17]
	s_and_b64 s[16:17], s[14:15], s[20:21]
	s_and_b64 s[14:15], s[14:15], s[22:23]
	v_cndmask_b32_e64 v35, 0, 1, s[16:17]
	v_cndmask_b32_e64 v36, 0, 1, s[14:15]
	v_cmp_ne_u32_e64 s[14:15], 0, v33
	v_cmp_ne_u32_e64 s[16:17], 0, v34
	;; [unrolled: 1-line block ×4, first 2 shown]
	s_bcnt1_i32_b64 s9, s[14:15]
	s_bcnt1_i32_b64 s14, s[16:17]
	;; [unrolled: 1-line block ×4, first 2 shown]
	v_add_u32_e32 v2, s9, v2
	v_add_u32_e32 v3, s14, v3
	;; [unrolled: 1-line block ×3, first 2 shown]
	s_or_b64 s[26:27], vcc, s[26:27]
	v_add_u32_e32 v5, s16, v5
	s_andn2_b64 exec, exec, s[26:27]
	s_cbranch_execnz .LBB104_63
; %bb.64:                               ;   in Loop: Header=BB104_12 Depth=1
	s_or_b64 exec, exec, s[26:27]
	s_or_b64 s[60:61], s[60:61], exec
.LBB104_65:                             ;   in Loop: Header=BB104_12 Depth=1
	s_or_b64 exec, exec, s[24:25]
.LBB104_66:                             ;   in Loop: Header=BB104_12 Depth=1
	s_and_saveexec_b64 s[14:15], s[60:61]
	s_or_b64 exec, exec, s[14:15]
	s_lshl_b32 s8, s2, 6
	s_and_saveexec_b64 s[14:15], s[4:5]
	s_cbranch_execz .LBB104_68
; %bb.67:                               ;   in Loop: Header=BB104_12 Depth=1
	v_or_b32_e32 v8, s8, v19
	v_lshlrev_b32_e32 v8, 2, v8
	s_waitcnt vmcnt(0)
	ds_write_b128 v8, v[2:5] offset:3072
.LBB104_68:                             ;   in Loop: Header=BB104_12 Depth=1
	s_or_b64 exec, exec, s[14:15]
	s_waitcnt lgkmcnt(0)
	s_barrier
	s_and_saveexec_b64 s[14:15], s[66:67]
	s_cbranch_execz .LBB104_82
; %bb.69:                               ;   in Loop: Header=BB104_12 Depth=1
	v_readlane_b32 s16, v48, 14
	v_readlane_b32 s17, v48, 15
	v_add_u32_e32 v4, s8, v13
	s_andn2_b64 vcc, exec, s[16:17]
	s_waitcnt vmcnt(0)
	v_mov_b32_e32 v2, 0
	s_cbranch_vccnz .LBB104_81
; %bb.70:                               ;   in Loop: Header=BB104_12 Depth=1
	v_readlane_b32 s16, v48, 18
	v_readlane_b32 s17, v48, 19
	s_mov_b32 s9, 0
	s_and_b64 vcc, exec, s[16:17]
	v_mov_b32_e32 v2, 0
	s_cbranch_vccz .LBB104_74
; %bb.71:                               ;   in Loop: Header=BB104_12 Depth=1
	v_readlane_b32 s16, v48, 20
	v_readlane_b32 s17, v48, 21
	v_lshl_add_u32 v5, v4, 2, v29
	s_andn2_b64 vcc, exec, s[16:17]
	s_cbranch_vccnz .LBB104_75
; %bb.72:                               ;   in Loop: Header=BB104_12 Depth=1
	s_mov_b32 s17, 1
	s_mov_b32 s16, 0
	v_mov_b32_e32 v2, 0
	v_readlane_b32 s9, v48, 22
	v_mov_b32_e32 v3, 0
.LBB104_73:                             ;   Parent Loop BB104_12 Depth=1
                                        ; =>  This Inner Loop Header: Depth=2
	v_lshl_add_u32 v8, s16, 4, v5
	v_lshl_add_u32 v46, s17, 4, v5
	ds_read2_b32 v[32:33], v8 offset1:8
	ds_read2_b32 v[34:35], v46 offset1:8
	ds_read2_b32 v[36:37], v8 offset0:16 offset1:24
	ds_read2_b32 v[38:39], v46 offset0:16 offset1:24
	;; [unrolled: 1-line block ×6, first 2 shown]
	s_waitcnt lgkmcnt(7)
	v_add3_u32 v2, v32, v2, v33
	s_waitcnt lgkmcnt(6)
	v_add3_u32 v3, v34, v3, v35
	;; [unrolled: 2-line block ×3, first 2 shown]
	v_add3_u32 v2, v36, v2, v37
	s_add_i32 s17, s17, 16
	s_add_i32 s16, s16, 16
	s_add_i32 s9, s9, -8
	s_waitcnt lgkmcnt(3)
	v_add3_u32 v2, v40, v2, v41
	s_waitcnt lgkmcnt(2)
	v_add3_u32 v3, v42, v3, v43
	s_cmp_lg_u32 s9, 0
	s_waitcnt lgkmcnt(0)
	v_add3_u32 v3, v46, v3, v47
	v_add3_u32 v2, v44, v2, v45
	s_cbranch_scc1 .LBB104_73
	s_branch .LBB104_76
.LBB104_74:                             ;   in Loop: Header=BB104_12 Depth=1
	s_cbranch_execnz .LBB104_79
	s_branch .LBB104_81
.LBB104_75:                             ;   in Loop: Header=BB104_12 Depth=1
	s_mov_b32 s65, s64
	v_pk_mov_b32 v[2:3], s[64:65], s[64:65] op_sel:[0,1]
	s_mov_b32 s65, 1
	s_mov_b64 s[16:17], s[64:65]
.LBB104_76:                             ;   in Loop: Header=BB104_12 Depth=1
	v_readlane_b32 s18, v48, 24
	v_readlane_b32 s19, v48, 25
	s_andn2_b64 vcc, exec, s[18:19]
	v_readlane_b32 s9, v48, 23
	s_cbranch_vccnz .LBB104_78
.LBB104_77:                             ;   Parent Loop BB104_12 Depth=1
                                        ; =>  This Inner Loop Header: Depth=2
	v_lshl_add_u32 v8, s16, 4, v5
	v_lshl_add_u32 v32, s17, 4, v5
	ds_read_b32 v32, v32
	ds_read_b32 v8, v8
	s_add_i32 s17, s17, 2
	s_add_i32 s16, s16, 2
	s_add_i32 s9, s9, -1
	s_cmp_lg_u32 s9, 0
	s_waitcnt lgkmcnt(1)
	v_add_u32_e32 v3, v32, v3
	s_waitcnt lgkmcnt(0)
	v_add_u32_e32 v2, v8, v2
	s_cbranch_scc1 .LBB104_77
.LBB104_78:                             ;   in Loop: Header=BB104_12 Depth=1
	v_readlane_b32 s16, v48, 28
	v_add_u32_e32 v2, v2, v3
	v_readlane_b32 s9, v48, 27
	v_readlane_b32 s17, v48, 29
	s_and_b64 vcc, exec, s[16:17]
	s_cbranch_vccz .LBB104_81
.LBB104_79:                             ;   in Loop: Header=BB104_12 Depth=1
	s_lshl_b32 s16, s2, 8
	s_lshl_b32 s17, s9, 4
	s_add_i32 s16, s16, s17
	v_add_u32_e32 v3, s16, v28
	v_readlane_b32 s16, v48, 26
	s_sub_i32 s9, s16, s9
.LBB104_80:                             ;   Parent Loop BB104_12 Depth=1
                                        ; =>  This Inner Loop Header: Depth=2
	ds_read_b32 v5, v3
	s_add_i32 s9, s9, -1
	v_add_u32_e32 v3, 16, v3
	s_cmp_eq_u32 s9, 0
	s_waitcnt lgkmcnt(0)
	v_add_u32_e32 v2, v5, v2
	s_cbranch_scc0 .LBB104_80
.LBB104_81:                             ;   in Loop: Header=BB104_12 Depth=1
	v_lshlrev_b32_e32 v3, 2, v4
	ds_write_b32 v3, v2 offset:3072
.LBB104_82:                             ;   in Loop: Header=BB104_12 Depth=1
	s_or_b64 exec, exec, s[14:15]
	s_lshl_b32 s8, s8, 2
	s_waitcnt vmcnt(0)
	v_mov_b32_e32 v2, s8
	s_waitcnt lgkmcnt(0)
	s_barrier
	ds_read_b128 v[2:5], v2 offset:3072
	s_and_b32 s43, s69, 0xfe
	s_lshl_b32 s51, 3, s43
	s_not_b32 s44, s51
	s_mov_b64 s[18:19], -1
	s_waitcnt lgkmcnt(0)
	v_readfirstlane_b32 s28, v2
	s_cmp_eq_u32 s28, 1
	s_cselect_b64 s[8:9], -1, 0
	s_cmp_eq_u32 s1, 1
	s_cselect_b64 s[14:15], -1, 0
	s_and_b64 s[20:21], s[8:9], s[14:15]
	v_readfirstlane_b32 s34, v3
	v_readfirstlane_b32 s42, v4
	;; [unrolled: 1-line block ×3, first 2 shown]
	s_and_b64 vcc, exec, s[20:21]
	s_cbranch_vccz .LBB104_94
; %bb.83:                               ;   in Loop: Header=BB104_12 Depth=1
	ds_read_b32 v2, v9 offset:4104
	s_waitcnt lgkmcnt(0)
	s_barrier
	v_readfirstlane_b32 s8, v2
	s_and_saveexec_b64 s[14:15], s[6:7]
	s_cbranch_execz .LBB104_85
; %bb.84:                               ;   in Loop: Header=BB104_12 Depth=1
	ds_write_b16 v18, v9
.LBB104_85:                             ;   in Loop: Header=BB104_12 Depth=1
	s_or_b64 exec, exec, s[14:15]
	s_and_b32 s0, s0, s44
	s_or_b32 s3, s3, s51
	s_cmp_eq_u32 s8, 0
	s_waitcnt lgkmcnt(0)
	s_barrier
	s_cbranch_scc1 .LBB104_95
; %bb.86:                               ;   in Loop: Header=BB104_12 Depth=1
	v_readlane_b32 s9, v48, 11
	s_add_i32 s9, s8, s9
	v_readlane_b32 s14, v48, 32
	s_mul_hi_u32 s14, s9, s14
	s_mul_i32 s14, s14, s57
	s_sub_i32 s14, s9, s14
	s_sub_i32 s15, s14, s57
	s_cmp_ge_u32 s14, s57
	s_cselect_b32 s14, s15, s14
	s_sub_i32 s15, s14, s57
	s_cmp_ge_u32 s14, s57
	s_cselect_b32 s14, s15, s14
	s_sub_i32 s9, s9, s14
	v_cmp_gt_u32_e32 vcc, s9, v0
	s_mov_b64 s[14:15], 0
                                        ; implicit-def: $vgpr31
	s_and_saveexec_b64 s[16:17], vcc
	s_cbranch_execz .LBB104_97
; %bb.87:                               ;   in Loop: Header=BB104_12 Depth=1
	s_mov_b64 s[22:23], 0
	v_mov_b32_e32 v2, v17
	v_mov_b32_e32 v3, v0
                                        ; implicit-def: $sgpr24_sgpr25
	s_branch .LBB104_89
.LBB104_88:                             ;   in Loop: Header=BB104_89 Depth=2
	s_or_b64 exec, exec, s[14:15]
	s_waitcnt lgkmcnt(0)
	s_barrier
	ds_read_b32 v4, v9 offset:3072
	v_add_u32_e32 v3, s57, v3
	v_cmp_le_u32_e64 s[14:15], s9, v3
	v_add_u32_e32 v2, s13, v2
	s_waitcnt lgkmcnt(0)
	v_cmp_ne_u16_e32 vcc, 0, v4
	s_or_b64 s[14:15], s[14:15], vcc
	s_and_b64 s[14:15], exec, s[14:15]
	s_or_b64 s[22:23], s[14:15], s[22:23]
	s_andn2_b64 s[14:15], s[24:25], exec
	s_and_b64 s[24:25], vcc, exec
	s_or_b64 s[24:25], s[14:15], s[24:25]
	s_barrier
	s_andn2_b64 exec, exec, s[22:23]
	s_cbranch_execz .LBB104_96
.LBB104_89:                             ;   Parent Loop BB104_12 Depth=1
                                        ; =>  This Inner Loop Header: Depth=2
	v_cmp_gt_u32_e32 vcc, s8, v3
	v_mov_b32_e32 v4, 0
	s_and_saveexec_b64 s[14:15], vcc
	s_cbranch_execz .LBB104_91
; %bb.90:                               ;   in Loop: Header=BB104_89 Depth=2
	ds_read_u16 v4, v2
.LBB104_91:                             ;   in Loop: Header=BB104_89 Depth=2
	s_or_b64 exec, exec, s[14:15]
	s_and_saveexec_b64 s[14:15], vcc
	s_cbranch_execz .LBB104_88
; %bb.92:                               ;   in Loop: Header=BB104_89 Depth=2
	s_waitcnt lgkmcnt(0)
	v_add_u32_sdwa v5, sext(v4), s68 dst_sel:DWORD dst_unused:UNUSED_PAD src0_sel:WORD_0 src1_sel:DWORD
	v_and_b32_e32 v5, s3, v5
	v_cmp_eq_u32_e32 vcc, s0, v5
	s_and_b64 exec, exec, vcc
	s_cbranch_execz .LBB104_88
; %bb.93:                               ;   in Loop: Header=BB104_89 Depth=2
	v_perm_b32 v4, v4, 1, v30
	ds_write_b32 v9, v4 offset:3072
	s_branch .LBB104_88
.LBB104_94:                             ;   in Loop: Header=BB104_12 Depth=1
	s_mov_b64 s[14:15], -1
                                        ; implicit-def: $sgpr16_sgpr17
                                        ; implicit-def: $sgpr24_sgpr25
                                        ; implicit-def: $sgpr22_sgpr23
	s_branch .LBB104_108
.LBB104_95:                             ;   in Loop: Header=BB104_12 Depth=1
	s_mov_b64 s[16:17], -1
	s_mov_b64 s[14:15], 0
                                        ; implicit-def: $sgpr22_sgpr23
                                        ; implicit-def: $vgpr31
	s_mov_b64 s[24:25], s[16:17]
	s_cbranch_execnz .LBB104_98
	s_branch .LBB104_108
.LBB104_96:                             ;   in Loop: Header=BB104_12 Depth=1
	s_or_b64 exec, exec, s[22:23]
	v_lshrrev_b32_e32 v31, 16, v4
	s_and_b64 s[14:15], s[24:25], exec
.LBB104_97:                             ;   in Loop: Header=BB104_12 Depth=1
	s_or_b64 exec, exec, s[16:17]
	s_mov_b64 s[22:23], -1
	s_mov_b64 s[16:17], 0
	s_mov_b64 s[24:25], s[16:17]
	s_branch .LBB104_108
.LBB104_98:                             ;   in Loop: Header=BB104_12 Depth=1
	s_mov_b64 s[14:15], 0
                                        ; implicit-def: $vgpr31
	s_mov_b64 s[16:17], exec
	v_readlane_b32 s8, v48, 33
	v_readlane_b32 s9, v48, 34
	s_and_b64 s[8:9], s[16:17], s[8:9]
	s_mov_b64 exec, s[8:9]
	s_cbranch_execz .LBB104_107
; %bb.99:                               ;   in Loop: Header=BB104_12 Depth=1
	s_mov_b64 s[22:23], 0
	v_mov_b32_e32 v8, v6
	v_mov_b32_e32 v2, v0
                                        ; implicit-def: $sgpr24_sgpr25
	s_branch .LBB104_101
.LBB104_100:                            ;   in Loop: Header=BB104_101 Depth=2
	s_or_b64 exec, exec, s[14:15]
	s_waitcnt lgkmcnt(0)
	s_barrier
	s_waitcnt vmcnt(0)
	ds_read_b32 v3, v9 offset:3072
	v_add_u32_e32 v2, s57, v2
	v_cmp_le_u32_e64 s[14:15], s74, v2
	v_add_u32_e32 v8, s80, v8
	s_waitcnt lgkmcnt(0)
	v_cmp_ne_u16_e32 vcc, 0, v3
	s_or_b64 s[8:9], s[14:15], vcc
	s_and_b64 s[8:9], exec, s[8:9]
	s_or_b64 s[22:23], s[8:9], s[22:23]
	s_andn2_b64 s[8:9], s[24:25], exec
	s_and_b64 s[14:15], vcc, exec
	s_or_b64 s[24:25], s[8:9], s[14:15]
	s_barrier
	s_andn2_b64 exec, exec, s[22:23]
	s_cbranch_execz .LBB104_106
.LBB104_101:                            ;   Parent Loop BB104_12 Depth=1
                                        ; =>  This Inner Loop Header: Depth=2
	v_cmp_gt_u32_e32 vcc, s56, v2
	v_mov_b32_e32 v3, 0
	s_and_saveexec_b64 s[26:27], vcc
	s_cbranch_execz .LBB104_103
; %bb.102:                              ;   in Loop: Header=BB104_101 Depth=2
	v_lshlrev_b64 v[4:5], 1, v[8:9]
	v_mov_b32_e32 v3, s33
	v_add_co_u32_e64 v4, s[14:15], s59, v4
	v_addc_co_u32_e64 v5, s[14:15], v3, v5, s[14:15]
	global_load_ushort v3, v[4:5], off
.LBB104_103:                            ;   in Loop: Header=BB104_101 Depth=2
	s_or_b64 exec, exec, s[26:27]
	s_and_saveexec_b64 s[14:15], vcc
	s_cbranch_execz .LBB104_100
; %bb.104:                              ;   in Loop: Header=BB104_101 Depth=2
	s_waitcnt vmcnt(0)
	v_add_u32_sdwa v4, sext(v3), s68 dst_sel:DWORD dst_unused:UNUSED_PAD src0_sel:WORD_0 src1_sel:DWORD
	v_and_b32_e32 v4, s3, v4
	v_cmp_eq_u32_e32 vcc, s0, v4
	s_and_b64 exec, exec, vcc
	s_cbranch_execz .LBB104_100
; %bb.105:                              ;   in Loop: Header=BB104_101 Depth=2
	v_perm_b32 v3, v3, 1, v30
	ds_write_b32 v9, v3 offset:3072
	s_branch .LBB104_100
.LBB104_106:                            ;   in Loop: Header=BB104_12 Depth=1
	s_or_b64 exec, exec, s[22:23]
	v_lshrrev_b32_e32 v31, 16, v3
	s_and_b64 s[14:15], s[24:25], exec
.LBB104_107:                            ;   in Loop: Header=BB104_12 Depth=1
	s_or_b64 exec, exec, s[16:17]
	s_mov_b64 s[24:25], -1
	s_mov_b64 s[16:17], 0
	s_mov_b64 s[22:23], 0
.LBB104_108:                            ;   in Loop: Header=BB104_12 Depth=1
	s_andn2_b64 s[8:9], s[94:95], exec
	s_and_b64 s[16:17], s[16:17], exec
	s_or_b64 s[94:95], s[8:9], s[16:17]
	s_andn2_b64 s[8:9], s[92:93], exec
	s_and_b64 s[16:17], s[24:25], exec
	s_or_b64 s[92:93], s[8:9], s[16:17]
	;; [unrolled: 3-line block ×3, first 2 shown]
	s_and_saveexec_b64 s[16:17], s[14:15]
	s_cbranch_execz .LBB104_11
; %bb.109:                              ;   in Loop: Header=BB104_12 Depth=1
	s_xor_b64 s[8:9], s[20:21], -1
	s_mov_b64 s[14:15], 0
	s_andn2_b64 vcc, exec, s[8:9]
	s_mov_b32 s35, 1
	s_cbranch_vccnz .LBB104_120
; %bb.110:                              ;   in Loop: Header=BB104_12 Depth=1
	s_cmp_gt_u32 s1, s28
	s_mov_b64 s[14:15], -1
                                        ; implicit-def: $sgpr52
                                        ; implicit-def: $sgpr8
                                        ; implicit-def: $sgpr9
	s_cbranch_scc1 .LBB104_116
; %bb.111:                              ;   in Loop: Header=BB104_12 Depth=1
	ds_read_b32 v2, v9 offset:4104
	s_waitcnt lgkmcnt(0)
	v_cmp_ne_u32_e32 vcc, 0, v2
	s_cbranch_vccnz .LBB104_115
; %bb.112:                              ;   in Loop: Header=BB104_12 Depth=1
	s_mov_b64 s[14:15], exec
	v_readlane_b32 s8, v48, 0
	v_readlane_b32 s9, v48, 1
	s_and_b64 s[8:9], s[14:15], s[8:9]
	s_mov_b64 exec, s[8:9]
	s_cbranch_execz .LBB104_114
; %bb.113:                              ;   in Loop: Header=BB104_12 Depth=1
	v_mov_b32_e32 v2, s28
	ds_write_b32 v9, v2 offset:4108
.LBB104_114:                            ;   in Loop: Header=BB104_12 Depth=1
	s_or_b64 exec, exec, s[14:15]
	s_waitcnt lgkmcnt(0)
	s_barrier
.LBB104_115:                            ;   in Loop: Header=BB104_12 Depth=1
	s_and_b32 s8, s0, s44
	s_or_b32 s9, s3, s51
	s_mov_b64 s[14:15], 0
	s_mov_b32 s52, 8
.LBB104_116:                            ;   in Loop: Header=BB104_12 Depth=1
	s_andn2_b64 vcc, exec, s[14:15]
	s_cbranch_vccnz .LBB104_118
; %bb.117:                              ;   in Loop: Header=BB104_12 Depth=1
	s_sub_i32 s1, s1, s28
	s_mov_b64 s[14:15], -1
	s_mov_b32 s52, 0
	s_mov_b32 s8, s0
	;; [unrolled: 1-line block ×3, first 2 shown]
.LBB104_118:                            ;   in Loop: Header=BB104_12 Depth=1
	s_mov_b32 s3, s9
	s_mov_b32 s0, s8
	;; [unrolled: 1-line block ×3, first 2 shown]
	s_mov_b64 s[18:19], -1
	s_and_b64 vcc, exec, s[14:15]
	s_cbranch_vccnz .LBB104_121
.LBB104_119:                            ;   in Loop: Header=BB104_12 Depth=1
	s_mov_b64 s[30:31], -1
                                        ; implicit-def: $sgpr20_sgpr21
                                        ; implicit-def: $sgpr24_sgpr25
                                        ; implicit-def: $sgpr22_sgpr23
                                        ; implicit-def: $sgpr1
	s_and_saveexec_b64 s[8:9], s[30:31]
	s_xor_b64 s[14:15], exec, s[8:9]
	s_cbranch_execz .LBB104_10
	s_branch .LBB104_244
.LBB104_120:                            ;   in Loop: Header=BB104_12 Depth=1
	s_mov_b32 s52, 1
	s_mov_b64 s[18:19], -1
	s_and_b64 vcc, exec, s[14:15]
	s_cbranch_vccz .LBB104_119
.LBB104_121:                            ;   in Loop: Header=BB104_12 Depth=1
	s_cmp_eq_u32 s34, 1
	s_cselect_b64 s[8:9], -1, 0
	s_cmp_eq_u32 s35, 1
	s_cselect_b64 s[14:15], -1, 0
	s_and_b64 s[28:29], s[8:9], s[14:15]
	s_mov_b64 s[14:15], -1
	s_and_b64 vcc, exec, s[28:29]
	s_cbranch_vccz .LBB104_133
; %bb.122:                              ;   in Loop: Header=BB104_12 Depth=1
	ds_read_b32 v2, v9 offset:4104
	s_waitcnt lgkmcnt(0)
	s_barrier
	v_readfirstlane_b32 s1, v2
	s_and_saveexec_b64 s[14:15], s[6:7]
	s_cbranch_execz .LBB104_124
; %bb.123:                              ;   in Loop: Header=BB104_12 Depth=1
	ds_write_b16 v18, v9
.LBB104_124:                            ;   in Loop: Header=BB104_12 Depth=1
	s_or_b64 exec, exec, s[14:15]
	s_lshl_b32 s8, 1, s43
	s_and_b32 s0, s0, s44
	s_or_b32 s0, s0, s8
	s_or_b32 s3, s3, s51
	s_cmp_eq_u32 s1, 0
	s_waitcnt lgkmcnt(0)
	s_barrier
	s_cbranch_scc1 .LBB104_134
; %bb.125:                              ;   in Loop: Header=BB104_12 Depth=1
	v_readlane_b32 s8, v48, 11
	s_add_i32 s8, s1, s8
	v_readlane_b32 s9, v48, 32
	s_mul_hi_u32 s9, s8, s9
	s_mul_i32 s9, s9, s57
	s_sub_i32 s9, s8, s9
	s_sub_i32 s14, s9, s57
	s_cmp_ge_u32 s9, s57
	s_cselect_b32 s9, s14, s9
	s_sub_i32 s14, s9, s57
	s_cmp_ge_u32 s9, s57
	s_cselect_b32 s9, s14, s9
	s_sub_i32 s8, s8, s9
	v_cmp_gt_u32_e32 vcc, s8, v0
	s_mov_b64 s[14:15], 0
                                        ; implicit-def: $vgpr31
	s_and_saveexec_b64 s[20:21], vcc
	s_cbranch_execz .LBB104_136
; %bb.126:                              ;   in Loop: Header=BB104_12 Depth=1
	s_mov_b64 s[22:23], 0
	v_mov_b32_e32 v2, v17
	v_mov_b32_e32 v3, v0
                                        ; implicit-def: $sgpr24_sgpr25
	s_branch .LBB104_128
.LBB104_127:                            ;   in Loop: Header=BB104_128 Depth=2
	s_or_b64 exec, exec, s[14:15]
	s_waitcnt lgkmcnt(0)
	s_barrier
	ds_read_b32 v4, v9 offset:3072
	v_add_u32_e32 v3, s57, v3
	v_cmp_le_u32_e64 s[14:15], s8, v3
	v_add_u32_e32 v2, s13, v2
	s_waitcnt lgkmcnt(0)
	v_cmp_ne_u16_e32 vcc, 0, v4
	s_or_b64 s[14:15], s[14:15], vcc
	s_and_b64 s[14:15], exec, s[14:15]
	s_or_b64 s[22:23], s[14:15], s[22:23]
	s_andn2_b64 s[14:15], s[24:25], exec
	s_and_b64 s[24:25], vcc, exec
	s_or_b64 s[24:25], s[14:15], s[24:25]
	s_barrier
	s_andn2_b64 exec, exec, s[22:23]
	s_cbranch_execz .LBB104_135
.LBB104_128:                            ;   Parent Loop BB104_12 Depth=1
                                        ; =>  This Inner Loop Header: Depth=2
	v_cmp_gt_u32_e32 vcc, s1, v3
	v_mov_b32_e32 v4, 0
	s_and_saveexec_b64 s[14:15], vcc
	s_cbranch_execz .LBB104_130
; %bb.129:                              ;   in Loop: Header=BB104_128 Depth=2
	ds_read_u16 v4, v2
.LBB104_130:                            ;   in Loop: Header=BB104_128 Depth=2
	s_or_b64 exec, exec, s[14:15]
	s_and_saveexec_b64 s[14:15], vcc
	s_cbranch_execz .LBB104_127
; %bb.131:                              ;   in Loop: Header=BB104_128 Depth=2
	s_waitcnt lgkmcnt(0)
	v_add_u32_sdwa v5, sext(v4), s68 dst_sel:DWORD dst_unused:UNUSED_PAD src0_sel:WORD_0 src1_sel:DWORD
	v_and_b32_e32 v5, s3, v5
	v_cmp_eq_u32_e32 vcc, s0, v5
	s_and_b64 exec, exec, vcc
	s_cbranch_execz .LBB104_127
; %bb.132:                              ;   in Loop: Header=BB104_128 Depth=2
	v_perm_b32 v4, v4, 1, v30
	ds_write_b32 v9, v4 offset:3072
	s_branch .LBB104_127
.LBB104_133:                            ;   in Loop: Header=BB104_12 Depth=1
                                        ; implicit-def: $sgpr22_sgpr23
                                        ; implicit-def: $sgpr24_sgpr25
                                        ; implicit-def: $sgpr20_sgpr21
	s_branch .LBB104_147
.LBB104_134:                            ;   in Loop: Header=BB104_12 Depth=1
	s_mov_b64 s[22:23], -1
	s_mov_b64 s[14:15], 0
                                        ; implicit-def: $sgpr20_sgpr21
                                        ; implicit-def: $vgpr31
	s_mov_b64 s[24:25], s[22:23]
	s_cbranch_execnz .LBB104_137
	s_branch .LBB104_147
.LBB104_135:                            ;   in Loop: Header=BB104_12 Depth=1
	s_or_b64 exec, exec, s[22:23]
	v_lshrrev_b32_e32 v31, 16, v4
	s_and_b64 s[14:15], s[24:25], exec
.LBB104_136:                            ;   in Loop: Header=BB104_12 Depth=1
	s_or_b64 exec, exec, s[20:21]
	s_mov_b64 s[20:21], -1
	s_mov_b64 s[22:23], 0
	s_mov_b64 s[24:25], s[22:23]
	s_branch .LBB104_147
.LBB104_137:                            ;   in Loop: Header=BB104_12 Depth=1
	s_mov_b64 s[14:15], 0
                                        ; implicit-def: $vgpr31
	s_mov_b64 s[20:21], exec
	v_readlane_b32 s8, v48, 33
	v_readlane_b32 s9, v48, 34
	s_and_b64 s[8:9], s[20:21], s[8:9]
	s_mov_b64 exec, s[8:9]
	s_cbranch_execz .LBB104_146
; %bb.138:                              ;   in Loop: Header=BB104_12 Depth=1
	s_mov_b64 s[22:23], 0
	v_mov_b32_e32 v8, v6
	v_mov_b32_e32 v2, v0
                                        ; implicit-def: $sgpr24_sgpr25
	s_branch .LBB104_140
.LBB104_139:                            ;   in Loop: Header=BB104_140 Depth=2
	s_or_b64 exec, exec, s[14:15]
	s_waitcnt lgkmcnt(0)
	s_barrier
	s_waitcnt vmcnt(0)
	ds_read_b32 v3, v9 offset:3072
	v_add_u32_e32 v2, s57, v2
	v_cmp_le_u32_e64 s[14:15], s74, v2
	v_add_u32_e32 v8, s80, v8
	s_waitcnt lgkmcnt(0)
	v_cmp_ne_u16_e32 vcc, 0, v3
	s_or_b64 s[8:9], s[14:15], vcc
	s_and_b64 s[8:9], exec, s[8:9]
	s_or_b64 s[22:23], s[8:9], s[22:23]
	s_andn2_b64 s[8:9], s[24:25], exec
	s_and_b64 s[14:15], vcc, exec
	s_or_b64 s[24:25], s[8:9], s[14:15]
	s_barrier
	s_andn2_b64 exec, exec, s[22:23]
	s_cbranch_execz .LBB104_145
.LBB104_140:                            ;   Parent Loop BB104_12 Depth=1
                                        ; =>  This Inner Loop Header: Depth=2
	v_cmp_gt_u32_e32 vcc, s56, v2
	v_mov_b32_e32 v3, 0
	s_and_saveexec_b64 s[26:27], vcc
	s_cbranch_execz .LBB104_142
; %bb.141:                              ;   in Loop: Header=BB104_140 Depth=2
	v_lshlrev_b64 v[4:5], 1, v[8:9]
	v_mov_b32_e32 v3, s33
	v_add_co_u32_e64 v4, s[14:15], s59, v4
	v_addc_co_u32_e64 v5, s[14:15], v3, v5, s[14:15]
	global_load_ushort v3, v[4:5], off
.LBB104_142:                            ;   in Loop: Header=BB104_140 Depth=2
	s_or_b64 exec, exec, s[26:27]
	s_and_saveexec_b64 s[14:15], vcc
	s_cbranch_execz .LBB104_139
; %bb.143:                              ;   in Loop: Header=BB104_140 Depth=2
	s_waitcnt vmcnt(0)
	v_add_u32_sdwa v4, sext(v3), s68 dst_sel:DWORD dst_unused:UNUSED_PAD src0_sel:WORD_0 src1_sel:DWORD
	v_and_b32_e32 v4, s3, v4
	v_cmp_eq_u32_e32 vcc, s0, v4
	s_and_b64 exec, exec, vcc
	s_cbranch_execz .LBB104_139
; %bb.144:                              ;   in Loop: Header=BB104_140 Depth=2
	v_perm_b32 v3, v3, 1, v30
	ds_write_b32 v9, v3 offset:3072
	s_branch .LBB104_139
.LBB104_145:                            ;   in Loop: Header=BB104_12 Depth=1
	s_or_b64 exec, exec, s[22:23]
	v_lshrrev_b32_e32 v31, 16, v3
	s_and_b64 s[14:15], s[24:25], exec
.LBB104_146:                            ;   in Loop: Header=BB104_12 Depth=1
	s_or_b64 exec, exec, s[20:21]
	s_mov_b64 s[24:25], -1
	s_mov_b64 s[22:23], 0
	s_mov_b64 s[20:21], 0
.LBB104_147:                            ;   in Loop: Header=BB104_12 Depth=1
	s_mov_b64 s[30:31], 0
                                        ; implicit-def: $sgpr52
	s_and_saveexec_b64 s[26:27], s[14:15]
	s_cbranch_execz .LBB104_243
; %bb.148:                              ;   in Loop: Header=BB104_12 Depth=1
	s_xor_b64 s[8:9], s[28:29], -1
	s_mov_b64 s[14:15], 0
	s_andn2_b64 vcc, exec, s[8:9]
	s_mov_b32 s45, 1
	s_cbranch_vccnz .LBB104_159
; %bb.149:                              ;   in Loop: Header=BB104_12 Depth=1
	s_cmp_gt_u32 s35, s34
	s_mov_b64 s[14:15], -1
                                        ; implicit-def: $sgpr52
                                        ; implicit-def: $sgpr1
                                        ; implicit-def: $sgpr8
	s_cbranch_scc1 .LBB104_155
; %bb.150:                              ;   in Loop: Header=BB104_12 Depth=1
	ds_read_b32 v2, v9 offset:4104
	s_waitcnt lgkmcnt(0)
	v_cmp_ne_u32_e32 vcc, 0, v2
	s_cbranch_vccnz .LBB104_154
; %bb.151:                              ;   in Loop: Header=BB104_12 Depth=1
	s_mov_b64 s[14:15], exec
	v_readlane_b32 s8, v48, 0
	v_readlane_b32 s9, v48, 1
	s_and_b64 s[8:9], s[14:15], s[8:9]
	s_mov_b64 exec, s[8:9]
	s_cbranch_execz .LBB104_153
; %bb.152:                              ;   in Loop: Header=BB104_12 Depth=1
	v_mov_b32_e32 v2, s34
	ds_write_b32 v9, v2 offset:4108
.LBB104_153:                            ;   in Loop: Header=BB104_12 Depth=1
	s_or_b64 exec, exec, s[14:15]
	s_waitcnt lgkmcnt(0)
	s_barrier
.LBB104_154:                            ;   in Loop: Header=BB104_12 Depth=1
	s_lshl_b32 s1, 1, s43
	s_and_b32 s8, s0, s44
	s_or_b32 s1, s8, s1
	s_or_b32 s8, s3, s51
	s_mov_b64 s[14:15], 0
	s_mov_b32 s52, 8
.LBB104_155:                            ;   in Loop: Header=BB104_12 Depth=1
	s_andn2_b64 vcc, exec, s[14:15]
	s_cbranch_vccnz .LBB104_157
; %bb.156:                              ;   in Loop: Header=BB104_12 Depth=1
	s_sub_i32 s35, s35, s34
	s_mov_b64 s[14:15], -1
	s_mov_b32 s52, 0
	s_mov_b32 s1, s0
	;; [unrolled: 1-line block ×3, first 2 shown]
.LBB104_157:                            ;   in Loop: Header=BB104_12 Depth=1
	s_mov_b32 s3, s8
	s_mov_b32 s0, s1
	;; [unrolled: 1-line block ×3, first 2 shown]
	s_andn2_b64 vcc, exec, s[14:15]
	s_mov_b64 s[40:41], -1
	s_cbranch_vccz .LBB104_160
.LBB104_158:                            ;   in Loop: Header=BB104_12 Depth=1
                                        ; implicit-def: $sgpr30_sgpr31
                                        ; implicit-def: $sgpr34_sgpr35
                                        ; implicit-def: $sgpr28_sgpr29
	s_branch .LBB104_242
.LBB104_159:                            ;   in Loop: Header=BB104_12 Depth=1
	s_mov_b32 s52, 1
	s_andn2_b64 vcc, exec, s[14:15]
	s_mov_b64 s[40:41], -1
	s_cbranch_vccnz .LBB104_158
.LBB104_160:                            ;   in Loop: Header=BB104_12 Depth=1
	s_cmp_eq_u32 s42, 1
	s_cselect_b64 s[8:9], -1, 0
	s_cmp_eq_u32 s45, 1
	s_cselect_b64 s[14:15], -1, 0
	s_and_b64 s[38:39], s[8:9], s[14:15]
	s_mov_b64 s[14:15], -1
	s_and_b64 vcc, exec, s[38:39]
	s_cbranch_vccz .LBB104_172
; %bb.161:                              ;   in Loop: Header=BB104_12 Depth=1
	ds_read_b32 v2, v9 offset:4104
	s_waitcnt lgkmcnt(0)
	s_barrier
	v_readfirstlane_b32 s1, v2
	s_and_saveexec_b64 s[14:15], s[6:7]
	s_cbranch_execz .LBB104_163
; %bb.162:                              ;   in Loop: Header=BB104_12 Depth=1
	ds_write_b16 v18, v9
.LBB104_163:                            ;   in Loop: Header=BB104_12 Depth=1
	s_or_b64 exec, exec, s[14:15]
	s_lshl_b32 s8, 2, s43
	s_and_b32 s0, s0, s44
	s_or_b32 s0, s0, s8
	s_or_b32 s3, s3, s51
	s_cmp_eq_u32 s1, 0
	s_waitcnt lgkmcnt(0)
	s_barrier
	s_cbranch_scc1 .LBB104_173
; %bb.164:                              ;   in Loop: Header=BB104_12 Depth=1
	v_readlane_b32 s8, v48, 11
	s_add_i32 s8, s1, s8
	v_readlane_b32 s9, v48, 32
	s_mul_hi_u32 s9, s8, s9
	s_mul_i32 s9, s9, s57
	s_sub_i32 s9, s8, s9
	s_sub_i32 s14, s9, s57
	s_cmp_ge_u32 s9, s57
	s_cselect_b32 s9, s14, s9
	s_sub_i32 s14, s9, s57
	s_cmp_ge_u32 s9, s57
	s_cselect_b32 s9, s14, s9
	s_sub_i32 s8, s8, s9
	v_cmp_gt_u32_e32 vcc, s8, v0
	s_mov_b64 s[14:15], 0
                                        ; implicit-def: $vgpr31
	s_and_saveexec_b64 s[28:29], vcc
	s_cbranch_execz .LBB104_175
; %bb.165:                              ;   in Loop: Header=BB104_12 Depth=1
	v_mov_b32_e32 v2, v17
	v_mov_b32_e32 v3, v0
                                        ; implicit-def: $sgpr34_sgpr35
	s_branch .LBB104_167
.LBB104_166:                            ;   in Loop: Header=BB104_167 Depth=2
	s_or_b64 exec, exec, s[14:15]
	s_waitcnt lgkmcnt(0)
	s_barrier
	ds_read_b32 v4, v9 offset:3072
	v_add_u32_e32 v3, s57, v3
	v_cmp_le_u32_e64 s[14:15], s8, v3
	v_add_u32_e32 v2, s13, v2
	s_waitcnt lgkmcnt(0)
	v_cmp_ne_u16_e32 vcc, 0, v4
	s_or_b64 s[14:15], s[14:15], vcc
	s_and_b64 s[14:15], exec, s[14:15]
	s_or_b64 s[30:31], s[14:15], s[30:31]
	s_andn2_b64 s[14:15], s[34:35], exec
	s_and_b64 s[34:35], vcc, exec
	s_or_b64 s[34:35], s[14:15], s[34:35]
	s_barrier
	s_andn2_b64 exec, exec, s[30:31]
	s_cbranch_execz .LBB104_174
.LBB104_167:                            ;   Parent Loop BB104_12 Depth=1
                                        ; =>  This Inner Loop Header: Depth=2
	v_cmp_gt_u32_e32 vcc, s1, v3
	v_mov_b32_e32 v4, 0
	s_and_saveexec_b64 s[14:15], vcc
	s_cbranch_execz .LBB104_169
; %bb.168:                              ;   in Loop: Header=BB104_167 Depth=2
	ds_read_u16 v4, v2
.LBB104_169:                            ;   in Loop: Header=BB104_167 Depth=2
	s_or_b64 exec, exec, s[14:15]
	s_and_saveexec_b64 s[14:15], vcc
	s_cbranch_execz .LBB104_166
; %bb.170:                              ;   in Loop: Header=BB104_167 Depth=2
	s_waitcnt lgkmcnt(0)
	v_add_u32_sdwa v5, sext(v4), s68 dst_sel:DWORD dst_unused:UNUSED_PAD src0_sel:WORD_0 src1_sel:DWORD
	v_and_b32_e32 v5, s3, v5
	v_cmp_eq_u32_e32 vcc, s0, v5
	s_and_b64 exec, exec, vcc
	s_cbranch_execz .LBB104_166
; %bb.171:                              ;   in Loop: Header=BB104_167 Depth=2
	v_perm_b32 v4, v4, 1, v30
	ds_write_b32 v9, v4 offset:3072
	s_branch .LBB104_166
.LBB104_172:                            ;   in Loop: Header=BB104_12 Depth=1
                                        ; implicit-def: $sgpr28_sgpr29
                                        ; implicit-def: $sgpr34_sgpr35
                                        ; implicit-def: $sgpr30_sgpr31
	s_branch .LBB104_186
.LBB104_173:                            ;   in Loop: Header=BB104_12 Depth=1
	s_mov_b64 s[28:29], -1
	s_mov_b64 s[14:15], 0
                                        ; implicit-def: $sgpr30_sgpr31
                                        ; implicit-def: $vgpr31
	s_mov_b64 s[34:35], s[28:29]
	s_cbranch_execnz .LBB104_176
	s_branch .LBB104_186
.LBB104_174:                            ;   in Loop: Header=BB104_12 Depth=1
	s_or_b64 exec, exec, s[30:31]
	v_lshrrev_b32_e32 v31, 16, v4
	s_and_b64 s[14:15], s[34:35], exec
.LBB104_175:                            ;   in Loop: Header=BB104_12 Depth=1
	s_or_b64 exec, exec, s[28:29]
	s_mov_b64 s[30:31], -1
	s_mov_b64 s[28:29], 0
	s_mov_b64 s[34:35], s[28:29]
	s_branch .LBB104_186
.LBB104_176:                            ;   in Loop: Header=BB104_12 Depth=1
	s_mov_b64 s[14:15], 0
                                        ; implicit-def: $vgpr31
	s_mov_b64 s[28:29], exec
	v_readlane_b32 s8, v48, 33
	v_readlane_b32 s9, v48, 34
	s_and_b64 s[8:9], s[28:29], s[8:9]
	s_mov_b64 exec, s[8:9]
	s_cbranch_execz .LBB104_185
; %bb.177:                              ;   in Loop: Header=BB104_12 Depth=1
	s_mov_b64 s[30:31], 0
	v_mov_b32_e32 v8, v6
	v_mov_b32_e32 v2, v0
                                        ; implicit-def: $sgpr34_sgpr35
	s_branch .LBB104_179
.LBB104_178:                            ;   in Loop: Header=BB104_179 Depth=2
	s_or_b64 exec, exec, s[14:15]
	s_waitcnt lgkmcnt(0)
	s_barrier
	s_waitcnt vmcnt(0)
	ds_read_b32 v3, v9 offset:3072
	v_add_u32_e32 v2, s57, v2
	v_cmp_le_u32_e64 s[14:15], s74, v2
	v_add_u32_e32 v8, s80, v8
	s_waitcnt lgkmcnt(0)
	v_cmp_ne_u16_e32 vcc, 0, v3
	s_or_b64 s[8:9], s[14:15], vcc
	s_and_b64 s[8:9], exec, s[8:9]
	s_or_b64 s[30:31], s[8:9], s[30:31]
	s_andn2_b64 s[8:9], s[34:35], exec
	s_and_b64 s[14:15], vcc, exec
	s_or_b64 s[34:35], s[8:9], s[14:15]
	s_barrier
	s_andn2_b64 exec, exec, s[30:31]
	s_cbranch_execz .LBB104_184
.LBB104_179:                            ;   Parent Loop BB104_12 Depth=1
                                        ; =>  This Inner Loop Header: Depth=2
	v_cmp_gt_u32_e32 vcc, s56, v2
	v_mov_b32_e32 v3, 0
	s_and_saveexec_b64 s[36:37], vcc
	s_cbranch_execz .LBB104_181
; %bb.180:                              ;   in Loop: Header=BB104_179 Depth=2
	v_lshlrev_b64 v[4:5], 1, v[8:9]
	v_mov_b32_e32 v3, s33
	v_add_co_u32_e64 v4, s[14:15], s59, v4
	v_addc_co_u32_e64 v5, s[14:15], v3, v5, s[14:15]
	global_load_ushort v3, v[4:5], off
.LBB104_181:                            ;   in Loop: Header=BB104_179 Depth=2
	s_or_b64 exec, exec, s[36:37]
	s_and_saveexec_b64 s[14:15], vcc
	s_cbranch_execz .LBB104_178
; %bb.182:                              ;   in Loop: Header=BB104_179 Depth=2
	s_waitcnt vmcnt(0)
	v_add_u32_sdwa v4, sext(v3), s68 dst_sel:DWORD dst_unused:UNUSED_PAD src0_sel:WORD_0 src1_sel:DWORD
	v_and_b32_e32 v4, s3, v4
	v_cmp_eq_u32_e32 vcc, s0, v4
	s_and_b64 exec, exec, vcc
	s_cbranch_execz .LBB104_178
; %bb.183:                              ;   in Loop: Header=BB104_179 Depth=2
	v_perm_b32 v3, v3, 1, v30
	ds_write_b32 v9, v3 offset:3072
	s_branch .LBB104_178
.LBB104_184:                            ;   in Loop: Header=BB104_12 Depth=1
	s_or_b64 exec, exec, s[30:31]
	v_lshrrev_b32_e32 v31, 16, v3
	s_and_b64 s[14:15], s[34:35], exec
.LBB104_185:                            ;   in Loop: Header=BB104_12 Depth=1
	s_or_b64 exec, exec, s[28:29]
	s_mov_b64 s[34:35], -1
	s_mov_b64 s[28:29], 0
	s_mov_b64 s[30:31], 0
.LBB104_186:                            ;   in Loop: Header=BB104_12 Depth=1
	s_mov_b64 s[40:41], 0
                                        ; implicit-def: $sgpr52
	s_and_saveexec_b64 s[36:37], s[14:15]
	s_cbranch_execz .LBB104_241
; %bb.187:                              ;   in Loop: Header=BB104_12 Depth=1
	s_xor_b64 s[8:9], s[38:39], -1
	s_mov_b64 s[14:15], 0
	s_andn2_b64 vcc, exec, s[8:9]
	s_mov_b32 s1, 1
	s_cbranch_vccnz .LBB104_198
; %bb.188:                              ;   in Loop: Header=BB104_12 Depth=1
	s_cmp_gt_u32 s45, s42
	s_mov_b64 s[14:15], -1
                                        ; implicit-def: $sgpr52
                                        ; implicit-def: $sgpr1
                                        ; implicit-def: $sgpr8
	s_cbranch_scc1 .LBB104_194
; %bb.189:                              ;   in Loop: Header=BB104_12 Depth=1
	ds_read_b32 v2, v9 offset:4104
	s_waitcnt lgkmcnt(0)
	v_cmp_ne_u32_e32 vcc, 0, v2
	s_cbranch_vccnz .LBB104_193
; %bb.190:                              ;   in Loop: Header=BB104_12 Depth=1
	s_mov_b64 s[14:15], exec
	v_readlane_b32 s8, v48, 0
	v_readlane_b32 s9, v48, 1
	s_and_b64 s[8:9], s[14:15], s[8:9]
	s_mov_b64 exec, s[8:9]
	s_cbranch_execz .LBB104_192
; %bb.191:                              ;   in Loop: Header=BB104_12 Depth=1
	v_mov_b32_e32 v2, s42
	ds_write_b32 v9, v2 offset:4108
.LBB104_192:                            ;   in Loop: Header=BB104_12 Depth=1
	s_or_b64 exec, exec, s[14:15]
	s_waitcnt lgkmcnt(0)
	s_barrier
.LBB104_193:                            ;   in Loop: Header=BB104_12 Depth=1
	s_lshl_b32 s1, 2, s43
	s_and_b32 s8, s0, s44
	s_or_b32 s1, s8, s1
	s_or_b32 s8, s3, s51
	s_mov_b64 s[14:15], 0
	s_mov_b32 s52, 8
.LBB104_194:                            ;   in Loop: Header=BB104_12 Depth=1
	s_andn2_b64 vcc, exec, s[14:15]
	s_cbranch_vccnz .LBB104_196
; %bb.195:                              ;   in Loop: Header=BB104_12 Depth=1
	s_sub_i32 s45, s45, s42
	s_mov_b64 s[14:15], -1
	s_mov_b32 s52, 0
	s_mov_b32 s1, s0
	;; [unrolled: 1-line block ×3, first 2 shown]
.LBB104_196:                            ;   in Loop: Header=BB104_12 Depth=1
	s_mov_b32 s3, s8
	s_mov_b32 s0, s1
	;; [unrolled: 1-line block ×3, first 2 shown]
	s_andn2_b64 vcc, exec, s[14:15]
	s_mov_b64 s[48:49], -1
	s_cbranch_vccz .LBB104_199
.LBB104_197:                            ;   in Loop: Header=BB104_12 Depth=1
                                        ; implicit-def: $sgpr14_sgpr15
                                        ; implicit-def: $sgpr42_sgpr43
                                        ; implicit-def: $sgpr40_sgpr41
	s_branch .LBB104_240
.LBB104_198:                            ;   in Loop: Header=BB104_12 Depth=1
	s_mov_b32 s52, 1
	s_andn2_b64 vcc, exec, s[14:15]
	s_mov_b64 s[48:49], -1
	s_cbranch_vccnz .LBB104_197
.LBB104_199:                            ;   in Loop: Header=BB104_12 Depth=1
	s_cmp_eq_u32 s50, 1
	s_cselect_b64 s[8:9], -1, 0
	s_cmp_eq_u32 s1, 1
	s_cselect_b64 s[14:15], -1, 0
	s_and_b64 s[38:39], s[8:9], s[14:15]
	s_mov_b64 s[44:45], -1
	s_and_b64 vcc, exec, s[38:39]
	s_cbranch_vccz .LBB104_211
; %bb.200:                              ;   in Loop: Header=BB104_12 Depth=1
	ds_read_b32 v2, v9 offset:4104
	s_waitcnt lgkmcnt(0)
	s_barrier
	v_readfirstlane_b32 s8, v2
	s_and_saveexec_b64 s[14:15], s[6:7]
	s_cbranch_execz .LBB104_202
; %bb.201:                              ;   in Loop: Header=BB104_12 Depth=1
	ds_write_b16 v18, v9
.LBB104_202:                            ;   in Loop: Header=BB104_12 Depth=1
	s_or_b64 exec, exec, s[14:15]
	s_or_b32 s0, s0, s51
	s_or_b32 s3, s3, s51
	s_cmp_eq_u32 s8, 0
	s_waitcnt lgkmcnt(0)
	s_barrier
	s_cbranch_scc1 .LBB104_212
; %bb.203:                              ;   in Loop: Header=BB104_12 Depth=1
	v_readlane_b32 s9, v48, 11
	s_add_i32 s9, s8, s9
	v_readlane_b32 s14, v48, 32
	s_mul_hi_u32 s14, s9, s14
	s_mul_i32 s14, s14, s57
	s_sub_i32 s14, s9, s14
	s_sub_i32 s15, s14, s57
	s_cmp_ge_u32 s14, s57
	s_cselect_b32 s14, s15, s14
	s_sub_i32 s15, s14, s57
	s_cmp_ge_u32 s14, s57
	s_cselect_b32 s14, s15, s14
	s_sub_i32 s9, s9, s14
	v_cmp_gt_u32_e32 vcc, s9, v0
	s_mov_b64 s[44:45], 0
                                        ; implicit-def: $vgpr31
	s_and_saveexec_b64 s[40:41], vcc
	s_cbranch_execz .LBB104_214
; %bb.204:                              ;   in Loop: Header=BB104_12 Depth=1
	s_mov_b64 s[42:43], 0
	v_mov_b32_e32 v2, v17
	v_mov_b32_e32 v3, v0
                                        ; implicit-def: $sgpr44_sgpr45
	s_branch .LBB104_206
.LBB104_205:                            ;   in Loop: Header=BB104_206 Depth=2
	s_or_b64 exec, exec, s[14:15]
	s_waitcnt lgkmcnt(0)
	s_barrier
	ds_read_b32 v4, v9 offset:3072
	v_add_u32_e32 v3, s57, v3
	v_cmp_le_u32_e64 s[14:15], s9, v3
	v_add_u32_e32 v2, s13, v2
	s_waitcnt lgkmcnt(0)
	v_cmp_ne_u16_e32 vcc, 0, v4
	s_or_b64 s[14:15], s[14:15], vcc
	s_and_b64 s[14:15], exec, s[14:15]
	s_or_b64 s[42:43], s[14:15], s[42:43]
	s_andn2_b64 s[14:15], s[44:45], exec
	s_and_b64 s[44:45], vcc, exec
	s_or_b64 s[44:45], s[14:15], s[44:45]
	s_barrier
	s_andn2_b64 exec, exec, s[42:43]
	s_cbranch_execz .LBB104_213
.LBB104_206:                            ;   Parent Loop BB104_12 Depth=1
                                        ; =>  This Inner Loop Header: Depth=2
	v_cmp_gt_u32_e32 vcc, s8, v3
	v_mov_b32_e32 v4, 0
	s_and_saveexec_b64 s[14:15], vcc
	s_cbranch_execz .LBB104_208
; %bb.207:                              ;   in Loop: Header=BB104_206 Depth=2
	ds_read_u16 v4, v2
.LBB104_208:                            ;   in Loop: Header=BB104_206 Depth=2
	s_or_b64 exec, exec, s[14:15]
	s_and_saveexec_b64 s[14:15], vcc
	s_cbranch_execz .LBB104_205
; %bb.209:                              ;   in Loop: Header=BB104_206 Depth=2
	s_waitcnt lgkmcnt(0)
	v_add_u32_sdwa v5, sext(v4), s68 dst_sel:DWORD dst_unused:UNUSED_PAD src0_sel:WORD_0 src1_sel:DWORD
	v_and_b32_e32 v5, s3, v5
	v_cmp_eq_u32_e32 vcc, s0, v5
	s_and_b64 exec, exec, vcc
	s_cbranch_execz .LBB104_205
; %bb.210:                              ;   in Loop: Header=BB104_206 Depth=2
	v_perm_b32 v4, v4, 1, v30
	ds_write_b32 v9, v4 offset:3072
	s_branch .LBB104_205
.LBB104_211:                            ;   in Loop: Header=BB104_12 Depth=1
                                        ; implicit-def: $sgpr14_sgpr15
                                        ; implicit-def: $sgpr42_sgpr43
                                        ; implicit-def: $sgpr40_sgpr41
	s_branch .LBB104_225
.LBB104_212:                            ;   in Loop: Header=BB104_12 Depth=1
	s_mov_b64 s[14:15], -1
	s_mov_b64 s[44:45], 0
                                        ; implicit-def: $sgpr40_sgpr41
                                        ; implicit-def: $vgpr31
	s_mov_b64 s[42:43], s[14:15]
	s_cbranch_execnz .LBB104_215
	s_branch .LBB104_225
.LBB104_213:                            ;   in Loop: Header=BB104_12 Depth=1
	s_or_b64 exec, exec, s[42:43]
	v_lshrrev_b32_e32 v31, 16, v4
	s_and_b64 s[44:45], s[44:45], exec
.LBB104_214:                            ;   in Loop: Header=BB104_12 Depth=1
	s_or_b64 exec, exec, s[40:41]
	s_mov_b64 s[40:41], -1
	s_mov_b64 s[14:15], 0
	s_mov_b64 s[42:43], s[14:15]
	s_branch .LBB104_225
.LBB104_215:                            ;   in Loop: Header=BB104_12 Depth=1
	s_mov_b64 s[44:45], 0
                                        ; implicit-def: $vgpr31
	s_mov_b64 s[40:41], exec
	v_readlane_b32 s8, v48, 33
	v_readlane_b32 s9, v48, 34
	s_and_b64 s[8:9], s[40:41], s[8:9]
	s_mov_b64 exec, s[8:9]
	s_cbranch_execz .LBB104_224
; %bb.216:                              ;   in Loop: Header=BB104_12 Depth=1
	s_mov_b64 s[42:43], 0
	v_mov_b32_e32 v8, v6
	v_mov_b32_e32 v2, v0
                                        ; implicit-def: $sgpr44_sgpr45
	s_branch .LBB104_218
.LBB104_217:                            ;   in Loop: Header=BB104_218 Depth=2
	s_or_b64 exec, exec, s[14:15]
	s_waitcnt lgkmcnt(0)
	s_barrier
	s_waitcnt vmcnt(0)
	ds_read_b32 v3, v9 offset:3072
	v_add_u32_e32 v2, s57, v2
	v_cmp_le_u32_e64 s[14:15], s74, v2
	v_add_u32_e32 v8, s80, v8
	s_waitcnt lgkmcnt(0)
	v_cmp_ne_u16_e32 vcc, 0, v3
	s_or_b64 s[8:9], s[14:15], vcc
	s_and_b64 s[8:9], exec, s[8:9]
	s_or_b64 s[42:43], s[8:9], s[42:43]
	s_andn2_b64 s[8:9], s[44:45], exec
	s_and_b64 s[14:15], vcc, exec
	s_or_b64 s[44:45], s[8:9], s[14:15]
	s_barrier
	s_andn2_b64 exec, exec, s[42:43]
	s_cbranch_execz .LBB104_223
.LBB104_218:                            ;   Parent Loop BB104_12 Depth=1
                                        ; =>  This Inner Loop Header: Depth=2
	v_cmp_gt_u32_e32 vcc, s56, v2
	v_mov_b32_e32 v3, 0
	s_and_saveexec_b64 s[46:47], vcc
	s_cbranch_execz .LBB104_220
; %bb.219:                              ;   in Loop: Header=BB104_218 Depth=2
	v_lshlrev_b64 v[4:5], 1, v[8:9]
	v_mov_b32_e32 v3, s33
	v_add_co_u32_e64 v4, s[14:15], s59, v4
	v_addc_co_u32_e64 v5, s[14:15], v3, v5, s[14:15]
	global_load_ushort v3, v[4:5], off
.LBB104_220:                            ;   in Loop: Header=BB104_218 Depth=2
	s_or_b64 exec, exec, s[46:47]
	s_and_saveexec_b64 s[14:15], vcc
	s_cbranch_execz .LBB104_217
; %bb.221:                              ;   in Loop: Header=BB104_218 Depth=2
	s_waitcnt vmcnt(0)
	v_add_u32_sdwa v4, sext(v3), s68 dst_sel:DWORD dst_unused:UNUSED_PAD src0_sel:WORD_0 src1_sel:DWORD
	v_and_b32_e32 v4, s3, v4
	v_cmp_eq_u32_e32 vcc, s0, v4
	s_and_b64 exec, exec, vcc
	s_cbranch_execz .LBB104_217
; %bb.222:                              ;   in Loop: Header=BB104_218 Depth=2
	v_perm_b32 v3, v3, 1, v30
	ds_write_b32 v9, v3 offset:3072
	s_branch .LBB104_217
.LBB104_223:                            ;   in Loop: Header=BB104_12 Depth=1
	s_or_b64 exec, exec, s[42:43]
	v_lshrrev_b32_e32 v31, 16, v3
	s_and_b64 s[44:45], s[44:45], exec
.LBB104_224:                            ;   in Loop: Header=BB104_12 Depth=1
	s_or_b64 exec, exec, s[40:41]
	s_mov_b64 s[42:43], -1
	s_mov_b64 s[14:15], 0
	s_mov_b64 s[40:41], 0
.LBB104_225:                            ;   in Loop: Header=BB104_12 Depth=1
	s_mov_b64 s[48:49], 0
                                        ; implicit-def: $sgpr52
	s_and_saveexec_b64 s[46:47], s[44:45]
	s_cbranch_execz .LBB104_239
; %bb.226:                              ;   in Loop: Header=BB104_12 Depth=1
	s_xor_b64 s[8:9], s[38:39], -1
	s_andn2_b64 vcc, exec, s[8:9]
	s_mov_b32 s52, 1
	s_cbranch_vccnz .LBB104_233
; %bb.227:                              ;   in Loop: Header=BB104_12 Depth=1
	s_cmp_gt_u32 s1, s50
	s_cbranch_scc1 .LBB104_234
; %bb.228:                              ;   in Loop: Header=BB104_12 Depth=1
	ds_read_b32 v2, v9 offset:4104
	s_waitcnt lgkmcnt(0)
	v_cmp_ne_u32_e32 vcc, 0, v2
	s_cbranch_vccnz .LBB104_232
; %bb.229:                              ;   in Loop: Header=BB104_12 Depth=1
	s_mov_b64 s[38:39], exec
	v_readlane_b32 s8, v48, 0
	v_readlane_b32 s9, v48, 1
	s_and_b64 s[8:9], s[38:39], s[8:9]
	s_mov_b64 exec, s[8:9]
	s_cbranch_execz .LBB104_231
; %bb.230:                              ;   in Loop: Header=BB104_12 Depth=1
	v_mov_b32_e32 v2, s50
	ds_write_b32 v9, v2 offset:4108
.LBB104_231:                            ;   in Loop: Header=BB104_12 Depth=1
	s_or_b64 exec, exec, s[38:39]
	s_waitcnt lgkmcnt(0)
	s_barrier
.LBB104_232:                            ;   in Loop: Header=BB104_12 Depth=1
	s_or_b32 s8, s0, s51
	s_or_b32 s9, s3, s51
	s_mov_b64 s[38:39], 0
	s_mov_b32 s52, 8
	s_branch .LBB104_235
.LBB104_233:                            ;   in Loop: Header=BB104_12 Depth=1
	s_mov_b32 s1, 1
	s_branch .LBB104_238
.LBB104_234:                            ;   in Loop: Header=BB104_12 Depth=1
	s_mov_b64 s[38:39], -1
                                        ; implicit-def: $sgpr52
                                        ; implicit-def: $sgpr8
                                        ; implicit-def: $sgpr9
.LBB104_235:                            ;   in Loop: Header=BB104_12 Depth=1
	s_andn2_b64 vcc, exec, s[38:39]
	s_cbranch_vccnz .LBB104_237
; %bb.236:                              ;   in Loop: Header=BB104_12 Depth=1
	s_sub_i32 s1, s1, s50
	s_mov_b32 s52, 8
	s_mov_b32 s8, s0
	;; [unrolled: 1-line block ×3, first 2 shown]
.LBB104_237:                            ;   in Loop: Header=BB104_12 Depth=1
	s_mov_b32 s0, s8
	s_mov_b32 s3, s9
.LBB104_238:                            ;   in Loop: Header=BB104_12 Depth=1
	s_mov_b64 s[48:49], exec
.LBB104_239:                            ;   in Loop: Header=BB104_12 Depth=1
	s_or_b64 exec, exec, s[46:47]
.LBB104_240:                            ;   in Loop: Header=BB104_12 Depth=1
	s_andn2_b64 s[8:9], s[28:29], exec
	s_and_b64 s[14:15], s[14:15], exec
	s_or_b64 s[28:29], s[8:9], s[14:15]
	s_andn2_b64 s[8:9], s[34:35], exec
	s_and_b64 s[14:15], s[42:43], exec
	s_or_b64 s[34:35], s[8:9], s[14:15]
	;; [unrolled: 3-line block ×3, first 2 shown]
	s_and_b64 s[40:41], s[48:49], exec
	s_mov_b32 s45, s1
.LBB104_241:                            ;   in Loop: Header=BB104_12 Depth=1
	s_or_b64 exec, exec, s[36:37]
.LBB104_242:                            ;   in Loop: Header=BB104_12 Depth=1
	s_andn2_b64 s[8:9], s[22:23], exec
	s_and_b64 s[14:15], s[28:29], exec
	s_or_b64 s[22:23], s[8:9], s[14:15]
	s_andn2_b64 s[8:9], s[24:25], exec
	s_and_b64 s[14:15], s[34:35], exec
	s_or_b64 s[24:25], s[8:9], s[14:15]
	s_andn2_b64 s[8:9], s[20:21], exec
	s_and_b64 s[14:15], s[30:31], exec
	s_or_b64 s[20:21], s[8:9], s[14:15]
	s_and_b64 s[30:31], s[40:41], exec
	s_mov_b32 s35, s45
.LBB104_243:                            ;   in Loop: Header=BB104_12 Depth=1
	s_or_b64 exec, exec, s[26:27]
                                        ; implicit-def: $sgpr1
	s_and_saveexec_b64 s[8:9], s[30:31]
	s_xor_b64 s[14:15], exec, s[8:9]
	s_cbranch_execz .LBB104_10
.LBB104_244:                            ;   in Loop: Header=BB104_12 Depth=1
	s_and_b32 s1, s52, -9
	s_cmp_eq_u32 s1, 0
	s_cbranch_scc1 .LBB104_8
; %bb.245:                              ;   in Loop: Header=BB104_12 Depth=1
	s_mov_b64 s[18:19], -1
                                        ; implicit-def: $sgpr3
                                        ; implicit-def: $sgpr35
                                        ; implicit-def: $sgpr69
                                        ; implicit-def: $sgpr2
	s_mov_b64 s[26:27], -1
	s_branch .LBB104_9
.LBB104_246:
	s_or_b64 exec, exec, s[82:83]
	s_xor_b64 s[8:9], s[88:89], -1
	s_xor_b64 s[0:1], s[84:85], -1
	;; [unrolled: 1-line block ×3, first 2 shown]
	s_mov_b64 s[4:5], 0
	s_and_saveexec_b64 s[2:3], s[0:1]
	s_xor_b64 s[0:1], exec, s[2:3]
	s_cbranch_execnz .LBB104_251
; %bb.247:
	s_andn2_saveexec_b64 s[0:1], s[0:1]
	s_cbranch_execnz .LBB104_264
.LBB104_248:
	s_or_b64 exec, exec, s[0:1]
	s_and_saveexec_b64 s[0:1], s[4:5]
.LBB104_249:
	; divergent unreachable
.LBB104_250:
	s_endpgm
.LBB104_251:
	s_and_saveexec_b64 s[2:3], s[8:9]
	s_xor_b64 s[4:5], exec, s[2:3]
	s_cbranch_execz .LBB104_262
; %bb.252:
	s_and_saveexec_b64 s[2:3], s[6:7]
	s_xor_b64 s[6:7], exec, s[2:3]
; %bb.253:
	v_xor_b32_e32 v31, 0xffff8000, v2
; %bb.254:
	s_or_b64 exec, exec, s[6:7]
	v_readlane_b32 s18, v48, 8
	v_readlane_b32 s2, v48, 7
	s_mul_i32 s2, s2, s18
	s_mov_b32 s3, 0
	s_lshl_b64 s[2:3], s[2:3], 1
	v_readlane_b32 s6, v48, 4
	v_readlane_b32 s7, v48, 5
	s_add_u32 s2, s6, s2
	s_addc_u32 s3, s7, s3
	v_mov_b32_e32 v7, 0
	global_store_short v7, v31, s[2:3]
	s_mov_b64 s[6:7], exec
	v_readlane_b32 s2, v48, 9
	v_readlane_b32 s3, v48, 10
	s_and_b64 s[2:3], s[6:7], s[2:3]
	s_mov_b64 exec, s[2:3]
	s_cbranch_execz .LBB104_261
; %bb.255:
	s_mov_b64 s[2:3], 0
	v_mov_b32_e32 v1, s33
                                        ; implicit-def: $sgpr8_sgpr9
                                        ; implicit-def: $sgpr12_sgpr13
                                        ; implicit-def: $sgpr10_sgpr11
	s_branch .LBB104_257
.LBB104_256:                            ;   in Loop: Header=BB104_257 Depth=1
	s_or_b64 exec, exec, s[14:15]
	s_and_b64 s[14:15], exec, s[12:13]
	s_or_b64 s[2:3], s[14:15], s[2:3]
	s_andn2_b64 s[8:9], s[8:9], exec
	s_and_b64 s[14:15], s[10:11], exec
	s_or_b64 s[8:9], s[8:9], s[14:15]
	s_andn2_b64 exec, exec, s[2:3]
	s_cbranch_execz .LBB104_259
.LBB104_257:                            ; =>This Inner Loop Header: Depth=1
	v_lshlrev_b64 v[2:3], 1, v[6:7]
	v_add_co_u32_e32 v2, vcc, s59, v2
	v_addc_co_u32_e32 v3, vcc, v1, v3, vcc
	global_load_ushort v3, v[2:3], off
	v_mov_b32_e32 v2, v0
	s_or_b64 s[10:11], s[10:11], exec
	s_or_b64 s[12:13], s[12:13], exec
                                        ; implicit-def: $vgpr0
	s_waitcnt vmcnt(0)
	v_cmp_ne_u16_e32 vcc, v3, v31
	s_and_saveexec_b64 s[14:15], vcc
	s_cbranch_execz .LBB104_256
; %bb.258:                              ;   in Loop: Header=BB104_257 Depth=1
	v_add_u32_e32 v0, s57, v2
	v_cmp_le_u32_e32 vcc, s56, v0
	s_andn2_b64 s[12:13], s[12:13], exec
	s_and_b64 s[16:17], vcc, exec
	v_add_u32_e32 v6, s80, v6
	s_andn2_b64 s[10:11], s[10:11], exec
	s_or_b64 s[12:13], s[12:13], s[16:17]
	s_branch .LBB104_256
.LBB104_259:
	s_or_b64 exec, exec, s[2:3]
	s_and_saveexec_b64 s[2:3], s[8:9]
	s_xor_b64 s[2:3], exec, s[2:3]
	s_cbranch_execz .LBB104_261
; %bb.260:
	v_readlane_b32 s2, v48, 6
	s_mul_i32 s2, s2, s18
	s_mov_b32 s3, 0
	s_lshl_b64 s[2:3], s[2:3], 3
	v_readlane_b32 s8, v48, 2
	v_readlane_b32 s9, v48, 3
	s_add_u32 s2, s8, s2
	s_addc_u32 s3, s9, s3
	v_mov_b32_e32 v3, 0
	global_store_dwordx2 v3, v[2:3], s[2:3]
.LBB104_261:
	s_or_b64 exec, exec, s[6:7]
.LBB104_262:
	s_or_saveexec_b64 s[2:3], s[4:5]
	s_mov_b64 s[4:5], 0
	s_xor_b64 exec, exec, s[2:3]
	s_cbranch_execnz .LBB104_265
.LBB104_263:
	s_or_b64 exec, exec, s[2:3]
	s_and_b64 s[4:5], s[4:5], exec
	s_andn2_saveexec_b64 s[0:1], s[0:1]
	s_cbranch_execz .LBB104_248
.LBB104_264:
	s_or_b64 s[4:5], s[4:5], exec
	s_trap 2
	s_or_b64 exec, exec, s[0:1]
	s_and_saveexec_b64 s[0:1], s[4:5]
	s_cbranch_execnz .LBB104_249
	s_branch .LBB104_250
.LBB104_265:
	s_mov_b64 s[4:5], exec
	s_trap 2
	s_branch .LBB104_263
	.section	.rodata,"a",@progbits
	.p2align	6, 0x0
	.amdhsa_kernel _ZN2at6native12_GLOBAL__N_112gatherMedianIsjLi1EEEvNS_4cuda6detail10TensorInfoIT_T0_EENS5_IlS7_EENS5_IKS6_S7_EES7_S7_S7_b
		.amdhsa_group_segment_fixed_size 4120
		.amdhsa_private_segment_fixed_size 0
		.amdhsa_kernarg_size 920
		.amdhsa_user_sgpr_count 6
		.amdhsa_user_sgpr_private_segment_buffer 1
		.amdhsa_user_sgpr_dispatch_ptr 0
		.amdhsa_user_sgpr_queue_ptr 0
		.amdhsa_user_sgpr_kernarg_segment_ptr 1
		.amdhsa_user_sgpr_dispatch_id 0
		.amdhsa_user_sgpr_flat_scratch_init 0
		.amdhsa_user_sgpr_kernarg_preload_length 0
		.amdhsa_user_sgpr_kernarg_preload_offset 0
		.amdhsa_user_sgpr_private_segment_size 0
		.amdhsa_uses_dynamic_stack 0
		.amdhsa_system_sgpr_private_segment_wavefront_offset 0
		.amdhsa_system_sgpr_workgroup_id_x 1
		.amdhsa_system_sgpr_workgroup_id_y 1
		.amdhsa_system_sgpr_workgroup_id_z 1
		.amdhsa_system_sgpr_workgroup_info 0
		.amdhsa_system_vgpr_workitem_id 0
		.amdhsa_next_free_vgpr 49
		.amdhsa_next_free_sgpr 96
		.amdhsa_accum_offset 52
		.amdhsa_reserve_vcc 1
		.amdhsa_reserve_flat_scratch 0
		.amdhsa_float_round_mode_32 0
		.amdhsa_float_round_mode_16_64 0
		.amdhsa_float_denorm_mode_32 3
		.amdhsa_float_denorm_mode_16_64 3
		.amdhsa_dx10_clamp 1
		.amdhsa_ieee_mode 1
		.amdhsa_fp16_overflow 0
		.amdhsa_tg_split 0
		.amdhsa_exception_fp_ieee_invalid_op 0
		.amdhsa_exception_fp_denorm_src 0
		.amdhsa_exception_fp_ieee_div_zero 0
		.amdhsa_exception_fp_ieee_overflow 0
		.amdhsa_exception_fp_ieee_underflow 0
		.amdhsa_exception_fp_ieee_inexact 0
		.amdhsa_exception_int_div_zero 0
	.end_amdhsa_kernel
	.section	.text._ZN2at6native12_GLOBAL__N_112gatherMedianIsjLi1EEEvNS_4cuda6detail10TensorInfoIT_T0_EENS5_IlS7_EENS5_IKS6_S7_EES7_S7_S7_b,"axG",@progbits,_ZN2at6native12_GLOBAL__N_112gatherMedianIsjLi1EEEvNS_4cuda6detail10TensorInfoIT_T0_EENS5_IlS7_EENS5_IKS6_S7_EES7_S7_S7_b,comdat
.Lfunc_end104:
	.size	_ZN2at6native12_GLOBAL__N_112gatherMedianIsjLi1EEEvNS_4cuda6detail10TensorInfoIT_T0_EENS5_IlS7_EENS5_IKS6_S7_EES7_S7_S7_b, .Lfunc_end104-_ZN2at6native12_GLOBAL__N_112gatherMedianIsjLi1EEEvNS_4cuda6detail10TensorInfoIT_T0_EENS5_IlS7_EENS5_IKS6_S7_EES7_S7_S7_b
                                        ; -- End function
	.section	.AMDGPU.csdata,"",@progbits
; Kernel info:
; codeLenInByte = 9696
; NumSgprs: 100
; NumVgprs: 49
; NumAgprs: 0
; TotalNumVgprs: 49
; ScratchSize: 0
; MemoryBound: 0
; FloatMode: 240
; IeeeMode: 1
; LDSByteSize: 4120 bytes/workgroup (compile time only)
; SGPRBlocks: 12
; VGPRBlocks: 6
; NumSGPRsForWavesPerEU: 100
; NumVGPRsForWavesPerEU: 49
; AccumOffset: 52
; Occupancy: 8
; WaveLimiterHint : 1
; COMPUTE_PGM_RSRC2:SCRATCH_EN: 0
; COMPUTE_PGM_RSRC2:USER_SGPR: 6
; COMPUTE_PGM_RSRC2:TRAP_HANDLER: 0
; COMPUTE_PGM_RSRC2:TGID_X_EN: 1
; COMPUTE_PGM_RSRC2:TGID_Y_EN: 1
; COMPUTE_PGM_RSRC2:TGID_Z_EN: 1
; COMPUTE_PGM_RSRC2:TIDIG_COMP_CNT: 0
; COMPUTE_PGM_RSRC3_GFX90A:ACCUM_OFFSET: 12
; COMPUTE_PGM_RSRC3_GFX90A:TG_SPLIT: 0
	.section	.text._ZN2at6native12_GLOBAL__N_112gatherMedianIsjLi2EEEvNS_4cuda6detail10TensorInfoIT_T0_EENS5_IlS7_EENS5_IKS6_S7_EES7_S7_S7_b,"axG",@progbits,_ZN2at6native12_GLOBAL__N_112gatherMedianIsjLi2EEEvNS_4cuda6detail10TensorInfoIT_T0_EENS5_IlS7_EENS5_IKS6_S7_EES7_S7_S7_b,comdat
	.globl	_ZN2at6native12_GLOBAL__N_112gatherMedianIsjLi2EEEvNS_4cuda6detail10TensorInfoIT_T0_EENS5_IlS7_EENS5_IKS6_S7_EES7_S7_S7_b ; -- Begin function _ZN2at6native12_GLOBAL__N_112gatherMedianIsjLi2EEEvNS_4cuda6detail10TensorInfoIT_T0_EENS5_IlS7_EENS5_IKS6_S7_EES7_S7_S7_b
	.p2align	8
	.type	_ZN2at6native12_GLOBAL__N_112gatherMedianIsjLi2EEEvNS_4cuda6detail10TensorInfoIT_T0_EENS5_IlS7_EENS5_IKS6_S7_EES7_S7_S7_b,@function
_ZN2at6native12_GLOBAL__N_112gatherMedianIsjLi2EEEvNS_4cuda6detail10TensorInfoIT_T0_EENS5_IlS7_EENS5_IKS6_S7_EES7_S7_S7_b: ; @_ZN2at6native12_GLOBAL__N_112gatherMedianIsjLi2EEEvNS_4cuda6detail10TensorInfoIT_T0_EENS5_IlS7_EENS5_IKS6_S7_EES7_S7_S7_b
; %bb.0:
	s_load_dwordx2 s[12:13], s[4:5], 0x298
	s_load_dwordx4 s[56:59], s[4:5], 0x288
	s_add_u32 s10, s4, 0x298
	s_addc_u32 s11, s5, 0
	s_waitcnt lgkmcnt(0)
	s_mul_i32 s0, s13, s8
	s_add_i32 s0, s0, s7
	s_mul_i32 s0, s0, s12
	s_add_i32 s18, s0, s6
	s_cmp_ge_u32 s18, s57
	s_cbranch_scc1 .LBB105_250
; %bb.1:
	s_load_dword s1, s[4:5], 0xc
	s_load_dword s2, s[4:5], 0xe4
	;; [unrolled: 1-line block ×3, first 2 shown]
                                        ; implicit-def: $vgpr48 : SGPR spill to VGPR lane
	v_cmp_eq_u32_e64 s[16:17], 0, v0
	s_waitcnt lgkmcnt(0)
	v_cvt_f32_u32_e32 v1, s1
	v_cvt_f32_u32_e32 v2, s2
	;; [unrolled: 1-line block ×3, first 2 shown]
	v_writelane_b32 v48, s1, 0
	v_rcp_iflag_f32_e32 v1, v1
	v_rcp_iflag_f32_e32 v2, v2
	v_rcp_iflag_f32_e32 v3, v3
	s_sub_i32 s1, 0, s1
	v_mul_f32_e32 v1, 0x4f7ffffe, v1
	v_mul_f32_e32 v2, 0x4f7ffffe, v2
	v_cvt_u32_f32_e32 v1, v1
	v_cvt_u32_f32_e32 v2, v2
	v_mul_f32_e32 v3, 0x4f7ffffe, v3
	v_cvt_u32_f32_e32 v3, v3
	v_writelane_b32 v48, s2, 1
	s_sub_i32 s2, 0, s2
	v_readfirstlane_b32 s13, v1
	v_readfirstlane_b32 s14, v2
	s_mul_i32 s1, s1, s13
	s_mul_i32 s2, s2, s14
	s_mul_hi_u32 s7, s13, s1
	s_mul_hi_u32 s8, s14, s2
	s_sub_i32 s1, 0, s0
	v_readfirstlane_b32 s2, v3
	s_mul_i32 s1, s1, s2
	s_mul_hi_u32 s1, s2, s1
	s_add_i32 s1, s2, s1
	s_mov_b64 s[2:3], exec
	v_writelane_b32 v48, s16, 2
	v_writelane_b32 v48, s17, 3
	s_and_b64 s[16:17], s[2:3], s[16:17]
	s_mov_b64 exec, s[16:17]
	s_cbranch_execz .LBB105_3
; %bb.2:
	v_mov_b32_e32 v2, 0
	v_mov_b32_e32 v3, v2
	ds_write_b64 v2, v[2:3] offset:4096
.LBB105_3:
	s_or_b64 exec, exec, s[2:3]
	v_mov_b32_e32 v1, 0
	s_waitcnt lgkmcnt(0)
	s_barrier
	s_barrier
	ds_read_b64 v[2:3], v1 offset:4096
	s_add_i32 s13, s13, s7
	s_add_i32 s14, s14, s8
	s_load_dwordx2 s[8:9], s[4:5], 0x21c
	s_load_dwordx2 s[2:3], s[4:5], 0x1b0
	s_bitcmp1_b32 s59, 0
	s_cselect_b64 s[16:17], -1, 0
	s_waitcnt lgkmcnt(0)
	v_cmp_gt_i64_e32 vcc, 1, v[2:3]
	s_or_b64 s[16:17], s[16:17], vcc
	s_mul_hi_u32 s7, s18, s1
	s_andn2_b64 vcc, exec, s[16:17]
	s_mov_b32 s1, s56
	s_cbranch_vccnz .LBB105_5
; %bb.4:
	v_not_b32_e32 v1, v2
	v_not_b32_e32 v2, v3
	v_add_co_u32_e32 v1, vcc, s56, v1
	v_addc_co_u32_e32 v2, vcc, 0, v2, vcc
	v_lshrrev_b32_e32 v3, 31, v2
	v_add_co_u32_e32 v1, vcc, v1, v3
	v_addc_co_u32_e32 v2, vcc, 0, v2, vcc
	v_alignbit_b32 v1, v2, v1, 1
	v_readfirstlane_b32 s1, v1
	s_add_i32 s1, s1, 1
.LBB105_5:
	s_load_dwordx2 s[16:17], s[4:5], 0x144
                                        ; kill: killed $sgpr4 killed $sgpr5
	s_waitcnt lgkmcnt(0)
	v_writelane_b32 v48, s16, 4
	v_writelane_b32 v48, s17, 5
	s_load_dwordx2 s[16:17], s[4:5], 0xd8
	s_waitcnt lgkmcnt(0)
	v_writelane_b32 v48, s16, 6
	v_writelane_b32 v48, s17, 7
	s_load_dwordx2 s[16:17], s[4:5], 0x6c
	;; [unrolled: 4-line block ×3, first 2 shown]
	s_mul_hi_u32 s4, s18, s13
	s_waitcnt lgkmcnt(0)
	v_writelane_b32 v48, s16, 10
	v_writelane_b32 v48, s17, 11
	;; [unrolled: 1-line block ×3, first 2 shown]
	s_mul_hi_u32 s4, s18, s14
	v_writelane_b32 v48, s4, 13
	s_mov_b64 s[4:5], exec
	v_readlane_b32 s14, v48, 2
	v_readlane_b32 s15, v48, 3
	s_and_b64 s[14:15], s[4:5], s[14:15]
	s_mov_b64 exec, s[14:15]
	s_cbranch_execz .LBB105_7
; %bb.6:
	v_mov_b32_e32 v2, 0
	v_mov_b32_e32 v3, s56
	ds_write_b32 v2, v2 offset:4112
	ds_write_b64 v2, v[2:3] offset:4104
.LBB105_7:
	s_or_b64 exec, exec, s[4:5]
	s_mul_i32 s4, s7, s0
	s_sub_i32 s4, s18, s4
	s_add_i32 s5, s7, 1
	s_sub_i32 s13, s4, s0
	s_cmp_ge_u32 s4, s0
	s_cselect_b32 s5, s5, s7
	s_cselect_b32 s4, s13, s4
	s_add_i32 s7, s5, 1
	s_cmp_ge_u32 s4, s0
	s_cselect_b32 s4, s7, s5
	s_mul_i32 s0, s4, s0
	s_sub_i32 s0, s18, s0
	s_mul_i32 s0, s0, s9
	s_mul_i32 s4, s4, s8
	s_add_i32 s4, s4, s0
	s_mov_b32 s68, 0
	s_waitcnt lgkmcnt(0)
	s_barrier
	s_load_dword s0, s[10:11], 0xc
	s_mov_b32 s5, s68
	s_lshl_b64 s[4:5], s[4:5], 1
	s_add_u32 s59, s2, s4
	v_writelane_b32 v48, s18, 14
	s_addc_u32 s82, s3, s5
	v_cmp_gt_u32_e64 s[2:3], s56, v0
	v_mbcnt_lo_u32_b32 v1, -1, 0
	v_writelane_b32 v48, s2, 15
	s_waitcnt lgkmcnt(0)
	s_and_b32 s57, s0, 0xffff
	v_mbcnt_hi_u32_b32 v13, -1, v1
	v_writelane_b32 v48, s3, 16
	s_bfe_u32 s8, s0, 0xa0006
	v_cmp_gt_u32_e32 vcc, 64, v0
	v_cmp_gt_i32_e64 s[4:5], 4, v13
	s_add_i32 s0, s57, -1
	s_lshl_b32 s84, s57, 2
	s_and_b64 s[70:71], vcc, s[4:5]
	v_writelane_b32 v48, s0, 17
	s_add_i32 s0, s0, s56
	s_cmpk_gt_u32 s56, 0x600
	s_cselect_b64 s[2:3], -1, 0
	v_writelane_b32 v48, s2, 18
	s_cmp_gt_u32 s57, 63
	v_writelane_b32 v48, s3, 19
	s_cselect_b64 s[2:3], -1, 0
	v_writelane_b32 v48, s2, 20
	s_cmp_lt_u32 s6, s12
	v_writelane_b32 v48, s3, 21
	s_cselect_b32 s2, 12, 18
	s_add_u32 s2, s10, s2
	v_mov_b32_e32 v9, 0
	s_addc_u32 s3, s11, 0
	v_writelane_b32 v48, s2, 22
	v_mul_lo_u32 v6, v0, s58
	v_mov_b32_e32 v7, v9
	v_writelane_b32 v48, s3, 23
	s_add_i32 s2, s8, -2
	v_lshlrev_b64 v[2:3], 1, v[6:7]
	s_lshr_b32 s3, s2, 1
	v_mov_b32_e32 v7, s82
	v_add_co_u32_e32 v10, vcc, s59, v2
	s_add_i32 s3, s3, 1
	v_addc_co_u32_e32 v11, vcc, v7, v3, vcc
	v_lshlrev_b64 v[2:3], v13, -1
	s_cmpk_gt_u32 s57, 0x7f
	v_not_b32_e32 v12, v2
	v_cvt_f32_u32_e32 v2, s84
	s_cselect_b64 s[4:5], -1, 0
	s_and_b32 s9, s8, 0x3fe
	s_and_b32 s10, s3, 7
	v_writelane_b32 v48, s4, 24
	s_cmp_gt_u32 s2, 13
	v_writelane_b32 v48, s5, 25
	s_cselect_b64 s[12:13], -1, 0
	v_writelane_b32 v48, s12, 26
	v_rcp_iflag_f32_e32 v2, v2
	v_writelane_b32 v48, s13, 27
	s_and_b32 s2, s3, -8
	v_writelane_b32 v48, s2, 28
	s_cmp_lg_u32 s10, 0
	v_writelane_b32 v48, s10, 29
	s_cselect_b64 s[2:3], -1, 0
	v_writelane_b32 v48, s2, 30
	v_mul_f32_e32 v2, 0x4f7ffffe, v2
	v_writelane_b32 v48, s3, 31
	v_cvt_u32_f32_e32 v2, v2
	v_writelane_b32 v48, s8, 32
	s_cmp_lg_u32 s9, s8
	v_writelane_b32 v48, s9, 33
	s_cselect_b64 s[2:3], -1, 0
	v_writelane_b32 v48, s2, 34
	v_writelane_b32 v48, s3, 35
	s_sub_i32 s2, 0, s84
	v_readfirstlane_b32 s3, v2
	s_mul_i32 s2, s2, s3
	s_mul_hi_u32 s2, s3, s2
	s_add_i32 s33, s3, s2
	v_cvt_f32_u32_e32 v2, s57
	s_mul_hi_u32 s2, s56, s33
	s_mul_i32 s2, s2, s84
	s_sub_i32 s2, s56, s2
	s_sub_i32 s3, s2, s84
	v_rcp_iflag_f32_e32 v5, v2
	s_cmp_ge_u32 s2, s84
	s_cselect_b32 s2, s3, s2
	s_sub_i32 s3, s2, s84
	s_cmp_ge_u32 s2, s84
	v_mul_f32_e32 v5, 0x4f7ffffe, v5
	s_cselect_b32 s2, s3, s2
	v_cvt_u32_f32_e32 v5, v5
	v_lshlrev_b32_e32 v16, 2, v0
	s_sub_i32 s76, s56, s2
	v_cmp_gt_u32_e64 s[8:9], s76, v16
	v_writelane_b32 v48, s8, 36
	v_writelane_b32 v48, s9, 37
	s_sub_i32 s3, 0, s57
	v_readfirstlane_b32 s8, v5
	s_mul_i32 s3, s3, s8
	s_mul_hi_u32 s3, s8, s3
	s_add_i32 s3, s8, s3
	v_writelane_b32 v48, s3, 38
	s_mul_hi_u32 s3, s0, s3
	s_mul_i32 s3, s3, s57
	s_sub_i32 s3, s0, s3
	s_sub_i32 s8, s3, s57
	v_add_u32_e32 v21, s76, v0
	s_cmp_ge_u32 s3, s57
	v_lshrrev_b32_e32 v1, 4, v0
	v_mul_lo_u32 v8, v21, s58
	s_cselect_b32 s3, s8, s3
	v_and_b32_e32 v19, 60, v1
	v_not_b32_e32 v1, v3
	v_lshlrev_b64 v[2:3], 1, v[8:9]
	s_sub_i32 s8, s3, s57
	v_add_co_u32_e32 v14, vcc, s59, v2
	s_cmp_ge_u32 s3, s57
	v_mul_lo_u32 v2, s58, v16
	s_cselect_b32 s3, s8, s3
	v_add_u32_e32 v22, s58, v2
	v_or_b32_e32 v2, 2, v16
	s_sub_i32 s78, s0, s3
	v_mul_lo_u32 v23, s58, v2
	v_or_b32_e32 v2, 3, v16
	s_add_i32 s0, s57, s56
	v_mul_lo_u32 v24, s58, v2
	v_add_u32_e32 v2, s0, v0
	v_lshlrev_b32_e32 v17, 1, v0
	v_lshlrev_b32_e32 v4, 2, v13
	v_mov_b32_e32 v8, s82
	v_cmp_gt_u32_e64 s[8:9], s78, v0
	s_mul_i32 s83, s58, s57
	v_subrev_u32_e32 v2, s2, v2
	v_cmp_eq_u32_e64 s[4:5], 0, v13
	v_cmp_gt_u32_e64 s[6:7], 2, v0
	v_add_u32_e32 v18, 0xc00, v17
	v_and_b32_e32 v20, 0x100, v4
	v_cmp_gt_u32_e64 s[10:11], s56, v21
	v_addc_co_u32_e32 v15, vcc, v8, v3, vcc
	v_writelane_b32 v48, s8, 39
	s_lshl_b32 s79, s83, 2
	v_lshlrev_b32_e32 v25, 2, v6
	v_mul_lo_u32 v26, s58, v2
	v_lshlrev_b32_e32 v27, 3, v0
	s_lshl_b32 s12, s57, 3
	s_lshl_b32 s13, s57, 1
	v_or_b32_e32 v28, 0xc00, v4
	s_mov_b32 s73, 14
	s_mov_b64 s[86:87], 0
	s_mov_b32 s72, 0x8000
	v_mov_b32_e32 v29, 0xc00
	v_mov_b32_e32 v30, 0x5040100
	;; [unrolled: 1-line block ×3, first 2 shown]
	s_mov_b32 s2, 0
	s_mov_b32 s0, 0
	;; [unrolled: 1-line block ×3, first 2 shown]
	v_writelane_b32 v48, s9, 40
                                        ; implicit-def: $sgpr88_sgpr89
                                        ; implicit-def: $sgpr92_sgpr93
                                        ; implicit-def: $sgpr90_sgpr91
                                        ; implicit-def: $sgpr94_sgpr95
                                        ; implicit-def: $sgpr60_sgpr61
                                        ; implicit-def: $sgpr62_sgpr63
	s_branch .LBB105_12
.LBB105_8:                              ;   in Loop: Header=BB105_12 Depth=1
	s_xor_b32 s2, s2, 1
	s_add_i32 s1, s73, -2
	s_cmp_eq_u32 s73, 0
	s_mov_b64 s[18:19], 0
	s_cselect_b64 s[26:27], -1, 0
	s_mov_b32 s73, s1
.LBB105_9:                              ;   in Loop: Header=BB105_12 Depth=1
	s_andn2_b64 s[8:9], s[22:23], exec
	s_and_b64 s[18:19], s[18:19], exec
	s_or_b64 s[22:23], s[8:9], s[18:19]
	s_andn2_b64 s[24:25], s[24:25], exec
	s_andn2_b64 s[20:21], s[20:21], exec
	s_orn2_b64 s[18:19], s[26:27], exec
	s_mov_b32 s1, s35
.LBB105_10:                             ;   in Loop: Header=BB105_12 Depth=1
	s_or_b64 exec, exec, s[14:15]
	s_andn2_b64 s[8:9], s[62:63], exec
	s_and_b64 s[14:15], s[22:23], exec
	s_or_b64 s[62:63], s[8:9], s[14:15]
	s_andn2_b64 s[8:9], s[60:61], exec
	s_and_b64 s[14:15], s[24:25], exec
	s_or_b64 s[60:61], s[8:9], s[14:15]
	s_andn2_b64 s[8:9], s[94:95], exec
	s_and_b64 s[14:15], s[20:21], exec
	s_or_b64 s[94:95], s[8:9], s[14:15]
	s_orn2_b64 s[18:19], s[18:19], exec
.LBB105_11:                             ;   in Loop: Header=BB105_12 Depth=1
	s_or_b64 exec, exec, s[16:17]
	s_and_b64 s[8:9], exec, s[18:19]
	s_or_b64 s[86:87], s[8:9], s[86:87]
	s_andn2_b64 s[8:9], s[90:91], exec
	s_and_b64 s[14:15], s[62:63], exec
	s_or_b64 s[90:91], s[8:9], s[14:15]
	s_andn2_b64 s[8:9], s[92:93], exec
	s_and_b64 s[14:15], s[60:61], exec
	;; [unrolled: 3-line block ×3, first 2 shown]
	v_mov_b32_e32 v2, s0
	s_or_b64 s[88:89], s[8:9], s[14:15]
	s_andn2_b64 exec, exec, s[86:87]
	s_cbranch_execz .LBB105_246
.LBB105_12:                             ; =>This Loop Header: Depth=1
                                        ;     Child Loop BB105_17 Depth 2
                                        ;     Child Loop BB105_35 Depth 2
                                        ;     Child Loop BB105_45 Depth 2
                                        ;     Child Loop BB105_52 Depth 2
                                        ;     Child Loop BB105_59 Depth 2
                                        ;     Child Loop BB105_63 Depth 2
                                        ;     Child Loop BB105_73 Depth 2
                                        ;     Child Loop BB105_77 Depth 2
                                        ;     Child Loop BB105_80 Depth 2
                                        ;     Child Loop BB105_101 Depth 2
                                        ;     Child Loop BB105_89 Depth 2
                                        ;     Child Loop BB105_140 Depth 2
                                        ;     Child Loop BB105_128 Depth 2
                                        ;     Child Loop BB105_179 Depth 2
                                        ;     Child Loop BB105_167 Depth 2
                                        ;     Child Loop BB105_218 Depth 2
                                        ;     Child Loop BB105_206 Depth 2
	ds_read_b64 v[2:3], v9 offset:4104
	s_waitcnt lgkmcnt(0)
	v_readfirstlane_b32 s69, v2
	s_cmp_lg_u32 s69, 0
	s_cbranch_scc1 .LBB105_42
; %bb.13:                               ;   in Loop: Header=BB105_12 Depth=1
	v_readlane_b32 s8, v48, 18
	v_readlane_b32 s9, v48, 19
	s_and_b64 vcc, exec, s[8:9]
	s_cbranch_vccz .LBB105_25
; %bb.14:                               ;   in Loop: Header=BB105_12 Depth=1
	s_movk_i32 s8, 0x601
	v_cmp_gt_u32_e32 vcc, s8, v3
	s_mov_b64 s[18:19], 0
	s_mov_b64 s[14:15], 0
	s_cbranch_vccz .LBB105_26
; %bb.15:                               ;   in Loop: Header=BB105_12 Depth=1
	v_readlane_b32 s8, v48, 22
	v_readlane_b32 s9, v48, 23
	s_nop 4
	global_load_ushort v2, v9, s[8:9]
	global_load_ushort v4, v[10:11], off
	s_mov_b64 s[20:21], 0
	s_waitcnt vmcnt(1)
	v_add_u32_e32 v5, v0, v2
	v_mul_lo_u32 v3, s58, v2
	v_mul_lo_u32 v8, s58, v5
	v_mov_b32_e32 v5, v0
	s_branch .LBB105_17
.LBB105_16:                             ;   in Loop: Header=BB105_17 Depth=2
	s_or_b64 exec, exec, s[16:17]
	v_add_u32_e32 v8, v8, v3
	v_mov_b32_e32 v4, v32
	s_andn2_b64 exec, exec, s[20:21]
	s_cbranch_execz .LBB105_27
.LBB105_17:                             ;   Parent Loop BB105_12 Depth=1
                                        ; =>  This Inner Loop Header: Depth=2
	v_add_u32_e32 v5, v5, v2
	v_cmp_gt_u32_e64 s[14:15], s56, v5
	v_cmp_le_u32_e32 vcc, s56, v5
	s_waitcnt lgkmcnt(0)
	v_mov_b32_e32 v33, 0
	v_mov_b32_e32 v32, 0
	s_and_saveexec_b64 s[16:17], s[14:15]
	s_cbranch_execz .LBB105_19
; %bb.18:                               ;   in Loop: Header=BB105_17 Depth=2
	v_lshlrev_b64 v[34:35], 1, v[8:9]
	v_add_co_u32_e64 v34, s[14:15], s59, v34
	v_addc_co_u32_e64 v35, s[14:15], v7, v35, s[14:15]
	global_load_ushort v32, v[34:35], off
.LBB105_19:                             ;   in Loop: Header=BB105_17 Depth=2
	s_or_b64 exec, exec, s[16:17]
	s_waitcnt vmcnt(0)
	v_add_u32_sdwa v34, sext(v4), s72 dst_sel:DWORD dst_unused:UNUSED_PAD src0_sel:WORD_0 src1_sel:DWORD
	v_and_b32_e32 v34, s3, v34
	v_cmp_eq_u32_e64 s[14:15], s0, v34
	s_cmp_lg_u64 s[14:15], 0
	s_cselect_b64 s[8:9], -1, 0
	s_and_b64 s[8:9], s[4:5], s[8:9]
	s_and_saveexec_b64 s[22:23], s[8:9]
	s_cbranch_execz .LBB105_23
; %bb.20:                               ;   in Loop: Header=BB105_17 Depth=2
	s_mov_b64 s[26:27], exec
	v_mbcnt_lo_u32_b32 v33, s26, 0
	v_mbcnt_hi_u32_b32 v33, s27, v33
	s_bcnt1_i32_b64 s8, s[14:15]
	v_cmp_eq_u32_e64 s[16:17], 0, v33
                                        ; implicit-def: $vgpr34
	s_and_saveexec_b64 s[24:25], s[16:17]
	s_cbranch_execz .LBB105_22
; %bb.21:                               ;   in Loop: Header=BB105_17 Depth=2
	s_bcnt1_i32_b64 s9, s[26:27]
	s_mul_i32 s9, s8, s9
	v_mov_b32_e32 v34, s9
	ds_add_rtn_u32 v34, v9, v34 offset:4112
.LBB105_22:                             ;   in Loop: Header=BB105_17 Depth=2
	s_or_b64 exec, exec, s[24:25]
	s_waitcnt lgkmcnt(0)
	v_readfirstlane_b32 s9, v34
	v_mov_b32_e32 v34, s9
	v_mad_u32_u24 v33, s8, v33, v34
.LBB105_23:                             ;   in Loop: Header=BB105_17 Depth=2
	s_or_b64 exec, exec, s[22:23]
	ds_bpermute_b32 v33, v20, v33
	s_and_b64 s[8:9], exec, vcc
	s_or_b64 s[20:21], s[8:9], s[20:21]
	s_and_saveexec_b64 s[16:17], s[14:15]
	s_cbranch_execz .LBB105_16
; %bb.24:                               ;   in Loop: Header=BB105_17 Depth=2
	v_and_b32_e32 v35, s14, v12
	v_and_b32_e32 v34, s15, v1
	v_bcnt_u32_b32 v35, v35, 0
	v_bcnt_u32_b32 v34, v34, v35
	v_lshlrev_b32_e32 v34, 1, v34
	s_waitcnt lgkmcnt(0)
	v_lshl_add_u32 v33, v33, 1, v34
	ds_write_b16 v33, v4
	s_branch .LBB105_16
.LBB105_25:                             ;   in Loop: Header=BB105_12 Depth=1
	s_mov_b64 s[14:15], 0
                                        ; implicit-def: $sgpr69
	s_cbranch_execnz .LBB105_30
	s_branch .LBB105_40
.LBB105_26:                             ;   in Loop: Header=BB105_12 Depth=1
	s_mov_b32 s69, 0
	s_and_b64 vcc, exec, s[18:19]
	s_cbranch_vccnz .LBB105_30
	s_branch .LBB105_40
.LBB105_27:                             ;   in Loop: Header=BB105_12 Depth=1
	s_or_b64 exec, exec, s[20:21]
	s_waitcnt lgkmcnt(0)
	s_barrier
	s_mov_b64 s[14:15], exec
	v_readlane_b32 s8, v48, 2
	v_readlane_b32 s9, v48, 3
	s_and_b64 s[8:9], s[14:15], s[8:9]
	s_mov_b64 exec, s[8:9]
	s_cbranch_execz .LBB105_29
; %bb.28:                               ;   in Loop: Header=BB105_12 Depth=1
	ds_read_b32 v2, v9 offset:4112
	s_waitcnt lgkmcnt(0)
	ds_write_b32 v9, v2 offset:4104
.LBB105_29:                             ;   in Loop: Header=BB105_12 Depth=1
	s_or_b64 exec, exec, s[14:15]
	s_waitcnt lgkmcnt(0)
	s_barrier
	s_mov_b64 s[14:15], -1
	s_mov_b32 s69, 0
	s_and_b64 vcc, exec, s[18:19]
	s_cbranch_vccz .LBB105_40
.LBB105_30:                             ;   in Loop: Header=BB105_12 Depth=1
	v_mov_b32_e32 v2, 0
	s_mov_b64 s[14:15], exec
	v_readlane_b32 s8, v48, 15
	v_readlane_b32 s9, v48, 16
	s_and_b64 s[8:9], s[14:15], s[8:9]
	s_mov_b64 exec, s[8:9]
	s_cbranch_execz .LBB105_32
; %bb.31:                               ;   in Loop: Header=BB105_12 Depth=1
	global_load_ushort v2, v[10:11], off
.LBB105_32:                             ;   in Loop: Header=BB105_12 Depth=1
	s_or_b64 exec, exec, s[14:15]
	s_mov_b64 s[16:17], exec
	v_readlane_b32 s8, v48, 15
	v_readlane_b32 s9, v48, 16
	s_and_b64 s[8:9], s[16:17], s[8:9]
	s_mov_b64 exec, s[8:9]
	s_cbranch_execz .LBB105_37
; %bb.33:                               ;   in Loop: Header=BB105_12 Depth=1
	v_readlane_b32 s8, v48, 22
	v_readlane_b32 s9, v48, 23
	s_mov_b64 s[18:19], 0
	v_mov_b32_e32 v4, v17
	v_mov_b32_e32 v33, v0
	s_nop 1
	global_load_ushort v3, v9, s[8:9]
	s_waitcnt vmcnt(0)
	v_add_u32_e32 v8, v0, v3
	v_lshlrev_b32_e32 v5, 1, v3
	v_mul_lo_u32 v32, s58, v3
	v_mul_lo_u32 v8, s58, v8
	s_branch .LBB105_35
.LBB105_34:                             ;   in Loop: Header=BB105_35 Depth=2
	s_or_b64 exec, exec, s[20:21]
	s_and_b64 s[8:9], exec, vcc
	s_or_b64 s[18:19], s[8:9], s[18:19]
	ds_write_b16 v4, v2
	v_add_u32_e32 v4, v4, v5
	v_add_u32_e32 v8, v8, v32
	s_waitcnt vmcnt(0)
	v_mov_b32_e32 v2, v34
	s_andn2_b64 exec, exec, s[18:19]
	s_cbranch_execz .LBB105_37
.LBB105_35:                             ;   Parent Loop BB105_12 Depth=1
                                        ; =>  This Inner Loop Header: Depth=2
	v_add_u32_e32 v33, v33, v3
	v_cmp_gt_u32_e64 s[14:15], s56, v33
	v_cmp_le_u32_e32 vcc, s56, v33
	v_mov_b32_e32 v34, 0
	s_and_saveexec_b64 s[20:21], s[14:15]
	s_cbranch_execz .LBB105_34
; %bb.36:                               ;   in Loop: Header=BB105_35 Depth=2
	v_lshlrev_b64 v[34:35], 1, v[8:9]
	v_mov_b32_e32 v36, s82
	v_add_co_u32_e64 v34, s[14:15], s59, v34
	v_addc_co_u32_e64 v35, s[14:15], v36, v35, s[14:15]
	global_load_ushort v34, v[34:35], off
	s_branch .LBB105_34
.LBB105_37:                             ;   in Loop: Header=BB105_12 Depth=1
	s_or_b64 exec, exec, s[16:17]
	s_waitcnt lgkmcnt(0)
	s_barrier
	s_mov_b64 s[14:15], exec
	v_readlane_b32 s8, v48, 2
	v_readlane_b32 s9, v48, 3
	s_and_b64 s[8:9], s[14:15], s[8:9]
	s_mov_b64 exec, s[8:9]
	s_cbranch_execz .LBB105_39
; %bb.38:                               ;   in Loop: Header=BB105_12 Depth=1
	s_waitcnt vmcnt(0)
	v_mov_b32_e32 v2, s56
	ds_write_b32 v9, v2 offset:4104
.LBB105_39:                             ;   in Loop: Header=BB105_12 Depth=1
	s_or_b64 exec, exec, s[14:15]
	s_mov_b64 s[14:15], -1
	s_waitcnt lgkmcnt(0)
	s_barrier
                                        ; implicit-def: $sgpr69
.LBB105_40:                             ;   in Loop: Header=BB105_12 Depth=1
	s_and_b64 vcc, exec, s[14:15]
	s_cbranch_vccz .LBB105_42
; %bb.41:                               ;   in Loop: Header=BB105_12 Depth=1
	s_waitcnt vmcnt(0)
	ds_read_b32 v2, v9 offset:4104
	s_waitcnt lgkmcnt(0)
	v_readfirstlane_b32 s69, v2
.LBB105_42:                             ;   in Loop: Header=BB105_12 Depth=1
	s_cmp_lt_i32 s69, 1
	s_cbranch_scc0 .LBB105_54
; %bb.43:                               ;   in Loop: Header=BB105_12 Depth=1
	s_waitcnt vmcnt(0)
	v_mov_b32_e32 v2, 0
	s_mov_b32 s48, 0
	v_mov_b32_e32 v3, 0
	v_mov_b32_e32 v4, v2
	v_mov_b32_e32 v5, 0
	s_mov_b64 s[44:45], exec
	v_readlane_b32 s8, v48, 36
	v_readlane_b32 s9, v48, 37
	s_and_b64 s[8:9], s[44:45], s[8:9]
	s_mov_b64 exec, s[8:9]
	s_cbranch_execz .LBB105_47
; %bb.44:                               ;   in Loop: Header=BB105_12 Depth=1
	s_and_b32 s49, s73, 0xfe
	s_mov_b64 s[46:47], 0
	s_mov_b32 s50, 0
	s_mov_b32 s51, 0
	;; [unrolled: 1-line block ×4, first 2 shown]
	v_mov_b32_e32 v32, v16
.LBB105_45:                             ;   Parent Loop BB105_12 Depth=1
                                        ; =>  This Inner Loop Header: Depth=2
	v_add_u32_e32 v8, s48, v25
	v_lshlrev_b64 v[2:3], 1, v[8:9]
	v_mov_b32_e32 v33, s82
	v_add_u32_e32 v8, s48, v22
	v_add_co_u32_e64 v2, s[14:15], s59, v2
	v_lshlrev_b64 v[4:5], 1, v[8:9]
	v_addc_co_u32_e64 v3, s[14:15], v33, v3, s[14:15]
	v_add_u32_e32 v8, s48, v23
	v_add_co_u32_e64 v4, s[14:15], s59, v4
	v_lshlrev_b64 v[34:35], 1, v[8:9]
	v_add_u32_e32 v8, s48, v24
	v_addc_co_u32_e64 v5, s[14:15], v33, v5, s[14:15]
	global_load_sshort v36, v[2:3], off
	v_lshlrev_b64 v[2:3], 1, v[8:9]
	global_load_sshort v8, v[4:5], off
	v_add_co_u32_e64 v4, s[14:15], s59, v34
	v_addc_co_u32_e64 v5, s[14:15], v33, v35, s[14:15]
	global_load_sshort v4, v[4:5], off
	v_add_co_u32_e64 v2, s[14:15], s59, v2
	v_addc_co_u32_e64 v3, s[14:15], v33, v3, s[14:15]
	global_load_sshort v2, v[2:3], off
	v_add_u32_e32 v32, s84, v32
	v_cmp_le_u32_e32 vcc, s76, v32
	s_add_i32 s48, s48, s79
	s_waitcnt vmcnt(3)
	v_add_u32_e32 v3, 0x8000, v36
	s_waitcnt vmcnt(2)
	v_add_u32_e32 v5, 0x8000, v8
	v_and_b32_e32 v8, s3, v3
	v_bfe_u32 v3, v3, s49, 2
	v_cmp_eq_u32_e64 s[14:15], s0, v8
	v_cmp_eq_u32_e64 s[16:17], 0, v3
	v_and_b32_e32 v8, s3, v5
	v_bfe_u32 v5, v5, s49, 2
	v_cmp_eq_u32_e64 s[18:19], 1, v3
	s_and_b64 s[8:9], s[14:15], s[16:17]
	v_cmp_eq_u32_e64 s[20:21], 2, v3
	v_cmp_eq_u32_e64 s[26:27], 0, v5
	;; [unrolled: 1-line block ×5, first 2 shown]
	v_cndmask_b32_e64 v5, 0, 1, s[8:9]
	s_and_b64 s[8:9], s[14:15], s[18:19]
	v_cmp_eq_u32_e64 s[22:23], 3, v3
	v_cmp_eq_u32_e64 s[24:25], s0, v8
	v_cndmask_b32_e64 v8, 0, 1, s[8:9]
	s_and_b64 s[8:9], s[14:15], s[20:21]
	s_waitcnt vmcnt(1)
	v_add_u32_e32 v4, 0x8000, v4
	v_cndmask_b32_e64 v33, 0, 1, s[8:9]
	s_and_b64 s[8:9], s[14:15], s[22:23]
	v_and_b32_e32 v3, s3, v4
	v_bfe_u32 v4, v4, s49, 2
	v_cndmask_b32_e64 v34, 0, 1, s[8:9]
	s_and_b64 s[8:9], s[24:25], s[26:27]
	v_cmp_eq_u32_e64 s[16:17], 0, v4
	v_cmp_eq_u32_e64 s[18:19], 1, v4
	;; [unrolled: 1-line block ×4, first 2 shown]
	v_cndmask_b32_e64 v4, 0, 1, s[8:9]
	s_and_b64 s[8:9], s[24:25], s[28:29]
	v_cmp_ne_u32_e64 s[36:37], 0, v5
	v_cndmask_b32_e64 v5, 0, 1, s[8:9]
	s_and_b64 s[8:9], s[24:25], s[30:31]
	s_waitcnt vmcnt(0)
	v_add_u32_e32 v2, 0x8000, v2
	v_cmp_eq_u32_e64 s[14:15], s0, v3
	v_cmp_ne_u32_e64 s[26:27], 0, v8
	v_cndmask_b32_e64 v8, 0, 1, s[8:9]
	s_and_b64 s[8:9], s[24:25], s[34:35]
	v_and_b32_e32 v3, s3, v2
	v_bfe_u32 v2, v2, s49, 2
	v_cmp_ne_u32_e64 s[28:29], 0, v33
	v_cndmask_b32_e64 v33, 0, 1, s[8:9]
	s_and_b64 s[8:9], s[14:15], s[16:17]
	v_cmp_eq_u32_e64 s[34:35], 0, v2
	v_cmp_eq_u32_e64 s[38:39], 1, v2
	;; [unrolled: 1-line block ×4, first 2 shown]
	v_cndmask_b32_e64 v2, 0, 1, s[8:9]
	s_and_b64 s[8:9], s[14:15], s[18:19]
	v_cmp_eq_u32_e64 s[24:25], s0, v3
	v_cndmask_b32_e64 v3, 0, 1, s[8:9]
	s_and_b64 s[8:9], s[14:15], s[20:21]
	s_bcnt1_i32_b64 s54, s[36:37]
	v_cmp_ne_u32_e64 s[36:37], 0, v4
	v_cndmask_b32_e64 v4, 0, 1, s[8:9]
	s_and_b64 s[8:9], s[14:15], s[22:23]
	v_cmp_ne_u32_e64 s[16:17], 0, v5
	v_cndmask_b32_e64 v5, 0, 1, s[8:9]
	s_and_b64 s[8:9], s[24:25], s[34:35]
	;; [unrolled: 3-line block ×3, first 2 shown]
	v_cmp_ne_u32_e64 s[30:31], 0, v34
	s_bcnt1_i32_b64 s26, s[26:27]
	s_bcnt1_i32_b64 s27, s[28:29]
	v_cmp_ne_u32_e64 s[18:19], 0, v8
	s_bcnt1_i32_b64 s29, s[16:17]
	v_cmp_ne_u32_e64 s[16:17], 0, v3
	v_cndmask_b32_e64 v3, 0, 1, s[8:9]
	s_and_b64 s[8:9], s[24:25], s[40:41]
	s_bcnt1_i32_b64 s28, s[30:31]
	v_cmp_ne_u32_e64 s[20:21], 0, v33
	s_bcnt1_i32_b64 s30, s[18:19]
	v_cmp_ne_u32_e64 s[18:19], 0, v4
	v_cndmask_b32_e64 v4, 0, 1, s[8:9]
	s_and_b64 s[8:9], s[24:25], s[42:43]
	s_bcnt1_i32_b64 s22, s[36:37]
	s_add_i32 s23, s53, s54
	s_add_i32 s26, s52, s26
	;; [unrolled: 1-line block ×3, first 2 shown]
	s_bcnt1_i32_b64 s31, s[20:21]
	v_cmp_ne_u32_e64 s[20:21], 0, v5
	v_cndmask_b32_e64 v5, 0, 1, s[8:9]
	s_add_i32 s8, s50, s28
	s_bcnt1_i32_b64 s9, s[14:15]
	v_cmp_ne_u32_e64 s[14:15], 0, v2
	s_add_i32 s22, s23, s22
	s_bcnt1_i32_b64 s23, s[16:17]
	v_cmp_ne_u32_e64 s[16:17], 0, v3
	s_add_i32 s24, s26, s29
	s_bcnt1_i32_b64 s25, s[18:19]
	v_cmp_ne_u32_e64 s[18:19], 0, v4
	s_add_i32 s26, s27, s30
	s_bcnt1_i32_b64 s27, s[20:21]
	v_cmp_ne_u32_e64 s[20:21], 0, v5
	s_add_i32 s8, s8, s31
	s_bcnt1_i32_b64 s14, s[14:15]
	s_add_i32 s9, s22, s9
	s_bcnt1_i32_b64 s15, s[16:17]
	;; [unrolled: 2-line block ×4, first 2 shown]
	s_add_i32 s8, s8, s27
	s_add_i32 s53, s9, s14
	;; [unrolled: 1-line block ×5, first 2 shown]
	s_or_b64 s[46:47], vcc, s[46:47]
	v_mov_b32_e32 v2, s53
	v_mov_b32_e32 v3, s52
	;; [unrolled: 1-line block ×4, first 2 shown]
	s_andn2_b64 exec, exec, s[46:47]
	s_cbranch_execnz .LBB105_45
; %bb.46:                               ;   in Loop: Header=BB105_12 Depth=1
	s_or_b64 exec, exec, s[46:47]
.LBB105_47:                             ;   in Loop: Header=BB105_12 Depth=1
	s_or_b64 exec, exec, s[44:45]
	v_mov_b32_e32 v32, 0
	s_and_saveexec_b64 s[14:15], s[10:11]
	s_cbranch_execz .LBB105_49
; %bb.48:                               ;   in Loop: Header=BB105_12 Depth=1
	global_load_ushort v32, v[14:15], off
.LBB105_49:                             ;   in Loop: Header=BB105_12 Depth=1
	s_or_b64 exec, exec, s[14:15]
	s_mov_b64 s[16:17], 0
	s_mov_b64 s[64:65], 0
	s_and_saveexec_b64 s[18:19], s[10:11]
	s_cbranch_execz .LBB105_56
; %bb.50:                               ;   in Loop: Header=BB105_12 Depth=1
	s_and_b32 s8, s73, 0xfe
	s_mov_b64 s[20:21], 0
	v_mov_b32_e32 v8, v26
	v_mov_b32_e32 v33, v21
	s_branch .LBB105_52
.LBB105_51:                             ;   in Loop: Header=BB105_52 Depth=2
	s_or_b64 exec, exec, s[22:23]
	s_waitcnt vmcnt(0)
	v_add_u32_sdwa v32, sext(v32), s72 dst_sel:DWORD dst_unused:UNUSED_PAD src0_sel:WORD_0 src1_sel:DWORD
	s_and_b64 s[14:15], exec, vcc
	v_and_b32_e32 v35, s3, v32
	v_bfe_u32 v32, v32, s8, 2
	s_or_b64 s[20:21], s[14:15], s[20:21]
	v_cmp_eq_u32_e32 vcc, s0, v35
	v_cmp_eq_u32_e64 s[14:15], 0, v32
	s_and_b64 s[14:15], vcc, s[14:15]
	v_cndmask_b32_e64 v35, 0, 1, s[14:15]
	v_cmp_ne_u32_e64 s[14:15], 0, v35
	s_bcnt1_i32_b64 s9, s[14:15]
	v_cmp_eq_u32_e64 s[14:15], 1, v32
	s_and_b64 s[14:15], vcc, s[14:15]
	v_cndmask_b32_e64 v35, 0, 1, s[14:15]
	v_cmp_ne_u32_e64 s[14:15], 0, v35
	v_add_u32_e32 v2, s9, v2
	s_bcnt1_i32_b64 s9, s[14:15]
	v_cmp_eq_u32_e64 s[14:15], 2, v32
	s_and_b64 s[14:15], vcc, s[14:15]
	v_cndmask_b32_e64 v35, 0, 1, s[14:15]
	v_cmp_ne_u32_e64 s[14:15], 0, v35
	v_add_u32_e32 v3, s9, v3
	s_bcnt1_i32_b64 s9, s[14:15]
	v_cmp_eq_u32_e64 s[14:15], 3, v32
	s_and_b64 s[14:15], vcc, s[14:15]
	v_cndmask_b32_e64 v32, 0, 1, s[14:15]
	v_cmp_ne_u32_e32 vcc, 0, v32
	v_add_u32_e32 v4, s9, v4
	s_bcnt1_i32_b64 s9, vcc
	v_add_u32_e32 v5, s9, v5
	v_add_u32_e32 v8, s83, v8
	v_mov_b32_e32 v32, v34
	s_andn2_b64 exec, exec, s[20:21]
	s_cbranch_execz .LBB105_55
.LBB105_52:                             ;   Parent Loop BB105_12 Depth=1
                                        ; =>  This Inner Loop Header: Depth=2
	v_add_u32_e32 v33, s57, v33
	v_cmp_gt_u32_e64 s[14:15], s56, v33
	v_cmp_le_u32_e32 vcc, s56, v33
	v_mov_b32_e32 v34, 0
	s_and_saveexec_b64 s[22:23], s[14:15]
	s_cbranch_execz .LBB105_51
; %bb.53:                               ;   in Loop: Header=BB105_52 Depth=2
	v_lshlrev_b64 v[34:35], 1, v[8:9]
	v_mov_b32_e32 v36, s82
	v_add_co_u32_e64 v34, s[14:15], s59, v34
	v_addc_co_u32_e64 v35, s[14:15], v36, v35, s[14:15]
	global_load_ushort v34, v[34:35], off
	s_branch .LBB105_51
.LBB105_54:                             ;   in Loop: Header=BB105_12 Depth=1
	s_mov_b64 s[64:65], 0
                                        ; implicit-def: $vgpr5
	s_cbranch_execnz .LBB105_57
	s_branch .LBB105_66
.LBB105_55:                             ;   in Loop: Header=BB105_12 Depth=1
	s_or_b64 exec, exec, s[20:21]
	s_mov_b64 s[64:65], exec
.LBB105_56:                             ;   in Loop: Header=BB105_12 Depth=1
	s_or_b64 exec, exec, s[18:19]
	s_and_b64 vcc, exec, s[16:17]
	s_cbranch_vccz .LBB105_66
.LBB105_57:                             ;   in Loop: Header=BB105_12 Depth=1
	s_mul_hi_u32 s8, s69, s33
	s_mul_i32 s8, s8, s84
	s_sub_i32 s8, s69, s8
	s_sub_i32 s9, s8, s84
	s_cmp_ge_u32 s8, s84
	s_cselect_b32 s8, s9, s8
	s_sub_i32 s9, s8, s84
	s_cmp_ge_u32 s8, s84
	s_cselect_b32 s8, s9, s8
	s_sub_i32 s85, s69, s8
	v_cmp_gt_u32_e32 vcc, s85, v16
	s_mov_b32 s74, 0
	s_waitcnt vmcnt(0)
	v_mov_b32_e32 v2, 0
	v_mov_b32_e32 v3, 0
	;; [unrolled: 1-line block ×4, first 2 shown]
	s_and_saveexec_b64 s[66:67], vcc
	s_cbranch_execz .LBB105_61
; %bb.58:                               ;   in Loop: Header=BB105_12 Depth=1
	s_and_b32 s77, s73, 0xfe
	s_mov_b64 s[80:81], 0
	v_mov_b32_e32 v8, v27
	s_mov_b32 s75, 0
	s_mov_b32 s8, 0
	;; [unrolled: 1-line block ×3, first 2 shown]
	v_mov_b32_e32 v32, v16
.LBB105_59:                             ;   Parent Loop BB105_12 Depth=1
                                        ; =>  This Inner Loop Header: Depth=2
	ds_read_b64 v[2:3], v8
	v_add_u32_e32 v32, s84, v32
	v_cmp_le_u32_e32 vcc, s85, v32
	v_add_u32_e32 v8, s12, v8
	s_waitcnt lgkmcnt(0)
	v_add_u32_sdwa v4, sext(v2), s72 dst_sel:DWORD dst_unused:UNUSED_PAD src0_sel:WORD_0 src1_sel:DWORD
	v_add_u32_sdwa v2, sext(v2), s72 dst_sel:DWORD dst_unused:UNUSED_PAD src0_sel:WORD_1 src1_sel:DWORD
	v_and_b32_e32 v33, s3, v4
	v_bfe_u32 v4, v4, s77, 2
	v_add_u32_sdwa v5, sext(v3), s72 dst_sel:DWORD dst_unused:UNUSED_PAD src0_sel:WORD_0 src1_sel:DWORD
	v_and_b32_e32 v34, s3, v2
	v_bfe_u32 v2, v2, s77, 2
	v_cmp_eq_u32_e64 s[14:15], s0, v33
	v_cmp_eq_u32_e64 s[22:23], 0, v4
	v_add_u32_sdwa v3, sext(v3), s72 dst_sel:DWORD dst_unused:UNUSED_PAD src0_sel:WORD_1 src1_sel:DWORD
	v_and_b32_e32 v35, s3, v5
	v_bfe_u32 v5, v5, s77, 2
	v_cmp_eq_u32_e64 s[16:17], s0, v34
	v_cmp_eq_u32_e64 s[24:25], 0, v2
	s_and_b64 s[22:23], s[14:15], s[22:23]
	v_and_b32_e32 v36, s3, v3
	v_bfe_u32 v3, v3, s77, 2
	v_cmp_eq_u32_e64 s[18:19], s0, v35
	v_cmp_eq_u32_e64 s[26:27], 0, v5
	;; [unrolled: 1-line block ×5, first 2 shown]
	v_cndmask_b32_e64 v2, 0, 1, s[22:23]
	s_and_b64 s[22:23], s[16:17], s[24:25]
	v_cmp_eq_u32_e64 s[20:21], s0, v36
	v_cmp_eq_u32_e64 s[28:29], 0, v3
	;; [unrolled: 1-line block ×5, first 2 shown]
	v_cndmask_b32_e64 v3, 0, 1, s[22:23]
	s_and_b64 s[22:23], s[18:19], s[26:27]
	v_cmp_eq_u32_e64 s[30:31], 1, v4
	v_cmp_eq_u32_e64 s[40:41], 2, v4
	;; [unrolled: 1-line block ×3, first 2 shown]
	v_cndmask_b32_e64 v4, 0, 1, s[22:23]
	s_and_b64 s[22:23], s[20:21], s[28:29]
	v_cmp_eq_u32_e64 s[36:37], 1, v5
	v_cmp_eq_u32_e64 s[44:45], 2, v5
	;; [unrolled: 1-line block ×3, first 2 shown]
	v_cndmask_b32_e64 v5, 0, 1, s[22:23]
	s_and_b64 s[22:23], s[14:15], s[30:31]
	v_cndmask_b32_e64 v33, 0, 1, s[22:23]
	s_and_b64 s[22:23], s[16:17], s[34:35]
	;; [unrolled: 2-line block ×5, first 2 shown]
	s_and_b64 s[14:15], s[14:15], s[48:49]
	v_cndmask_b32_e64 v37, 0, 1, s[22:23]
	s_and_b64 s[22:23], s[16:17], s[42:43]
	v_cndmask_b32_e64 v41, 0, 1, s[14:15]
	;; [unrolled: 2-line block ×7, first 2 shown]
	v_cndmask_b32_e64 v44, 0, 1, s[14:15]
	v_cmp_ne_u32_e64 s[14:15], 0, v2
	v_cmp_ne_u32_e64 s[16:17], 0, v3
	;; [unrolled: 1-line block ×11, first 2 shown]
	s_bcnt1_i32_b64 s14, s[14:15]
	s_bcnt1_i32_b64 s15, s[16:17]
	;; [unrolled: 1-line block ×8, first 2 shown]
	v_cmp_ne_u32_e64 s[28:29], 0, v36
	v_cmp_ne_u32_e64 s[36:37], 0, v39
	;; [unrolled: 1-line block ×3, first 2 shown]
	s_bcnt1_i32_b64 s19, s[24:25]
	s_bcnt1_i32_b64 s23, s[34:35]
	;; [unrolled: 1-line block ×3, first 2 shown]
	s_add_i32 s9, s9, s14
	s_add_i32 s8, s8, s18
	;; [unrolled: 1-line block ×4, first 2 shown]
	v_cmp_ne_u32_e64 s[38:39], 0, v40
	v_cmp_ne_u32_e64 s[46:47], 0, v44
	s_bcnt1_i32_b64 s21, s[28:29]
	s_bcnt1_i32_b64 s24, s[36:37]
	;; [unrolled: 1-line block ×3, first 2 shown]
	s_add_i32 s9, s9, s15
	s_add_i32 s8, s8, s19
	;; [unrolled: 1-line block ×4, first 2 shown]
	s_bcnt1_i32_b64 s25, s[38:39]
	s_bcnt1_i32_b64 s29, s[46:47]
	s_add_i32 s9, s9, s16
	s_add_i32 s8, s8, s20
	;; [unrolled: 1-line block ×8, first 2 shown]
	s_or_b64 s[80:81], vcc, s[80:81]
	v_mov_b32_e32 v2, s9
	v_mov_b32_e32 v3, s8
	;; [unrolled: 1-line block ×4, first 2 shown]
	s_andn2_b64 exec, exec, s[80:81]
	s_cbranch_execnz .LBB105_59
; %bb.60:                               ;   in Loop: Header=BB105_12 Depth=1
	s_or_b64 exec, exec, s[80:81]
.LBB105_61:                             ;   in Loop: Header=BB105_12 Depth=1
	s_or_b64 exec, exec, s[66:67]
	v_add_u32_e32 v8, s85, v0
	v_cmp_gt_u32_e32 vcc, s69, v8
	s_and_saveexec_b64 s[24:25], vcc
	s_cbranch_execz .LBB105_65
; %bb.62:                               ;   in Loop: Header=BB105_12 Depth=1
	s_and_b32 s8, s73, 0xfe
	v_lshlrev_b32_e32 v32, 1, v8
	s_mov_b64 s[26:27], 0
.LBB105_63:                             ;   Parent Loop BB105_12 Depth=1
                                        ; =>  This Inner Loop Header: Depth=2
	ds_read_i16 v33, v32
	v_add_u32_e32 v8, s57, v8
	v_cmp_le_u32_e32 vcc, s69, v8
	v_add_u32_e32 v32, s13, v32
	s_waitcnt lgkmcnt(0)
	v_add_u32_e32 v33, 0x8000, v33
	v_and_b32_e32 v34, s3, v33
	v_bfe_u32 v33, v33, s8, 2
	v_cmp_eq_u32_e64 s[14:15], s0, v34
	v_cmp_eq_u32_e64 s[16:17], 0, v33
	;; [unrolled: 1-line block ×3, first 2 shown]
	s_and_b64 s[16:17], s[14:15], s[16:17]
	v_cmp_eq_u32_e64 s[20:21], 2, v33
	v_cmp_eq_u32_e64 s[22:23], 3, v33
	v_cndmask_b32_e64 v33, 0, 1, s[16:17]
	s_and_b64 s[16:17], s[14:15], s[18:19]
	v_cndmask_b32_e64 v34, 0, 1, s[16:17]
	s_and_b64 s[16:17], s[14:15], s[20:21]
	s_and_b64 s[14:15], s[14:15], s[22:23]
	v_cndmask_b32_e64 v35, 0, 1, s[16:17]
	v_cndmask_b32_e64 v36, 0, 1, s[14:15]
	v_cmp_ne_u32_e64 s[14:15], 0, v33
	v_cmp_ne_u32_e64 s[16:17], 0, v34
	;; [unrolled: 1-line block ×4, first 2 shown]
	s_bcnt1_i32_b64 s9, s[14:15]
	s_bcnt1_i32_b64 s14, s[16:17]
	;; [unrolled: 1-line block ×4, first 2 shown]
	v_add_u32_e32 v2, s9, v2
	v_add_u32_e32 v3, s14, v3
	;; [unrolled: 1-line block ×3, first 2 shown]
	s_or_b64 s[26:27], vcc, s[26:27]
	v_add_u32_e32 v5, s16, v5
	s_andn2_b64 exec, exec, s[26:27]
	s_cbranch_execnz .LBB105_63
; %bb.64:                               ;   in Loop: Header=BB105_12 Depth=1
	s_or_b64 exec, exec, s[26:27]
	s_or_b64 s[64:65], s[64:65], exec
.LBB105_65:                             ;   in Loop: Header=BB105_12 Depth=1
	s_or_b64 exec, exec, s[24:25]
.LBB105_66:                             ;   in Loop: Header=BB105_12 Depth=1
	s_and_saveexec_b64 s[14:15], s[64:65]
	s_or_b64 exec, exec, s[14:15]
	s_lshl_b32 s8, s2, 6
	s_and_saveexec_b64 s[14:15], s[4:5]
	s_cbranch_execz .LBB105_68
; %bb.67:                               ;   in Loop: Header=BB105_12 Depth=1
	v_or_b32_e32 v8, s8, v19
	v_lshlrev_b32_e32 v8, 2, v8
	s_waitcnt vmcnt(0)
	ds_write_b128 v8, v[2:5] offset:3072
.LBB105_68:                             ;   in Loop: Header=BB105_12 Depth=1
	s_or_b64 exec, exec, s[14:15]
	s_waitcnt lgkmcnt(0)
	s_barrier
	s_and_saveexec_b64 s[14:15], s[70:71]
	s_cbranch_execz .LBB105_82
; %bb.69:                               ;   in Loop: Header=BB105_12 Depth=1
	v_readlane_b32 s16, v48, 20
	v_readlane_b32 s17, v48, 21
	v_add_u32_e32 v4, s8, v13
	s_andn2_b64 vcc, exec, s[16:17]
	s_waitcnt vmcnt(0)
	v_mov_b32_e32 v2, 0
	s_cbranch_vccnz .LBB105_81
; %bb.70:                               ;   in Loop: Header=BB105_12 Depth=1
	v_readlane_b32 s16, v48, 24
	v_readlane_b32 s17, v48, 25
	s_mov_b32 s9, 0
	s_and_b64 vcc, exec, s[16:17]
	v_mov_b32_e32 v2, 0
	s_cbranch_vccz .LBB105_74
; %bb.71:                               ;   in Loop: Header=BB105_12 Depth=1
	v_readlane_b32 s16, v48, 26
	v_readlane_b32 s17, v48, 27
	v_lshl_add_u32 v5, v4, 2, v29
	s_andn2_b64 vcc, exec, s[16:17]
	s_cbranch_vccnz .LBB105_75
; %bb.72:                               ;   in Loop: Header=BB105_12 Depth=1
	s_mov_b32 s17, 1
	s_mov_b32 s16, 0
	v_mov_b32_e32 v2, 0
	v_readlane_b32 s9, v48, 28
	v_mov_b32_e32 v3, 0
.LBB105_73:                             ;   Parent Loop BB105_12 Depth=1
                                        ; =>  This Inner Loop Header: Depth=2
	v_lshl_add_u32 v8, s16, 4, v5
	v_lshl_add_u32 v46, s17, 4, v5
	ds_read2_b32 v[32:33], v8 offset1:8
	ds_read2_b32 v[34:35], v46 offset1:8
	ds_read2_b32 v[36:37], v8 offset0:16 offset1:24
	ds_read2_b32 v[38:39], v46 offset0:16 offset1:24
	;; [unrolled: 1-line block ×6, first 2 shown]
	s_waitcnt lgkmcnt(7)
	v_add3_u32 v2, v32, v2, v33
	s_waitcnt lgkmcnt(6)
	v_add3_u32 v3, v34, v3, v35
	;; [unrolled: 2-line block ×3, first 2 shown]
	v_add3_u32 v2, v36, v2, v37
	s_add_i32 s17, s17, 16
	s_add_i32 s16, s16, 16
	s_add_i32 s9, s9, -8
	s_waitcnt lgkmcnt(3)
	v_add3_u32 v2, v40, v2, v41
	s_waitcnt lgkmcnt(2)
	v_add3_u32 v3, v42, v3, v43
	s_cmp_lg_u32 s9, 0
	s_waitcnt lgkmcnt(0)
	v_add3_u32 v3, v46, v3, v47
	v_add3_u32 v2, v44, v2, v45
	s_cbranch_scc1 .LBB105_73
	s_branch .LBB105_76
.LBB105_74:                             ;   in Loop: Header=BB105_12 Depth=1
	s_cbranch_execnz .LBB105_79
	s_branch .LBB105_81
.LBB105_75:                             ;   in Loop: Header=BB105_12 Depth=1
	s_mov_b32 s69, s68
	v_pk_mov_b32 v[2:3], s[68:69], s[68:69] op_sel:[0,1]
	s_mov_b32 s69, 1
	s_mov_b64 s[16:17], s[68:69]
.LBB105_76:                             ;   in Loop: Header=BB105_12 Depth=1
	v_readlane_b32 s18, v48, 30
	v_readlane_b32 s19, v48, 31
	s_andn2_b64 vcc, exec, s[18:19]
	v_readlane_b32 s9, v48, 29
	s_cbranch_vccnz .LBB105_78
.LBB105_77:                             ;   Parent Loop BB105_12 Depth=1
                                        ; =>  This Inner Loop Header: Depth=2
	v_lshl_add_u32 v8, s16, 4, v5
	v_lshl_add_u32 v32, s17, 4, v5
	ds_read_b32 v32, v32
	ds_read_b32 v8, v8
	s_add_i32 s17, s17, 2
	s_add_i32 s16, s16, 2
	s_add_i32 s9, s9, -1
	s_cmp_lg_u32 s9, 0
	s_waitcnt lgkmcnt(1)
	v_add_u32_e32 v3, v32, v3
	s_waitcnt lgkmcnt(0)
	v_add_u32_e32 v2, v8, v2
	s_cbranch_scc1 .LBB105_77
.LBB105_78:                             ;   in Loop: Header=BB105_12 Depth=1
	v_readlane_b32 s16, v48, 34
	v_add_u32_e32 v2, v2, v3
	v_readlane_b32 s9, v48, 33
	v_readlane_b32 s17, v48, 35
	s_and_b64 vcc, exec, s[16:17]
	s_cbranch_vccz .LBB105_81
.LBB105_79:                             ;   in Loop: Header=BB105_12 Depth=1
	s_lshl_b32 s16, s2, 8
	s_lshl_b32 s17, s9, 4
	s_add_i32 s16, s16, s17
	v_add_u32_e32 v3, s16, v28
	v_readlane_b32 s16, v48, 32
	s_sub_i32 s9, s16, s9
.LBB105_80:                             ;   Parent Loop BB105_12 Depth=1
                                        ; =>  This Inner Loop Header: Depth=2
	ds_read_b32 v5, v3
	s_add_i32 s9, s9, -1
	v_add_u32_e32 v3, 16, v3
	s_cmp_eq_u32 s9, 0
	s_waitcnt lgkmcnt(0)
	v_add_u32_e32 v2, v5, v2
	s_cbranch_scc0 .LBB105_80
.LBB105_81:                             ;   in Loop: Header=BB105_12 Depth=1
	v_lshlrev_b32_e32 v3, 2, v4
	ds_write_b32 v3, v2 offset:3072
.LBB105_82:                             ;   in Loop: Header=BB105_12 Depth=1
	s_or_b64 exec, exec, s[14:15]
	s_lshl_b32 s8, s8, 2
	s_waitcnt vmcnt(0)
	v_mov_b32_e32 v2, s8
	s_waitcnt lgkmcnt(0)
	s_barrier
	ds_read_b128 v[2:5], v2 offset:3072
	s_and_b32 s43, s73, 0xfe
	s_lshl_b32 s51, 3, s43
	s_not_b32 s44, s51
	s_mov_b64 s[18:19], -1
	s_waitcnt lgkmcnt(0)
	v_readfirstlane_b32 s28, v2
	s_cmp_eq_u32 s28, 1
	s_cselect_b64 s[8:9], -1, 0
	s_cmp_eq_u32 s1, 1
	s_cselect_b64 s[14:15], -1, 0
	s_and_b64 s[20:21], s[8:9], s[14:15]
	v_readfirstlane_b32 s34, v3
	v_readfirstlane_b32 s42, v4
	;; [unrolled: 1-line block ×3, first 2 shown]
	s_and_b64 vcc, exec, s[20:21]
	s_cbranch_vccz .LBB105_94
; %bb.83:                               ;   in Loop: Header=BB105_12 Depth=1
	ds_read_b32 v2, v9 offset:4104
	s_waitcnt lgkmcnt(0)
	s_barrier
	v_readfirstlane_b32 s8, v2
	s_and_saveexec_b64 s[14:15], s[6:7]
	s_cbranch_execz .LBB105_85
; %bb.84:                               ;   in Loop: Header=BB105_12 Depth=1
	ds_write_b16 v18, v9
.LBB105_85:                             ;   in Loop: Header=BB105_12 Depth=1
	s_or_b64 exec, exec, s[14:15]
	s_and_b32 s0, s0, s44
	s_or_b32 s3, s3, s51
	s_cmp_eq_u32 s8, 0
	s_waitcnt lgkmcnt(0)
	s_barrier
	s_cbranch_scc1 .LBB105_95
; %bb.86:                               ;   in Loop: Header=BB105_12 Depth=1
	v_readlane_b32 s9, v48, 17
	s_add_i32 s9, s8, s9
	v_readlane_b32 s14, v48, 38
	s_mul_hi_u32 s14, s9, s14
	s_mul_i32 s14, s14, s57
	s_sub_i32 s14, s9, s14
	s_sub_i32 s15, s14, s57
	s_cmp_ge_u32 s14, s57
	s_cselect_b32 s14, s15, s14
	s_sub_i32 s15, s14, s57
	s_cmp_ge_u32 s14, s57
	s_cselect_b32 s14, s15, s14
	s_sub_i32 s9, s9, s14
	v_cmp_gt_u32_e32 vcc, s9, v0
	s_mov_b64 s[14:15], 0
                                        ; implicit-def: $vgpr31
	s_and_saveexec_b64 s[16:17], vcc
	s_cbranch_execz .LBB105_97
; %bb.87:                               ;   in Loop: Header=BB105_12 Depth=1
	s_mov_b64 s[22:23], 0
	v_mov_b32_e32 v2, v17
	v_mov_b32_e32 v3, v0
                                        ; implicit-def: $sgpr24_sgpr25
	s_branch .LBB105_89
.LBB105_88:                             ;   in Loop: Header=BB105_89 Depth=2
	s_or_b64 exec, exec, s[14:15]
	s_waitcnt lgkmcnt(0)
	s_barrier
	ds_read_b32 v4, v9 offset:3072
	v_add_u32_e32 v3, s57, v3
	v_cmp_le_u32_e64 s[14:15], s9, v3
	v_add_u32_e32 v2, s13, v2
	s_waitcnt lgkmcnt(0)
	v_cmp_ne_u16_e32 vcc, 0, v4
	s_or_b64 s[14:15], s[14:15], vcc
	s_and_b64 s[14:15], exec, s[14:15]
	s_or_b64 s[22:23], s[14:15], s[22:23]
	s_andn2_b64 s[14:15], s[24:25], exec
	s_and_b64 s[24:25], vcc, exec
	s_or_b64 s[24:25], s[14:15], s[24:25]
	s_barrier
	s_andn2_b64 exec, exec, s[22:23]
	s_cbranch_execz .LBB105_96
.LBB105_89:                             ;   Parent Loop BB105_12 Depth=1
                                        ; =>  This Inner Loop Header: Depth=2
	v_cmp_gt_u32_e32 vcc, s8, v3
	v_mov_b32_e32 v4, 0
	s_and_saveexec_b64 s[14:15], vcc
	s_cbranch_execz .LBB105_91
; %bb.90:                               ;   in Loop: Header=BB105_89 Depth=2
	ds_read_u16 v4, v2
.LBB105_91:                             ;   in Loop: Header=BB105_89 Depth=2
	s_or_b64 exec, exec, s[14:15]
	s_and_saveexec_b64 s[14:15], vcc
	s_cbranch_execz .LBB105_88
; %bb.92:                               ;   in Loop: Header=BB105_89 Depth=2
	s_waitcnt lgkmcnt(0)
	v_add_u32_sdwa v5, sext(v4), s72 dst_sel:DWORD dst_unused:UNUSED_PAD src0_sel:WORD_0 src1_sel:DWORD
	v_and_b32_e32 v5, s3, v5
	v_cmp_eq_u32_e32 vcc, s0, v5
	s_and_b64 exec, exec, vcc
	s_cbranch_execz .LBB105_88
; %bb.93:                               ;   in Loop: Header=BB105_89 Depth=2
	v_perm_b32 v4, v4, 1, v30
	ds_write_b32 v9, v4 offset:3072
	s_branch .LBB105_88
.LBB105_94:                             ;   in Loop: Header=BB105_12 Depth=1
	s_mov_b64 s[14:15], -1
                                        ; implicit-def: $sgpr16_sgpr17
                                        ; implicit-def: $sgpr24_sgpr25
                                        ; implicit-def: $sgpr22_sgpr23
	s_branch .LBB105_108
.LBB105_95:                             ;   in Loop: Header=BB105_12 Depth=1
	s_mov_b64 s[16:17], -1
	s_mov_b64 s[14:15], 0
                                        ; implicit-def: $sgpr22_sgpr23
                                        ; implicit-def: $vgpr31
	s_mov_b64 s[24:25], s[16:17]
	s_cbranch_execnz .LBB105_98
	s_branch .LBB105_108
.LBB105_96:                             ;   in Loop: Header=BB105_12 Depth=1
	s_or_b64 exec, exec, s[22:23]
	v_lshrrev_b32_e32 v31, 16, v4
	s_and_b64 s[14:15], s[24:25], exec
.LBB105_97:                             ;   in Loop: Header=BB105_12 Depth=1
	s_or_b64 exec, exec, s[16:17]
	s_mov_b64 s[22:23], -1
	s_mov_b64 s[16:17], 0
	s_mov_b64 s[24:25], s[16:17]
	s_branch .LBB105_108
.LBB105_98:                             ;   in Loop: Header=BB105_12 Depth=1
	s_mov_b64 s[14:15], 0
                                        ; implicit-def: $vgpr31
	s_mov_b64 s[16:17], exec
	v_readlane_b32 s8, v48, 39
	v_readlane_b32 s9, v48, 40
	s_and_b64 s[8:9], s[16:17], s[8:9]
	s_mov_b64 exec, s[8:9]
	s_cbranch_execz .LBB105_107
; %bb.99:                               ;   in Loop: Header=BB105_12 Depth=1
	s_mov_b64 s[22:23], 0
	v_mov_b32_e32 v8, v6
	v_mov_b32_e32 v2, v0
                                        ; implicit-def: $sgpr24_sgpr25
	s_branch .LBB105_101
.LBB105_100:                            ;   in Loop: Header=BB105_101 Depth=2
	s_or_b64 exec, exec, s[14:15]
	s_waitcnt lgkmcnt(0)
	s_barrier
	s_waitcnt vmcnt(0)
	ds_read_b32 v3, v9 offset:3072
	v_add_u32_e32 v2, s57, v2
	v_cmp_le_u32_e64 s[14:15], s78, v2
	v_add_u32_e32 v8, s83, v8
	s_waitcnt lgkmcnt(0)
	v_cmp_ne_u16_e32 vcc, 0, v3
	s_or_b64 s[8:9], s[14:15], vcc
	s_and_b64 s[8:9], exec, s[8:9]
	s_or_b64 s[22:23], s[8:9], s[22:23]
	s_andn2_b64 s[8:9], s[24:25], exec
	s_and_b64 s[14:15], vcc, exec
	s_or_b64 s[24:25], s[8:9], s[14:15]
	s_barrier
	s_andn2_b64 exec, exec, s[22:23]
	s_cbranch_execz .LBB105_106
.LBB105_101:                            ;   Parent Loop BB105_12 Depth=1
                                        ; =>  This Inner Loop Header: Depth=2
	v_cmp_gt_u32_e32 vcc, s56, v2
	v_mov_b32_e32 v3, 0
	s_and_saveexec_b64 s[26:27], vcc
	s_cbranch_execz .LBB105_103
; %bb.102:                              ;   in Loop: Header=BB105_101 Depth=2
	v_lshlrev_b64 v[4:5], 1, v[8:9]
	v_mov_b32_e32 v3, s82
	v_add_co_u32_e64 v4, s[14:15], s59, v4
	v_addc_co_u32_e64 v5, s[14:15], v3, v5, s[14:15]
	global_load_ushort v3, v[4:5], off
.LBB105_103:                            ;   in Loop: Header=BB105_101 Depth=2
	s_or_b64 exec, exec, s[26:27]
	s_and_saveexec_b64 s[14:15], vcc
	s_cbranch_execz .LBB105_100
; %bb.104:                              ;   in Loop: Header=BB105_101 Depth=2
	s_waitcnt vmcnt(0)
	v_add_u32_sdwa v4, sext(v3), s72 dst_sel:DWORD dst_unused:UNUSED_PAD src0_sel:WORD_0 src1_sel:DWORD
	v_and_b32_e32 v4, s3, v4
	v_cmp_eq_u32_e32 vcc, s0, v4
	s_and_b64 exec, exec, vcc
	s_cbranch_execz .LBB105_100
; %bb.105:                              ;   in Loop: Header=BB105_101 Depth=2
	v_perm_b32 v3, v3, 1, v30
	ds_write_b32 v9, v3 offset:3072
	s_branch .LBB105_100
.LBB105_106:                            ;   in Loop: Header=BB105_12 Depth=1
	s_or_b64 exec, exec, s[22:23]
	v_lshrrev_b32_e32 v31, 16, v3
	s_and_b64 s[14:15], s[24:25], exec
.LBB105_107:                            ;   in Loop: Header=BB105_12 Depth=1
	s_or_b64 exec, exec, s[16:17]
	s_mov_b64 s[24:25], -1
	s_mov_b64 s[16:17], 0
	s_mov_b64 s[22:23], 0
.LBB105_108:                            ;   in Loop: Header=BB105_12 Depth=1
	s_andn2_b64 s[8:9], s[62:63], exec
	s_and_b64 s[16:17], s[16:17], exec
	s_or_b64 s[62:63], s[8:9], s[16:17]
	s_andn2_b64 s[8:9], s[60:61], exec
	s_and_b64 s[16:17], s[24:25], exec
	s_or_b64 s[60:61], s[8:9], s[16:17]
	;; [unrolled: 3-line block ×3, first 2 shown]
	s_and_saveexec_b64 s[16:17], s[14:15]
	s_cbranch_execz .LBB105_11
; %bb.109:                              ;   in Loop: Header=BB105_12 Depth=1
	s_xor_b64 s[8:9], s[20:21], -1
	s_mov_b64 s[14:15], 0
	s_andn2_b64 vcc, exec, s[8:9]
	s_mov_b32 s35, 1
	s_cbranch_vccnz .LBB105_120
; %bb.110:                              ;   in Loop: Header=BB105_12 Depth=1
	s_cmp_gt_u32 s1, s28
	s_mov_b64 s[14:15], -1
                                        ; implicit-def: $sgpr52
                                        ; implicit-def: $sgpr8
                                        ; implicit-def: $sgpr9
	s_cbranch_scc1 .LBB105_116
; %bb.111:                              ;   in Loop: Header=BB105_12 Depth=1
	ds_read_b32 v2, v9 offset:4104
	s_waitcnt lgkmcnt(0)
	v_cmp_ne_u32_e32 vcc, 0, v2
	s_cbranch_vccnz .LBB105_115
; %bb.112:                              ;   in Loop: Header=BB105_12 Depth=1
	s_mov_b64 s[14:15], exec
	v_readlane_b32 s8, v48, 2
	v_readlane_b32 s9, v48, 3
	s_and_b64 s[8:9], s[14:15], s[8:9]
	s_mov_b64 exec, s[8:9]
	s_cbranch_execz .LBB105_114
; %bb.113:                              ;   in Loop: Header=BB105_12 Depth=1
	v_mov_b32_e32 v2, s28
	ds_write_b32 v9, v2 offset:4108
.LBB105_114:                            ;   in Loop: Header=BB105_12 Depth=1
	s_or_b64 exec, exec, s[14:15]
	s_waitcnt lgkmcnt(0)
	s_barrier
.LBB105_115:                            ;   in Loop: Header=BB105_12 Depth=1
	s_and_b32 s8, s0, s44
	s_or_b32 s9, s3, s51
	s_mov_b64 s[14:15], 0
	s_mov_b32 s52, 8
.LBB105_116:                            ;   in Loop: Header=BB105_12 Depth=1
	s_andn2_b64 vcc, exec, s[14:15]
	s_cbranch_vccnz .LBB105_118
; %bb.117:                              ;   in Loop: Header=BB105_12 Depth=1
	s_sub_i32 s1, s1, s28
	s_mov_b64 s[14:15], -1
	s_mov_b32 s52, 0
	s_mov_b32 s8, s0
	;; [unrolled: 1-line block ×3, first 2 shown]
.LBB105_118:                            ;   in Loop: Header=BB105_12 Depth=1
	s_mov_b32 s3, s9
	s_mov_b32 s0, s8
	;; [unrolled: 1-line block ×3, first 2 shown]
	s_mov_b64 s[18:19], -1
	s_and_b64 vcc, exec, s[14:15]
	s_cbranch_vccnz .LBB105_121
.LBB105_119:                            ;   in Loop: Header=BB105_12 Depth=1
	s_mov_b64 s[30:31], -1
                                        ; implicit-def: $sgpr20_sgpr21
                                        ; implicit-def: $sgpr24_sgpr25
                                        ; implicit-def: $sgpr22_sgpr23
                                        ; implicit-def: $sgpr1
	s_and_saveexec_b64 s[8:9], s[30:31]
	s_xor_b64 s[14:15], exec, s[8:9]
	s_cbranch_execz .LBB105_10
	s_branch .LBB105_244
.LBB105_120:                            ;   in Loop: Header=BB105_12 Depth=1
	s_mov_b32 s52, 1
	s_mov_b64 s[18:19], -1
	s_and_b64 vcc, exec, s[14:15]
	s_cbranch_vccz .LBB105_119
.LBB105_121:                            ;   in Loop: Header=BB105_12 Depth=1
	s_cmp_eq_u32 s34, 1
	s_cselect_b64 s[8:9], -1, 0
	s_cmp_eq_u32 s35, 1
	s_cselect_b64 s[14:15], -1, 0
	s_and_b64 s[28:29], s[8:9], s[14:15]
	s_mov_b64 s[14:15], -1
	s_and_b64 vcc, exec, s[28:29]
	s_cbranch_vccz .LBB105_133
; %bb.122:                              ;   in Loop: Header=BB105_12 Depth=1
	ds_read_b32 v2, v9 offset:4104
	s_waitcnt lgkmcnt(0)
	s_barrier
	v_readfirstlane_b32 s1, v2
	s_and_saveexec_b64 s[14:15], s[6:7]
	s_cbranch_execz .LBB105_124
; %bb.123:                              ;   in Loop: Header=BB105_12 Depth=1
	ds_write_b16 v18, v9
.LBB105_124:                            ;   in Loop: Header=BB105_12 Depth=1
	s_or_b64 exec, exec, s[14:15]
	s_lshl_b32 s8, 1, s43
	s_and_b32 s0, s0, s44
	s_or_b32 s0, s0, s8
	s_or_b32 s3, s3, s51
	s_cmp_eq_u32 s1, 0
	s_waitcnt lgkmcnt(0)
	s_barrier
	s_cbranch_scc1 .LBB105_134
; %bb.125:                              ;   in Loop: Header=BB105_12 Depth=1
	v_readlane_b32 s8, v48, 17
	s_add_i32 s8, s1, s8
	v_readlane_b32 s9, v48, 38
	s_mul_hi_u32 s9, s8, s9
	s_mul_i32 s9, s9, s57
	s_sub_i32 s9, s8, s9
	s_sub_i32 s14, s9, s57
	s_cmp_ge_u32 s9, s57
	s_cselect_b32 s9, s14, s9
	s_sub_i32 s14, s9, s57
	s_cmp_ge_u32 s9, s57
	s_cselect_b32 s9, s14, s9
	s_sub_i32 s8, s8, s9
	v_cmp_gt_u32_e32 vcc, s8, v0
	s_mov_b64 s[14:15], 0
                                        ; implicit-def: $vgpr31
	s_and_saveexec_b64 s[20:21], vcc
	s_cbranch_execz .LBB105_136
; %bb.126:                              ;   in Loop: Header=BB105_12 Depth=1
	s_mov_b64 s[22:23], 0
	v_mov_b32_e32 v2, v17
	v_mov_b32_e32 v3, v0
                                        ; implicit-def: $sgpr24_sgpr25
	s_branch .LBB105_128
.LBB105_127:                            ;   in Loop: Header=BB105_128 Depth=2
	s_or_b64 exec, exec, s[14:15]
	s_waitcnt lgkmcnt(0)
	s_barrier
	ds_read_b32 v4, v9 offset:3072
	v_add_u32_e32 v3, s57, v3
	v_cmp_le_u32_e64 s[14:15], s8, v3
	v_add_u32_e32 v2, s13, v2
	s_waitcnt lgkmcnt(0)
	v_cmp_ne_u16_e32 vcc, 0, v4
	s_or_b64 s[14:15], s[14:15], vcc
	s_and_b64 s[14:15], exec, s[14:15]
	s_or_b64 s[22:23], s[14:15], s[22:23]
	s_andn2_b64 s[14:15], s[24:25], exec
	s_and_b64 s[24:25], vcc, exec
	s_or_b64 s[24:25], s[14:15], s[24:25]
	s_barrier
	s_andn2_b64 exec, exec, s[22:23]
	s_cbranch_execz .LBB105_135
.LBB105_128:                            ;   Parent Loop BB105_12 Depth=1
                                        ; =>  This Inner Loop Header: Depth=2
	v_cmp_gt_u32_e32 vcc, s1, v3
	v_mov_b32_e32 v4, 0
	s_and_saveexec_b64 s[14:15], vcc
	s_cbranch_execz .LBB105_130
; %bb.129:                              ;   in Loop: Header=BB105_128 Depth=2
	ds_read_u16 v4, v2
.LBB105_130:                            ;   in Loop: Header=BB105_128 Depth=2
	s_or_b64 exec, exec, s[14:15]
	s_and_saveexec_b64 s[14:15], vcc
	s_cbranch_execz .LBB105_127
; %bb.131:                              ;   in Loop: Header=BB105_128 Depth=2
	s_waitcnt lgkmcnt(0)
	v_add_u32_sdwa v5, sext(v4), s72 dst_sel:DWORD dst_unused:UNUSED_PAD src0_sel:WORD_0 src1_sel:DWORD
	v_and_b32_e32 v5, s3, v5
	v_cmp_eq_u32_e32 vcc, s0, v5
	s_and_b64 exec, exec, vcc
	s_cbranch_execz .LBB105_127
; %bb.132:                              ;   in Loop: Header=BB105_128 Depth=2
	v_perm_b32 v4, v4, 1, v30
	ds_write_b32 v9, v4 offset:3072
	s_branch .LBB105_127
.LBB105_133:                            ;   in Loop: Header=BB105_12 Depth=1
                                        ; implicit-def: $sgpr22_sgpr23
                                        ; implicit-def: $sgpr24_sgpr25
                                        ; implicit-def: $sgpr20_sgpr21
	s_branch .LBB105_147
.LBB105_134:                            ;   in Loop: Header=BB105_12 Depth=1
	s_mov_b64 s[22:23], -1
	s_mov_b64 s[14:15], 0
                                        ; implicit-def: $sgpr20_sgpr21
                                        ; implicit-def: $vgpr31
	s_mov_b64 s[24:25], s[22:23]
	s_cbranch_execnz .LBB105_137
	s_branch .LBB105_147
.LBB105_135:                            ;   in Loop: Header=BB105_12 Depth=1
	s_or_b64 exec, exec, s[22:23]
	v_lshrrev_b32_e32 v31, 16, v4
	s_and_b64 s[14:15], s[24:25], exec
.LBB105_136:                            ;   in Loop: Header=BB105_12 Depth=1
	s_or_b64 exec, exec, s[20:21]
	s_mov_b64 s[20:21], -1
	s_mov_b64 s[22:23], 0
	s_mov_b64 s[24:25], s[22:23]
	s_branch .LBB105_147
.LBB105_137:                            ;   in Loop: Header=BB105_12 Depth=1
	s_mov_b64 s[14:15], 0
                                        ; implicit-def: $vgpr31
	s_mov_b64 s[20:21], exec
	v_readlane_b32 s8, v48, 39
	v_readlane_b32 s9, v48, 40
	s_and_b64 s[8:9], s[20:21], s[8:9]
	s_mov_b64 exec, s[8:9]
	s_cbranch_execz .LBB105_146
; %bb.138:                              ;   in Loop: Header=BB105_12 Depth=1
	s_mov_b64 s[22:23], 0
	v_mov_b32_e32 v8, v6
	v_mov_b32_e32 v2, v0
                                        ; implicit-def: $sgpr24_sgpr25
	s_branch .LBB105_140
.LBB105_139:                            ;   in Loop: Header=BB105_140 Depth=2
	s_or_b64 exec, exec, s[14:15]
	s_waitcnt lgkmcnt(0)
	s_barrier
	s_waitcnt vmcnt(0)
	ds_read_b32 v3, v9 offset:3072
	v_add_u32_e32 v2, s57, v2
	v_cmp_le_u32_e64 s[14:15], s78, v2
	v_add_u32_e32 v8, s83, v8
	s_waitcnt lgkmcnt(0)
	v_cmp_ne_u16_e32 vcc, 0, v3
	s_or_b64 s[8:9], s[14:15], vcc
	s_and_b64 s[8:9], exec, s[8:9]
	s_or_b64 s[22:23], s[8:9], s[22:23]
	s_andn2_b64 s[8:9], s[24:25], exec
	s_and_b64 s[14:15], vcc, exec
	s_or_b64 s[24:25], s[8:9], s[14:15]
	s_barrier
	s_andn2_b64 exec, exec, s[22:23]
	s_cbranch_execz .LBB105_145
.LBB105_140:                            ;   Parent Loop BB105_12 Depth=1
                                        ; =>  This Inner Loop Header: Depth=2
	v_cmp_gt_u32_e32 vcc, s56, v2
	v_mov_b32_e32 v3, 0
	s_and_saveexec_b64 s[26:27], vcc
	s_cbranch_execz .LBB105_142
; %bb.141:                              ;   in Loop: Header=BB105_140 Depth=2
	v_lshlrev_b64 v[4:5], 1, v[8:9]
	v_mov_b32_e32 v3, s82
	v_add_co_u32_e64 v4, s[14:15], s59, v4
	v_addc_co_u32_e64 v5, s[14:15], v3, v5, s[14:15]
	global_load_ushort v3, v[4:5], off
.LBB105_142:                            ;   in Loop: Header=BB105_140 Depth=2
	s_or_b64 exec, exec, s[26:27]
	s_and_saveexec_b64 s[14:15], vcc
	s_cbranch_execz .LBB105_139
; %bb.143:                              ;   in Loop: Header=BB105_140 Depth=2
	s_waitcnt vmcnt(0)
	v_add_u32_sdwa v4, sext(v3), s72 dst_sel:DWORD dst_unused:UNUSED_PAD src0_sel:WORD_0 src1_sel:DWORD
	v_and_b32_e32 v4, s3, v4
	v_cmp_eq_u32_e32 vcc, s0, v4
	s_and_b64 exec, exec, vcc
	s_cbranch_execz .LBB105_139
; %bb.144:                              ;   in Loop: Header=BB105_140 Depth=2
	v_perm_b32 v3, v3, 1, v30
	ds_write_b32 v9, v3 offset:3072
	s_branch .LBB105_139
.LBB105_145:                            ;   in Loop: Header=BB105_12 Depth=1
	s_or_b64 exec, exec, s[22:23]
	v_lshrrev_b32_e32 v31, 16, v3
	s_and_b64 s[14:15], s[24:25], exec
.LBB105_146:                            ;   in Loop: Header=BB105_12 Depth=1
	s_or_b64 exec, exec, s[20:21]
	s_mov_b64 s[24:25], -1
	s_mov_b64 s[22:23], 0
	s_mov_b64 s[20:21], 0
.LBB105_147:                            ;   in Loop: Header=BB105_12 Depth=1
	s_mov_b64 s[30:31], 0
                                        ; implicit-def: $sgpr52
	s_and_saveexec_b64 s[26:27], s[14:15]
	s_cbranch_execz .LBB105_243
; %bb.148:                              ;   in Loop: Header=BB105_12 Depth=1
	s_xor_b64 s[8:9], s[28:29], -1
	s_mov_b64 s[14:15], 0
	s_andn2_b64 vcc, exec, s[8:9]
	s_mov_b32 s45, 1
	s_cbranch_vccnz .LBB105_159
; %bb.149:                              ;   in Loop: Header=BB105_12 Depth=1
	s_cmp_gt_u32 s35, s34
	s_mov_b64 s[14:15], -1
                                        ; implicit-def: $sgpr52
                                        ; implicit-def: $sgpr1
                                        ; implicit-def: $sgpr8
	s_cbranch_scc1 .LBB105_155
; %bb.150:                              ;   in Loop: Header=BB105_12 Depth=1
	ds_read_b32 v2, v9 offset:4104
	s_waitcnt lgkmcnt(0)
	v_cmp_ne_u32_e32 vcc, 0, v2
	s_cbranch_vccnz .LBB105_154
; %bb.151:                              ;   in Loop: Header=BB105_12 Depth=1
	s_mov_b64 s[14:15], exec
	v_readlane_b32 s8, v48, 2
	v_readlane_b32 s9, v48, 3
	s_and_b64 s[8:9], s[14:15], s[8:9]
	s_mov_b64 exec, s[8:9]
	s_cbranch_execz .LBB105_153
; %bb.152:                              ;   in Loop: Header=BB105_12 Depth=1
	v_mov_b32_e32 v2, s34
	ds_write_b32 v9, v2 offset:4108
.LBB105_153:                            ;   in Loop: Header=BB105_12 Depth=1
	s_or_b64 exec, exec, s[14:15]
	s_waitcnt lgkmcnt(0)
	s_barrier
.LBB105_154:                            ;   in Loop: Header=BB105_12 Depth=1
	s_lshl_b32 s1, 1, s43
	s_and_b32 s8, s0, s44
	s_or_b32 s1, s8, s1
	s_or_b32 s8, s3, s51
	s_mov_b64 s[14:15], 0
	s_mov_b32 s52, 8
.LBB105_155:                            ;   in Loop: Header=BB105_12 Depth=1
	s_andn2_b64 vcc, exec, s[14:15]
	s_cbranch_vccnz .LBB105_157
; %bb.156:                              ;   in Loop: Header=BB105_12 Depth=1
	s_sub_i32 s35, s35, s34
	s_mov_b64 s[14:15], -1
	s_mov_b32 s52, 0
	s_mov_b32 s1, s0
	;; [unrolled: 1-line block ×3, first 2 shown]
.LBB105_157:                            ;   in Loop: Header=BB105_12 Depth=1
	s_mov_b32 s3, s8
	s_mov_b32 s0, s1
	;; [unrolled: 1-line block ×3, first 2 shown]
	s_andn2_b64 vcc, exec, s[14:15]
	s_mov_b64 s[40:41], -1
	s_cbranch_vccz .LBB105_160
.LBB105_158:                            ;   in Loop: Header=BB105_12 Depth=1
                                        ; implicit-def: $sgpr30_sgpr31
                                        ; implicit-def: $sgpr34_sgpr35
                                        ; implicit-def: $sgpr28_sgpr29
	s_branch .LBB105_242
.LBB105_159:                            ;   in Loop: Header=BB105_12 Depth=1
	s_mov_b32 s52, 1
	s_andn2_b64 vcc, exec, s[14:15]
	s_mov_b64 s[40:41], -1
	s_cbranch_vccnz .LBB105_158
.LBB105_160:                            ;   in Loop: Header=BB105_12 Depth=1
	s_cmp_eq_u32 s42, 1
	s_cselect_b64 s[8:9], -1, 0
	s_cmp_eq_u32 s45, 1
	s_cselect_b64 s[14:15], -1, 0
	s_and_b64 s[38:39], s[8:9], s[14:15]
	s_mov_b64 s[14:15], -1
	s_and_b64 vcc, exec, s[38:39]
	s_cbranch_vccz .LBB105_172
; %bb.161:                              ;   in Loop: Header=BB105_12 Depth=1
	ds_read_b32 v2, v9 offset:4104
	s_waitcnt lgkmcnt(0)
	s_barrier
	v_readfirstlane_b32 s1, v2
	s_and_saveexec_b64 s[14:15], s[6:7]
	s_cbranch_execz .LBB105_163
; %bb.162:                              ;   in Loop: Header=BB105_12 Depth=1
	ds_write_b16 v18, v9
.LBB105_163:                            ;   in Loop: Header=BB105_12 Depth=1
	s_or_b64 exec, exec, s[14:15]
	s_lshl_b32 s8, 2, s43
	s_and_b32 s0, s0, s44
	s_or_b32 s0, s0, s8
	s_or_b32 s3, s3, s51
	s_cmp_eq_u32 s1, 0
	s_waitcnt lgkmcnt(0)
	s_barrier
	s_cbranch_scc1 .LBB105_173
; %bb.164:                              ;   in Loop: Header=BB105_12 Depth=1
	v_readlane_b32 s8, v48, 17
	s_add_i32 s8, s1, s8
	v_readlane_b32 s9, v48, 38
	s_mul_hi_u32 s9, s8, s9
	s_mul_i32 s9, s9, s57
	s_sub_i32 s9, s8, s9
	s_sub_i32 s14, s9, s57
	s_cmp_ge_u32 s9, s57
	s_cselect_b32 s9, s14, s9
	s_sub_i32 s14, s9, s57
	s_cmp_ge_u32 s9, s57
	s_cselect_b32 s9, s14, s9
	s_sub_i32 s8, s8, s9
	v_cmp_gt_u32_e32 vcc, s8, v0
	s_mov_b64 s[14:15], 0
                                        ; implicit-def: $vgpr31
	s_and_saveexec_b64 s[28:29], vcc
	s_cbranch_execz .LBB105_175
; %bb.165:                              ;   in Loop: Header=BB105_12 Depth=1
	v_mov_b32_e32 v2, v17
	v_mov_b32_e32 v3, v0
                                        ; implicit-def: $sgpr34_sgpr35
	s_branch .LBB105_167
.LBB105_166:                            ;   in Loop: Header=BB105_167 Depth=2
	s_or_b64 exec, exec, s[14:15]
	s_waitcnt lgkmcnt(0)
	s_barrier
	ds_read_b32 v4, v9 offset:3072
	v_add_u32_e32 v3, s57, v3
	v_cmp_le_u32_e64 s[14:15], s8, v3
	v_add_u32_e32 v2, s13, v2
	s_waitcnt lgkmcnt(0)
	v_cmp_ne_u16_e32 vcc, 0, v4
	s_or_b64 s[14:15], s[14:15], vcc
	s_and_b64 s[14:15], exec, s[14:15]
	s_or_b64 s[30:31], s[14:15], s[30:31]
	s_andn2_b64 s[14:15], s[34:35], exec
	s_and_b64 s[34:35], vcc, exec
	s_or_b64 s[34:35], s[14:15], s[34:35]
	s_barrier
	s_andn2_b64 exec, exec, s[30:31]
	s_cbranch_execz .LBB105_174
.LBB105_167:                            ;   Parent Loop BB105_12 Depth=1
                                        ; =>  This Inner Loop Header: Depth=2
	v_cmp_gt_u32_e32 vcc, s1, v3
	v_mov_b32_e32 v4, 0
	s_and_saveexec_b64 s[14:15], vcc
	s_cbranch_execz .LBB105_169
; %bb.168:                              ;   in Loop: Header=BB105_167 Depth=2
	ds_read_u16 v4, v2
.LBB105_169:                            ;   in Loop: Header=BB105_167 Depth=2
	s_or_b64 exec, exec, s[14:15]
	s_and_saveexec_b64 s[14:15], vcc
	s_cbranch_execz .LBB105_166
; %bb.170:                              ;   in Loop: Header=BB105_167 Depth=2
	s_waitcnt lgkmcnt(0)
	v_add_u32_sdwa v5, sext(v4), s72 dst_sel:DWORD dst_unused:UNUSED_PAD src0_sel:WORD_0 src1_sel:DWORD
	v_and_b32_e32 v5, s3, v5
	v_cmp_eq_u32_e32 vcc, s0, v5
	s_and_b64 exec, exec, vcc
	s_cbranch_execz .LBB105_166
; %bb.171:                              ;   in Loop: Header=BB105_167 Depth=2
	v_perm_b32 v4, v4, 1, v30
	ds_write_b32 v9, v4 offset:3072
	s_branch .LBB105_166
.LBB105_172:                            ;   in Loop: Header=BB105_12 Depth=1
                                        ; implicit-def: $sgpr28_sgpr29
                                        ; implicit-def: $sgpr34_sgpr35
                                        ; implicit-def: $sgpr30_sgpr31
	s_branch .LBB105_186
.LBB105_173:                            ;   in Loop: Header=BB105_12 Depth=1
	s_mov_b64 s[28:29], -1
	s_mov_b64 s[14:15], 0
                                        ; implicit-def: $sgpr30_sgpr31
                                        ; implicit-def: $vgpr31
	s_mov_b64 s[34:35], s[28:29]
	s_cbranch_execnz .LBB105_176
	s_branch .LBB105_186
.LBB105_174:                            ;   in Loop: Header=BB105_12 Depth=1
	s_or_b64 exec, exec, s[30:31]
	v_lshrrev_b32_e32 v31, 16, v4
	s_and_b64 s[14:15], s[34:35], exec
.LBB105_175:                            ;   in Loop: Header=BB105_12 Depth=1
	s_or_b64 exec, exec, s[28:29]
	s_mov_b64 s[30:31], -1
	s_mov_b64 s[28:29], 0
	s_mov_b64 s[34:35], s[28:29]
	s_branch .LBB105_186
.LBB105_176:                            ;   in Loop: Header=BB105_12 Depth=1
	s_mov_b64 s[14:15], 0
                                        ; implicit-def: $vgpr31
	s_mov_b64 s[28:29], exec
	v_readlane_b32 s8, v48, 39
	v_readlane_b32 s9, v48, 40
	s_and_b64 s[8:9], s[28:29], s[8:9]
	s_mov_b64 exec, s[8:9]
	s_cbranch_execz .LBB105_185
; %bb.177:                              ;   in Loop: Header=BB105_12 Depth=1
	s_mov_b64 s[30:31], 0
	v_mov_b32_e32 v8, v6
	v_mov_b32_e32 v2, v0
                                        ; implicit-def: $sgpr34_sgpr35
	s_branch .LBB105_179
.LBB105_178:                            ;   in Loop: Header=BB105_179 Depth=2
	s_or_b64 exec, exec, s[14:15]
	s_waitcnt lgkmcnt(0)
	s_barrier
	s_waitcnt vmcnt(0)
	ds_read_b32 v3, v9 offset:3072
	v_add_u32_e32 v2, s57, v2
	v_cmp_le_u32_e64 s[14:15], s78, v2
	v_add_u32_e32 v8, s83, v8
	s_waitcnt lgkmcnt(0)
	v_cmp_ne_u16_e32 vcc, 0, v3
	s_or_b64 s[8:9], s[14:15], vcc
	s_and_b64 s[8:9], exec, s[8:9]
	s_or_b64 s[30:31], s[8:9], s[30:31]
	s_andn2_b64 s[8:9], s[34:35], exec
	s_and_b64 s[14:15], vcc, exec
	s_or_b64 s[34:35], s[8:9], s[14:15]
	s_barrier
	s_andn2_b64 exec, exec, s[30:31]
	s_cbranch_execz .LBB105_184
.LBB105_179:                            ;   Parent Loop BB105_12 Depth=1
                                        ; =>  This Inner Loop Header: Depth=2
	v_cmp_gt_u32_e32 vcc, s56, v2
	v_mov_b32_e32 v3, 0
	s_and_saveexec_b64 s[36:37], vcc
	s_cbranch_execz .LBB105_181
; %bb.180:                              ;   in Loop: Header=BB105_179 Depth=2
	v_lshlrev_b64 v[4:5], 1, v[8:9]
	v_mov_b32_e32 v3, s82
	v_add_co_u32_e64 v4, s[14:15], s59, v4
	v_addc_co_u32_e64 v5, s[14:15], v3, v5, s[14:15]
	global_load_ushort v3, v[4:5], off
.LBB105_181:                            ;   in Loop: Header=BB105_179 Depth=2
	s_or_b64 exec, exec, s[36:37]
	s_and_saveexec_b64 s[14:15], vcc
	s_cbranch_execz .LBB105_178
; %bb.182:                              ;   in Loop: Header=BB105_179 Depth=2
	s_waitcnt vmcnt(0)
	v_add_u32_sdwa v4, sext(v3), s72 dst_sel:DWORD dst_unused:UNUSED_PAD src0_sel:WORD_0 src1_sel:DWORD
	v_and_b32_e32 v4, s3, v4
	v_cmp_eq_u32_e32 vcc, s0, v4
	s_and_b64 exec, exec, vcc
	s_cbranch_execz .LBB105_178
; %bb.183:                              ;   in Loop: Header=BB105_179 Depth=2
	v_perm_b32 v3, v3, 1, v30
	ds_write_b32 v9, v3 offset:3072
	s_branch .LBB105_178
.LBB105_184:                            ;   in Loop: Header=BB105_12 Depth=1
	s_or_b64 exec, exec, s[30:31]
	v_lshrrev_b32_e32 v31, 16, v3
	s_and_b64 s[14:15], s[34:35], exec
.LBB105_185:                            ;   in Loop: Header=BB105_12 Depth=1
	s_or_b64 exec, exec, s[28:29]
	s_mov_b64 s[34:35], -1
	s_mov_b64 s[28:29], 0
	s_mov_b64 s[30:31], 0
.LBB105_186:                            ;   in Loop: Header=BB105_12 Depth=1
	s_mov_b64 s[40:41], 0
                                        ; implicit-def: $sgpr52
	s_and_saveexec_b64 s[36:37], s[14:15]
	s_cbranch_execz .LBB105_241
; %bb.187:                              ;   in Loop: Header=BB105_12 Depth=1
	s_xor_b64 s[8:9], s[38:39], -1
	s_mov_b64 s[14:15], 0
	s_andn2_b64 vcc, exec, s[8:9]
	s_mov_b32 s1, 1
	s_cbranch_vccnz .LBB105_198
; %bb.188:                              ;   in Loop: Header=BB105_12 Depth=1
	s_cmp_gt_u32 s45, s42
	s_mov_b64 s[14:15], -1
                                        ; implicit-def: $sgpr52
                                        ; implicit-def: $sgpr1
                                        ; implicit-def: $sgpr8
	s_cbranch_scc1 .LBB105_194
; %bb.189:                              ;   in Loop: Header=BB105_12 Depth=1
	ds_read_b32 v2, v9 offset:4104
	s_waitcnt lgkmcnt(0)
	v_cmp_ne_u32_e32 vcc, 0, v2
	s_cbranch_vccnz .LBB105_193
; %bb.190:                              ;   in Loop: Header=BB105_12 Depth=1
	s_mov_b64 s[14:15], exec
	v_readlane_b32 s8, v48, 2
	v_readlane_b32 s9, v48, 3
	s_and_b64 s[8:9], s[14:15], s[8:9]
	s_mov_b64 exec, s[8:9]
	s_cbranch_execz .LBB105_192
; %bb.191:                              ;   in Loop: Header=BB105_12 Depth=1
	v_mov_b32_e32 v2, s42
	ds_write_b32 v9, v2 offset:4108
.LBB105_192:                            ;   in Loop: Header=BB105_12 Depth=1
	s_or_b64 exec, exec, s[14:15]
	s_waitcnt lgkmcnt(0)
	s_barrier
.LBB105_193:                            ;   in Loop: Header=BB105_12 Depth=1
	s_lshl_b32 s1, 2, s43
	s_and_b32 s8, s0, s44
	s_or_b32 s1, s8, s1
	s_or_b32 s8, s3, s51
	s_mov_b64 s[14:15], 0
	s_mov_b32 s52, 8
.LBB105_194:                            ;   in Loop: Header=BB105_12 Depth=1
	s_andn2_b64 vcc, exec, s[14:15]
	s_cbranch_vccnz .LBB105_196
; %bb.195:                              ;   in Loop: Header=BB105_12 Depth=1
	s_sub_i32 s45, s45, s42
	s_mov_b64 s[14:15], -1
	s_mov_b32 s52, 0
	s_mov_b32 s1, s0
	;; [unrolled: 1-line block ×3, first 2 shown]
.LBB105_196:                            ;   in Loop: Header=BB105_12 Depth=1
	s_mov_b32 s3, s8
	s_mov_b32 s0, s1
	;; [unrolled: 1-line block ×3, first 2 shown]
	s_andn2_b64 vcc, exec, s[14:15]
	s_mov_b64 s[48:49], -1
	s_cbranch_vccz .LBB105_199
.LBB105_197:                            ;   in Loop: Header=BB105_12 Depth=1
                                        ; implicit-def: $sgpr14_sgpr15
                                        ; implicit-def: $sgpr42_sgpr43
                                        ; implicit-def: $sgpr40_sgpr41
	s_branch .LBB105_240
.LBB105_198:                            ;   in Loop: Header=BB105_12 Depth=1
	s_mov_b32 s52, 1
	s_andn2_b64 vcc, exec, s[14:15]
	s_mov_b64 s[48:49], -1
	s_cbranch_vccnz .LBB105_197
.LBB105_199:                            ;   in Loop: Header=BB105_12 Depth=1
	s_cmp_eq_u32 s50, 1
	s_cselect_b64 s[8:9], -1, 0
	s_cmp_eq_u32 s1, 1
	s_cselect_b64 s[14:15], -1, 0
	s_and_b64 s[38:39], s[8:9], s[14:15]
	s_mov_b64 s[44:45], -1
	s_and_b64 vcc, exec, s[38:39]
	s_cbranch_vccz .LBB105_211
; %bb.200:                              ;   in Loop: Header=BB105_12 Depth=1
	ds_read_b32 v2, v9 offset:4104
	s_waitcnt lgkmcnt(0)
	s_barrier
	v_readfirstlane_b32 s8, v2
	s_and_saveexec_b64 s[14:15], s[6:7]
	s_cbranch_execz .LBB105_202
; %bb.201:                              ;   in Loop: Header=BB105_12 Depth=1
	ds_write_b16 v18, v9
.LBB105_202:                            ;   in Loop: Header=BB105_12 Depth=1
	s_or_b64 exec, exec, s[14:15]
	s_or_b32 s0, s0, s51
	s_or_b32 s3, s3, s51
	s_cmp_eq_u32 s8, 0
	s_waitcnt lgkmcnt(0)
	s_barrier
	s_cbranch_scc1 .LBB105_212
; %bb.203:                              ;   in Loop: Header=BB105_12 Depth=1
	v_readlane_b32 s9, v48, 17
	s_add_i32 s9, s8, s9
	v_readlane_b32 s14, v48, 38
	s_mul_hi_u32 s14, s9, s14
	s_mul_i32 s14, s14, s57
	s_sub_i32 s14, s9, s14
	s_sub_i32 s15, s14, s57
	s_cmp_ge_u32 s14, s57
	s_cselect_b32 s14, s15, s14
	s_sub_i32 s15, s14, s57
	s_cmp_ge_u32 s14, s57
	s_cselect_b32 s14, s15, s14
	s_sub_i32 s9, s9, s14
	v_cmp_gt_u32_e32 vcc, s9, v0
	s_mov_b64 s[44:45], 0
                                        ; implicit-def: $vgpr31
	s_and_saveexec_b64 s[40:41], vcc
	s_cbranch_execz .LBB105_214
; %bb.204:                              ;   in Loop: Header=BB105_12 Depth=1
	s_mov_b64 s[42:43], 0
	v_mov_b32_e32 v2, v17
	v_mov_b32_e32 v3, v0
                                        ; implicit-def: $sgpr44_sgpr45
	s_branch .LBB105_206
.LBB105_205:                            ;   in Loop: Header=BB105_206 Depth=2
	s_or_b64 exec, exec, s[14:15]
	s_waitcnt lgkmcnt(0)
	s_barrier
	ds_read_b32 v4, v9 offset:3072
	v_add_u32_e32 v3, s57, v3
	v_cmp_le_u32_e64 s[14:15], s9, v3
	v_add_u32_e32 v2, s13, v2
	s_waitcnt lgkmcnt(0)
	v_cmp_ne_u16_e32 vcc, 0, v4
	s_or_b64 s[14:15], s[14:15], vcc
	s_and_b64 s[14:15], exec, s[14:15]
	s_or_b64 s[42:43], s[14:15], s[42:43]
	s_andn2_b64 s[14:15], s[44:45], exec
	s_and_b64 s[44:45], vcc, exec
	s_or_b64 s[44:45], s[14:15], s[44:45]
	s_barrier
	s_andn2_b64 exec, exec, s[42:43]
	s_cbranch_execz .LBB105_213
.LBB105_206:                            ;   Parent Loop BB105_12 Depth=1
                                        ; =>  This Inner Loop Header: Depth=2
	v_cmp_gt_u32_e32 vcc, s8, v3
	v_mov_b32_e32 v4, 0
	s_and_saveexec_b64 s[14:15], vcc
	s_cbranch_execz .LBB105_208
; %bb.207:                              ;   in Loop: Header=BB105_206 Depth=2
	ds_read_u16 v4, v2
.LBB105_208:                            ;   in Loop: Header=BB105_206 Depth=2
	s_or_b64 exec, exec, s[14:15]
	s_and_saveexec_b64 s[14:15], vcc
	s_cbranch_execz .LBB105_205
; %bb.209:                              ;   in Loop: Header=BB105_206 Depth=2
	s_waitcnt lgkmcnt(0)
	v_add_u32_sdwa v5, sext(v4), s72 dst_sel:DWORD dst_unused:UNUSED_PAD src0_sel:WORD_0 src1_sel:DWORD
	v_and_b32_e32 v5, s3, v5
	v_cmp_eq_u32_e32 vcc, s0, v5
	s_and_b64 exec, exec, vcc
	s_cbranch_execz .LBB105_205
; %bb.210:                              ;   in Loop: Header=BB105_206 Depth=2
	v_perm_b32 v4, v4, 1, v30
	ds_write_b32 v9, v4 offset:3072
	s_branch .LBB105_205
.LBB105_211:                            ;   in Loop: Header=BB105_12 Depth=1
                                        ; implicit-def: $sgpr14_sgpr15
                                        ; implicit-def: $sgpr42_sgpr43
                                        ; implicit-def: $sgpr40_sgpr41
	s_branch .LBB105_225
.LBB105_212:                            ;   in Loop: Header=BB105_12 Depth=1
	s_mov_b64 s[14:15], -1
	s_mov_b64 s[44:45], 0
                                        ; implicit-def: $sgpr40_sgpr41
                                        ; implicit-def: $vgpr31
	s_mov_b64 s[42:43], s[14:15]
	s_cbranch_execnz .LBB105_215
	s_branch .LBB105_225
.LBB105_213:                            ;   in Loop: Header=BB105_12 Depth=1
	s_or_b64 exec, exec, s[42:43]
	v_lshrrev_b32_e32 v31, 16, v4
	s_and_b64 s[44:45], s[44:45], exec
.LBB105_214:                            ;   in Loop: Header=BB105_12 Depth=1
	s_or_b64 exec, exec, s[40:41]
	s_mov_b64 s[40:41], -1
	s_mov_b64 s[14:15], 0
	s_mov_b64 s[42:43], s[14:15]
	s_branch .LBB105_225
.LBB105_215:                            ;   in Loop: Header=BB105_12 Depth=1
	s_mov_b64 s[44:45], 0
                                        ; implicit-def: $vgpr31
	s_mov_b64 s[40:41], exec
	v_readlane_b32 s8, v48, 39
	v_readlane_b32 s9, v48, 40
	s_and_b64 s[8:9], s[40:41], s[8:9]
	s_mov_b64 exec, s[8:9]
	s_cbranch_execz .LBB105_224
; %bb.216:                              ;   in Loop: Header=BB105_12 Depth=1
	s_mov_b64 s[42:43], 0
	v_mov_b32_e32 v8, v6
	v_mov_b32_e32 v2, v0
                                        ; implicit-def: $sgpr44_sgpr45
	s_branch .LBB105_218
.LBB105_217:                            ;   in Loop: Header=BB105_218 Depth=2
	s_or_b64 exec, exec, s[14:15]
	s_waitcnt lgkmcnt(0)
	s_barrier
	s_waitcnt vmcnt(0)
	ds_read_b32 v3, v9 offset:3072
	v_add_u32_e32 v2, s57, v2
	v_cmp_le_u32_e64 s[14:15], s78, v2
	v_add_u32_e32 v8, s83, v8
	s_waitcnt lgkmcnt(0)
	v_cmp_ne_u16_e32 vcc, 0, v3
	s_or_b64 s[8:9], s[14:15], vcc
	s_and_b64 s[8:9], exec, s[8:9]
	s_or_b64 s[42:43], s[8:9], s[42:43]
	s_andn2_b64 s[8:9], s[44:45], exec
	s_and_b64 s[14:15], vcc, exec
	s_or_b64 s[44:45], s[8:9], s[14:15]
	s_barrier
	s_andn2_b64 exec, exec, s[42:43]
	s_cbranch_execz .LBB105_223
.LBB105_218:                            ;   Parent Loop BB105_12 Depth=1
                                        ; =>  This Inner Loop Header: Depth=2
	v_cmp_gt_u32_e32 vcc, s56, v2
	v_mov_b32_e32 v3, 0
	s_and_saveexec_b64 s[46:47], vcc
	s_cbranch_execz .LBB105_220
; %bb.219:                              ;   in Loop: Header=BB105_218 Depth=2
	v_lshlrev_b64 v[4:5], 1, v[8:9]
	v_mov_b32_e32 v3, s82
	v_add_co_u32_e64 v4, s[14:15], s59, v4
	v_addc_co_u32_e64 v5, s[14:15], v3, v5, s[14:15]
	global_load_ushort v3, v[4:5], off
.LBB105_220:                            ;   in Loop: Header=BB105_218 Depth=2
	s_or_b64 exec, exec, s[46:47]
	s_and_saveexec_b64 s[14:15], vcc
	s_cbranch_execz .LBB105_217
; %bb.221:                              ;   in Loop: Header=BB105_218 Depth=2
	s_waitcnt vmcnt(0)
	v_add_u32_sdwa v4, sext(v3), s72 dst_sel:DWORD dst_unused:UNUSED_PAD src0_sel:WORD_0 src1_sel:DWORD
	v_and_b32_e32 v4, s3, v4
	v_cmp_eq_u32_e32 vcc, s0, v4
	s_and_b64 exec, exec, vcc
	s_cbranch_execz .LBB105_217
; %bb.222:                              ;   in Loop: Header=BB105_218 Depth=2
	v_perm_b32 v3, v3, 1, v30
	ds_write_b32 v9, v3 offset:3072
	s_branch .LBB105_217
.LBB105_223:                            ;   in Loop: Header=BB105_12 Depth=1
	s_or_b64 exec, exec, s[42:43]
	v_lshrrev_b32_e32 v31, 16, v3
	s_and_b64 s[44:45], s[44:45], exec
.LBB105_224:                            ;   in Loop: Header=BB105_12 Depth=1
	s_or_b64 exec, exec, s[40:41]
	s_mov_b64 s[42:43], -1
	s_mov_b64 s[14:15], 0
	s_mov_b64 s[40:41], 0
.LBB105_225:                            ;   in Loop: Header=BB105_12 Depth=1
	s_mov_b64 s[48:49], 0
                                        ; implicit-def: $sgpr52
	s_and_saveexec_b64 s[46:47], s[44:45]
	s_cbranch_execz .LBB105_239
; %bb.226:                              ;   in Loop: Header=BB105_12 Depth=1
	s_xor_b64 s[8:9], s[38:39], -1
	s_andn2_b64 vcc, exec, s[8:9]
	s_mov_b32 s52, 1
	s_cbranch_vccnz .LBB105_233
; %bb.227:                              ;   in Loop: Header=BB105_12 Depth=1
	s_cmp_gt_u32 s1, s50
	s_cbranch_scc1 .LBB105_234
; %bb.228:                              ;   in Loop: Header=BB105_12 Depth=1
	ds_read_b32 v2, v9 offset:4104
	s_waitcnt lgkmcnt(0)
	v_cmp_ne_u32_e32 vcc, 0, v2
	s_cbranch_vccnz .LBB105_232
; %bb.229:                              ;   in Loop: Header=BB105_12 Depth=1
	s_mov_b64 s[38:39], exec
	v_readlane_b32 s8, v48, 2
	v_readlane_b32 s9, v48, 3
	s_and_b64 s[8:9], s[38:39], s[8:9]
	s_mov_b64 exec, s[8:9]
	s_cbranch_execz .LBB105_231
; %bb.230:                              ;   in Loop: Header=BB105_12 Depth=1
	v_mov_b32_e32 v2, s50
	ds_write_b32 v9, v2 offset:4108
.LBB105_231:                            ;   in Loop: Header=BB105_12 Depth=1
	s_or_b64 exec, exec, s[38:39]
	s_waitcnt lgkmcnt(0)
	s_barrier
.LBB105_232:                            ;   in Loop: Header=BB105_12 Depth=1
	s_or_b32 s8, s0, s51
	s_or_b32 s9, s3, s51
	s_mov_b64 s[38:39], 0
	s_mov_b32 s52, 8
	s_branch .LBB105_235
.LBB105_233:                            ;   in Loop: Header=BB105_12 Depth=1
	s_mov_b32 s1, 1
	s_branch .LBB105_238
.LBB105_234:                            ;   in Loop: Header=BB105_12 Depth=1
	s_mov_b64 s[38:39], -1
                                        ; implicit-def: $sgpr52
                                        ; implicit-def: $sgpr8
                                        ; implicit-def: $sgpr9
.LBB105_235:                            ;   in Loop: Header=BB105_12 Depth=1
	s_andn2_b64 vcc, exec, s[38:39]
	s_cbranch_vccnz .LBB105_237
; %bb.236:                              ;   in Loop: Header=BB105_12 Depth=1
	s_sub_i32 s1, s1, s50
	s_mov_b32 s52, 8
	s_mov_b32 s8, s0
	;; [unrolled: 1-line block ×3, first 2 shown]
.LBB105_237:                            ;   in Loop: Header=BB105_12 Depth=1
	s_mov_b32 s0, s8
	s_mov_b32 s3, s9
.LBB105_238:                            ;   in Loop: Header=BB105_12 Depth=1
	s_mov_b64 s[48:49], exec
.LBB105_239:                            ;   in Loop: Header=BB105_12 Depth=1
	s_or_b64 exec, exec, s[46:47]
.LBB105_240:                            ;   in Loop: Header=BB105_12 Depth=1
	s_andn2_b64 s[8:9], s[28:29], exec
	s_and_b64 s[14:15], s[14:15], exec
	s_or_b64 s[28:29], s[8:9], s[14:15]
	s_andn2_b64 s[8:9], s[34:35], exec
	s_and_b64 s[14:15], s[42:43], exec
	s_or_b64 s[34:35], s[8:9], s[14:15]
	;; [unrolled: 3-line block ×3, first 2 shown]
	s_and_b64 s[40:41], s[48:49], exec
	s_mov_b32 s45, s1
.LBB105_241:                            ;   in Loop: Header=BB105_12 Depth=1
	s_or_b64 exec, exec, s[36:37]
.LBB105_242:                            ;   in Loop: Header=BB105_12 Depth=1
	s_andn2_b64 s[8:9], s[22:23], exec
	s_and_b64 s[14:15], s[28:29], exec
	s_or_b64 s[22:23], s[8:9], s[14:15]
	s_andn2_b64 s[8:9], s[24:25], exec
	s_and_b64 s[14:15], s[34:35], exec
	s_or_b64 s[24:25], s[8:9], s[14:15]
	;; [unrolled: 3-line block ×3, first 2 shown]
	s_and_b64 s[30:31], s[40:41], exec
	s_mov_b32 s35, s45
.LBB105_243:                            ;   in Loop: Header=BB105_12 Depth=1
	s_or_b64 exec, exec, s[26:27]
                                        ; implicit-def: $sgpr1
	s_and_saveexec_b64 s[8:9], s[30:31]
	s_xor_b64 s[14:15], exec, s[8:9]
	s_cbranch_execz .LBB105_10
.LBB105_244:                            ;   in Loop: Header=BB105_12 Depth=1
	s_and_b32 s1, s52, -9
	s_cmp_eq_u32 s1, 0
	s_cbranch_scc1 .LBB105_8
; %bb.245:                              ;   in Loop: Header=BB105_12 Depth=1
	s_mov_b64 s[18:19], -1
                                        ; implicit-def: $sgpr3
                                        ; implicit-def: $sgpr35
                                        ; implicit-def: $sgpr73
                                        ; implicit-def: $sgpr2
	s_mov_b64 s[26:27], -1
	s_branch .LBB105_9
.LBB105_246:
	s_or_b64 exec, exec, s[86:87]
	s_xor_b64 s[8:9], s[92:93], -1
	s_xor_b64 s[0:1], s[88:89], -1
	;; [unrolled: 1-line block ×3, first 2 shown]
	s_mov_b64 s[4:5], 0
	s_and_saveexec_b64 s[2:3], s[0:1]
	s_xor_b64 s[0:1], exec, s[2:3]
	s_cbranch_execnz .LBB105_251
; %bb.247:
	s_andn2_saveexec_b64 s[0:1], s[0:1]
	s_cbranch_execnz .LBB105_264
.LBB105_248:
	s_or_b64 exec, exec, s[0:1]
	s_and_saveexec_b64 s[0:1], s[4:5]
.LBB105_249:
	; divergent unreachable
.LBB105_250:
	s_endpgm
.LBB105_251:
	s_and_saveexec_b64 s[2:3], s[8:9]
	s_xor_b64 s[4:5], exec, s[2:3]
	s_cbranch_execz .LBB105_262
; %bb.252:
	s_and_saveexec_b64 s[2:3], s[6:7]
	s_xor_b64 s[6:7], exec, s[2:3]
; %bb.253:
	v_xor_b32_e32 v31, 0xffff8000, v2
; %bb.254:
	s_or_b64 exec, exec, s[6:7]
	v_readlane_b32 s7, v48, 0
	v_readlane_b32 s8, v48, 12
	s_mul_i32 s2, s8, s7
	v_readlane_b32 s18, v48, 14
	s_sub_i32 s2, s18, s2
	s_add_i32 s3, s8, 1
	s_sub_i32 s6, s2, s7
	s_cmp_ge_u32 s2, s7
	s_cselect_b32 s3, s3, s8
	s_cselect_b32 s2, s6, s2
	s_add_i32 s6, s3, 1
	s_cmp_ge_u32 s2, s7
	s_cselect_b32 s2, s6, s3
	s_mul_i32 s3, s2, s7
	v_readlane_b32 s6, v48, 8
	s_sub_i32 s3, s18, s3
	v_readlane_b32 s7, v48, 9
	s_mul_i32 s3, s3, s7
	s_mul_i32 s2, s2, s6
	s_add_i32 s2, s2, s3
	s_mov_b32 s3, 0
	s_lshl_b64 s[2:3], s[2:3], 1
	v_readlane_b32 s6, v48, 10
	v_readlane_b32 s7, v48, 11
	s_add_u32 s2, s6, s2
	s_addc_u32 s3, s7, s3
	v_mov_b32_e32 v7, 0
	global_store_short v7, v31, s[2:3]
	s_mov_b64 s[6:7], exec
	v_readlane_b32 s2, v48, 15
	v_readlane_b32 s3, v48, 16
	s_and_b64 s[2:3], s[6:7], s[2:3]
	s_mov_b64 exec, s[2:3]
	s_cbranch_execz .LBB105_261
; %bb.255:
	s_mov_b64 s[2:3], 0
	v_mov_b32_e32 v1, s82
                                        ; implicit-def: $sgpr8_sgpr9
                                        ; implicit-def: $sgpr12_sgpr13
                                        ; implicit-def: $sgpr10_sgpr11
	s_branch .LBB105_257
.LBB105_256:                            ;   in Loop: Header=BB105_257 Depth=1
	s_or_b64 exec, exec, s[14:15]
	s_and_b64 s[14:15], exec, s[12:13]
	s_or_b64 s[2:3], s[14:15], s[2:3]
	s_andn2_b64 s[8:9], s[8:9], exec
	s_and_b64 s[14:15], s[10:11], exec
	s_or_b64 s[8:9], s[8:9], s[14:15]
	s_andn2_b64 exec, exec, s[2:3]
	s_cbranch_execz .LBB105_259
.LBB105_257:                            ; =>This Inner Loop Header: Depth=1
	v_lshlrev_b64 v[2:3], 1, v[6:7]
	v_add_co_u32_e32 v2, vcc, s59, v2
	v_addc_co_u32_e32 v3, vcc, v1, v3, vcc
	global_load_ushort v3, v[2:3], off
	v_mov_b32_e32 v2, v0
	s_or_b64 s[10:11], s[10:11], exec
	s_or_b64 s[12:13], s[12:13], exec
                                        ; implicit-def: $vgpr0
	s_waitcnt vmcnt(0)
	v_cmp_ne_u16_e32 vcc, v3, v31
	s_and_saveexec_b64 s[14:15], vcc
	s_cbranch_execz .LBB105_256
; %bb.258:                              ;   in Loop: Header=BB105_257 Depth=1
	v_add_u32_e32 v0, s57, v2
	v_cmp_le_u32_e32 vcc, s56, v0
	s_andn2_b64 s[12:13], s[12:13], exec
	s_and_b64 s[16:17], vcc, exec
	v_add_u32_e32 v6, s83, v6
	s_andn2_b64 s[10:11], s[10:11], exec
	s_or_b64 s[12:13], s[12:13], s[16:17]
	s_branch .LBB105_256
.LBB105_259:
	s_or_b64 exec, exec, s[2:3]
	s_and_saveexec_b64 s[2:3], s[8:9]
	s_xor_b64 s[2:3], exec, s[2:3]
	s_cbranch_execz .LBB105_261
; %bb.260:
	v_readlane_b32 s9, v48, 1
	v_readlane_b32 s10, v48, 13
	s_mul_i32 s2, s10, s9
	s_sub_i32 s2, s18, s2
	s_add_i32 s3, s10, 1
	s_sub_i32 s8, s2, s9
	s_cmp_ge_u32 s2, s9
	s_cselect_b32 s3, s3, s10
	s_cselect_b32 s2, s8, s2
	s_add_i32 s8, s3, 1
	s_cmp_ge_u32 s2, s9
	s_cselect_b32 s2, s8, s3
	s_mul_i32 s3, s2, s9
	v_readlane_b32 s8, v48, 4
	s_sub_i32 s3, s18, s3
	v_readlane_b32 s9, v48, 5
	s_mul_i32 s3, s3, s9
	s_mul_i32 s2, s2, s8
	s_add_i32 s2, s2, s3
	s_mov_b32 s3, 0
	s_lshl_b64 s[2:3], s[2:3], 3
	v_readlane_b32 s8, v48, 6
	v_readlane_b32 s9, v48, 7
	s_add_u32 s2, s8, s2
	s_addc_u32 s3, s9, s3
	v_mov_b32_e32 v3, 0
	global_store_dwordx2 v3, v[2:3], s[2:3]
.LBB105_261:
	s_or_b64 exec, exec, s[6:7]
.LBB105_262:
	s_or_saveexec_b64 s[2:3], s[4:5]
	s_mov_b64 s[4:5], 0
	s_xor_b64 exec, exec, s[2:3]
	s_cbranch_execnz .LBB105_265
.LBB105_263:
	s_or_b64 exec, exec, s[2:3]
	s_and_b64 s[4:5], s[4:5], exec
	s_andn2_saveexec_b64 s[0:1], s[0:1]
	s_cbranch_execz .LBB105_248
.LBB105_264:
	s_or_b64 s[4:5], s[4:5], exec
	s_trap 2
	s_or_b64 exec, exec, s[0:1]
	s_and_saveexec_b64 s[0:1], s[4:5]
	s_cbranch_execnz .LBB105_249
	s_branch .LBB105_250
.LBB105_265:
	s_mov_b64 s[4:5], exec
	s_trap 2
	s_branch .LBB105_263
	.section	.rodata,"a",@progbits
	.p2align	6, 0x0
	.amdhsa_kernel _ZN2at6native12_GLOBAL__N_112gatherMedianIsjLi2EEEvNS_4cuda6detail10TensorInfoIT_T0_EENS5_IlS7_EENS5_IKS6_S7_EES7_S7_S7_b
		.amdhsa_group_segment_fixed_size 4120
		.amdhsa_private_segment_fixed_size 0
		.amdhsa_kernarg_size 920
		.amdhsa_user_sgpr_count 6
		.amdhsa_user_sgpr_private_segment_buffer 1
		.amdhsa_user_sgpr_dispatch_ptr 0
		.amdhsa_user_sgpr_queue_ptr 0
		.amdhsa_user_sgpr_kernarg_segment_ptr 1
		.amdhsa_user_sgpr_dispatch_id 0
		.amdhsa_user_sgpr_flat_scratch_init 0
		.amdhsa_user_sgpr_kernarg_preload_length 0
		.amdhsa_user_sgpr_kernarg_preload_offset 0
		.amdhsa_user_sgpr_private_segment_size 0
		.amdhsa_uses_dynamic_stack 0
		.amdhsa_system_sgpr_private_segment_wavefront_offset 0
		.amdhsa_system_sgpr_workgroup_id_x 1
		.amdhsa_system_sgpr_workgroup_id_y 1
		.amdhsa_system_sgpr_workgroup_id_z 1
		.amdhsa_system_sgpr_workgroup_info 0
		.amdhsa_system_vgpr_workitem_id 0
		.amdhsa_next_free_vgpr 49
		.amdhsa_next_free_sgpr 96
		.amdhsa_accum_offset 52
		.amdhsa_reserve_vcc 1
		.amdhsa_reserve_flat_scratch 0
		.amdhsa_float_round_mode_32 0
		.amdhsa_float_round_mode_16_64 0
		.amdhsa_float_denorm_mode_32 3
		.amdhsa_float_denorm_mode_16_64 3
		.amdhsa_dx10_clamp 1
		.amdhsa_ieee_mode 1
		.amdhsa_fp16_overflow 0
		.amdhsa_tg_split 0
		.amdhsa_exception_fp_ieee_invalid_op 0
		.amdhsa_exception_fp_denorm_src 0
		.amdhsa_exception_fp_ieee_div_zero 0
		.amdhsa_exception_fp_ieee_overflow 0
		.amdhsa_exception_fp_ieee_underflow 0
		.amdhsa_exception_fp_ieee_inexact 0
		.amdhsa_exception_int_div_zero 0
	.end_amdhsa_kernel
	.section	.text._ZN2at6native12_GLOBAL__N_112gatherMedianIsjLi2EEEvNS_4cuda6detail10TensorInfoIT_T0_EENS5_IlS7_EENS5_IKS6_S7_EES7_S7_S7_b,"axG",@progbits,_ZN2at6native12_GLOBAL__N_112gatherMedianIsjLi2EEEvNS_4cuda6detail10TensorInfoIT_T0_EENS5_IlS7_EENS5_IKS6_S7_EES7_S7_S7_b,comdat
.Lfunc_end105:
	.size	_ZN2at6native12_GLOBAL__N_112gatherMedianIsjLi2EEEvNS_4cuda6detail10TensorInfoIT_T0_EENS5_IlS7_EENS5_IKS6_S7_EES7_S7_S7_b, .Lfunc_end105-_ZN2at6native12_GLOBAL__N_112gatherMedianIsjLi2EEEvNS_4cuda6detail10TensorInfoIT_T0_EENS5_IlS7_EENS5_IKS6_S7_EES7_S7_S7_b
                                        ; -- End function
	.section	.AMDGPU.csdata,"",@progbits
; Kernel info:
; codeLenInByte = 10128
; NumSgprs: 100
; NumVgprs: 49
; NumAgprs: 0
; TotalNumVgprs: 49
; ScratchSize: 0
; MemoryBound: 0
; FloatMode: 240
; IeeeMode: 1
; LDSByteSize: 4120 bytes/workgroup (compile time only)
; SGPRBlocks: 12
; VGPRBlocks: 6
; NumSGPRsForWavesPerEU: 100
; NumVGPRsForWavesPerEU: 49
; AccumOffset: 52
; Occupancy: 8
; WaveLimiterHint : 1
; COMPUTE_PGM_RSRC2:SCRATCH_EN: 0
; COMPUTE_PGM_RSRC2:USER_SGPR: 6
; COMPUTE_PGM_RSRC2:TRAP_HANDLER: 0
; COMPUTE_PGM_RSRC2:TGID_X_EN: 1
; COMPUTE_PGM_RSRC2:TGID_Y_EN: 1
; COMPUTE_PGM_RSRC2:TGID_Z_EN: 1
; COMPUTE_PGM_RSRC2:TIDIG_COMP_CNT: 0
; COMPUTE_PGM_RSRC3_GFX90A:ACCUM_OFFSET: 12
; COMPUTE_PGM_RSRC3_GFX90A:TG_SPLIT: 0
	.section	.text._ZN2at6native12_GLOBAL__N_112gatherMedianIsjLi3EEEvNS_4cuda6detail10TensorInfoIT_T0_EENS5_IlS7_EENS5_IKS6_S7_EES7_S7_S7_b,"axG",@progbits,_ZN2at6native12_GLOBAL__N_112gatherMedianIsjLi3EEEvNS_4cuda6detail10TensorInfoIT_T0_EENS5_IlS7_EENS5_IKS6_S7_EES7_S7_S7_b,comdat
	.globl	_ZN2at6native12_GLOBAL__N_112gatherMedianIsjLi3EEEvNS_4cuda6detail10TensorInfoIT_T0_EENS5_IlS7_EENS5_IKS6_S7_EES7_S7_S7_b ; -- Begin function _ZN2at6native12_GLOBAL__N_112gatherMedianIsjLi3EEEvNS_4cuda6detail10TensorInfoIT_T0_EENS5_IlS7_EENS5_IKS6_S7_EES7_S7_S7_b
	.p2align	8
	.type	_ZN2at6native12_GLOBAL__N_112gatherMedianIsjLi3EEEvNS_4cuda6detail10TensorInfoIT_T0_EENS5_IlS7_EENS5_IKS6_S7_EES7_S7_S7_b,@function
_ZN2at6native12_GLOBAL__N_112gatherMedianIsjLi3EEEvNS_4cuda6detail10TensorInfoIT_T0_EENS5_IlS7_EENS5_IKS6_S7_EES7_S7_S7_b: ; @_ZN2at6native12_GLOBAL__N_112gatherMedianIsjLi3EEEvNS_4cuda6detail10TensorInfoIT_T0_EENS5_IlS7_EENS5_IKS6_S7_EES7_S7_S7_b
; %bb.0:
	s_load_dwordx2 s[14:15], s[4:5], 0x298
	s_load_dwordx4 s[56:59], s[4:5], 0x288
	s_add_u32 s12, s4, 0x298
	s_addc_u32 s13, s5, 0
	s_waitcnt lgkmcnt(0)
	s_mul_i32 s0, s15, s8
	s_add_i32 s0, s0, s7
	s_mul_i32 s0, s0, s14
	s_add_i32 s22, s0, s6
	s_cmp_ge_u32 s22, s57
	s_cbranch_scc1 .LBB106_250
; %bb.1:
	s_load_dwordx2 s[16:17], s[4:5], 0xc
	s_load_dwordx2 s[2:3], s[4:5], 0x1bc
	;; [unrolled: 1-line block ×3, first 2 shown]
	s_load_dwordx4 s[8:11], s[4:5], 0x21c
                                        ; implicit-def: $vgpr48 : SGPR spill to VGPR lane
	v_cmp_eq_u32_e64 s[20:21], 0, v0
	s_waitcnt lgkmcnt(0)
	v_cvt_f32_u32_e32 v3, s19
	v_cvt_f32_u32_e32 v1, s17
	s_sub_i32 s0, 0, s17
	v_cvt_f32_u32_e32 v2, s16
	v_rcp_iflag_f32_e32 v3, v3
	v_rcp_iflag_f32_e32 v1, v1
	;; [unrolled: 1-line block ×3, first 2 shown]
	v_mul_f32_e32 v1, 0x4f7ffffe, v1
	v_cvt_u32_f32_e32 v1, v1
	v_mul_f32_e32 v2, 0x4f7ffffe, v2
	v_cvt_u32_f32_e32 v2, v2
	v_readfirstlane_b32 s1, v1
	s_mul_i32 s0, s0, s1
	s_mul_hi_u32 s0, s1, s0
	s_add_i32 s1, s1, s0
	s_mul_hi_u32 s0, s22, s1
	s_mul_i32 s1, s0, s17
	s_sub_i32 s1, s22, s1
	s_add_i32 s7, s0, 1
	s_sub_i32 s11, s1, s17
	s_cmp_ge_u32 s1, s17
	s_cselect_b32 s0, s7, s0
	v_mul_f32_e32 v1, 0x4f7ffffe, v3
	s_cselect_b32 s1, s11, s1
	s_add_i32 s7, s0, 1
	v_cvt_u32_f32_e32 v1, v1
	s_cmp_ge_u32 s1, s17
	s_cselect_b32 s0, s7, s0
	v_writelane_b32 v48, s0, 0
	v_writelane_b32 v48, s16, 1
	s_sub_i32 s0, 0, s16
	v_readfirstlane_b32 s1, v2
	v_readfirstlane_b32 s11, v1
	v_cvt_f32_u32_e32 v1, s18
	s_mul_i32 s0, s0, s1
	s_mul_hi_u32 s7, s1, s0
	s_sub_i32 s0, 0, s19
	s_mul_i32 s0, s0, s11
	s_mul_hi_u32 s0, s11, s0
	v_rcp_iflag_f32_e32 v1, v1
	s_add_i32 s11, s11, s0
	v_cvt_f32_u32_e32 v2, s3
	s_mul_hi_u32 s0, s22, s11
	s_mul_i32 s11, s0, s19
	s_sub_i32 s11, s22, s11
	v_mul_f32_e32 v1, 0x4f7ffffe, v1
	v_writelane_b32 v48, s17, 2
	s_add_i32 s15, s0, 1
	s_sub_i32 s16, s11, s19
	v_cvt_u32_f32_e32 v1, v1
	v_rcp_iflag_f32_e32 v2, v2
	s_cmp_ge_u32 s11, s19
	s_cselect_b32 s0, s15, s0
	s_cselect_b32 s11, s16, s11
	s_add_i32 s15, s0, 1
	s_cmp_ge_u32 s11, s19
	v_readfirstlane_b32 s11, v1
	v_mul_f32_e32 v1, 0x4f7ffffe, v2
	v_cvt_u32_f32_e32 v1, v1
	s_cselect_b32 s0, s15, s0
	v_writelane_b32 v48, s0, 3
	v_writelane_b32 v48, s18, 4
	s_sub_i32 s0, 0, s18
	s_mul_i32 s0, s0, s11
	v_readfirstlane_b32 s16, v1
	v_cvt_f32_u32_e32 v1, s2
	s_mul_hi_u32 s15, s11, s0
	s_sub_i32 s0, 0, s3
	s_mul_i32 s0, s0, s16
	s_mul_hi_u32 s0, s16, s0
	s_add_i32 s16, s16, s0
	v_rcp_iflag_f32_e32 v1, v1
	s_mul_hi_u32 s0, s22, s16
	s_mul_i32 s16, s0, s3
	s_sub_i32 s16, s22, s16
	v_writelane_b32 v48, s19, 5
	s_add_i32 s17, s0, 1
	s_sub_i32 s18, s16, s3
	v_mul_f32_e32 v1, 0x4f7ffffe, v1
	s_cmp_ge_u32 s16, s3
	v_cvt_u32_f32_e32 v1, v1
	s_cselect_b32 s0, s17, s0
	s_cselect_b32 s16, s18, s16
	s_add_i32 s17, s0, 1
	s_cmp_ge_u32 s16, s3
	s_cselect_b32 s0, s17, s0
	s_sub_i32 s16, 0, s2
	v_readfirstlane_b32 s19, v1
	s_mul_i32 s16, s16, s19
	s_mul_hi_u32 s16, s19, s16
	s_add_i32 s19, s19, s16
	s_mov_b64 s[16:17], exec
	v_writelane_b32 v48, s20, 6
	v_writelane_b32 v48, s21, 7
	s_and_b64 s[20:21], s[16:17], s[20:21]
	s_mov_b64 exec, s[20:21]
	s_cbranch_execz .LBB106_3
; %bb.2:
	v_mov_b32_e32 v2, 0
	v_mov_b32_e32 v3, v2
	ds_write_b64 v2, v[2:3] offset:4096
.LBB106_3:
	s_or_b64 exec, exec, s[16:17]
	s_load_dwordx4 s[24:27], s[4:5], 0x144
	v_mov_b32_e32 v1, 0
	s_waitcnt lgkmcnt(0)
	s_barrier
	v_writelane_b32 v48, s24, 8
	v_writelane_b32 v48, s25, 9
	;; [unrolled: 1-line block ×4, first 2 shown]
	s_load_dwordx4 s[24:27], s[4:5], 0x6c
	s_load_dwordx2 s[16:17], s[4:5], 0x1b0
	s_waitcnt lgkmcnt(0)
	s_barrier
	ds_read_b64 v[2:3], v1 offset:4096
	s_add_i32 s18, s1, s7
	s_add_i32 s11, s11, s15
	s_bitcmp1_b32 s59, 0
	v_writelane_b32 v48, s24, 12
	s_cselect_b64 s[20:21], -1, 0
	s_waitcnt lgkmcnt(0)
	v_cmp_gt_i64_e32 vcc, 1, v[2:3]
	v_writelane_b32 v48, s25, 13
	s_or_b64 s[20:21], s[20:21], vcc
	v_writelane_b32 v48, s26, 14
	s_mul_hi_u32 s7, s0, s19
	s_andn2_b64 vcc, exec, s[20:21]
	s_mov_b32 s1, s56
	v_writelane_b32 v48, s27, 15
	s_cbranch_vccnz .LBB106_5
; %bb.4:
	v_not_b32_e32 v1, v2
	v_not_b32_e32 v2, v3
	v_add_co_u32_e32 v1, vcc, s56, v1
	v_addc_co_u32_e32 v2, vcc, 0, v2, vcc
	v_lshrrev_b32_e32 v3, 31, v2
	v_add_co_u32_e32 v1, vcc, v1, v3
	v_addc_co_u32_e32 v2, vcc, 0, v2, vcc
	v_alignbit_b32 v1, v2, v1, 1
	v_readfirstlane_b32 s1, v1
	s_add_i32 s1, s1, 1
.LBB106_5:
	s_load_dwordx2 s[20:21], s[4:5], 0xd8
                                        ; kill: killed $sgpr4 killed $sgpr5
	s_waitcnt lgkmcnt(0)
	v_writelane_b32 v48, s20, 16
	v_writelane_b32 v48, s21, 17
	s_load_dwordx2 s[20:21], s[4:5], 0x0
	s_waitcnt lgkmcnt(0)
	v_writelane_b32 v48, s20, 18
	v_writelane_b32 v48, s21, 19
	v_readlane_b32 s4, v48, 0
	s_mul_hi_u32 s4, s4, s18
	v_writelane_b32 v48, s4, 20
	v_readlane_b32 s4, v48, 3
	s_mul_hi_u32 s4, s4, s11
	v_writelane_b32 v48, s4, 21
	s_mov_b64 s[4:5], exec
	v_readlane_b32 s18, v48, 6
	v_readlane_b32 s19, v48, 7
	s_and_b64 s[18:19], s[4:5], s[18:19]
	s_mov_b64 exec, s[18:19]
	s_cbranch_execz .LBB106_7
; %bb.6:
	v_mov_b32_e32 v2, 0
	v_mov_b32_e32 v3, s56
	ds_write_b32 v2, v2 offset:4112
	ds_write_b64 v2, v[2:3] offset:4104
.LBB106_7:
	s_or_b64 exec, exec, s[4:5]
	s_mul_i32 s3, s0, s3
	s_mul_i32 s4, s7, s2
	s_sub_i32 s3, s22, s3
	s_sub_i32 s4, s0, s4
	s_mul_i32 s3, s3, s10
	s_add_i32 s5, s7, 1
	s_sub_i32 s10, s4, s2
	s_cmp_ge_u32 s4, s2
	s_cselect_b32 s5, s5, s7
	s_cselect_b32 s4, s10, s4
	s_add_i32 s7, s5, 1
	s_cmp_ge_u32 s4, s2
	s_cselect_b32 s4, s7, s5
	s_mul_i32 s2, s4, s2
	s_sub_i32 s0, s0, s2
	s_mul_i32 s0, s0, s9
	s_add_i32 s0, s0, s3
	s_mul_i32 s4, s4, s8
	s_add_i32 s2, s0, s4
	s_mov_b32 s76, 0
	s_waitcnt lgkmcnt(0)
	s_barrier
	s_load_dword s0, s[12:13], 0xc
	s_mov_b32 s3, s76
	s_lshl_b64 s[2:3], s[2:3], 1
	s_add_u32 s59, s16, s2
	v_writelane_b32 v48, s22, 22
	s_addc_u32 s90, s17, s3
	v_cmp_gt_u32_e64 s[2:3], s56, v0
	v_mbcnt_lo_u32_b32 v1, -1, 0
	v_writelane_b32 v48, s2, 23
	s_waitcnt lgkmcnt(0)
	s_and_b32 s57, s0, 0xffff
	v_mbcnt_hi_u32_b32 v13, -1, v1
	v_writelane_b32 v48, s3, 24
	s_bfe_u32 s8, s0, 0xa0006
	v_cmp_gt_u32_e32 vcc, 64, v0
	v_cmp_gt_i32_e64 s[4:5], 4, v13
	s_add_i32 s0, s57, -1
	s_lshl_b32 s92, s57, 2
	s_and_b64 s[78:79], vcc, s[4:5]
	v_writelane_b32 v48, s0, 25
	s_add_i32 s0, s0, s56
	s_cmpk_gt_u32 s56, 0x600
	s_cselect_b64 s[2:3], -1, 0
	v_writelane_b32 v48, s2, 26
	s_cmp_gt_u32 s57, 63
	v_writelane_b32 v48, s3, 27
	s_cselect_b64 s[2:3], -1, 0
	v_writelane_b32 v48, s2, 28
	s_cmp_lt_u32 s6, s14
	v_writelane_b32 v48, s3, 29
	s_cselect_b32 s2, 12, 18
	s_add_u32 s2, s12, s2
	v_mov_b32_e32 v9, 0
	s_addc_u32 s3, s13, 0
	v_writelane_b32 v48, s2, 30
	v_mul_lo_u32 v6, v0, s58
	v_mov_b32_e32 v7, v9
	v_writelane_b32 v48, s3, 31
	s_add_i32 s2, s8, -2
	v_lshlrev_b64 v[2:3], 1, v[6:7]
	s_lshr_b32 s3, s2, 1
	v_mov_b32_e32 v7, s90
	v_add_co_u32_e32 v10, vcc, s59, v2
	s_add_i32 s3, s3, 1
	v_addc_co_u32_e32 v11, vcc, v7, v3, vcc
	v_lshlrev_b64 v[2:3], v13, -1
	s_cmpk_gt_u32 s57, 0x7f
	v_not_b32_e32 v12, v2
	v_cvt_f32_u32_e32 v2, s92
	s_cselect_b64 s[4:5], -1, 0
	s_and_b32 s9, s8, 0x3fe
	s_and_b32 s10, s3, 7
	v_writelane_b32 v48, s4, 32
	s_cmp_gt_u32 s2, 13
	v_writelane_b32 v48, s5, 33
	s_cselect_b64 s[12:13], -1, 0
	v_writelane_b32 v48, s12, 34
	v_rcp_iflag_f32_e32 v2, v2
	v_writelane_b32 v48, s13, 35
	s_and_b32 s2, s3, -8
	v_writelane_b32 v48, s2, 36
	s_cmp_lg_u32 s10, 0
	v_writelane_b32 v48, s10, 37
	s_cselect_b64 s[2:3], -1, 0
	v_writelane_b32 v48, s2, 38
	v_mul_f32_e32 v2, 0x4f7ffffe, v2
	v_writelane_b32 v48, s3, 39
	v_cvt_u32_f32_e32 v2, v2
	v_writelane_b32 v48, s8, 40
	s_cmp_lg_u32 s9, s8
	v_writelane_b32 v48, s9, 41
	s_cselect_b64 s[2:3], -1, 0
	v_writelane_b32 v48, s2, 42
	v_writelane_b32 v48, s3, 43
	s_sub_i32 s2, 0, s92
	v_readfirstlane_b32 s3, v2
	s_mul_i32 s2, s2, s3
	s_mul_hi_u32 s2, s3, s2
	s_add_i32 s84, s3, s2
	v_cvt_f32_u32_e32 v2, s57
	s_mul_hi_u32 s2, s56, s84
	s_mul_i32 s2, s2, s92
	s_sub_i32 s2, s56, s2
	s_sub_i32 s3, s2, s92
	v_rcp_iflag_f32_e32 v5, v2
	s_cmp_ge_u32 s2, s92
	s_cselect_b32 s2, s3, s2
	s_sub_i32 s3, s2, s92
	s_cmp_ge_u32 s2, s92
	v_mul_f32_e32 v5, 0x4f7ffffe, v5
	s_cselect_b32 s2, s3, s2
	v_cvt_u32_f32_e32 v5, v5
	v_lshlrev_b32_e32 v16, 2, v0
	s_sub_i32 s85, s56, s2
	v_cmp_gt_u32_e64 s[8:9], s85, v16
	v_writelane_b32 v48, s8, 44
	v_writelane_b32 v48, s9, 45
	s_sub_i32 s3, 0, s57
	v_readfirstlane_b32 s8, v5
	s_mul_i32 s3, s3, s8
	s_mul_hi_u32 s3, s8, s3
	s_add_i32 s3, s8, s3
	v_writelane_b32 v48, s3, 46
	s_mul_hi_u32 s3, s0, s3
	s_mul_i32 s3, s3, s57
	s_sub_i32 s3, s0, s3
	s_sub_i32 s8, s3, s57
	v_add_u32_e32 v21, s85, v0
	s_cmp_ge_u32 s3, s57
	v_lshrrev_b32_e32 v1, 4, v0
	v_mul_lo_u32 v8, v21, s58
	s_cselect_b32 s3, s8, s3
	v_and_b32_e32 v19, 60, v1
	v_not_b32_e32 v1, v3
	v_lshlrev_b64 v[2:3], 1, v[8:9]
	s_sub_i32 s8, s3, s57
	v_add_co_u32_e32 v14, vcc, s59, v2
	s_cmp_ge_u32 s3, s57
	v_mul_lo_u32 v2, s58, v16
	s_cselect_b32 s3, s8, s3
	v_add_u32_e32 v22, s58, v2
	v_or_b32_e32 v2, 2, v16
	s_sub_i32 s87, s0, s3
	v_mul_lo_u32 v23, s58, v2
	v_or_b32_e32 v2, 3, v16
	s_add_i32 s0, s57, s56
	v_mul_lo_u32 v24, s58, v2
	v_add_u32_e32 v2, s0, v0
	v_lshlrev_b32_e32 v17, 1, v0
	v_lshlrev_b32_e32 v4, 2, v13
	v_mov_b32_e32 v8, s90
	v_cmp_gt_u32_e64 s[8:9], s87, v0
	s_mul_i32 s91, s58, s57
	v_subrev_u32_e32 v2, s2, v2
	v_cmp_eq_u32_e64 s[4:5], 0, v13
	v_cmp_gt_u32_e64 s[6:7], 2, v0
	v_add_u32_e32 v18, 0xc00, v17
	v_and_b32_e32 v20, 0x100, v4
	v_cmp_gt_u32_e64 s[10:11], s56, v21
	v_addc_co_u32_e32 v15, vcc, v8, v3, vcc
	v_writelane_b32 v48, s8, 47
	s_lshl_b32 s33, s91, 2
	v_lshlrev_b32_e32 v25, 2, v6
	v_mul_lo_u32 v26, s58, v2
	v_lshlrev_b32_e32 v27, 3, v0
	s_lshl_b32 s12, s57, 3
	s_lshl_b32 s13, s57, 1
	v_or_b32_e32 v28, 0xc00, v4
	s_mov_b32 s3, 14
	s_mov_b64 s[94:95], 0
	s_mov_b32 s2, 0x8000
	v_mov_b32_e32 v29, 0xc00
	v_mov_b32_e32 v30, 0x5040100
	;; [unrolled: 1-line block ×3, first 2 shown]
	s_mov_b32 s80, 0
	s_mov_b32 s0, 0
	;; [unrolled: 1-line block ×3, first 2 shown]
	v_writelane_b32 v48, s9, 48
                                        ; implicit-def: $sgpr72_sgpr73
                                        ; implicit-def: $sgpr62_sgpr63
                                        ; implicit-def: $sgpr60_sgpr61
                                        ; implicit-def: $sgpr74_sgpr75
                                        ; implicit-def: $sgpr64_sgpr65
                                        ; implicit-def: $sgpr66_sgpr67
	s_branch .LBB106_12
.LBB106_8:                              ;   in Loop: Header=BB106_12 Depth=1
	s_xor_b32 s80, s80, 1
	s_add_i32 s1, s3, -2
	s_cmp_eq_u32 s3, 0
	s_mov_b64 s[18:19], 0
	s_cselect_b64 s[26:27], -1, 0
	s_mov_b32 s3, s1
.LBB106_9:                              ;   in Loop: Header=BB106_12 Depth=1
	s_andn2_b64 s[8:9], s[22:23], exec
	s_and_b64 s[18:19], s[18:19], exec
	s_or_b64 s[22:23], s[8:9], s[18:19]
	s_andn2_b64 s[24:25], s[24:25], exec
	s_andn2_b64 s[20:21], s[20:21], exec
	s_orn2_b64 s[18:19], s[26:27], exec
	s_mov_b32 s1, s35
.LBB106_10:                             ;   in Loop: Header=BB106_12 Depth=1
	s_or_b64 exec, exec, s[14:15]
	s_andn2_b64 s[8:9], s[66:67], exec
	s_and_b64 s[14:15], s[22:23], exec
	s_or_b64 s[66:67], s[8:9], s[14:15]
	s_andn2_b64 s[8:9], s[64:65], exec
	s_and_b64 s[14:15], s[24:25], exec
	s_or_b64 s[64:65], s[8:9], s[14:15]
	;; [unrolled: 3-line block ×3, first 2 shown]
	s_orn2_b64 s[18:19], s[18:19], exec
.LBB106_11:                             ;   in Loop: Header=BB106_12 Depth=1
	s_or_b64 exec, exec, s[16:17]
	s_and_b64 s[8:9], exec, s[18:19]
	s_or_b64 s[94:95], s[8:9], s[94:95]
	s_andn2_b64 s[8:9], s[60:61], exec
	s_and_b64 s[14:15], s[66:67], exec
	s_or_b64 s[60:61], s[8:9], s[14:15]
	s_andn2_b64 s[8:9], s[62:63], exec
	s_and_b64 s[14:15], s[64:65], exec
	s_or_b64 s[62:63], s[8:9], s[14:15]
	s_andn2_b64 s[8:9], s[72:73], exec
	s_and_b64 s[14:15], s[74:75], exec
	v_mov_b32_e32 v2, s0
	s_or_b64 s[72:73], s[8:9], s[14:15]
	s_andn2_b64 exec, exec, s[94:95]
	s_cbranch_execz .LBB106_246
.LBB106_12:                             ; =>This Loop Header: Depth=1
                                        ;     Child Loop BB106_17 Depth 2
                                        ;     Child Loop BB106_35 Depth 2
	;; [unrolled: 1-line block ×17, first 2 shown]
	ds_read_b64 v[2:3], v9 offset:4104
	s_waitcnt lgkmcnt(0)
	v_readfirstlane_b32 s77, v2
	s_cmp_lg_u32 s77, 0
	s_cbranch_scc1 .LBB106_42
; %bb.13:                               ;   in Loop: Header=BB106_12 Depth=1
	v_readlane_b32 s8, v48, 26
	v_readlane_b32 s9, v48, 27
	s_and_b64 vcc, exec, s[8:9]
	s_cbranch_vccz .LBB106_25
; %bb.14:                               ;   in Loop: Header=BB106_12 Depth=1
	s_movk_i32 s8, 0x601
	v_cmp_gt_u32_e32 vcc, s8, v3
	s_mov_b64 s[18:19], 0
	s_mov_b64 s[14:15], 0
	s_cbranch_vccz .LBB106_26
; %bb.15:                               ;   in Loop: Header=BB106_12 Depth=1
	v_readlane_b32 s8, v48, 30
	v_readlane_b32 s9, v48, 31
	s_nop 4
	global_load_ushort v2, v9, s[8:9]
	global_load_ushort v4, v[10:11], off
	s_mov_b64 s[20:21], 0
	s_waitcnt vmcnt(1)
	v_add_u32_e32 v5, v0, v2
	v_mul_lo_u32 v3, s58, v2
	v_mul_lo_u32 v8, s58, v5
	v_mov_b32_e32 v5, v0
	s_branch .LBB106_17
.LBB106_16:                             ;   in Loop: Header=BB106_17 Depth=2
	s_or_b64 exec, exec, s[16:17]
	v_add_u32_e32 v8, v8, v3
	v_mov_b32_e32 v4, v32
	s_andn2_b64 exec, exec, s[20:21]
	s_cbranch_execz .LBB106_27
.LBB106_17:                             ;   Parent Loop BB106_12 Depth=1
                                        ; =>  This Inner Loop Header: Depth=2
	v_add_u32_e32 v5, v5, v2
	v_cmp_gt_u32_e64 s[14:15], s56, v5
	v_cmp_le_u32_e32 vcc, s56, v5
	s_waitcnt lgkmcnt(0)
	v_mov_b32_e32 v33, 0
	v_mov_b32_e32 v32, 0
	s_and_saveexec_b64 s[16:17], s[14:15]
	s_cbranch_execz .LBB106_19
; %bb.18:                               ;   in Loop: Header=BB106_17 Depth=2
	v_lshlrev_b64 v[34:35], 1, v[8:9]
	v_add_co_u32_e64 v34, s[14:15], s59, v34
	v_addc_co_u32_e64 v35, s[14:15], v7, v35, s[14:15]
	global_load_ushort v32, v[34:35], off
.LBB106_19:                             ;   in Loop: Header=BB106_17 Depth=2
	s_or_b64 exec, exec, s[16:17]
	s_waitcnt vmcnt(0)
	v_add_u32_sdwa v34, sext(v4), s2 dst_sel:DWORD dst_unused:UNUSED_PAD src0_sel:WORD_0 src1_sel:DWORD
	v_and_b32_e32 v34, s81, v34
	v_cmp_eq_u32_e64 s[14:15], s0, v34
	s_cmp_lg_u64 s[14:15], 0
	s_cselect_b64 s[8:9], -1, 0
	s_and_b64 s[8:9], s[4:5], s[8:9]
	s_and_saveexec_b64 s[22:23], s[8:9]
	s_cbranch_execz .LBB106_23
; %bb.20:                               ;   in Loop: Header=BB106_17 Depth=2
	s_mov_b64 s[26:27], exec
	v_mbcnt_lo_u32_b32 v33, s26, 0
	v_mbcnt_hi_u32_b32 v33, s27, v33
	s_bcnt1_i32_b64 s8, s[14:15]
	v_cmp_eq_u32_e64 s[16:17], 0, v33
                                        ; implicit-def: $vgpr34
	s_and_saveexec_b64 s[24:25], s[16:17]
	s_cbranch_execz .LBB106_22
; %bb.21:                               ;   in Loop: Header=BB106_17 Depth=2
	s_bcnt1_i32_b64 s9, s[26:27]
	s_mul_i32 s9, s8, s9
	v_mov_b32_e32 v34, s9
	ds_add_rtn_u32 v34, v9, v34 offset:4112
.LBB106_22:                             ;   in Loop: Header=BB106_17 Depth=2
	s_or_b64 exec, exec, s[24:25]
	s_waitcnt lgkmcnt(0)
	v_readfirstlane_b32 s9, v34
	v_mov_b32_e32 v34, s9
	v_mad_u32_u24 v33, s8, v33, v34
.LBB106_23:                             ;   in Loop: Header=BB106_17 Depth=2
	s_or_b64 exec, exec, s[22:23]
	ds_bpermute_b32 v33, v20, v33
	s_and_b64 s[8:9], exec, vcc
	s_or_b64 s[20:21], s[8:9], s[20:21]
	s_and_saveexec_b64 s[16:17], s[14:15]
	s_cbranch_execz .LBB106_16
; %bb.24:                               ;   in Loop: Header=BB106_17 Depth=2
	v_and_b32_e32 v35, s14, v12
	v_and_b32_e32 v34, s15, v1
	v_bcnt_u32_b32 v35, v35, 0
	v_bcnt_u32_b32 v34, v34, v35
	v_lshlrev_b32_e32 v34, 1, v34
	s_waitcnt lgkmcnt(0)
	v_lshl_add_u32 v33, v33, 1, v34
	ds_write_b16 v33, v4
	s_branch .LBB106_16
.LBB106_25:                             ;   in Loop: Header=BB106_12 Depth=1
	s_mov_b64 s[14:15], 0
                                        ; implicit-def: $sgpr77
	s_cbranch_execnz .LBB106_30
	s_branch .LBB106_40
.LBB106_26:                             ;   in Loop: Header=BB106_12 Depth=1
	s_mov_b32 s77, 0
	s_and_b64 vcc, exec, s[18:19]
	s_cbranch_vccnz .LBB106_30
	s_branch .LBB106_40
.LBB106_27:                             ;   in Loop: Header=BB106_12 Depth=1
	s_or_b64 exec, exec, s[20:21]
	s_waitcnt lgkmcnt(0)
	s_barrier
	s_mov_b64 s[14:15], exec
	v_readlane_b32 s8, v48, 6
	v_readlane_b32 s9, v48, 7
	s_and_b64 s[8:9], s[14:15], s[8:9]
	s_mov_b64 exec, s[8:9]
	s_cbranch_execz .LBB106_29
; %bb.28:                               ;   in Loop: Header=BB106_12 Depth=1
	ds_read_b32 v2, v9 offset:4112
	s_waitcnt lgkmcnt(0)
	ds_write_b32 v9, v2 offset:4104
.LBB106_29:                             ;   in Loop: Header=BB106_12 Depth=1
	s_or_b64 exec, exec, s[14:15]
	s_waitcnt lgkmcnt(0)
	s_barrier
	s_mov_b64 s[14:15], -1
	s_mov_b32 s77, 0
	s_and_b64 vcc, exec, s[18:19]
	s_cbranch_vccz .LBB106_40
.LBB106_30:                             ;   in Loop: Header=BB106_12 Depth=1
	v_mov_b32_e32 v2, 0
	s_mov_b64 s[14:15], exec
	v_readlane_b32 s8, v48, 23
	v_readlane_b32 s9, v48, 24
	s_and_b64 s[8:9], s[14:15], s[8:9]
	s_mov_b64 exec, s[8:9]
	s_cbranch_execz .LBB106_32
; %bb.31:                               ;   in Loop: Header=BB106_12 Depth=1
	global_load_ushort v2, v[10:11], off
.LBB106_32:                             ;   in Loop: Header=BB106_12 Depth=1
	s_or_b64 exec, exec, s[14:15]
	s_mov_b64 s[16:17], exec
	v_readlane_b32 s8, v48, 23
	v_readlane_b32 s9, v48, 24
	s_and_b64 s[8:9], s[16:17], s[8:9]
	s_mov_b64 exec, s[8:9]
	s_cbranch_execz .LBB106_37
; %bb.33:                               ;   in Loop: Header=BB106_12 Depth=1
	v_readlane_b32 s8, v48, 30
	v_readlane_b32 s9, v48, 31
	s_mov_b64 s[18:19], 0
	v_mov_b32_e32 v4, v17
	v_mov_b32_e32 v33, v0
	s_nop 1
	global_load_ushort v3, v9, s[8:9]
	s_waitcnt vmcnt(0)
	v_add_u32_e32 v8, v0, v3
	v_lshlrev_b32_e32 v5, 1, v3
	v_mul_lo_u32 v32, s58, v3
	v_mul_lo_u32 v8, s58, v8
	s_branch .LBB106_35
.LBB106_34:                             ;   in Loop: Header=BB106_35 Depth=2
	s_or_b64 exec, exec, s[20:21]
	s_and_b64 s[8:9], exec, vcc
	s_or_b64 s[18:19], s[8:9], s[18:19]
	ds_write_b16 v4, v2
	v_add_u32_e32 v4, v4, v5
	v_add_u32_e32 v8, v8, v32
	s_waitcnt vmcnt(0)
	v_mov_b32_e32 v2, v34
	s_andn2_b64 exec, exec, s[18:19]
	s_cbranch_execz .LBB106_37
.LBB106_35:                             ;   Parent Loop BB106_12 Depth=1
                                        ; =>  This Inner Loop Header: Depth=2
	v_add_u32_e32 v33, v33, v3
	v_cmp_gt_u32_e64 s[14:15], s56, v33
	v_cmp_le_u32_e32 vcc, s56, v33
	v_mov_b32_e32 v34, 0
	s_and_saveexec_b64 s[20:21], s[14:15]
	s_cbranch_execz .LBB106_34
; %bb.36:                               ;   in Loop: Header=BB106_35 Depth=2
	v_lshlrev_b64 v[34:35], 1, v[8:9]
	v_mov_b32_e32 v36, s90
	v_add_co_u32_e64 v34, s[14:15], s59, v34
	v_addc_co_u32_e64 v35, s[14:15], v36, v35, s[14:15]
	global_load_ushort v34, v[34:35], off
	s_branch .LBB106_34
.LBB106_37:                             ;   in Loop: Header=BB106_12 Depth=1
	s_or_b64 exec, exec, s[16:17]
	s_waitcnt lgkmcnt(0)
	s_barrier
	s_mov_b64 s[14:15], exec
	v_readlane_b32 s8, v48, 6
	v_readlane_b32 s9, v48, 7
	s_and_b64 s[8:9], s[14:15], s[8:9]
	s_mov_b64 exec, s[8:9]
	s_cbranch_execz .LBB106_39
; %bb.38:                               ;   in Loop: Header=BB106_12 Depth=1
	s_waitcnt vmcnt(0)
	v_mov_b32_e32 v2, s56
	ds_write_b32 v9, v2 offset:4104
.LBB106_39:                             ;   in Loop: Header=BB106_12 Depth=1
	s_or_b64 exec, exec, s[14:15]
	s_mov_b64 s[14:15], -1
	s_waitcnt lgkmcnt(0)
	s_barrier
                                        ; implicit-def: $sgpr77
.LBB106_40:                             ;   in Loop: Header=BB106_12 Depth=1
	s_and_b64 vcc, exec, s[14:15]
	s_cbranch_vccz .LBB106_42
; %bb.41:                               ;   in Loop: Header=BB106_12 Depth=1
	s_waitcnt vmcnt(0)
	ds_read_b32 v2, v9 offset:4104
	s_waitcnt lgkmcnt(0)
	v_readfirstlane_b32 s77, v2
.LBB106_42:                             ;   in Loop: Header=BB106_12 Depth=1
	s_cmp_lt_i32 s77, 1
	s_cbranch_scc0 .LBB106_54
; %bb.43:                               ;   in Loop: Header=BB106_12 Depth=1
	s_waitcnt vmcnt(0)
	v_mov_b32_e32 v2, 0
	s_mov_b32 s48, 0
	v_mov_b32_e32 v3, 0
	v_mov_b32_e32 v4, v2
	;; [unrolled: 1-line block ×3, first 2 shown]
	s_mov_b64 s[44:45], exec
	v_readlane_b32 s8, v48, 44
	v_readlane_b32 s9, v48, 45
	s_and_b64 s[8:9], s[44:45], s[8:9]
	s_mov_b64 exec, s[8:9]
	s_cbranch_execz .LBB106_47
; %bb.44:                               ;   in Loop: Header=BB106_12 Depth=1
	s_and_b32 s49, s3, 0xfe
	s_mov_b64 s[46:47], 0
	s_mov_b32 s50, 0
	s_mov_b32 s51, 0
	;; [unrolled: 1-line block ×4, first 2 shown]
	v_mov_b32_e32 v32, v16
.LBB106_45:                             ;   Parent Loop BB106_12 Depth=1
                                        ; =>  This Inner Loop Header: Depth=2
	v_add_u32_e32 v8, s48, v25
	v_lshlrev_b64 v[2:3], 1, v[8:9]
	v_mov_b32_e32 v33, s90
	v_add_u32_e32 v8, s48, v22
	v_add_co_u32_e64 v2, s[14:15], s59, v2
	v_lshlrev_b64 v[4:5], 1, v[8:9]
	v_addc_co_u32_e64 v3, s[14:15], v33, v3, s[14:15]
	v_add_u32_e32 v8, s48, v23
	v_add_co_u32_e64 v4, s[14:15], s59, v4
	v_lshlrev_b64 v[34:35], 1, v[8:9]
	v_add_u32_e32 v8, s48, v24
	v_addc_co_u32_e64 v5, s[14:15], v33, v5, s[14:15]
	global_load_sshort v36, v[2:3], off
	v_lshlrev_b64 v[2:3], 1, v[8:9]
	global_load_sshort v8, v[4:5], off
	v_add_co_u32_e64 v4, s[14:15], s59, v34
	v_addc_co_u32_e64 v5, s[14:15], v33, v35, s[14:15]
	global_load_sshort v4, v[4:5], off
	v_add_co_u32_e64 v2, s[14:15], s59, v2
	v_addc_co_u32_e64 v3, s[14:15], v33, v3, s[14:15]
	global_load_sshort v2, v[2:3], off
	v_add_u32_e32 v32, s92, v32
	v_cmp_le_u32_e32 vcc, s85, v32
	s_add_i32 s48, s48, s33
	s_waitcnt vmcnt(3)
	v_add_u32_e32 v3, 0x8000, v36
	s_waitcnt vmcnt(2)
	v_add_u32_e32 v5, 0x8000, v8
	v_and_b32_e32 v8, s81, v3
	v_bfe_u32 v3, v3, s49, 2
	v_cmp_eq_u32_e64 s[14:15], s0, v8
	v_cmp_eq_u32_e64 s[16:17], 0, v3
	v_and_b32_e32 v8, s81, v5
	v_bfe_u32 v5, v5, s49, 2
	v_cmp_eq_u32_e64 s[18:19], 1, v3
	s_and_b64 s[8:9], s[14:15], s[16:17]
	v_cmp_eq_u32_e64 s[20:21], 2, v3
	v_cmp_eq_u32_e64 s[26:27], 0, v5
	;; [unrolled: 1-line block ×5, first 2 shown]
	v_cndmask_b32_e64 v5, 0, 1, s[8:9]
	s_and_b64 s[8:9], s[14:15], s[18:19]
	v_cmp_eq_u32_e64 s[22:23], 3, v3
	v_cmp_eq_u32_e64 s[24:25], s0, v8
	v_cndmask_b32_e64 v8, 0, 1, s[8:9]
	s_and_b64 s[8:9], s[14:15], s[20:21]
	s_waitcnt vmcnt(1)
	v_add_u32_e32 v4, 0x8000, v4
	v_cndmask_b32_e64 v33, 0, 1, s[8:9]
	s_and_b64 s[8:9], s[14:15], s[22:23]
	v_and_b32_e32 v3, s81, v4
	v_bfe_u32 v4, v4, s49, 2
	v_cndmask_b32_e64 v34, 0, 1, s[8:9]
	s_and_b64 s[8:9], s[24:25], s[26:27]
	v_cmp_eq_u32_e64 s[16:17], 0, v4
	v_cmp_eq_u32_e64 s[18:19], 1, v4
	;; [unrolled: 1-line block ×4, first 2 shown]
	v_cndmask_b32_e64 v4, 0, 1, s[8:9]
	s_and_b64 s[8:9], s[24:25], s[28:29]
	v_cmp_ne_u32_e64 s[36:37], 0, v5
	v_cndmask_b32_e64 v5, 0, 1, s[8:9]
	s_and_b64 s[8:9], s[24:25], s[30:31]
	s_waitcnt vmcnt(0)
	v_add_u32_e32 v2, 0x8000, v2
	v_cmp_eq_u32_e64 s[14:15], s0, v3
	v_cmp_ne_u32_e64 s[26:27], 0, v8
	v_cndmask_b32_e64 v8, 0, 1, s[8:9]
	s_and_b64 s[8:9], s[24:25], s[34:35]
	v_and_b32_e32 v3, s81, v2
	v_bfe_u32 v2, v2, s49, 2
	v_cmp_ne_u32_e64 s[28:29], 0, v33
	v_cndmask_b32_e64 v33, 0, 1, s[8:9]
	s_and_b64 s[8:9], s[14:15], s[16:17]
	v_cmp_eq_u32_e64 s[34:35], 0, v2
	v_cmp_eq_u32_e64 s[38:39], 1, v2
	;; [unrolled: 1-line block ×4, first 2 shown]
	v_cndmask_b32_e64 v2, 0, 1, s[8:9]
	s_and_b64 s[8:9], s[14:15], s[18:19]
	v_cmp_eq_u32_e64 s[24:25], s0, v3
	v_cndmask_b32_e64 v3, 0, 1, s[8:9]
	s_and_b64 s[8:9], s[14:15], s[20:21]
	s_bcnt1_i32_b64 s54, s[36:37]
	v_cmp_ne_u32_e64 s[36:37], 0, v4
	v_cndmask_b32_e64 v4, 0, 1, s[8:9]
	s_and_b64 s[8:9], s[14:15], s[22:23]
	v_cmp_ne_u32_e64 s[16:17], 0, v5
	v_cndmask_b32_e64 v5, 0, 1, s[8:9]
	s_and_b64 s[8:9], s[24:25], s[34:35]
	;; [unrolled: 3-line block ×3, first 2 shown]
	v_cmp_ne_u32_e64 s[30:31], 0, v34
	s_bcnt1_i32_b64 s26, s[26:27]
	s_bcnt1_i32_b64 s27, s[28:29]
	v_cmp_ne_u32_e64 s[18:19], 0, v8
	s_bcnt1_i32_b64 s29, s[16:17]
	v_cmp_ne_u32_e64 s[16:17], 0, v3
	v_cndmask_b32_e64 v3, 0, 1, s[8:9]
	s_and_b64 s[8:9], s[24:25], s[40:41]
	s_bcnt1_i32_b64 s28, s[30:31]
	v_cmp_ne_u32_e64 s[20:21], 0, v33
	s_bcnt1_i32_b64 s30, s[18:19]
	v_cmp_ne_u32_e64 s[18:19], 0, v4
	v_cndmask_b32_e64 v4, 0, 1, s[8:9]
	s_and_b64 s[8:9], s[24:25], s[42:43]
	s_bcnt1_i32_b64 s22, s[36:37]
	s_add_i32 s23, s53, s54
	s_add_i32 s26, s52, s26
	;; [unrolled: 1-line block ×3, first 2 shown]
	s_bcnt1_i32_b64 s31, s[20:21]
	v_cmp_ne_u32_e64 s[20:21], 0, v5
	v_cndmask_b32_e64 v5, 0, 1, s[8:9]
	s_add_i32 s8, s50, s28
	s_bcnt1_i32_b64 s9, s[14:15]
	v_cmp_ne_u32_e64 s[14:15], 0, v2
	s_add_i32 s22, s23, s22
	s_bcnt1_i32_b64 s23, s[16:17]
	v_cmp_ne_u32_e64 s[16:17], 0, v3
	;; [unrolled: 3-line block ×4, first 2 shown]
	s_add_i32 s8, s8, s31
	s_bcnt1_i32_b64 s14, s[14:15]
	s_add_i32 s9, s22, s9
	s_bcnt1_i32_b64 s15, s[16:17]
	;; [unrolled: 2-line block ×4, first 2 shown]
	s_add_i32 s8, s8, s27
	s_add_i32 s53, s9, s14
	;; [unrolled: 1-line block ×5, first 2 shown]
	s_or_b64 s[46:47], vcc, s[46:47]
	v_mov_b32_e32 v2, s53
	v_mov_b32_e32 v3, s52
	;; [unrolled: 1-line block ×4, first 2 shown]
	s_andn2_b64 exec, exec, s[46:47]
	s_cbranch_execnz .LBB106_45
; %bb.46:                               ;   in Loop: Header=BB106_12 Depth=1
	s_or_b64 exec, exec, s[46:47]
.LBB106_47:                             ;   in Loop: Header=BB106_12 Depth=1
	s_or_b64 exec, exec, s[44:45]
	v_mov_b32_e32 v32, 0
	s_and_saveexec_b64 s[14:15], s[10:11]
	s_cbranch_execz .LBB106_49
; %bb.48:                               ;   in Loop: Header=BB106_12 Depth=1
	global_load_ushort v32, v[14:15], off
.LBB106_49:                             ;   in Loop: Header=BB106_12 Depth=1
	s_or_b64 exec, exec, s[14:15]
	s_mov_b64 s[16:17], 0
	s_mov_b64 s[68:69], 0
	s_and_saveexec_b64 s[18:19], s[10:11]
	s_cbranch_execz .LBB106_56
; %bb.50:                               ;   in Loop: Header=BB106_12 Depth=1
	s_and_b32 s8, s3, 0xfe
	s_mov_b64 s[20:21], 0
	v_mov_b32_e32 v8, v26
	v_mov_b32_e32 v33, v21
	s_branch .LBB106_52
.LBB106_51:                             ;   in Loop: Header=BB106_52 Depth=2
	s_or_b64 exec, exec, s[22:23]
	s_waitcnt vmcnt(0)
	v_add_u32_sdwa v32, sext(v32), s2 dst_sel:DWORD dst_unused:UNUSED_PAD src0_sel:WORD_0 src1_sel:DWORD
	s_and_b64 s[14:15], exec, vcc
	v_and_b32_e32 v35, s81, v32
	v_bfe_u32 v32, v32, s8, 2
	s_or_b64 s[20:21], s[14:15], s[20:21]
	v_cmp_eq_u32_e32 vcc, s0, v35
	v_cmp_eq_u32_e64 s[14:15], 0, v32
	s_and_b64 s[14:15], vcc, s[14:15]
	v_cndmask_b32_e64 v35, 0, 1, s[14:15]
	v_cmp_ne_u32_e64 s[14:15], 0, v35
	s_bcnt1_i32_b64 s9, s[14:15]
	v_cmp_eq_u32_e64 s[14:15], 1, v32
	s_and_b64 s[14:15], vcc, s[14:15]
	v_cndmask_b32_e64 v35, 0, 1, s[14:15]
	v_cmp_ne_u32_e64 s[14:15], 0, v35
	v_add_u32_e32 v2, s9, v2
	s_bcnt1_i32_b64 s9, s[14:15]
	v_cmp_eq_u32_e64 s[14:15], 2, v32
	s_and_b64 s[14:15], vcc, s[14:15]
	v_cndmask_b32_e64 v35, 0, 1, s[14:15]
	v_cmp_ne_u32_e64 s[14:15], 0, v35
	v_add_u32_e32 v3, s9, v3
	s_bcnt1_i32_b64 s9, s[14:15]
	v_cmp_eq_u32_e64 s[14:15], 3, v32
	s_and_b64 s[14:15], vcc, s[14:15]
	v_cndmask_b32_e64 v32, 0, 1, s[14:15]
	v_cmp_ne_u32_e32 vcc, 0, v32
	v_add_u32_e32 v4, s9, v4
	s_bcnt1_i32_b64 s9, vcc
	v_add_u32_e32 v5, s9, v5
	v_add_u32_e32 v8, s91, v8
	v_mov_b32_e32 v32, v34
	s_andn2_b64 exec, exec, s[20:21]
	s_cbranch_execz .LBB106_55
.LBB106_52:                             ;   Parent Loop BB106_12 Depth=1
                                        ; =>  This Inner Loop Header: Depth=2
	v_add_u32_e32 v33, s57, v33
	v_cmp_gt_u32_e64 s[14:15], s56, v33
	v_cmp_le_u32_e32 vcc, s56, v33
	v_mov_b32_e32 v34, 0
	s_and_saveexec_b64 s[22:23], s[14:15]
	s_cbranch_execz .LBB106_51
; %bb.53:                               ;   in Loop: Header=BB106_52 Depth=2
	v_lshlrev_b64 v[34:35], 1, v[8:9]
	v_mov_b32_e32 v36, s90
	v_add_co_u32_e64 v34, s[14:15], s59, v34
	v_addc_co_u32_e64 v35, s[14:15], v36, v35, s[14:15]
	global_load_ushort v34, v[34:35], off
	s_branch .LBB106_51
.LBB106_54:                             ;   in Loop: Header=BB106_12 Depth=1
	s_mov_b64 s[68:69], 0
                                        ; implicit-def: $vgpr5
	s_cbranch_execnz .LBB106_57
	s_branch .LBB106_66
.LBB106_55:                             ;   in Loop: Header=BB106_12 Depth=1
	s_or_b64 exec, exec, s[20:21]
	s_mov_b64 s[68:69], exec
.LBB106_56:                             ;   in Loop: Header=BB106_12 Depth=1
	s_or_b64 exec, exec, s[18:19]
	s_and_b64 vcc, exec, s[16:17]
	s_cbranch_vccz .LBB106_66
.LBB106_57:                             ;   in Loop: Header=BB106_12 Depth=1
	s_mul_hi_u32 s8, s77, s84
	s_mul_i32 s8, s8, s92
	s_sub_i32 s8, s77, s8
	s_sub_i32 s9, s8, s92
	s_cmp_ge_u32 s8, s92
	s_cselect_b32 s8, s9, s8
	s_sub_i32 s9, s8, s92
	s_cmp_ge_u32 s8, s92
	s_cselect_b32 s8, s9, s8
	s_sub_i32 s93, s77, s8
	v_cmp_gt_u32_e32 vcc, s93, v16
	s_mov_b32 s82, 0
	s_waitcnt vmcnt(0)
	v_mov_b32_e32 v2, 0
	v_mov_b32_e32 v3, 0
	;; [unrolled: 1-line block ×4, first 2 shown]
	s_and_saveexec_b64 s[70:71], vcc
	s_cbranch_execz .LBB106_61
; %bb.58:                               ;   in Loop: Header=BB106_12 Depth=1
	s_and_b32 s86, s3, 0xfe
	s_mov_b64 s[88:89], 0
	v_mov_b32_e32 v8, v27
	s_mov_b32 s83, 0
	s_mov_b32 s8, 0
	;; [unrolled: 1-line block ×3, first 2 shown]
	v_mov_b32_e32 v32, v16
.LBB106_59:                             ;   Parent Loop BB106_12 Depth=1
                                        ; =>  This Inner Loop Header: Depth=2
	ds_read_b64 v[2:3], v8
	v_add_u32_e32 v32, s92, v32
	v_cmp_le_u32_e32 vcc, s93, v32
	v_add_u32_e32 v8, s12, v8
	s_waitcnt lgkmcnt(0)
	v_add_u32_sdwa v4, sext(v2), s2 dst_sel:DWORD dst_unused:UNUSED_PAD src0_sel:WORD_0 src1_sel:DWORD
	v_add_u32_sdwa v2, sext(v2), s2 dst_sel:DWORD dst_unused:UNUSED_PAD src0_sel:WORD_1 src1_sel:DWORD
	v_and_b32_e32 v33, s81, v4
	v_bfe_u32 v4, v4, s86, 2
	v_add_u32_sdwa v5, sext(v3), s2 dst_sel:DWORD dst_unused:UNUSED_PAD src0_sel:WORD_0 src1_sel:DWORD
	v_and_b32_e32 v34, s81, v2
	v_bfe_u32 v2, v2, s86, 2
	v_cmp_eq_u32_e64 s[14:15], s0, v33
	v_cmp_eq_u32_e64 s[22:23], 0, v4
	v_add_u32_sdwa v3, sext(v3), s2 dst_sel:DWORD dst_unused:UNUSED_PAD src0_sel:WORD_1 src1_sel:DWORD
	v_and_b32_e32 v35, s81, v5
	v_bfe_u32 v5, v5, s86, 2
	v_cmp_eq_u32_e64 s[16:17], s0, v34
	v_cmp_eq_u32_e64 s[24:25], 0, v2
	s_and_b64 s[22:23], s[14:15], s[22:23]
	v_and_b32_e32 v36, s81, v3
	v_bfe_u32 v3, v3, s86, 2
	v_cmp_eq_u32_e64 s[18:19], s0, v35
	v_cmp_eq_u32_e64 s[26:27], 0, v5
	;; [unrolled: 1-line block ×5, first 2 shown]
	v_cndmask_b32_e64 v2, 0, 1, s[22:23]
	s_and_b64 s[22:23], s[16:17], s[24:25]
	v_cmp_eq_u32_e64 s[20:21], s0, v36
	v_cmp_eq_u32_e64 s[28:29], 0, v3
	;; [unrolled: 1-line block ×5, first 2 shown]
	v_cndmask_b32_e64 v3, 0, 1, s[22:23]
	s_and_b64 s[22:23], s[18:19], s[26:27]
	v_cmp_eq_u32_e64 s[30:31], 1, v4
	v_cmp_eq_u32_e64 s[40:41], 2, v4
	;; [unrolled: 1-line block ×3, first 2 shown]
	v_cndmask_b32_e64 v4, 0, 1, s[22:23]
	s_and_b64 s[22:23], s[20:21], s[28:29]
	v_cmp_eq_u32_e64 s[36:37], 1, v5
	v_cmp_eq_u32_e64 s[44:45], 2, v5
	;; [unrolled: 1-line block ×3, first 2 shown]
	v_cndmask_b32_e64 v5, 0, 1, s[22:23]
	s_and_b64 s[22:23], s[14:15], s[30:31]
	v_cndmask_b32_e64 v33, 0, 1, s[22:23]
	s_and_b64 s[22:23], s[16:17], s[34:35]
	;; [unrolled: 2-line block ×5, first 2 shown]
	s_and_b64 s[14:15], s[14:15], s[48:49]
	v_cndmask_b32_e64 v37, 0, 1, s[22:23]
	s_and_b64 s[22:23], s[16:17], s[42:43]
	v_cndmask_b32_e64 v41, 0, 1, s[14:15]
	;; [unrolled: 2-line block ×7, first 2 shown]
	v_cndmask_b32_e64 v44, 0, 1, s[14:15]
	v_cmp_ne_u32_e64 s[14:15], 0, v2
	v_cmp_ne_u32_e64 s[16:17], 0, v3
	;; [unrolled: 1-line block ×11, first 2 shown]
	s_bcnt1_i32_b64 s14, s[14:15]
	s_bcnt1_i32_b64 s15, s[16:17]
	;; [unrolled: 1-line block ×8, first 2 shown]
	v_cmp_ne_u32_e64 s[28:29], 0, v36
	v_cmp_ne_u32_e64 s[36:37], 0, v39
	;; [unrolled: 1-line block ×3, first 2 shown]
	s_bcnt1_i32_b64 s19, s[24:25]
	s_bcnt1_i32_b64 s23, s[34:35]
	;; [unrolled: 1-line block ×3, first 2 shown]
	s_add_i32 s9, s9, s14
	s_add_i32 s8, s8, s18
	;; [unrolled: 1-line block ×4, first 2 shown]
	v_cmp_ne_u32_e64 s[38:39], 0, v40
	v_cmp_ne_u32_e64 s[46:47], 0, v44
	s_bcnt1_i32_b64 s21, s[28:29]
	s_bcnt1_i32_b64 s24, s[36:37]
	;; [unrolled: 1-line block ×3, first 2 shown]
	s_add_i32 s9, s9, s15
	s_add_i32 s8, s8, s19
	;; [unrolled: 1-line block ×4, first 2 shown]
	s_bcnt1_i32_b64 s25, s[38:39]
	s_bcnt1_i32_b64 s29, s[46:47]
	s_add_i32 s9, s9, s16
	s_add_i32 s8, s8, s20
	;; [unrolled: 1-line block ×8, first 2 shown]
	s_or_b64 s[88:89], vcc, s[88:89]
	v_mov_b32_e32 v2, s9
	v_mov_b32_e32 v3, s8
	;; [unrolled: 1-line block ×4, first 2 shown]
	s_andn2_b64 exec, exec, s[88:89]
	s_cbranch_execnz .LBB106_59
; %bb.60:                               ;   in Loop: Header=BB106_12 Depth=1
	s_or_b64 exec, exec, s[88:89]
.LBB106_61:                             ;   in Loop: Header=BB106_12 Depth=1
	s_or_b64 exec, exec, s[70:71]
	v_add_u32_e32 v8, s93, v0
	v_cmp_gt_u32_e32 vcc, s77, v8
	s_and_saveexec_b64 s[24:25], vcc
	s_cbranch_execz .LBB106_65
; %bb.62:                               ;   in Loop: Header=BB106_12 Depth=1
	s_and_b32 s8, s3, 0xfe
	v_lshlrev_b32_e32 v32, 1, v8
	s_mov_b64 s[26:27], 0
.LBB106_63:                             ;   Parent Loop BB106_12 Depth=1
                                        ; =>  This Inner Loop Header: Depth=2
	ds_read_i16 v33, v32
	v_add_u32_e32 v8, s57, v8
	v_cmp_le_u32_e32 vcc, s77, v8
	v_add_u32_e32 v32, s13, v32
	s_waitcnt lgkmcnt(0)
	v_add_u32_e32 v33, 0x8000, v33
	v_and_b32_e32 v34, s81, v33
	v_bfe_u32 v33, v33, s8, 2
	v_cmp_eq_u32_e64 s[14:15], s0, v34
	v_cmp_eq_u32_e64 s[16:17], 0, v33
	;; [unrolled: 1-line block ×3, first 2 shown]
	s_and_b64 s[16:17], s[14:15], s[16:17]
	v_cmp_eq_u32_e64 s[20:21], 2, v33
	v_cmp_eq_u32_e64 s[22:23], 3, v33
	v_cndmask_b32_e64 v33, 0, 1, s[16:17]
	s_and_b64 s[16:17], s[14:15], s[18:19]
	v_cndmask_b32_e64 v34, 0, 1, s[16:17]
	s_and_b64 s[16:17], s[14:15], s[20:21]
	s_and_b64 s[14:15], s[14:15], s[22:23]
	v_cndmask_b32_e64 v35, 0, 1, s[16:17]
	v_cndmask_b32_e64 v36, 0, 1, s[14:15]
	v_cmp_ne_u32_e64 s[14:15], 0, v33
	v_cmp_ne_u32_e64 s[16:17], 0, v34
	;; [unrolled: 1-line block ×4, first 2 shown]
	s_bcnt1_i32_b64 s9, s[14:15]
	s_bcnt1_i32_b64 s14, s[16:17]
	;; [unrolled: 1-line block ×4, first 2 shown]
	v_add_u32_e32 v2, s9, v2
	v_add_u32_e32 v3, s14, v3
	;; [unrolled: 1-line block ×3, first 2 shown]
	s_or_b64 s[26:27], vcc, s[26:27]
	v_add_u32_e32 v5, s16, v5
	s_andn2_b64 exec, exec, s[26:27]
	s_cbranch_execnz .LBB106_63
; %bb.64:                               ;   in Loop: Header=BB106_12 Depth=1
	s_or_b64 exec, exec, s[26:27]
	s_or_b64 s[68:69], s[68:69], exec
.LBB106_65:                             ;   in Loop: Header=BB106_12 Depth=1
	s_or_b64 exec, exec, s[24:25]
.LBB106_66:                             ;   in Loop: Header=BB106_12 Depth=1
	s_and_saveexec_b64 s[14:15], s[68:69]
	s_or_b64 exec, exec, s[14:15]
	s_lshl_b32 s8, s80, 6
	s_and_saveexec_b64 s[14:15], s[4:5]
	s_cbranch_execz .LBB106_68
; %bb.67:                               ;   in Loop: Header=BB106_12 Depth=1
	v_or_b32_e32 v8, s8, v19
	v_lshlrev_b32_e32 v8, 2, v8
	s_waitcnt vmcnt(0)
	ds_write_b128 v8, v[2:5] offset:3072
.LBB106_68:                             ;   in Loop: Header=BB106_12 Depth=1
	s_or_b64 exec, exec, s[14:15]
	s_waitcnt lgkmcnt(0)
	s_barrier
	s_and_saveexec_b64 s[14:15], s[78:79]
	s_cbranch_execz .LBB106_82
; %bb.69:                               ;   in Loop: Header=BB106_12 Depth=1
	v_readlane_b32 s16, v48, 28
	v_readlane_b32 s17, v48, 29
	v_add_u32_e32 v4, s8, v13
	s_andn2_b64 vcc, exec, s[16:17]
	s_waitcnt vmcnt(0)
	v_mov_b32_e32 v2, 0
	s_cbranch_vccnz .LBB106_81
; %bb.70:                               ;   in Loop: Header=BB106_12 Depth=1
	v_readlane_b32 s16, v48, 32
	v_readlane_b32 s17, v48, 33
	s_mov_b32 s9, 0
	s_and_b64 vcc, exec, s[16:17]
	v_mov_b32_e32 v2, 0
	s_cbranch_vccz .LBB106_74
; %bb.71:                               ;   in Loop: Header=BB106_12 Depth=1
	v_readlane_b32 s16, v48, 34
	v_readlane_b32 s17, v48, 35
	v_lshl_add_u32 v5, v4, 2, v29
	s_andn2_b64 vcc, exec, s[16:17]
	s_cbranch_vccnz .LBB106_75
; %bb.72:                               ;   in Loop: Header=BB106_12 Depth=1
	s_mov_b32 s17, 1
	s_mov_b32 s16, 0
	v_mov_b32_e32 v2, 0
	v_readlane_b32 s9, v48, 36
	v_mov_b32_e32 v3, 0
.LBB106_73:                             ;   Parent Loop BB106_12 Depth=1
                                        ; =>  This Inner Loop Header: Depth=2
	v_lshl_add_u32 v8, s16, 4, v5
	v_lshl_add_u32 v46, s17, 4, v5
	ds_read2_b32 v[32:33], v8 offset1:8
	ds_read2_b32 v[34:35], v46 offset1:8
	ds_read2_b32 v[36:37], v8 offset0:16 offset1:24
	ds_read2_b32 v[38:39], v46 offset0:16 offset1:24
	ds_read2_b32 v[40:41], v8 offset0:32 offset1:40
	ds_read2_b32 v[42:43], v46 offset0:32 offset1:40
	ds_read2_b32 v[44:45], v8 offset0:48 offset1:56
	ds_read2_b32 v[46:47], v46 offset0:48 offset1:56
	s_waitcnt lgkmcnt(7)
	v_add3_u32 v2, v32, v2, v33
	s_waitcnt lgkmcnt(6)
	v_add3_u32 v3, v34, v3, v35
	;; [unrolled: 2-line block ×3, first 2 shown]
	v_add3_u32 v2, v36, v2, v37
	s_add_i32 s17, s17, 16
	s_add_i32 s16, s16, 16
	s_add_i32 s9, s9, -8
	s_waitcnt lgkmcnt(3)
	v_add3_u32 v2, v40, v2, v41
	s_waitcnt lgkmcnt(2)
	v_add3_u32 v3, v42, v3, v43
	s_cmp_lg_u32 s9, 0
	s_waitcnt lgkmcnt(0)
	v_add3_u32 v3, v46, v3, v47
	v_add3_u32 v2, v44, v2, v45
	s_cbranch_scc1 .LBB106_73
	s_branch .LBB106_76
.LBB106_74:                             ;   in Loop: Header=BB106_12 Depth=1
	s_cbranch_execnz .LBB106_79
	s_branch .LBB106_81
.LBB106_75:                             ;   in Loop: Header=BB106_12 Depth=1
	s_mov_b32 s77, s76
	v_pk_mov_b32 v[2:3], s[76:77], s[76:77] op_sel:[0,1]
	s_mov_b32 s77, 1
	s_mov_b64 s[16:17], s[76:77]
.LBB106_76:                             ;   in Loop: Header=BB106_12 Depth=1
	v_readlane_b32 s18, v48, 38
	v_readlane_b32 s19, v48, 39
	s_andn2_b64 vcc, exec, s[18:19]
	v_readlane_b32 s9, v48, 37
	s_cbranch_vccnz .LBB106_78
.LBB106_77:                             ;   Parent Loop BB106_12 Depth=1
                                        ; =>  This Inner Loop Header: Depth=2
	v_lshl_add_u32 v8, s16, 4, v5
	v_lshl_add_u32 v32, s17, 4, v5
	ds_read_b32 v32, v32
	ds_read_b32 v8, v8
	s_add_i32 s17, s17, 2
	s_add_i32 s16, s16, 2
	s_add_i32 s9, s9, -1
	s_cmp_lg_u32 s9, 0
	s_waitcnt lgkmcnt(1)
	v_add_u32_e32 v3, v32, v3
	s_waitcnt lgkmcnt(0)
	v_add_u32_e32 v2, v8, v2
	s_cbranch_scc1 .LBB106_77
.LBB106_78:                             ;   in Loop: Header=BB106_12 Depth=1
	v_readlane_b32 s16, v48, 42
	v_add_u32_e32 v2, v2, v3
	v_readlane_b32 s9, v48, 41
	v_readlane_b32 s17, v48, 43
	s_and_b64 vcc, exec, s[16:17]
	s_cbranch_vccz .LBB106_81
.LBB106_79:                             ;   in Loop: Header=BB106_12 Depth=1
	s_lshl_b32 s16, s80, 8
	s_lshl_b32 s17, s9, 4
	s_add_i32 s16, s16, s17
	v_add_u32_e32 v3, s16, v28
	v_readlane_b32 s16, v48, 40
	s_sub_i32 s9, s16, s9
.LBB106_80:                             ;   Parent Loop BB106_12 Depth=1
                                        ; =>  This Inner Loop Header: Depth=2
	ds_read_b32 v5, v3
	s_add_i32 s9, s9, -1
	v_add_u32_e32 v3, 16, v3
	s_cmp_eq_u32 s9, 0
	s_waitcnt lgkmcnt(0)
	v_add_u32_e32 v2, v5, v2
	s_cbranch_scc0 .LBB106_80
.LBB106_81:                             ;   in Loop: Header=BB106_12 Depth=1
	v_lshlrev_b32_e32 v3, 2, v4
	ds_write_b32 v3, v2 offset:3072
.LBB106_82:                             ;   in Loop: Header=BB106_12 Depth=1
	s_or_b64 exec, exec, s[14:15]
	s_lshl_b32 s8, s8, 2
	s_waitcnt vmcnt(0)
	v_mov_b32_e32 v2, s8
	s_waitcnt lgkmcnt(0)
	s_barrier
	ds_read_b128 v[2:5], v2 offset:3072
	s_and_b32 s43, s3, 0xfe
	s_lshl_b32 s51, 3, s43
	s_not_b32 s44, s51
	s_mov_b64 s[18:19], -1
	s_waitcnt lgkmcnt(0)
	v_readfirstlane_b32 s28, v2
	s_cmp_eq_u32 s28, 1
	s_cselect_b64 s[8:9], -1, 0
	s_cmp_eq_u32 s1, 1
	s_cselect_b64 s[14:15], -1, 0
	s_and_b64 s[20:21], s[8:9], s[14:15]
	v_readfirstlane_b32 s34, v3
	v_readfirstlane_b32 s42, v4
	;; [unrolled: 1-line block ×3, first 2 shown]
	s_and_b64 vcc, exec, s[20:21]
	s_cbranch_vccz .LBB106_94
; %bb.83:                               ;   in Loop: Header=BB106_12 Depth=1
	ds_read_b32 v2, v9 offset:4104
	s_waitcnt lgkmcnt(0)
	s_barrier
	v_readfirstlane_b32 s8, v2
	s_and_saveexec_b64 s[14:15], s[6:7]
	s_cbranch_execz .LBB106_85
; %bb.84:                               ;   in Loop: Header=BB106_12 Depth=1
	ds_write_b16 v18, v9
.LBB106_85:                             ;   in Loop: Header=BB106_12 Depth=1
	s_or_b64 exec, exec, s[14:15]
	s_and_b32 s0, s0, s44
	s_or_b32 s81, s81, s51
	s_cmp_eq_u32 s8, 0
	s_waitcnt lgkmcnt(0)
	s_barrier
	s_cbranch_scc1 .LBB106_95
; %bb.86:                               ;   in Loop: Header=BB106_12 Depth=1
	v_readlane_b32 s9, v48, 25
	s_add_i32 s9, s8, s9
	v_readlane_b32 s14, v48, 46
	s_mul_hi_u32 s14, s9, s14
	s_mul_i32 s14, s14, s57
	s_sub_i32 s14, s9, s14
	s_sub_i32 s15, s14, s57
	s_cmp_ge_u32 s14, s57
	s_cselect_b32 s14, s15, s14
	s_sub_i32 s15, s14, s57
	s_cmp_ge_u32 s14, s57
	s_cselect_b32 s14, s15, s14
	s_sub_i32 s9, s9, s14
	v_cmp_gt_u32_e32 vcc, s9, v0
	s_mov_b64 s[14:15], 0
                                        ; implicit-def: $vgpr31
	s_and_saveexec_b64 s[16:17], vcc
	s_cbranch_execz .LBB106_97
; %bb.87:                               ;   in Loop: Header=BB106_12 Depth=1
	s_mov_b64 s[22:23], 0
	v_mov_b32_e32 v2, v17
	v_mov_b32_e32 v3, v0
                                        ; implicit-def: $sgpr24_sgpr25
	s_branch .LBB106_89
.LBB106_88:                             ;   in Loop: Header=BB106_89 Depth=2
	s_or_b64 exec, exec, s[14:15]
	s_waitcnt lgkmcnt(0)
	s_barrier
	ds_read_b32 v4, v9 offset:3072
	v_add_u32_e32 v3, s57, v3
	v_cmp_le_u32_e64 s[14:15], s9, v3
	v_add_u32_e32 v2, s13, v2
	s_waitcnt lgkmcnt(0)
	v_cmp_ne_u16_e32 vcc, 0, v4
	s_or_b64 s[14:15], s[14:15], vcc
	s_and_b64 s[14:15], exec, s[14:15]
	s_or_b64 s[22:23], s[14:15], s[22:23]
	s_andn2_b64 s[14:15], s[24:25], exec
	s_and_b64 s[24:25], vcc, exec
	s_or_b64 s[24:25], s[14:15], s[24:25]
	s_barrier
	s_andn2_b64 exec, exec, s[22:23]
	s_cbranch_execz .LBB106_96
.LBB106_89:                             ;   Parent Loop BB106_12 Depth=1
                                        ; =>  This Inner Loop Header: Depth=2
	v_cmp_gt_u32_e32 vcc, s8, v3
	v_mov_b32_e32 v4, 0
	s_and_saveexec_b64 s[14:15], vcc
	s_cbranch_execz .LBB106_91
; %bb.90:                               ;   in Loop: Header=BB106_89 Depth=2
	ds_read_u16 v4, v2
.LBB106_91:                             ;   in Loop: Header=BB106_89 Depth=2
	s_or_b64 exec, exec, s[14:15]
	s_and_saveexec_b64 s[14:15], vcc
	s_cbranch_execz .LBB106_88
; %bb.92:                               ;   in Loop: Header=BB106_89 Depth=2
	s_waitcnt lgkmcnt(0)
	v_add_u32_sdwa v5, sext(v4), s2 dst_sel:DWORD dst_unused:UNUSED_PAD src0_sel:WORD_0 src1_sel:DWORD
	v_and_b32_e32 v5, s81, v5
	v_cmp_eq_u32_e32 vcc, s0, v5
	s_and_b64 exec, exec, vcc
	s_cbranch_execz .LBB106_88
; %bb.93:                               ;   in Loop: Header=BB106_89 Depth=2
	v_perm_b32 v4, v4, 1, v30
	ds_write_b32 v9, v4 offset:3072
	s_branch .LBB106_88
.LBB106_94:                             ;   in Loop: Header=BB106_12 Depth=1
	s_mov_b64 s[14:15], -1
                                        ; implicit-def: $sgpr16_sgpr17
                                        ; implicit-def: $sgpr24_sgpr25
                                        ; implicit-def: $sgpr22_sgpr23
	s_branch .LBB106_108
.LBB106_95:                             ;   in Loop: Header=BB106_12 Depth=1
	s_mov_b64 s[16:17], -1
	s_mov_b64 s[14:15], 0
                                        ; implicit-def: $sgpr22_sgpr23
                                        ; implicit-def: $vgpr31
	s_mov_b64 s[24:25], s[16:17]
	s_cbranch_execnz .LBB106_98
	s_branch .LBB106_108
.LBB106_96:                             ;   in Loop: Header=BB106_12 Depth=1
	s_or_b64 exec, exec, s[22:23]
	v_lshrrev_b32_e32 v31, 16, v4
	s_and_b64 s[14:15], s[24:25], exec
.LBB106_97:                             ;   in Loop: Header=BB106_12 Depth=1
	s_or_b64 exec, exec, s[16:17]
	s_mov_b64 s[22:23], -1
	s_mov_b64 s[16:17], 0
	s_mov_b64 s[24:25], s[16:17]
	s_branch .LBB106_108
.LBB106_98:                             ;   in Loop: Header=BB106_12 Depth=1
	s_mov_b64 s[14:15], 0
                                        ; implicit-def: $vgpr31
	s_mov_b64 s[16:17], exec
	v_readlane_b32 s8, v48, 47
	v_readlane_b32 s9, v48, 48
	s_and_b64 s[8:9], s[16:17], s[8:9]
	s_mov_b64 exec, s[8:9]
	s_cbranch_execz .LBB106_107
; %bb.99:                               ;   in Loop: Header=BB106_12 Depth=1
	s_mov_b64 s[22:23], 0
	v_mov_b32_e32 v8, v6
	v_mov_b32_e32 v2, v0
                                        ; implicit-def: $sgpr24_sgpr25
	s_branch .LBB106_101
.LBB106_100:                            ;   in Loop: Header=BB106_101 Depth=2
	s_or_b64 exec, exec, s[14:15]
	s_waitcnt lgkmcnt(0)
	s_barrier
	s_waitcnt vmcnt(0)
	ds_read_b32 v3, v9 offset:3072
	v_add_u32_e32 v2, s57, v2
	v_cmp_le_u32_e64 s[14:15], s87, v2
	v_add_u32_e32 v8, s91, v8
	s_waitcnt lgkmcnt(0)
	v_cmp_ne_u16_e32 vcc, 0, v3
	s_or_b64 s[8:9], s[14:15], vcc
	s_and_b64 s[8:9], exec, s[8:9]
	s_or_b64 s[22:23], s[8:9], s[22:23]
	s_andn2_b64 s[8:9], s[24:25], exec
	s_and_b64 s[14:15], vcc, exec
	s_or_b64 s[24:25], s[8:9], s[14:15]
	s_barrier
	s_andn2_b64 exec, exec, s[22:23]
	s_cbranch_execz .LBB106_106
.LBB106_101:                            ;   Parent Loop BB106_12 Depth=1
                                        ; =>  This Inner Loop Header: Depth=2
	v_cmp_gt_u32_e32 vcc, s56, v2
	v_mov_b32_e32 v3, 0
	s_and_saveexec_b64 s[26:27], vcc
	s_cbranch_execz .LBB106_103
; %bb.102:                              ;   in Loop: Header=BB106_101 Depth=2
	v_lshlrev_b64 v[4:5], 1, v[8:9]
	v_mov_b32_e32 v3, s90
	v_add_co_u32_e64 v4, s[14:15], s59, v4
	v_addc_co_u32_e64 v5, s[14:15], v3, v5, s[14:15]
	global_load_ushort v3, v[4:5], off
.LBB106_103:                            ;   in Loop: Header=BB106_101 Depth=2
	s_or_b64 exec, exec, s[26:27]
	s_and_saveexec_b64 s[14:15], vcc
	s_cbranch_execz .LBB106_100
; %bb.104:                              ;   in Loop: Header=BB106_101 Depth=2
	s_waitcnt vmcnt(0)
	v_add_u32_sdwa v4, sext(v3), s2 dst_sel:DWORD dst_unused:UNUSED_PAD src0_sel:WORD_0 src1_sel:DWORD
	v_and_b32_e32 v4, s81, v4
	v_cmp_eq_u32_e32 vcc, s0, v4
	s_and_b64 exec, exec, vcc
	s_cbranch_execz .LBB106_100
; %bb.105:                              ;   in Loop: Header=BB106_101 Depth=2
	v_perm_b32 v3, v3, 1, v30
	ds_write_b32 v9, v3 offset:3072
	s_branch .LBB106_100
.LBB106_106:                            ;   in Loop: Header=BB106_12 Depth=1
	s_or_b64 exec, exec, s[22:23]
	v_lshrrev_b32_e32 v31, 16, v3
	s_and_b64 s[14:15], s[24:25], exec
.LBB106_107:                            ;   in Loop: Header=BB106_12 Depth=1
	s_or_b64 exec, exec, s[16:17]
	s_mov_b64 s[24:25], -1
	s_mov_b64 s[16:17], 0
	s_mov_b64 s[22:23], 0
.LBB106_108:                            ;   in Loop: Header=BB106_12 Depth=1
	s_andn2_b64 s[8:9], s[66:67], exec
	s_and_b64 s[16:17], s[16:17], exec
	s_or_b64 s[66:67], s[8:9], s[16:17]
	s_andn2_b64 s[8:9], s[64:65], exec
	s_and_b64 s[16:17], s[24:25], exec
	s_or_b64 s[64:65], s[8:9], s[16:17]
	s_andn2_b64 s[8:9], s[74:75], exec
	s_and_b64 s[16:17], s[22:23], exec
	s_or_b64 s[74:75], s[8:9], s[16:17]
	s_and_saveexec_b64 s[16:17], s[14:15]
	s_cbranch_execz .LBB106_11
; %bb.109:                              ;   in Loop: Header=BB106_12 Depth=1
	s_xor_b64 s[8:9], s[20:21], -1
	s_mov_b64 s[14:15], 0
	s_andn2_b64 vcc, exec, s[8:9]
	s_mov_b32 s35, 1
	s_cbranch_vccnz .LBB106_120
; %bb.110:                              ;   in Loop: Header=BB106_12 Depth=1
	s_cmp_gt_u32 s1, s28
	s_mov_b64 s[14:15], -1
                                        ; implicit-def: $sgpr52
                                        ; implicit-def: $sgpr8
                                        ; implicit-def: $sgpr9
	s_cbranch_scc1 .LBB106_116
; %bb.111:                              ;   in Loop: Header=BB106_12 Depth=1
	ds_read_b32 v2, v9 offset:4104
	s_waitcnt lgkmcnt(0)
	v_cmp_ne_u32_e32 vcc, 0, v2
	s_cbranch_vccnz .LBB106_115
; %bb.112:                              ;   in Loop: Header=BB106_12 Depth=1
	s_mov_b64 s[14:15], exec
	v_readlane_b32 s8, v48, 6
	v_readlane_b32 s9, v48, 7
	s_and_b64 s[8:9], s[14:15], s[8:9]
	s_mov_b64 exec, s[8:9]
	s_cbranch_execz .LBB106_114
; %bb.113:                              ;   in Loop: Header=BB106_12 Depth=1
	v_mov_b32_e32 v2, s28
	ds_write_b32 v9, v2 offset:4108
.LBB106_114:                            ;   in Loop: Header=BB106_12 Depth=1
	s_or_b64 exec, exec, s[14:15]
	s_waitcnt lgkmcnt(0)
	s_barrier
.LBB106_115:                            ;   in Loop: Header=BB106_12 Depth=1
	s_and_b32 s8, s0, s44
	s_or_b32 s9, s81, s51
	s_mov_b64 s[14:15], 0
	s_mov_b32 s52, 8
.LBB106_116:                            ;   in Loop: Header=BB106_12 Depth=1
	s_andn2_b64 vcc, exec, s[14:15]
	s_cbranch_vccnz .LBB106_118
; %bb.117:                              ;   in Loop: Header=BB106_12 Depth=1
	s_sub_i32 s1, s1, s28
	s_mov_b64 s[14:15], -1
	s_mov_b32 s52, 0
	s_mov_b32 s8, s0
	;; [unrolled: 1-line block ×3, first 2 shown]
.LBB106_118:                            ;   in Loop: Header=BB106_12 Depth=1
	s_mov_b32 s81, s9
	s_mov_b32 s0, s8
	;; [unrolled: 1-line block ×3, first 2 shown]
	s_mov_b64 s[18:19], -1
	s_and_b64 vcc, exec, s[14:15]
	s_cbranch_vccnz .LBB106_121
.LBB106_119:                            ;   in Loop: Header=BB106_12 Depth=1
	s_mov_b64 s[30:31], -1
                                        ; implicit-def: $sgpr20_sgpr21
                                        ; implicit-def: $sgpr24_sgpr25
                                        ; implicit-def: $sgpr22_sgpr23
                                        ; implicit-def: $sgpr1
	s_and_saveexec_b64 s[8:9], s[30:31]
	s_xor_b64 s[14:15], exec, s[8:9]
	s_cbranch_execz .LBB106_10
	s_branch .LBB106_244
.LBB106_120:                            ;   in Loop: Header=BB106_12 Depth=1
	s_mov_b32 s52, 1
	s_mov_b64 s[18:19], -1
	s_and_b64 vcc, exec, s[14:15]
	s_cbranch_vccz .LBB106_119
.LBB106_121:                            ;   in Loop: Header=BB106_12 Depth=1
	s_cmp_eq_u32 s34, 1
	s_cselect_b64 s[8:9], -1, 0
	s_cmp_eq_u32 s35, 1
	s_cselect_b64 s[14:15], -1, 0
	s_and_b64 s[28:29], s[8:9], s[14:15]
	s_mov_b64 s[14:15], -1
	s_and_b64 vcc, exec, s[28:29]
	s_cbranch_vccz .LBB106_133
; %bb.122:                              ;   in Loop: Header=BB106_12 Depth=1
	ds_read_b32 v2, v9 offset:4104
	s_waitcnt lgkmcnt(0)
	s_barrier
	v_readfirstlane_b32 s1, v2
	s_and_saveexec_b64 s[14:15], s[6:7]
	s_cbranch_execz .LBB106_124
; %bb.123:                              ;   in Loop: Header=BB106_12 Depth=1
	ds_write_b16 v18, v9
.LBB106_124:                            ;   in Loop: Header=BB106_12 Depth=1
	s_or_b64 exec, exec, s[14:15]
	s_lshl_b32 s8, 1, s43
	s_and_b32 s0, s0, s44
	s_or_b32 s0, s0, s8
	s_or_b32 s81, s81, s51
	s_cmp_eq_u32 s1, 0
	s_waitcnt lgkmcnt(0)
	s_barrier
	s_cbranch_scc1 .LBB106_134
; %bb.125:                              ;   in Loop: Header=BB106_12 Depth=1
	v_readlane_b32 s8, v48, 25
	s_add_i32 s8, s1, s8
	v_readlane_b32 s9, v48, 46
	s_mul_hi_u32 s9, s8, s9
	s_mul_i32 s9, s9, s57
	s_sub_i32 s9, s8, s9
	s_sub_i32 s14, s9, s57
	s_cmp_ge_u32 s9, s57
	s_cselect_b32 s9, s14, s9
	s_sub_i32 s14, s9, s57
	s_cmp_ge_u32 s9, s57
	s_cselect_b32 s9, s14, s9
	s_sub_i32 s8, s8, s9
	v_cmp_gt_u32_e32 vcc, s8, v0
	s_mov_b64 s[14:15], 0
                                        ; implicit-def: $vgpr31
	s_and_saveexec_b64 s[20:21], vcc
	s_cbranch_execz .LBB106_136
; %bb.126:                              ;   in Loop: Header=BB106_12 Depth=1
	s_mov_b64 s[22:23], 0
	v_mov_b32_e32 v2, v17
	v_mov_b32_e32 v3, v0
                                        ; implicit-def: $sgpr24_sgpr25
	s_branch .LBB106_128
.LBB106_127:                            ;   in Loop: Header=BB106_128 Depth=2
	s_or_b64 exec, exec, s[14:15]
	s_waitcnt lgkmcnt(0)
	s_barrier
	ds_read_b32 v4, v9 offset:3072
	v_add_u32_e32 v3, s57, v3
	v_cmp_le_u32_e64 s[14:15], s8, v3
	v_add_u32_e32 v2, s13, v2
	s_waitcnt lgkmcnt(0)
	v_cmp_ne_u16_e32 vcc, 0, v4
	s_or_b64 s[14:15], s[14:15], vcc
	s_and_b64 s[14:15], exec, s[14:15]
	s_or_b64 s[22:23], s[14:15], s[22:23]
	s_andn2_b64 s[14:15], s[24:25], exec
	s_and_b64 s[24:25], vcc, exec
	s_or_b64 s[24:25], s[14:15], s[24:25]
	s_barrier
	s_andn2_b64 exec, exec, s[22:23]
	s_cbranch_execz .LBB106_135
.LBB106_128:                            ;   Parent Loop BB106_12 Depth=1
                                        ; =>  This Inner Loop Header: Depth=2
	v_cmp_gt_u32_e32 vcc, s1, v3
	v_mov_b32_e32 v4, 0
	s_and_saveexec_b64 s[14:15], vcc
	s_cbranch_execz .LBB106_130
; %bb.129:                              ;   in Loop: Header=BB106_128 Depth=2
	ds_read_u16 v4, v2
.LBB106_130:                            ;   in Loop: Header=BB106_128 Depth=2
	s_or_b64 exec, exec, s[14:15]
	s_and_saveexec_b64 s[14:15], vcc
	s_cbranch_execz .LBB106_127
; %bb.131:                              ;   in Loop: Header=BB106_128 Depth=2
	s_waitcnt lgkmcnt(0)
	v_add_u32_sdwa v5, sext(v4), s2 dst_sel:DWORD dst_unused:UNUSED_PAD src0_sel:WORD_0 src1_sel:DWORD
	v_and_b32_e32 v5, s81, v5
	v_cmp_eq_u32_e32 vcc, s0, v5
	s_and_b64 exec, exec, vcc
	s_cbranch_execz .LBB106_127
; %bb.132:                              ;   in Loop: Header=BB106_128 Depth=2
	v_perm_b32 v4, v4, 1, v30
	ds_write_b32 v9, v4 offset:3072
	s_branch .LBB106_127
.LBB106_133:                            ;   in Loop: Header=BB106_12 Depth=1
                                        ; implicit-def: $sgpr22_sgpr23
                                        ; implicit-def: $sgpr24_sgpr25
                                        ; implicit-def: $sgpr20_sgpr21
	s_branch .LBB106_147
.LBB106_134:                            ;   in Loop: Header=BB106_12 Depth=1
	s_mov_b64 s[22:23], -1
	s_mov_b64 s[14:15], 0
                                        ; implicit-def: $sgpr20_sgpr21
                                        ; implicit-def: $vgpr31
	s_mov_b64 s[24:25], s[22:23]
	s_cbranch_execnz .LBB106_137
	s_branch .LBB106_147
.LBB106_135:                            ;   in Loop: Header=BB106_12 Depth=1
	s_or_b64 exec, exec, s[22:23]
	v_lshrrev_b32_e32 v31, 16, v4
	s_and_b64 s[14:15], s[24:25], exec
.LBB106_136:                            ;   in Loop: Header=BB106_12 Depth=1
	s_or_b64 exec, exec, s[20:21]
	s_mov_b64 s[20:21], -1
	s_mov_b64 s[22:23], 0
	s_mov_b64 s[24:25], s[22:23]
	s_branch .LBB106_147
.LBB106_137:                            ;   in Loop: Header=BB106_12 Depth=1
	s_mov_b64 s[14:15], 0
                                        ; implicit-def: $vgpr31
	s_mov_b64 s[20:21], exec
	v_readlane_b32 s8, v48, 47
	v_readlane_b32 s9, v48, 48
	s_and_b64 s[8:9], s[20:21], s[8:9]
	s_mov_b64 exec, s[8:9]
	s_cbranch_execz .LBB106_146
; %bb.138:                              ;   in Loop: Header=BB106_12 Depth=1
	s_mov_b64 s[22:23], 0
	v_mov_b32_e32 v8, v6
	v_mov_b32_e32 v2, v0
                                        ; implicit-def: $sgpr24_sgpr25
	s_branch .LBB106_140
.LBB106_139:                            ;   in Loop: Header=BB106_140 Depth=2
	s_or_b64 exec, exec, s[14:15]
	s_waitcnt lgkmcnt(0)
	s_barrier
	s_waitcnt vmcnt(0)
	ds_read_b32 v3, v9 offset:3072
	v_add_u32_e32 v2, s57, v2
	v_cmp_le_u32_e64 s[14:15], s87, v2
	v_add_u32_e32 v8, s91, v8
	s_waitcnt lgkmcnt(0)
	v_cmp_ne_u16_e32 vcc, 0, v3
	s_or_b64 s[8:9], s[14:15], vcc
	s_and_b64 s[8:9], exec, s[8:9]
	s_or_b64 s[22:23], s[8:9], s[22:23]
	s_andn2_b64 s[8:9], s[24:25], exec
	s_and_b64 s[14:15], vcc, exec
	s_or_b64 s[24:25], s[8:9], s[14:15]
	s_barrier
	s_andn2_b64 exec, exec, s[22:23]
	s_cbranch_execz .LBB106_145
.LBB106_140:                            ;   Parent Loop BB106_12 Depth=1
                                        ; =>  This Inner Loop Header: Depth=2
	v_cmp_gt_u32_e32 vcc, s56, v2
	v_mov_b32_e32 v3, 0
	s_and_saveexec_b64 s[26:27], vcc
	s_cbranch_execz .LBB106_142
; %bb.141:                              ;   in Loop: Header=BB106_140 Depth=2
	v_lshlrev_b64 v[4:5], 1, v[8:9]
	v_mov_b32_e32 v3, s90
	v_add_co_u32_e64 v4, s[14:15], s59, v4
	v_addc_co_u32_e64 v5, s[14:15], v3, v5, s[14:15]
	global_load_ushort v3, v[4:5], off
.LBB106_142:                            ;   in Loop: Header=BB106_140 Depth=2
	s_or_b64 exec, exec, s[26:27]
	s_and_saveexec_b64 s[14:15], vcc
	s_cbranch_execz .LBB106_139
; %bb.143:                              ;   in Loop: Header=BB106_140 Depth=2
	s_waitcnt vmcnt(0)
	v_add_u32_sdwa v4, sext(v3), s2 dst_sel:DWORD dst_unused:UNUSED_PAD src0_sel:WORD_0 src1_sel:DWORD
	v_and_b32_e32 v4, s81, v4
	v_cmp_eq_u32_e32 vcc, s0, v4
	s_and_b64 exec, exec, vcc
	s_cbranch_execz .LBB106_139
; %bb.144:                              ;   in Loop: Header=BB106_140 Depth=2
	v_perm_b32 v3, v3, 1, v30
	ds_write_b32 v9, v3 offset:3072
	s_branch .LBB106_139
.LBB106_145:                            ;   in Loop: Header=BB106_12 Depth=1
	s_or_b64 exec, exec, s[22:23]
	v_lshrrev_b32_e32 v31, 16, v3
	s_and_b64 s[14:15], s[24:25], exec
.LBB106_146:                            ;   in Loop: Header=BB106_12 Depth=1
	s_or_b64 exec, exec, s[20:21]
	s_mov_b64 s[24:25], -1
	s_mov_b64 s[22:23], 0
	s_mov_b64 s[20:21], 0
.LBB106_147:                            ;   in Loop: Header=BB106_12 Depth=1
	s_mov_b64 s[30:31], 0
                                        ; implicit-def: $sgpr52
	s_and_saveexec_b64 s[26:27], s[14:15]
	s_cbranch_execz .LBB106_243
; %bb.148:                              ;   in Loop: Header=BB106_12 Depth=1
	s_xor_b64 s[8:9], s[28:29], -1
	s_mov_b64 s[14:15], 0
	s_andn2_b64 vcc, exec, s[8:9]
	s_mov_b32 s45, 1
	s_cbranch_vccnz .LBB106_159
; %bb.149:                              ;   in Loop: Header=BB106_12 Depth=1
	s_cmp_gt_u32 s35, s34
	s_mov_b64 s[14:15], -1
                                        ; implicit-def: $sgpr52
                                        ; implicit-def: $sgpr1
                                        ; implicit-def: $sgpr8
	s_cbranch_scc1 .LBB106_155
; %bb.150:                              ;   in Loop: Header=BB106_12 Depth=1
	ds_read_b32 v2, v9 offset:4104
	s_waitcnt lgkmcnt(0)
	v_cmp_ne_u32_e32 vcc, 0, v2
	s_cbranch_vccnz .LBB106_154
; %bb.151:                              ;   in Loop: Header=BB106_12 Depth=1
	s_mov_b64 s[14:15], exec
	v_readlane_b32 s8, v48, 6
	v_readlane_b32 s9, v48, 7
	s_and_b64 s[8:9], s[14:15], s[8:9]
	s_mov_b64 exec, s[8:9]
	s_cbranch_execz .LBB106_153
; %bb.152:                              ;   in Loop: Header=BB106_12 Depth=1
	v_mov_b32_e32 v2, s34
	ds_write_b32 v9, v2 offset:4108
.LBB106_153:                            ;   in Loop: Header=BB106_12 Depth=1
	s_or_b64 exec, exec, s[14:15]
	s_waitcnt lgkmcnt(0)
	s_barrier
.LBB106_154:                            ;   in Loop: Header=BB106_12 Depth=1
	s_lshl_b32 s1, 1, s43
	s_and_b32 s8, s0, s44
	s_or_b32 s1, s8, s1
	s_or_b32 s8, s81, s51
	s_mov_b64 s[14:15], 0
	s_mov_b32 s52, 8
.LBB106_155:                            ;   in Loop: Header=BB106_12 Depth=1
	s_andn2_b64 vcc, exec, s[14:15]
	s_cbranch_vccnz .LBB106_157
; %bb.156:                              ;   in Loop: Header=BB106_12 Depth=1
	s_sub_i32 s35, s35, s34
	s_mov_b64 s[14:15], -1
	s_mov_b32 s52, 0
	s_mov_b32 s1, s0
	;; [unrolled: 1-line block ×3, first 2 shown]
.LBB106_157:                            ;   in Loop: Header=BB106_12 Depth=1
	s_mov_b32 s81, s8
	s_mov_b32 s0, s1
	;; [unrolled: 1-line block ×3, first 2 shown]
	s_andn2_b64 vcc, exec, s[14:15]
	s_mov_b64 s[40:41], -1
	s_cbranch_vccz .LBB106_160
.LBB106_158:                            ;   in Loop: Header=BB106_12 Depth=1
                                        ; implicit-def: $sgpr30_sgpr31
                                        ; implicit-def: $sgpr34_sgpr35
                                        ; implicit-def: $sgpr28_sgpr29
	s_branch .LBB106_242
.LBB106_159:                            ;   in Loop: Header=BB106_12 Depth=1
	s_mov_b32 s52, 1
	s_andn2_b64 vcc, exec, s[14:15]
	s_mov_b64 s[40:41], -1
	s_cbranch_vccnz .LBB106_158
.LBB106_160:                            ;   in Loop: Header=BB106_12 Depth=1
	s_cmp_eq_u32 s42, 1
	s_cselect_b64 s[8:9], -1, 0
	s_cmp_eq_u32 s45, 1
	s_cselect_b64 s[14:15], -1, 0
	s_and_b64 s[38:39], s[8:9], s[14:15]
	s_mov_b64 s[14:15], -1
	s_and_b64 vcc, exec, s[38:39]
	s_cbranch_vccz .LBB106_172
; %bb.161:                              ;   in Loop: Header=BB106_12 Depth=1
	ds_read_b32 v2, v9 offset:4104
	s_waitcnt lgkmcnt(0)
	s_barrier
	v_readfirstlane_b32 s1, v2
	s_and_saveexec_b64 s[14:15], s[6:7]
	s_cbranch_execz .LBB106_163
; %bb.162:                              ;   in Loop: Header=BB106_12 Depth=1
	ds_write_b16 v18, v9
.LBB106_163:                            ;   in Loop: Header=BB106_12 Depth=1
	s_or_b64 exec, exec, s[14:15]
	s_lshl_b32 s8, 2, s43
	s_and_b32 s0, s0, s44
	s_or_b32 s0, s0, s8
	s_or_b32 s81, s81, s51
	s_cmp_eq_u32 s1, 0
	s_waitcnt lgkmcnt(0)
	s_barrier
	s_cbranch_scc1 .LBB106_173
; %bb.164:                              ;   in Loop: Header=BB106_12 Depth=1
	v_readlane_b32 s8, v48, 25
	s_add_i32 s8, s1, s8
	v_readlane_b32 s9, v48, 46
	s_mul_hi_u32 s9, s8, s9
	s_mul_i32 s9, s9, s57
	s_sub_i32 s9, s8, s9
	s_sub_i32 s14, s9, s57
	s_cmp_ge_u32 s9, s57
	s_cselect_b32 s9, s14, s9
	s_sub_i32 s14, s9, s57
	s_cmp_ge_u32 s9, s57
	s_cselect_b32 s9, s14, s9
	s_sub_i32 s8, s8, s9
	v_cmp_gt_u32_e32 vcc, s8, v0
	s_mov_b64 s[14:15], 0
                                        ; implicit-def: $vgpr31
	s_and_saveexec_b64 s[28:29], vcc
	s_cbranch_execz .LBB106_175
; %bb.165:                              ;   in Loop: Header=BB106_12 Depth=1
	v_mov_b32_e32 v2, v17
	v_mov_b32_e32 v3, v0
                                        ; implicit-def: $sgpr34_sgpr35
	s_branch .LBB106_167
.LBB106_166:                            ;   in Loop: Header=BB106_167 Depth=2
	s_or_b64 exec, exec, s[14:15]
	s_waitcnt lgkmcnt(0)
	s_barrier
	ds_read_b32 v4, v9 offset:3072
	v_add_u32_e32 v3, s57, v3
	v_cmp_le_u32_e64 s[14:15], s8, v3
	v_add_u32_e32 v2, s13, v2
	s_waitcnt lgkmcnt(0)
	v_cmp_ne_u16_e32 vcc, 0, v4
	s_or_b64 s[14:15], s[14:15], vcc
	s_and_b64 s[14:15], exec, s[14:15]
	s_or_b64 s[30:31], s[14:15], s[30:31]
	s_andn2_b64 s[14:15], s[34:35], exec
	s_and_b64 s[34:35], vcc, exec
	s_or_b64 s[34:35], s[14:15], s[34:35]
	s_barrier
	s_andn2_b64 exec, exec, s[30:31]
	s_cbranch_execz .LBB106_174
.LBB106_167:                            ;   Parent Loop BB106_12 Depth=1
                                        ; =>  This Inner Loop Header: Depth=2
	v_cmp_gt_u32_e32 vcc, s1, v3
	v_mov_b32_e32 v4, 0
	s_and_saveexec_b64 s[14:15], vcc
	s_cbranch_execz .LBB106_169
; %bb.168:                              ;   in Loop: Header=BB106_167 Depth=2
	ds_read_u16 v4, v2
.LBB106_169:                            ;   in Loop: Header=BB106_167 Depth=2
	s_or_b64 exec, exec, s[14:15]
	s_and_saveexec_b64 s[14:15], vcc
	s_cbranch_execz .LBB106_166
; %bb.170:                              ;   in Loop: Header=BB106_167 Depth=2
	s_waitcnt lgkmcnt(0)
	v_add_u32_sdwa v5, sext(v4), s2 dst_sel:DWORD dst_unused:UNUSED_PAD src0_sel:WORD_0 src1_sel:DWORD
	v_and_b32_e32 v5, s81, v5
	v_cmp_eq_u32_e32 vcc, s0, v5
	s_and_b64 exec, exec, vcc
	s_cbranch_execz .LBB106_166
; %bb.171:                              ;   in Loop: Header=BB106_167 Depth=2
	v_perm_b32 v4, v4, 1, v30
	ds_write_b32 v9, v4 offset:3072
	s_branch .LBB106_166
.LBB106_172:                            ;   in Loop: Header=BB106_12 Depth=1
                                        ; implicit-def: $sgpr28_sgpr29
                                        ; implicit-def: $sgpr34_sgpr35
                                        ; implicit-def: $sgpr30_sgpr31
	s_branch .LBB106_186
.LBB106_173:                            ;   in Loop: Header=BB106_12 Depth=1
	s_mov_b64 s[28:29], -1
	s_mov_b64 s[14:15], 0
                                        ; implicit-def: $sgpr30_sgpr31
                                        ; implicit-def: $vgpr31
	s_mov_b64 s[34:35], s[28:29]
	s_cbranch_execnz .LBB106_176
	s_branch .LBB106_186
.LBB106_174:                            ;   in Loop: Header=BB106_12 Depth=1
	s_or_b64 exec, exec, s[30:31]
	v_lshrrev_b32_e32 v31, 16, v4
	s_and_b64 s[14:15], s[34:35], exec
.LBB106_175:                            ;   in Loop: Header=BB106_12 Depth=1
	s_or_b64 exec, exec, s[28:29]
	s_mov_b64 s[30:31], -1
	s_mov_b64 s[28:29], 0
	s_mov_b64 s[34:35], s[28:29]
	s_branch .LBB106_186
.LBB106_176:                            ;   in Loop: Header=BB106_12 Depth=1
	s_mov_b64 s[14:15], 0
                                        ; implicit-def: $vgpr31
	s_mov_b64 s[28:29], exec
	v_readlane_b32 s8, v48, 47
	v_readlane_b32 s9, v48, 48
	s_and_b64 s[8:9], s[28:29], s[8:9]
	s_mov_b64 exec, s[8:9]
	s_cbranch_execz .LBB106_185
; %bb.177:                              ;   in Loop: Header=BB106_12 Depth=1
	s_mov_b64 s[30:31], 0
	v_mov_b32_e32 v8, v6
	v_mov_b32_e32 v2, v0
                                        ; implicit-def: $sgpr34_sgpr35
	s_branch .LBB106_179
.LBB106_178:                            ;   in Loop: Header=BB106_179 Depth=2
	s_or_b64 exec, exec, s[14:15]
	s_waitcnt lgkmcnt(0)
	s_barrier
	s_waitcnt vmcnt(0)
	ds_read_b32 v3, v9 offset:3072
	v_add_u32_e32 v2, s57, v2
	v_cmp_le_u32_e64 s[14:15], s87, v2
	v_add_u32_e32 v8, s91, v8
	s_waitcnt lgkmcnt(0)
	v_cmp_ne_u16_e32 vcc, 0, v3
	s_or_b64 s[8:9], s[14:15], vcc
	s_and_b64 s[8:9], exec, s[8:9]
	s_or_b64 s[30:31], s[8:9], s[30:31]
	s_andn2_b64 s[8:9], s[34:35], exec
	s_and_b64 s[14:15], vcc, exec
	s_or_b64 s[34:35], s[8:9], s[14:15]
	s_barrier
	s_andn2_b64 exec, exec, s[30:31]
	s_cbranch_execz .LBB106_184
.LBB106_179:                            ;   Parent Loop BB106_12 Depth=1
                                        ; =>  This Inner Loop Header: Depth=2
	v_cmp_gt_u32_e32 vcc, s56, v2
	v_mov_b32_e32 v3, 0
	s_and_saveexec_b64 s[36:37], vcc
	s_cbranch_execz .LBB106_181
; %bb.180:                              ;   in Loop: Header=BB106_179 Depth=2
	v_lshlrev_b64 v[4:5], 1, v[8:9]
	v_mov_b32_e32 v3, s90
	v_add_co_u32_e64 v4, s[14:15], s59, v4
	v_addc_co_u32_e64 v5, s[14:15], v3, v5, s[14:15]
	global_load_ushort v3, v[4:5], off
.LBB106_181:                            ;   in Loop: Header=BB106_179 Depth=2
	s_or_b64 exec, exec, s[36:37]
	s_and_saveexec_b64 s[14:15], vcc
	s_cbranch_execz .LBB106_178
; %bb.182:                              ;   in Loop: Header=BB106_179 Depth=2
	s_waitcnt vmcnt(0)
	v_add_u32_sdwa v4, sext(v3), s2 dst_sel:DWORD dst_unused:UNUSED_PAD src0_sel:WORD_0 src1_sel:DWORD
	v_and_b32_e32 v4, s81, v4
	v_cmp_eq_u32_e32 vcc, s0, v4
	s_and_b64 exec, exec, vcc
	s_cbranch_execz .LBB106_178
; %bb.183:                              ;   in Loop: Header=BB106_179 Depth=2
	v_perm_b32 v3, v3, 1, v30
	ds_write_b32 v9, v3 offset:3072
	s_branch .LBB106_178
.LBB106_184:                            ;   in Loop: Header=BB106_12 Depth=1
	s_or_b64 exec, exec, s[30:31]
	v_lshrrev_b32_e32 v31, 16, v3
	s_and_b64 s[14:15], s[34:35], exec
.LBB106_185:                            ;   in Loop: Header=BB106_12 Depth=1
	s_or_b64 exec, exec, s[28:29]
	s_mov_b64 s[34:35], -1
	s_mov_b64 s[28:29], 0
	s_mov_b64 s[30:31], 0
.LBB106_186:                            ;   in Loop: Header=BB106_12 Depth=1
	s_mov_b64 s[40:41], 0
                                        ; implicit-def: $sgpr52
	s_and_saveexec_b64 s[36:37], s[14:15]
	s_cbranch_execz .LBB106_241
; %bb.187:                              ;   in Loop: Header=BB106_12 Depth=1
	s_xor_b64 s[8:9], s[38:39], -1
	s_mov_b64 s[14:15], 0
	s_andn2_b64 vcc, exec, s[8:9]
	s_mov_b32 s1, 1
	s_cbranch_vccnz .LBB106_198
; %bb.188:                              ;   in Loop: Header=BB106_12 Depth=1
	s_cmp_gt_u32 s45, s42
	s_mov_b64 s[14:15], -1
                                        ; implicit-def: $sgpr52
                                        ; implicit-def: $sgpr1
                                        ; implicit-def: $sgpr8
	s_cbranch_scc1 .LBB106_194
; %bb.189:                              ;   in Loop: Header=BB106_12 Depth=1
	ds_read_b32 v2, v9 offset:4104
	s_waitcnt lgkmcnt(0)
	v_cmp_ne_u32_e32 vcc, 0, v2
	s_cbranch_vccnz .LBB106_193
; %bb.190:                              ;   in Loop: Header=BB106_12 Depth=1
	s_mov_b64 s[14:15], exec
	v_readlane_b32 s8, v48, 6
	v_readlane_b32 s9, v48, 7
	s_and_b64 s[8:9], s[14:15], s[8:9]
	s_mov_b64 exec, s[8:9]
	s_cbranch_execz .LBB106_192
; %bb.191:                              ;   in Loop: Header=BB106_12 Depth=1
	v_mov_b32_e32 v2, s42
	ds_write_b32 v9, v2 offset:4108
.LBB106_192:                            ;   in Loop: Header=BB106_12 Depth=1
	s_or_b64 exec, exec, s[14:15]
	s_waitcnt lgkmcnt(0)
	s_barrier
.LBB106_193:                            ;   in Loop: Header=BB106_12 Depth=1
	s_lshl_b32 s1, 2, s43
	s_and_b32 s8, s0, s44
	s_or_b32 s1, s8, s1
	s_or_b32 s8, s81, s51
	s_mov_b64 s[14:15], 0
	s_mov_b32 s52, 8
.LBB106_194:                            ;   in Loop: Header=BB106_12 Depth=1
	s_andn2_b64 vcc, exec, s[14:15]
	s_cbranch_vccnz .LBB106_196
; %bb.195:                              ;   in Loop: Header=BB106_12 Depth=1
	s_sub_i32 s45, s45, s42
	s_mov_b64 s[14:15], -1
	s_mov_b32 s52, 0
	s_mov_b32 s1, s0
	;; [unrolled: 1-line block ×3, first 2 shown]
.LBB106_196:                            ;   in Loop: Header=BB106_12 Depth=1
	s_mov_b32 s81, s8
	s_mov_b32 s0, s1
	;; [unrolled: 1-line block ×3, first 2 shown]
	s_andn2_b64 vcc, exec, s[14:15]
	s_mov_b64 s[48:49], -1
	s_cbranch_vccz .LBB106_199
.LBB106_197:                            ;   in Loop: Header=BB106_12 Depth=1
                                        ; implicit-def: $sgpr14_sgpr15
                                        ; implicit-def: $sgpr42_sgpr43
                                        ; implicit-def: $sgpr40_sgpr41
	s_branch .LBB106_240
.LBB106_198:                            ;   in Loop: Header=BB106_12 Depth=1
	s_mov_b32 s52, 1
	s_andn2_b64 vcc, exec, s[14:15]
	s_mov_b64 s[48:49], -1
	s_cbranch_vccnz .LBB106_197
.LBB106_199:                            ;   in Loop: Header=BB106_12 Depth=1
	s_cmp_eq_u32 s50, 1
	s_cselect_b64 s[8:9], -1, 0
	s_cmp_eq_u32 s1, 1
	s_cselect_b64 s[14:15], -1, 0
	s_and_b64 s[38:39], s[8:9], s[14:15]
	s_mov_b64 s[44:45], -1
	s_and_b64 vcc, exec, s[38:39]
	s_cbranch_vccz .LBB106_211
; %bb.200:                              ;   in Loop: Header=BB106_12 Depth=1
	ds_read_b32 v2, v9 offset:4104
	s_waitcnt lgkmcnt(0)
	s_barrier
	v_readfirstlane_b32 s8, v2
	s_and_saveexec_b64 s[14:15], s[6:7]
	s_cbranch_execz .LBB106_202
; %bb.201:                              ;   in Loop: Header=BB106_12 Depth=1
	ds_write_b16 v18, v9
.LBB106_202:                            ;   in Loop: Header=BB106_12 Depth=1
	s_or_b64 exec, exec, s[14:15]
	s_or_b32 s0, s0, s51
	s_or_b32 s81, s81, s51
	s_cmp_eq_u32 s8, 0
	s_waitcnt lgkmcnt(0)
	s_barrier
	s_cbranch_scc1 .LBB106_212
; %bb.203:                              ;   in Loop: Header=BB106_12 Depth=1
	v_readlane_b32 s9, v48, 25
	s_add_i32 s9, s8, s9
	v_readlane_b32 s14, v48, 46
	s_mul_hi_u32 s14, s9, s14
	s_mul_i32 s14, s14, s57
	s_sub_i32 s14, s9, s14
	s_sub_i32 s15, s14, s57
	s_cmp_ge_u32 s14, s57
	s_cselect_b32 s14, s15, s14
	s_sub_i32 s15, s14, s57
	s_cmp_ge_u32 s14, s57
	s_cselect_b32 s14, s15, s14
	s_sub_i32 s9, s9, s14
	v_cmp_gt_u32_e32 vcc, s9, v0
	s_mov_b64 s[44:45], 0
                                        ; implicit-def: $vgpr31
	s_and_saveexec_b64 s[40:41], vcc
	s_cbranch_execz .LBB106_214
; %bb.204:                              ;   in Loop: Header=BB106_12 Depth=1
	s_mov_b64 s[42:43], 0
	v_mov_b32_e32 v2, v17
	v_mov_b32_e32 v3, v0
                                        ; implicit-def: $sgpr44_sgpr45
	s_branch .LBB106_206
.LBB106_205:                            ;   in Loop: Header=BB106_206 Depth=2
	s_or_b64 exec, exec, s[14:15]
	s_waitcnt lgkmcnt(0)
	s_barrier
	ds_read_b32 v4, v9 offset:3072
	v_add_u32_e32 v3, s57, v3
	v_cmp_le_u32_e64 s[14:15], s9, v3
	v_add_u32_e32 v2, s13, v2
	s_waitcnt lgkmcnt(0)
	v_cmp_ne_u16_e32 vcc, 0, v4
	s_or_b64 s[14:15], s[14:15], vcc
	s_and_b64 s[14:15], exec, s[14:15]
	s_or_b64 s[42:43], s[14:15], s[42:43]
	s_andn2_b64 s[14:15], s[44:45], exec
	s_and_b64 s[44:45], vcc, exec
	s_or_b64 s[44:45], s[14:15], s[44:45]
	s_barrier
	s_andn2_b64 exec, exec, s[42:43]
	s_cbranch_execz .LBB106_213
.LBB106_206:                            ;   Parent Loop BB106_12 Depth=1
                                        ; =>  This Inner Loop Header: Depth=2
	v_cmp_gt_u32_e32 vcc, s8, v3
	v_mov_b32_e32 v4, 0
	s_and_saveexec_b64 s[14:15], vcc
	s_cbranch_execz .LBB106_208
; %bb.207:                              ;   in Loop: Header=BB106_206 Depth=2
	ds_read_u16 v4, v2
.LBB106_208:                            ;   in Loop: Header=BB106_206 Depth=2
	s_or_b64 exec, exec, s[14:15]
	s_and_saveexec_b64 s[14:15], vcc
	s_cbranch_execz .LBB106_205
; %bb.209:                              ;   in Loop: Header=BB106_206 Depth=2
	s_waitcnt lgkmcnt(0)
	v_add_u32_sdwa v5, sext(v4), s2 dst_sel:DWORD dst_unused:UNUSED_PAD src0_sel:WORD_0 src1_sel:DWORD
	v_and_b32_e32 v5, s81, v5
	v_cmp_eq_u32_e32 vcc, s0, v5
	s_and_b64 exec, exec, vcc
	s_cbranch_execz .LBB106_205
; %bb.210:                              ;   in Loop: Header=BB106_206 Depth=2
	v_perm_b32 v4, v4, 1, v30
	ds_write_b32 v9, v4 offset:3072
	s_branch .LBB106_205
.LBB106_211:                            ;   in Loop: Header=BB106_12 Depth=1
                                        ; implicit-def: $sgpr14_sgpr15
                                        ; implicit-def: $sgpr42_sgpr43
                                        ; implicit-def: $sgpr40_sgpr41
	s_branch .LBB106_225
.LBB106_212:                            ;   in Loop: Header=BB106_12 Depth=1
	s_mov_b64 s[14:15], -1
	s_mov_b64 s[44:45], 0
                                        ; implicit-def: $sgpr40_sgpr41
                                        ; implicit-def: $vgpr31
	s_mov_b64 s[42:43], s[14:15]
	s_cbranch_execnz .LBB106_215
	s_branch .LBB106_225
.LBB106_213:                            ;   in Loop: Header=BB106_12 Depth=1
	s_or_b64 exec, exec, s[42:43]
	v_lshrrev_b32_e32 v31, 16, v4
	s_and_b64 s[44:45], s[44:45], exec
.LBB106_214:                            ;   in Loop: Header=BB106_12 Depth=1
	s_or_b64 exec, exec, s[40:41]
	s_mov_b64 s[40:41], -1
	s_mov_b64 s[14:15], 0
	s_mov_b64 s[42:43], s[14:15]
	s_branch .LBB106_225
.LBB106_215:                            ;   in Loop: Header=BB106_12 Depth=1
	s_mov_b64 s[44:45], 0
                                        ; implicit-def: $vgpr31
	s_mov_b64 s[40:41], exec
	v_readlane_b32 s8, v48, 47
	v_readlane_b32 s9, v48, 48
	s_and_b64 s[8:9], s[40:41], s[8:9]
	s_mov_b64 exec, s[8:9]
	s_cbranch_execz .LBB106_224
; %bb.216:                              ;   in Loop: Header=BB106_12 Depth=1
	s_mov_b64 s[42:43], 0
	v_mov_b32_e32 v8, v6
	v_mov_b32_e32 v2, v0
                                        ; implicit-def: $sgpr44_sgpr45
	s_branch .LBB106_218
.LBB106_217:                            ;   in Loop: Header=BB106_218 Depth=2
	s_or_b64 exec, exec, s[14:15]
	s_waitcnt lgkmcnt(0)
	s_barrier
	s_waitcnt vmcnt(0)
	ds_read_b32 v3, v9 offset:3072
	v_add_u32_e32 v2, s57, v2
	v_cmp_le_u32_e64 s[14:15], s87, v2
	v_add_u32_e32 v8, s91, v8
	s_waitcnt lgkmcnt(0)
	v_cmp_ne_u16_e32 vcc, 0, v3
	s_or_b64 s[8:9], s[14:15], vcc
	s_and_b64 s[8:9], exec, s[8:9]
	s_or_b64 s[42:43], s[8:9], s[42:43]
	s_andn2_b64 s[8:9], s[44:45], exec
	s_and_b64 s[14:15], vcc, exec
	s_or_b64 s[44:45], s[8:9], s[14:15]
	s_barrier
	s_andn2_b64 exec, exec, s[42:43]
	s_cbranch_execz .LBB106_223
.LBB106_218:                            ;   Parent Loop BB106_12 Depth=1
                                        ; =>  This Inner Loop Header: Depth=2
	v_cmp_gt_u32_e32 vcc, s56, v2
	v_mov_b32_e32 v3, 0
	s_and_saveexec_b64 s[46:47], vcc
	s_cbranch_execz .LBB106_220
; %bb.219:                              ;   in Loop: Header=BB106_218 Depth=2
	v_lshlrev_b64 v[4:5], 1, v[8:9]
	v_mov_b32_e32 v3, s90
	v_add_co_u32_e64 v4, s[14:15], s59, v4
	v_addc_co_u32_e64 v5, s[14:15], v3, v5, s[14:15]
	global_load_ushort v3, v[4:5], off
.LBB106_220:                            ;   in Loop: Header=BB106_218 Depth=2
	s_or_b64 exec, exec, s[46:47]
	s_and_saveexec_b64 s[14:15], vcc
	s_cbranch_execz .LBB106_217
; %bb.221:                              ;   in Loop: Header=BB106_218 Depth=2
	s_waitcnt vmcnt(0)
	v_add_u32_sdwa v4, sext(v3), s2 dst_sel:DWORD dst_unused:UNUSED_PAD src0_sel:WORD_0 src1_sel:DWORD
	v_and_b32_e32 v4, s81, v4
	v_cmp_eq_u32_e32 vcc, s0, v4
	s_and_b64 exec, exec, vcc
	s_cbranch_execz .LBB106_217
; %bb.222:                              ;   in Loop: Header=BB106_218 Depth=2
	v_perm_b32 v3, v3, 1, v30
	ds_write_b32 v9, v3 offset:3072
	s_branch .LBB106_217
.LBB106_223:                            ;   in Loop: Header=BB106_12 Depth=1
	s_or_b64 exec, exec, s[42:43]
	v_lshrrev_b32_e32 v31, 16, v3
	s_and_b64 s[44:45], s[44:45], exec
.LBB106_224:                            ;   in Loop: Header=BB106_12 Depth=1
	s_or_b64 exec, exec, s[40:41]
	s_mov_b64 s[42:43], -1
	s_mov_b64 s[14:15], 0
	s_mov_b64 s[40:41], 0
.LBB106_225:                            ;   in Loop: Header=BB106_12 Depth=1
	s_mov_b64 s[48:49], 0
                                        ; implicit-def: $sgpr52
	s_and_saveexec_b64 s[46:47], s[44:45]
	s_cbranch_execz .LBB106_239
; %bb.226:                              ;   in Loop: Header=BB106_12 Depth=1
	s_xor_b64 s[8:9], s[38:39], -1
	s_andn2_b64 vcc, exec, s[8:9]
	s_mov_b32 s52, 1
	s_cbranch_vccnz .LBB106_233
; %bb.227:                              ;   in Loop: Header=BB106_12 Depth=1
	s_cmp_gt_u32 s1, s50
	s_cbranch_scc1 .LBB106_234
; %bb.228:                              ;   in Loop: Header=BB106_12 Depth=1
	ds_read_b32 v2, v9 offset:4104
	s_waitcnt lgkmcnt(0)
	v_cmp_ne_u32_e32 vcc, 0, v2
	s_cbranch_vccnz .LBB106_232
; %bb.229:                              ;   in Loop: Header=BB106_12 Depth=1
	s_mov_b64 s[38:39], exec
	v_readlane_b32 s8, v48, 6
	v_readlane_b32 s9, v48, 7
	s_and_b64 s[8:9], s[38:39], s[8:9]
	s_mov_b64 exec, s[8:9]
	s_cbranch_execz .LBB106_231
; %bb.230:                              ;   in Loop: Header=BB106_12 Depth=1
	v_mov_b32_e32 v2, s50
	ds_write_b32 v9, v2 offset:4108
.LBB106_231:                            ;   in Loop: Header=BB106_12 Depth=1
	s_or_b64 exec, exec, s[38:39]
	s_waitcnt lgkmcnt(0)
	s_barrier
.LBB106_232:                            ;   in Loop: Header=BB106_12 Depth=1
	s_or_b32 s8, s0, s51
	s_or_b32 s9, s81, s51
	s_mov_b64 s[38:39], 0
	s_mov_b32 s52, 8
	s_branch .LBB106_235
.LBB106_233:                            ;   in Loop: Header=BB106_12 Depth=1
	s_mov_b32 s1, 1
	s_branch .LBB106_238
.LBB106_234:                            ;   in Loop: Header=BB106_12 Depth=1
	s_mov_b64 s[38:39], -1
                                        ; implicit-def: $sgpr52
                                        ; implicit-def: $sgpr8
                                        ; implicit-def: $sgpr9
.LBB106_235:                            ;   in Loop: Header=BB106_12 Depth=1
	s_andn2_b64 vcc, exec, s[38:39]
	s_cbranch_vccnz .LBB106_237
; %bb.236:                              ;   in Loop: Header=BB106_12 Depth=1
	s_sub_i32 s1, s1, s50
	s_mov_b32 s52, 8
	s_mov_b32 s8, s0
	;; [unrolled: 1-line block ×3, first 2 shown]
.LBB106_237:                            ;   in Loop: Header=BB106_12 Depth=1
	s_mov_b32 s0, s8
	s_mov_b32 s81, s9
.LBB106_238:                            ;   in Loop: Header=BB106_12 Depth=1
	s_mov_b64 s[48:49], exec
.LBB106_239:                            ;   in Loop: Header=BB106_12 Depth=1
	s_or_b64 exec, exec, s[46:47]
.LBB106_240:                            ;   in Loop: Header=BB106_12 Depth=1
	s_andn2_b64 s[8:9], s[28:29], exec
	s_and_b64 s[14:15], s[14:15], exec
	s_or_b64 s[28:29], s[8:9], s[14:15]
	s_andn2_b64 s[8:9], s[34:35], exec
	s_and_b64 s[14:15], s[42:43], exec
	s_or_b64 s[34:35], s[8:9], s[14:15]
	;; [unrolled: 3-line block ×3, first 2 shown]
	s_and_b64 s[40:41], s[48:49], exec
	s_mov_b32 s45, s1
.LBB106_241:                            ;   in Loop: Header=BB106_12 Depth=1
	s_or_b64 exec, exec, s[36:37]
.LBB106_242:                            ;   in Loop: Header=BB106_12 Depth=1
	s_andn2_b64 s[8:9], s[22:23], exec
	s_and_b64 s[14:15], s[28:29], exec
	s_or_b64 s[22:23], s[8:9], s[14:15]
	s_andn2_b64 s[8:9], s[24:25], exec
	s_and_b64 s[14:15], s[34:35], exec
	s_or_b64 s[24:25], s[8:9], s[14:15]
	;; [unrolled: 3-line block ×3, first 2 shown]
	s_and_b64 s[30:31], s[40:41], exec
	s_mov_b32 s35, s45
.LBB106_243:                            ;   in Loop: Header=BB106_12 Depth=1
	s_or_b64 exec, exec, s[26:27]
                                        ; implicit-def: $sgpr1
	s_and_saveexec_b64 s[8:9], s[30:31]
	s_xor_b64 s[14:15], exec, s[8:9]
	s_cbranch_execz .LBB106_10
.LBB106_244:                            ;   in Loop: Header=BB106_12 Depth=1
	s_and_b32 s1, s52, -9
	s_cmp_eq_u32 s1, 0
	s_cbranch_scc1 .LBB106_8
; %bb.245:                              ;   in Loop: Header=BB106_12 Depth=1
	s_mov_b64 s[18:19], -1
                                        ; implicit-def: $sgpr81
                                        ; implicit-def: $sgpr35
                                        ; implicit-def: $sgpr3
                                        ; implicit-def: $sgpr80
	s_mov_b64 s[26:27], -1
	s_branch .LBB106_9
.LBB106_246:
	s_or_b64 exec, exec, s[94:95]
	s_xor_b64 s[8:9], s[62:63], -1
	s_xor_b64 s[0:1], s[72:73], -1
	;; [unrolled: 1-line block ×3, first 2 shown]
	s_mov_b64 s[4:5], 0
	s_and_saveexec_b64 s[2:3], s[0:1]
	s_xor_b64 s[0:1], exec, s[2:3]
	s_cbranch_execnz .LBB106_251
; %bb.247:
	s_andn2_saveexec_b64 s[0:1], s[0:1]
	s_cbranch_execnz .LBB106_264
.LBB106_248:
	s_or_b64 exec, exec, s[0:1]
	s_and_saveexec_b64 s[0:1], s[4:5]
.LBB106_249:
	; divergent unreachable
.LBB106_250:
	s_endpgm
.LBB106_251:
	s_and_saveexec_b64 s[2:3], s[8:9]
	s_xor_b64 s[4:5], exec, s[2:3]
	s_cbranch_execz .LBB106_262
; %bb.252:
	s_and_saveexec_b64 s[2:3], s[6:7]
	s_xor_b64 s[6:7], exec, s[2:3]
; %bb.253:
	v_xor_b32_e32 v31, 0xffff8000, v2
; %bb.254:
	s_or_b64 exec, exec, s[6:7]
	v_readlane_b32 s8, v48, 1
	v_readlane_b32 s9, v48, 2
	;; [unrolled: 1-line block ×3, first 2 shown]
	s_mul_i32 s2, s10, s9
	v_readlane_b32 s9, v48, 20
	s_mul_i32 s3, s9, s8
	v_readlane_b32 s18, v48, 22
	s_sub_i32 s3, s10, s3
	s_sub_i32 s2, s18, s2
	s_add_i32 s6, s9, 1
	s_sub_i32 s7, s3, s8
	s_cmp_ge_u32 s3, s8
	s_cselect_b32 s6, s6, s9
	s_cselect_b32 s3, s7, s3
	s_add_i32 s7, s6, 1
	s_cmp_ge_u32 s3, s8
	s_cselect_b32 s3, s7, s6
	v_readlane_b32 s12, v48, 12
	s_mul_i32 s6, s3, s8
	v_readlane_b32 s13, v48, 13
	v_readlane_b32 s14, v48, 14
	s_sub_i32 s6, s10, s6
	s_mul_i32 s2, s2, s14
	s_mul_i32 s6, s6, s13
	s_add_i32 s2, s6, s2
	s_mul_i32 s3, s3, s12
	s_add_i32 s2, s2, s3
	s_mov_b32 s3, 0
	s_lshl_b64 s[2:3], s[2:3], 1
	v_readlane_b32 s6, v48, 18
	v_readlane_b32 s7, v48, 19
	s_add_u32 s2, s6, s2
	s_addc_u32 s3, s7, s3
	v_mov_b32_e32 v7, 0
	v_readlane_b32 s15, v48, 15
	global_store_short v7, v31, s[2:3]
	s_mov_b64 s[6:7], exec
	v_readlane_b32 s2, v48, 23
	v_readlane_b32 s3, v48, 24
	s_and_b64 s[2:3], s[6:7], s[2:3]
	s_mov_b64 exec, s[2:3]
	s_cbranch_execz .LBB106_261
; %bb.255:
	s_mov_b64 s[2:3], 0
	v_mov_b32_e32 v1, s90
                                        ; implicit-def: $sgpr8_sgpr9
                                        ; implicit-def: $sgpr12_sgpr13
                                        ; implicit-def: $sgpr10_sgpr11
	s_branch .LBB106_257
.LBB106_256:                            ;   in Loop: Header=BB106_257 Depth=1
	s_or_b64 exec, exec, s[14:15]
	s_and_b64 s[14:15], exec, s[12:13]
	s_or_b64 s[2:3], s[14:15], s[2:3]
	s_andn2_b64 s[8:9], s[8:9], exec
	s_and_b64 s[14:15], s[10:11], exec
	s_or_b64 s[8:9], s[8:9], s[14:15]
	s_andn2_b64 exec, exec, s[2:3]
	s_cbranch_execz .LBB106_259
.LBB106_257:                            ; =>This Inner Loop Header: Depth=1
	v_lshlrev_b64 v[2:3], 1, v[6:7]
	v_add_co_u32_e32 v2, vcc, s59, v2
	v_addc_co_u32_e32 v3, vcc, v1, v3, vcc
	global_load_ushort v3, v[2:3], off
	v_mov_b32_e32 v2, v0
	s_or_b64 s[10:11], s[10:11], exec
	s_or_b64 s[12:13], s[12:13], exec
                                        ; implicit-def: $vgpr0
	s_waitcnt vmcnt(0)
	v_cmp_ne_u16_e32 vcc, v3, v31
	s_and_saveexec_b64 s[14:15], vcc
	s_cbranch_execz .LBB106_256
; %bb.258:                              ;   in Loop: Header=BB106_257 Depth=1
	v_add_u32_e32 v0, s57, v2
	v_cmp_le_u32_e32 vcc, s56, v0
	s_andn2_b64 s[12:13], s[12:13], exec
	s_and_b64 s[16:17], vcc, exec
	v_add_u32_e32 v6, s91, v6
	s_andn2_b64 s[10:11], s[10:11], exec
	s_or_b64 s[12:13], s[12:13], s[16:17]
	s_branch .LBB106_256
.LBB106_259:
	s_or_b64 exec, exec, s[2:3]
	s_and_saveexec_b64 s[2:3], s[8:9]
	s_xor_b64 s[2:3], exec, s[2:3]
	s_cbranch_execz .LBB106_261
; %bb.260:
	v_readlane_b32 s10, v48, 4
	v_readlane_b32 s11, v48, 5
	;; [unrolled: 1-line block ×3, first 2 shown]
	s_mul_i32 s2, s12, s11
	v_readlane_b32 s11, v48, 21
	s_mul_i32 s3, s11, s10
	s_sub_i32 s3, s12, s3
	s_sub_i32 s2, s18, s2
	s_add_i32 s8, s11, 1
	s_sub_i32 s9, s3, s10
	s_cmp_ge_u32 s3, s10
	s_cselect_b32 s8, s8, s11
	s_cselect_b32 s3, s9, s3
	s_add_i32 s9, s8, 1
	s_cmp_ge_u32 s3, s10
	s_cselect_b32 s3, s9, s8
	v_readlane_b32 s16, v48, 8
	s_mul_i32 s8, s3, s10
	v_readlane_b32 s17, v48, 9
	v_readlane_b32 s18, v48, 10
	s_sub_i32 s8, s12, s8
	s_mul_i32 s2, s2, s18
	s_mul_i32 s8, s8, s17
	s_add_i32 s2, s8, s2
	s_mul_i32 s3, s3, s16
	s_add_i32 s2, s2, s3
	s_mov_b32 s3, 0
	s_lshl_b64 s[2:3], s[2:3], 3
	v_readlane_b32 s8, v48, 16
	v_readlane_b32 s9, v48, 17
	s_add_u32 s2, s8, s2
	s_addc_u32 s3, s9, s3
	v_mov_b32_e32 v3, 0
	v_readlane_b32 s19, v48, 11
	global_store_dwordx2 v3, v[2:3], s[2:3]
.LBB106_261:
	s_or_b64 exec, exec, s[6:7]
.LBB106_262:
	s_or_saveexec_b64 s[2:3], s[4:5]
	s_mov_b64 s[4:5], 0
	s_xor_b64 exec, exec, s[2:3]
	s_cbranch_execnz .LBB106_265
.LBB106_263:
	s_or_b64 exec, exec, s[2:3]
	s_and_b64 s[4:5], s[4:5], exec
	s_andn2_saveexec_b64 s[0:1], s[0:1]
	s_cbranch_execz .LBB106_248
.LBB106_264:
	s_or_b64 s[4:5], s[4:5], exec
	s_trap 2
	s_or_b64 exec, exec, s[0:1]
	s_and_saveexec_b64 s[0:1], s[4:5]
	s_cbranch_execnz .LBB106_249
	s_branch .LBB106_250
.LBB106_265:
	s_mov_b64 s[4:5], exec
	s_trap 2
	s_branch .LBB106_263
	.section	.rodata,"a",@progbits
	.p2align	6, 0x0
	.amdhsa_kernel _ZN2at6native12_GLOBAL__N_112gatherMedianIsjLi3EEEvNS_4cuda6detail10TensorInfoIT_T0_EENS5_IlS7_EENS5_IKS6_S7_EES7_S7_S7_b
		.amdhsa_group_segment_fixed_size 4120
		.amdhsa_private_segment_fixed_size 0
		.amdhsa_kernarg_size 920
		.amdhsa_user_sgpr_count 6
		.amdhsa_user_sgpr_private_segment_buffer 1
		.amdhsa_user_sgpr_dispatch_ptr 0
		.amdhsa_user_sgpr_queue_ptr 0
		.amdhsa_user_sgpr_kernarg_segment_ptr 1
		.amdhsa_user_sgpr_dispatch_id 0
		.amdhsa_user_sgpr_flat_scratch_init 0
		.amdhsa_user_sgpr_kernarg_preload_length 0
		.amdhsa_user_sgpr_kernarg_preload_offset 0
		.amdhsa_user_sgpr_private_segment_size 0
		.amdhsa_uses_dynamic_stack 0
		.amdhsa_system_sgpr_private_segment_wavefront_offset 0
		.amdhsa_system_sgpr_workgroup_id_x 1
		.amdhsa_system_sgpr_workgroup_id_y 1
		.amdhsa_system_sgpr_workgroup_id_z 1
		.amdhsa_system_sgpr_workgroup_info 0
		.amdhsa_system_vgpr_workitem_id 0
		.amdhsa_next_free_vgpr 49
		.amdhsa_next_free_sgpr 96
		.amdhsa_accum_offset 52
		.amdhsa_reserve_vcc 1
		.amdhsa_reserve_flat_scratch 0
		.amdhsa_float_round_mode_32 0
		.amdhsa_float_round_mode_16_64 0
		.amdhsa_float_denorm_mode_32 3
		.amdhsa_float_denorm_mode_16_64 3
		.amdhsa_dx10_clamp 1
		.amdhsa_ieee_mode 1
		.amdhsa_fp16_overflow 0
		.amdhsa_tg_split 0
		.amdhsa_exception_fp_ieee_invalid_op 0
		.amdhsa_exception_fp_denorm_src 0
		.amdhsa_exception_fp_ieee_div_zero 0
		.amdhsa_exception_fp_ieee_overflow 0
		.amdhsa_exception_fp_ieee_underflow 0
		.amdhsa_exception_fp_ieee_inexact 0
		.amdhsa_exception_int_div_zero 0
	.end_amdhsa_kernel
	.section	.text._ZN2at6native12_GLOBAL__N_112gatherMedianIsjLi3EEEvNS_4cuda6detail10TensorInfoIT_T0_EENS5_IlS7_EENS5_IKS6_S7_EES7_S7_S7_b,"axG",@progbits,_ZN2at6native12_GLOBAL__N_112gatherMedianIsjLi3EEEvNS_4cuda6detail10TensorInfoIT_T0_EENS5_IlS7_EENS5_IKS6_S7_EES7_S7_S7_b,comdat
.Lfunc_end106:
	.size	_ZN2at6native12_GLOBAL__N_112gatherMedianIsjLi3EEEvNS_4cuda6detail10TensorInfoIT_T0_EENS5_IlS7_EENS5_IKS6_S7_EES7_S7_S7_b, .Lfunc_end106-_ZN2at6native12_GLOBAL__N_112gatherMedianIsjLi3EEEvNS_4cuda6detail10TensorInfoIT_T0_EENS5_IlS7_EENS5_IKS6_S7_EES7_S7_S7_b
                                        ; -- End function
	.section	.AMDGPU.csdata,"",@progbits
; Kernel info:
; codeLenInByte = 10568
; NumSgprs: 100
; NumVgprs: 49
; NumAgprs: 0
; TotalNumVgprs: 49
; ScratchSize: 0
; MemoryBound: 0
; FloatMode: 240
; IeeeMode: 1
; LDSByteSize: 4120 bytes/workgroup (compile time only)
; SGPRBlocks: 12
; VGPRBlocks: 6
; NumSGPRsForWavesPerEU: 100
; NumVGPRsForWavesPerEU: 49
; AccumOffset: 52
; Occupancy: 8
; WaveLimiterHint : 1
; COMPUTE_PGM_RSRC2:SCRATCH_EN: 0
; COMPUTE_PGM_RSRC2:USER_SGPR: 6
; COMPUTE_PGM_RSRC2:TRAP_HANDLER: 0
; COMPUTE_PGM_RSRC2:TGID_X_EN: 1
; COMPUTE_PGM_RSRC2:TGID_Y_EN: 1
; COMPUTE_PGM_RSRC2:TGID_Z_EN: 1
; COMPUTE_PGM_RSRC2:TIDIG_COMP_CNT: 0
; COMPUTE_PGM_RSRC3_GFX90A:ACCUM_OFFSET: 12
; COMPUTE_PGM_RSRC3_GFX90A:TG_SPLIT: 0
	.section	.text._ZN2at6native12_GLOBAL__N_112gatherMedianIsjLin1EEEvNS_4cuda6detail10TensorInfoIT_T0_EENS5_IlS7_EENS5_IKS6_S7_EES7_S7_S7_b,"axG",@progbits,_ZN2at6native12_GLOBAL__N_112gatherMedianIsjLin1EEEvNS_4cuda6detail10TensorInfoIT_T0_EENS5_IlS7_EENS5_IKS6_S7_EES7_S7_S7_b,comdat
	.globl	_ZN2at6native12_GLOBAL__N_112gatherMedianIsjLin1EEEvNS_4cuda6detail10TensorInfoIT_T0_EENS5_IlS7_EENS5_IKS6_S7_EES7_S7_S7_b ; -- Begin function _ZN2at6native12_GLOBAL__N_112gatherMedianIsjLin1EEEvNS_4cuda6detail10TensorInfoIT_T0_EENS5_IlS7_EENS5_IKS6_S7_EES7_S7_S7_b
	.p2align	8
	.type	_ZN2at6native12_GLOBAL__N_112gatherMedianIsjLin1EEEvNS_4cuda6detail10TensorInfoIT_T0_EENS5_IlS7_EENS5_IKS6_S7_EES7_S7_S7_b,@function
_ZN2at6native12_GLOBAL__N_112gatherMedianIsjLin1EEEvNS_4cuda6detail10TensorInfoIT_T0_EENS5_IlS7_EENS5_IKS6_S7_EES7_S7_S7_b: ; @_ZN2at6native12_GLOBAL__N_112gatherMedianIsjLin1EEEvNS_4cuda6detail10TensorInfoIT_T0_EENS5_IlS7_EENS5_IKS6_S7_EES7_S7_S7_b
; %bb.0:
	s_load_dwordx2 s[12:13], s[4:5], 0x298
	s_load_dwordx4 s[56:59], s[4:5], 0x288
	s_add_u32 s10, s4, 0x298
	s_addc_u32 s11, s5, 0
	s_waitcnt lgkmcnt(0)
	s_mul_i32 s0, s13, s8
	s_add_i32 s0, s0, s7
	s_mul_i32 s0, s0, s12
	s_add_i32 s7, s0, s6
	s_cmp_ge_u32 s7, s57
	s_cbranch_scc1 .LBB107_259
; %bb.1:
	s_load_dword s0, s[4:5], 0xd0
	s_mov_b32 s61, 0
	s_mov_b32 s33, s7
	s_waitcnt lgkmcnt(0)
	s_cmp_lt_i32 s0, 2
	s_cbranch_scc1 .LBB107_4
; %bb.2:
	s_add_i32 s60, s0, -1
	s_add_i32 s2, s0, 1
	s_lshl_b64 s[0:1], s[60:61], 2
	s_add_u32 s0, s0, s4
	s_addc_u32 s1, s1, s5
	s_add_u32 s0, s0, 8
	s_addc_u32 s1, s1, 0
	s_mov_b32 s33, s7
.LBB107_3:                              ; =>This Inner Loop Header: Depth=1
	s_load_dword s3, s[0:1], 0x0
	s_load_dword s9, s[0:1], 0x64
	s_mov_b32 s8, s33
	s_waitcnt lgkmcnt(0)
	v_cvt_f32_u32_e32 v1, s3
	s_sub_i32 s13, 0, s3
	v_rcp_iflag_f32_e32 v1, v1
	v_mul_f32_e32 v1, 0x4f7ffffe, v1
	v_cvt_u32_f32_e32 v1, v1
	v_readfirstlane_b32 s14, v1
	s_mul_i32 s13, s13, s14
	s_mul_hi_u32 s13, s14, s13
	s_add_i32 s14, s14, s13
	s_mul_hi_u32 s13, s33, s14
	s_mul_i32 s14, s13, s3
	s_sub_i32 s14, s33, s14
	s_add_i32 s15, s13, 1
	s_sub_i32 s16, s14, s3
	s_cmp_ge_u32 s14, s3
	s_cselect_b32 s13, s15, s13
	s_cselect_b32 s14, s16, s14
	s_add_i32 s15, s13, 1
	s_cmp_ge_u32 s14, s3
	s_cselect_b32 s33, s15, s13
	s_mul_i32 s3, s33, s3
	s_sub_i32 s3, s8, s3
	s_mul_i32 s3, s9, s3
	s_add_i32 s2, s2, -1
	s_add_i32 s61, s3, s61
	s_add_u32 s0, s0, -4
	s_addc_u32 s1, s1, -1
	s_cmp_gt_u32 s2, 2
	s_cbranch_scc1 .LBB107_3
.LBB107_4:
	s_load_dword s2, s[4:5], 0x1a8
	s_add_u32 s0, s4, 0xd8
	s_addc_u32 s1, s5, 0
	s_mov_b32 s63, 0
	s_mov_b32 s57, s7
	s_waitcnt lgkmcnt(0)
	s_cmp_lt_i32 s2, 2
	s_cbranch_scc1 .LBB107_7
; %bb.5:
	s_add_i32 s62, s2, -1
	s_add_i32 s8, s2, 1
	s_lshl_b64 s[2:3], s[62:63], 2
	s_add_u32 s2, s2, s0
	s_addc_u32 s3, s3, s1
	s_add_u32 s2, s2, 8
	s_addc_u32 s3, s3, 0
	s_mov_b32 s57, s7
.LBB107_6:                              ; =>This Inner Loop Header: Depth=1
	s_load_dword s9, s[2:3], 0x0
	s_load_dword s14, s[2:3], 0x64
	s_mov_b32 s13, s57
	s_waitcnt lgkmcnt(0)
	v_cvt_f32_u32_e32 v1, s9
	s_sub_i32 s15, 0, s9
	v_rcp_iflag_f32_e32 v1, v1
	v_mul_f32_e32 v1, 0x4f7ffffe, v1
	v_cvt_u32_f32_e32 v1, v1
	v_readfirstlane_b32 s16, v1
	s_mul_i32 s15, s15, s16
	s_mul_hi_u32 s15, s16, s15
	s_add_i32 s16, s16, s15
	s_mul_hi_u32 s15, s57, s16
	s_mul_i32 s16, s15, s9
	s_sub_i32 s16, s57, s16
	s_add_i32 s17, s15, 1
	s_sub_i32 s18, s16, s9
	s_cmp_ge_u32 s16, s9
	s_cselect_b32 s15, s17, s15
	s_cselect_b32 s16, s18, s16
	s_add_i32 s17, s15, 1
	s_cmp_ge_u32 s16, s9
	s_cselect_b32 s57, s17, s15
	s_mul_i32 s9, s57, s9
	s_sub_i32 s9, s13, s9
	s_mul_i32 s9, s14, s9
	s_add_i32 s8, s8, -1
	s_add_i32 s63, s9, s63
	s_add_u32 s2, s2, -4
	s_addc_u32 s3, s3, -1
	s_cmp_gt_u32 s8, 2
	s_cbranch_scc1 .LBB107_6
.LBB107_7:
	s_load_dword s2, s[4:5], 0x6c
                                        ; implicit-def: $vgpr48 : SGPR spill to VGPR lane
	s_add_u32 s8, s4, 0x1b0
	s_addc_u32 s9, s5, 0
	s_mov_b32 s3, 0
	s_waitcnt lgkmcnt(0)
	v_writelane_b32 v48, s2, 0
	s_load_dword s2, s[4:5], 0x280
	s_waitcnt lgkmcnt(0)
	s_cmp_lt_i32 s2, 2
	s_cbranch_scc1 .LBB107_10
; %bb.8:
	s_add_i32 s13, s2, 1
	s_add_i32 s2, s2, -1
	s_lshl_b64 s[14:15], s[2:3], 2
	s_add_u32 s2, s14, s8
	s_addc_u32 s9, s15, s9
	s_add_u32 s8, s2, 8
	s_addc_u32 s9, s9, 0
.LBB107_9:                              ; =>This Inner Loop Header: Depth=1
	s_load_dword s2, s[8:9], 0x0
	s_load_dword s15, s[8:9], 0x64
	s_mov_b32 s14, s7
	s_waitcnt lgkmcnt(0)
	v_cvt_f32_u32_e32 v1, s2
	s_sub_i32 s7, 0, s2
	v_rcp_iflag_f32_e32 v1, v1
	v_mul_f32_e32 v1, 0x4f7ffffe, v1
	v_cvt_u32_f32_e32 v1, v1
	v_readfirstlane_b32 s16, v1
	s_mul_i32 s7, s7, s16
	s_mul_hi_u32 s7, s16, s7
	s_add_i32 s16, s16, s7
	s_mul_hi_u32 s7, s14, s16
	s_mul_i32 s16, s7, s2
	s_sub_i32 s16, s14, s16
	s_add_i32 s17, s7, 1
	s_sub_i32 s18, s16, s2
	s_cmp_ge_u32 s16, s2
	s_cselect_b32 s7, s17, s7
	s_cselect_b32 s16, s18, s16
	s_add_i32 s17, s7, 1
	s_cmp_ge_u32 s16, s2
	s_cselect_b32 s7, s17, s7
	s_mul_i32 s2, s7, s2
	s_sub_i32 s2, s14, s2
	s_mul_i32 s2, s15, s2
	s_add_i32 s13, s13, -1
	s_add_i32 s3, s2, s3
	s_add_u32 s8, s8, -4
	s_addc_u32 s9, s9, -1
	s_cmp_gt_u32 s13, 2
	s_cbranch_scc1 .LBB107_9
.LBB107_10:
	s_load_dword s0, s[0:1], 0x6c
	s_waitcnt lgkmcnt(0)
	v_writelane_b32 v48, s0, 1
	v_cmp_eq_u32_e64 s[0:1], 0, v0
	s_mov_b64 s[8:9], exec
	v_writelane_b32 v48, s0, 2
	v_writelane_b32 v48, s1, 3
	s_and_b64 s[0:1], s[8:9], s[0:1]
	s_mov_b64 exec, s[0:1]
	s_cbranch_execz .LBB107_12
; %bb.11:
	v_mov_b32_e32 v2, 0
	v_mov_b32_e32 v3, v2
	ds_write_b64 v2, v[2:3] offset:4096
.LBB107_12:
	s_or_b64 exec, exec, s[8:9]
	v_mov_b32_e32 v1, 0
	s_waitcnt lgkmcnt(0)
	s_barrier
	s_barrier
	ds_read_b64 v[2:3], v1 offset:4096
	s_load_dwordx2 s[8:9], s[4:5], 0x1b0
	s_bitcmp1_b32 s59, 0
	s_cselect_b64 s[0:1], -1, 0
	s_mov_b32 s75, s56
	s_waitcnt lgkmcnt(0)
	v_cmp_gt_i64_e32 vcc, 1, v[2:3]
	s_or_b64 s[0:1], s[0:1], vcc
	s_andn2_b64 vcc, exec, s[0:1]
	s_cbranch_vccnz .LBB107_14
; %bb.13:
	v_not_b32_e32 v1, v2
	v_not_b32_e32 v2, v3
	v_add_co_u32_e32 v1, vcc, s56, v1
	v_addc_co_u32_e32 v2, vcc, 0, v2, vcc
	v_lshrrev_b32_e32 v3, 31, v2
	v_add_co_u32_e32 v1, vcc, v1, v3
	v_addc_co_u32_e32 v2, vcc, 0, v2, vcc
	v_alignbit_b32 v1, v2, v1, 1
	v_readfirstlane_b32 s0, v1
	s_add_i32 s75, s0, 1
.LBB107_14:
	s_load_dwordx2 s[0:1], s[4:5], 0x0
                                        ; kill: killed $sgpr4 killed $sgpr5
	s_waitcnt lgkmcnt(0)
	v_writelane_b32 v48, s0, 4
	v_writelane_b32 v48, s1, 5
	s_load_dwordx2 s[0:1], s[4:5], 0xd8
	s_waitcnt lgkmcnt(0)
	v_writelane_b32 v48, s0, 6
	v_writelane_b32 v48, s1, 7
	s_load_dword s0, s[4:5], 0x21c
	s_mov_b64 s[4:5], exec
	v_readlane_b32 s14, v48, 2
	v_readlane_b32 s15, v48, 3
	s_and_b64 s[14:15], s[4:5], s[14:15]
	s_mov_b64 exec, s[14:15]
	s_cbranch_execz .LBB107_16
; %bb.15:
	v_mov_b32_e32 v2, 0
	v_mov_b32_e32 v3, s56
	ds_write_b32 v2, v2 offset:4112
	ds_write_b64 v2, v[2:3] offset:4104
.LBB107_16:
	s_or_b64 exec, exec, s[4:5]
	s_waitcnt lgkmcnt(0)
	s_mul_i32 s0, s0, s7
	s_mov_b32 s54, 0
	s_add_i32 s0, s0, s3
	s_mov_b32 s1, s54
	s_barrier
	s_load_dword s2, s[10:11], 0xc
	s_lshl_b64 s[0:1], s[0:1], 1
	s_add_u32 s59, s8, s0
	v_mbcnt_lo_u32_b32 v1, -1, 0
	s_addc_u32 s60, s9, s1
	v_cmp_gt_u32_e64 s[0:1], s56, v0
	v_mbcnt_hi_u32_b32 v13, -1, v1
	v_writelane_b32 v48, s0, 8
	v_cmp_gt_u32_e32 vcc, 64, v0
	v_cmp_gt_i32_e64 s[4:5], 4, v13
	v_writelane_b32 v48, s1, 9
	s_and_b64 s[0:1], vcc, s[4:5]
	s_waitcnt lgkmcnt(0)
	s_and_b32 s62, s2, 0xffff
	v_writelane_b32 v48, s0, 10
	v_writelane_b32 v48, s1, 11
	s_add_i32 s0, s62, -1
	s_lshl_b32 s76, s62, 2
	s_bfe_u32 s3, s2, 0xa0006
	v_writelane_b32 v48, s0, 12
	s_add_i32 s0, s0, s56
	s_cmpk_gt_u32 s56, 0x600
	s_cselect_b64 s[4:5], -1, 0
	v_writelane_b32 v48, s4, 13
	s_cmp_gt_u32 s62, 63
	v_writelane_b32 v48, s5, 14
	s_cselect_b64 s[4:5], -1, 0
	s_cmp_lt_u32 s6, s12
	v_writelane_b32 v48, s4, 15
	s_cselect_b32 s1, 12, 18
	v_writelane_b32 v48, s5, 16
	s_add_u32 s4, s10, s1
	s_addc_u32 s5, s11, 0
	s_add_i32 s1, s3, -2
	s_lshr_b32 s2, s1, 1
	v_mov_b32_e32 v9, 0
	s_add_i32 s2, s2, 1
	v_writelane_b32 v48, s4, 17
	s_cmpk_gt_u32 s62, 0x7f
	v_mul_lo_u32 v6, v0, s58
	v_mov_b32_e32 v7, v9
	v_writelane_b32 v48, s5, 18
	s_cselect_b64 s[4:5], -1, 0
	v_lshlrev_b64 v[2:3], 1, v[6:7]
	v_writelane_b32 v48, s4, 19
	v_mov_b32_e32 v7, s60
	v_add_co_u32_e32 v10, vcc, s59, v2
	v_writelane_b32 v48, s5, 20
	v_cmp_gt_u32_e64 s[6:7], 2, v0
	v_addc_co_u32_e32 v11, vcc, v7, v3, vcc
	v_lshlrev_b64 v[2:3], v13, -1
	v_writelane_b32 v48, s6, 21
	v_not_b32_e32 v12, v2
	v_cvt_f32_u32_e32 v2, s76
	v_writelane_b32 v48, s7, 22
	s_and_b32 s6, s3, 0x3fe
	s_and_b32 s7, s2, 7
	s_cmp_gt_u32 s1, 13
	s_cselect_b64 s[8:9], -1, 0
	v_writelane_b32 v48, s8, 23
	v_rcp_iflag_f32_e32 v2, v2
	v_writelane_b32 v48, s9, 24
	s_and_b32 s1, s2, -8
	v_writelane_b32 v48, s1, 25
	s_cmp_lg_u32 s7, 0
	v_writelane_b32 v48, s7, 26
	s_cselect_b64 s[8:9], -1, 0
	v_writelane_b32 v48, s8, 27
	v_mul_f32_e32 v2, 0x4f7ffffe, v2
	v_writelane_b32 v48, s9, 28
	v_cvt_u32_f32_e32 v2, v2
	v_writelane_b32 v48, s3, 29
	s_cmp_lg_u32 s6, s3
	v_writelane_b32 v48, s6, 30
	s_cselect_b64 s[2:3], -1, 0
	v_writelane_b32 v48, s2, 31
	v_writelane_b32 v48, s3, 32
	s_sub_i32 s1, 0, s76
	v_readfirstlane_b32 s2, v2
	s_mul_i32 s1, s1, s2
	s_mul_hi_u32 s1, s2, s1
	s_add_i32 s71, s2, s1
	v_cvt_f32_u32_e32 v2, s62
	s_mul_hi_u32 s1, s56, s71
	s_mul_i32 s1, s1, s76
	s_sub_i32 s1, s56, s1
	s_sub_i32 s2, s1, s76
	v_rcp_iflag_f32_e32 v5, v2
	s_cmp_ge_u32 s1, s76
	s_cselect_b32 s1, s2, s1
	s_sub_i32 s2, s1, s76
	s_cmp_ge_u32 s1, s76
	v_mul_f32_e32 v5, 0x4f7ffffe, v5
	s_cselect_b32 s1, s2, s1
	v_cvt_u32_f32_e32 v5, v5
	v_lshlrev_b32_e32 v16, 2, v0
	s_sub_i32 s12, s56, s1
	v_cmp_gt_u32_e64 s[2:3], s12, v16
	v_writelane_b32 v48, s2, 33
	v_writelane_b32 v48, s3, 34
	s_sub_i32 s2, 0, s62
	v_readfirstlane_b32 s3, v5
	s_mul_i32 s2, s2, s3
	s_mul_hi_u32 s2, s3, s2
	s_add_i32 s2, s3, s2
	v_writelane_b32 v48, s2, 35
	s_mul_hi_u32 s2, s0, s2
	s_mul_i32 s2, s2, s62
	s_sub_i32 s2, s0, s2
	s_sub_i32 s3, s2, s62
	v_add_u32_e32 v21, s12, v0
	s_cmp_ge_u32 s2, s62
	v_lshrrev_b32_e32 v1, 4, v0
	v_mul_lo_u32 v8, v21, s58
	s_cselect_b32 s2, s3, s2
	v_and_b32_e32 v19, 60, v1
	v_not_b32_e32 v1, v3
	v_lshlrev_b64 v[2:3], 1, v[8:9]
	s_sub_i32 s3, s2, s62
	v_add_co_u32_e32 v14, vcc, s59, v2
	s_cmp_ge_u32 s2, s62
	v_mul_lo_u32 v2, s58, v16
	s_cselect_b32 s2, s3, s2
	v_add_u32_e32 v22, s58, v2
	v_or_b32_e32 v2, 2, v16
	s_sub_i32 s72, s0, s2
	v_mul_lo_u32 v23, s58, v2
	v_or_b32_e32 v2, 3, v16
	s_add_i32 s0, s62, s56
	v_cmp_gt_u32_e64 s[2:3], s72, v0
	v_mul_lo_u32 v24, s58, v2
	v_add_u32_e32 v2, s0, v0
	v_lshlrev_b32_e32 v17, 1, v0
	v_lshlrev_b32_e32 v4, 2, v13
	v_mov_b32_e32 v8, s60
	v_writelane_b32 v48, s2, 36
	s_mul_i32 s77, s58, s62
	v_subrev_u32_e32 v2, s1, v2
	v_cmp_eq_u32_e64 s[4:5], 0, v13
	v_add_u32_e32 v18, 0xc00, v17
	v_and_b32_e32 v20, 0x100, v4
	v_cmp_gt_u32_e64 s[10:11], s56, v21
	v_addc_co_u32_e32 v15, vcc, v8, v3, vcc
	v_writelane_b32 v48, s3, 37
	s_lshl_b32 s73, s77, 2
	v_lshlrev_b32_e32 v25, 2, v6
	v_mul_lo_u32 v26, s58, v2
	v_lshlrev_b32_e32 v27, 3, v0
	s_lshl_b32 s2, s62, 3
	s_lshl_b32 s3, s62, 1
	v_or_b32_e32 v28, 0xc00, v4
	s_mov_b32 s1, 14
	s_mov_b64 s[86:87], 0
	s_mov_b32 s0, 0x8000
	v_mov_b32_e32 v29, 0xc00
	v_mov_b32_e32 v30, 0x5040100
	;; [unrolled: 1-line block ×3, first 2 shown]
	s_mov_b32 s78, 0
	s_mov_b32 s74, 0
	;; [unrolled: 1-line block ×3, first 2 shown]
                                        ; implicit-def: $sgpr88_sgpr89
                                        ; implicit-def: $sgpr92_sgpr93
                                        ; implicit-def: $sgpr90_sgpr91
                                        ; implicit-def: $sgpr94_sgpr95
                                        ; implicit-def: $sgpr64_sgpr65
                                        ; implicit-def: $sgpr66_sgpr67
	s_branch .LBB107_21
.LBB107_17:                             ;   in Loop: Header=BB107_21 Depth=1
	s_xor_b32 s78, s78, 1
	s_add_i32 s6, s1, -2
	s_cmp_eq_u32 s1, 0
	s_mov_b64 s[18:19], 0
	s_cselect_b64 s[26:27], -1, 0
	s_mov_b32 s1, s6
.LBB107_18:                             ;   in Loop: Header=BB107_21 Depth=1
	s_andn2_b64 s[6:7], s[22:23], exec
	s_and_b64 s[8:9], s[18:19], exec
	s_or_b64 s[22:23], s[6:7], s[8:9]
	s_andn2_b64 s[24:25], s[24:25], exec
	s_andn2_b64 s[20:21], s[20:21], exec
	s_orn2_b64 s[18:19], s[26:27], exec
	s_mov_b32 s75, s35
.LBB107_19:                             ;   in Loop: Header=BB107_21 Depth=1
	s_or_b64 exec, exec, s[14:15]
	s_andn2_b64 s[6:7], s[66:67], exec
	s_and_b64 s[8:9], s[22:23], exec
	s_or_b64 s[66:67], s[6:7], s[8:9]
	s_andn2_b64 s[6:7], s[64:65], exec
	s_and_b64 s[8:9], s[24:25], exec
	s_or_b64 s[64:65], s[6:7], s[8:9]
	;; [unrolled: 3-line block ×3, first 2 shown]
	s_orn2_b64 s[18:19], s[18:19], exec
.LBB107_20:                             ;   in Loop: Header=BB107_21 Depth=1
	s_or_b64 exec, exec, s[16:17]
	s_and_b64 s[6:7], exec, s[18:19]
	s_or_b64 s[86:87], s[6:7], s[86:87]
	s_andn2_b64 s[6:7], s[90:91], exec
	s_and_b64 s[8:9], s[66:67], exec
	s_or_b64 s[90:91], s[6:7], s[8:9]
	s_andn2_b64 s[6:7], s[92:93], exec
	s_and_b64 s[8:9], s[64:65], exec
	;; [unrolled: 3-line block ×3, first 2 shown]
	v_mov_b32_e32 v2, s74
	s_or_b64 s[88:89], s[6:7], s[8:9]
	s_andn2_b64 exec, exec, s[86:87]
	s_cbranch_execz .LBB107_255
.LBB107_21:                             ; =>This Loop Header: Depth=1
                                        ;     Child Loop BB107_26 Depth 2
                                        ;     Child Loop BB107_44 Depth 2
	;; [unrolled: 1-line block ×17, first 2 shown]
	ds_read_b64 v[2:3], v9 offset:4104
	s_waitcnt lgkmcnt(0)
	v_readfirstlane_b32 s69, v2
	s_cmp_lg_u32 s69, 0
	s_cbranch_scc1 .LBB107_51
; %bb.22:                               ;   in Loop: Header=BB107_21 Depth=1
	v_readlane_b32 s6, v48, 13
	v_readlane_b32 s7, v48, 14
	s_and_b64 vcc, exec, s[6:7]
	s_cbranch_vccz .LBB107_34
; %bb.23:                               ;   in Loop: Header=BB107_21 Depth=1
	s_movk_i32 s6, 0x601
	v_cmp_gt_u32_e32 vcc, s6, v3
	s_mov_b64 s[18:19], 0
	s_mov_b64 s[14:15], 0
	s_cbranch_vccz .LBB107_35
; %bb.24:                               ;   in Loop: Header=BB107_21 Depth=1
	v_readlane_b32 s6, v48, 17
	v_readlane_b32 s7, v48, 18
	s_nop 4
	global_load_ushort v2, v9, s[6:7]
	global_load_ushort v4, v[10:11], off
	s_mov_b64 s[20:21], 0
	s_waitcnt vmcnt(1)
	v_add_u32_e32 v5, v0, v2
	v_mul_lo_u32 v3, s58, v2
	v_mul_lo_u32 v8, s58, v5
	v_mov_b32_e32 v5, v0
	s_branch .LBB107_26
.LBB107_25:                             ;   in Loop: Header=BB107_26 Depth=2
	s_or_b64 exec, exec, s[16:17]
	v_add_u32_e32 v8, v8, v3
	v_mov_b32_e32 v4, v32
	s_andn2_b64 exec, exec, s[20:21]
	s_cbranch_execz .LBB107_36
.LBB107_26:                             ;   Parent Loop BB107_21 Depth=1
                                        ; =>  This Inner Loop Header: Depth=2
	v_add_u32_e32 v5, v5, v2
	v_cmp_gt_u32_e64 s[14:15], s56, v5
	v_cmp_le_u32_e32 vcc, s56, v5
	s_waitcnt lgkmcnt(0)
	v_mov_b32_e32 v33, 0
	v_mov_b32_e32 v32, 0
	s_and_saveexec_b64 s[16:17], s[14:15]
	s_cbranch_execz .LBB107_28
; %bb.27:                               ;   in Loop: Header=BB107_26 Depth=2
	v_lshlrev_b64 v[34:35], 1, v[8:9]
	v_add_co_u32_e64 v34, s[14:15], s59, v34
	v_addc_co_u32_e64 v35, s[14:15], v7, v35, s[14:15]
	global_load_ushort v32, v[34:35], off
.LBB107_28:                             ;   in Loop: Header=BB107_26 Depth=2
	s_or_b64 exec, exec, s[16:17]
	s_waitcnt vmcnt(0)
	v_add_u32_sdwa v34, sext(v4), s0 dst_sel:DWORD dst_unused:UNUSED_PAD src0_sel:WORD_0 src1_sel:DWORD
	v_and_b32_e32 v34, s13, v34
	v_cmp_eq_u32_e64 s[14:15], s74, v34
	s_cmp_lg_u64 s[14:15], 0
	s_cselect_b64 s[6:7], -1, 0
	s_and_b64 s[6:7], s[4:5], s[6:7]
	s_and_saveexec_b64 s[22:23], s[6:7]
	s_cbranch_execz .LBB107_32
; %bb.29:                               ;   in Loop: Header=BB107_26 Depth=2
	s_mov_b64 s[26:27], exec
	v_mbcnt_lo_u32_b32 v33, s26, 0
	v_mbcnt_hi_u32_b32 v33, s27, v33
	s_bcnt1_i32_b64 s6, s[14:15]
	v_cmp_eq_u32_e64 s[16:17], 0, v33
                                        ; implicit-def: $vgpr34
	s_and_saveexec_b64 s[24:25], s[16:17]
	s_cbranch_execz .LBB107_31
; %bb.30:                               ;   in Loop: Header=BB107_26 Depth=2
	s_bcnt1_i32_b64 s7, s[26:27]
	s_mul_i32 s7, s6, s7
	v_mov_b32_e32 v34, s7
	ds_add_rtn_u32 v34, v9, v34 offset:4112
.LBB107_31:                             ;   in Loop: Header=BB107_26 Depth=2
	s_or_b64 exec, exec, s[24:25]
	s_waitcnt lgkmcnt(0)
	v_readfirstlane_b32 s7, v34
	v_mov_b32_e32 v34, s7
	v_mad_u32_u24 v33, s6, v33, v34
.LBB107_32:                             ;   in Loop: Header=BB107_26 Depth=2
	s_or_b64 exec, exec, s[22:23]
	ds_bpermute_b32 v33, v20, v33
	s_and_b64 s[6:7], exec, vcc
	s_or_b64 s[20:21], s[6:7], s[20:21]
	s_and_saveexec_b64 s[16:17], s[14:15]
	s_cbranch_execz .LBB107_25
; %bb.33:                               ;   in Loop: Header=BB107_26 Depth=2
	v_and_b32_e32 v35, s14, v12
	v_and_b32_e32 v34, s15, v1
	v_bcnt_u32_b32 v35, v35, 0
	v_bcnt_u32_b32 v34, v34, v35
	v_lshlrev_b32_e32 v34, 1, v34
	s_waitcnt lgkmcnt(0)
	v_lshl_add_u32 v33, v33, 1, v34
	ds_write_b16 v33, v4
	s_branch .LBB107_25
.LBB107_34:                             ;   in Loop: Header=BB107_21 Depth=1
	s_mov_b64 s[14:15], 0
                                        ; implicit-def: $sgpr69
	s_cbranch_execnz .LBB107_39
	s_branch .LBB107_49
.LBB107_35:                             ;   in Loop: Header=BB107_21 Depth=1
	s_mov_b32 s69, 0
	s_and_b64 vcc, exec, s[18:19]
	s_cbranch_vccnz .LBB107_39
	s_branch .LBB107_49
.LBB107_36:                             ;   in Loop: Header=BB107_21 Depth=1
	s_or_b64 exec, exec, s[20:21]
	s_waitcnt lgkmcnt(0)
	s_barrier
	s_mov_b64 s[14:15], exec
	v_readlane_b32 s6, v48, 2
	v_readlane_b32 s7, v48, 3
	s_and_b64 s[6:7], s[14:15], s[6:7]
	s_mov_b64 exec, s[6:7]
	s_cbranch_execz .LBB107_38
; %bb.37:                               ;   in Loop: Header=BB107_21 Depth=1
	ds_read_b32 v2, v9 offset:4112
	s_waitcnt lgkmcnt(0)
	ds_write_b32 v9, v2 offset:4104
.LBB107_38:                             ;   in Loop: Header=BB107_21 Depth=1
	s_or_b64 exec, exec, s[14:15]
	s_waitcnt lgkmcnt(0)
	s_barrier
	s_mov_b64 s[14:15], -1
	s_mov_b32 s69, 0
	s_and_b64 vcc, exec, s[18:19]
	s_cbranch_vccz .LBB107_49
.LBB107_39:                             ;   in Loop: Header=BB107_21 Depth=1
	v_mov_b32_e32 v2, 0
	s_mov_b64 s[14:15], exec
	v_readlane_b32 s6, v48, 8
	v_readlane_b32 s7, v48, 9
	s_and_b64 s[6:7], s[14:15], s[6:7]
	s_mov_b64 exec, s[6:7]
	s_cbranch_execz .LBB107_41
; %bb.40:                               ;   in Loop: Header=BB107_21 Depth=1
	global_load_ushort v2, v[10:11], off
.LBB107_41:                             ;   in Loop: Header=BB107_21 Depth=1
	s_or_b64 exec, exec, s[14:15]
	s_mov_b64 s[16:17], exec
	v_readlane_b32 s6, v48, 8
	v_readlane_b32 s7, v48, 9
	s_and_b64 s[6:7], s[16:17], s[6:7]
	s_mov_b64 exec, s[6:7]
	s_cbranch_execz .LBB107_46
; %bb.42:                               ;   in Loop: Header=BB107_21 Depth=1
	v_readlane_b32 s6, v48, 17
	v_readlane_b32 s7, v48, 18
	s_mov_b64 s[18:19], 0
	v_mov_b32_e32 v4, v17
	v_mov_b32_e32 v33, v0
	s_nop 1
	global_load_ushort v3, v9, s[6:7]
	s_waitcnt vmcnt(0)
	v_add_u32_e32 v8, v0, v3
	v_lshlrev_b32_e32 v5, 1, v3
	v_mul_lo_u32 v32, s58, v3
	v_mul_lo_u32 v8, s58, v8
	s_branch .LBB107_44
.LBB107_43:                             ;   in Loop: Header=BB107_44 Depth=2
	s_or_b64 exec, exec, s[20:21]
	s_and_b64 s[6:7], exec, vcc
	s_or_b64 s[18:19], s[6:7], s[18:19]
	ds_write_b16 v4, v2
	v_add_u32_e32 v4, v4, v5
	v_add_u32_e32 v8, v8, v32
	s_waitcnt vmcnt(0)
	v_mov_b32_e32 v2, v34
	s_andn2_b64 exec, exec, s[18:19]
	s_cbranch_execz .LBB107_46
.LBB107_44:                             ;   Parent Loop BB107_21 Depth=1
                                        ; =>  This Inner Loop Header: Depth=2
	v_add_u32_e32 v33, v33, v3
	v_cmp_gt_u32_e64 s[14:15], s56, v33
	v_cmp_le_u32_e32 vcc, s56, v33
	v_mov_b32_e32 v34, 0
	s_and_saveexec_b64 s[20:21], s[14:15]
	s_cbranch_execz .LBB107_43
; %bb.45:                               ;   in Loop: Header=BB107_44 Depth=2
	v_lshlrev_b64 v[34:35], 1, v[8:9]
	v_mov_b32_e32 v36, s60
	v_add_co_u32_e64 v34, s[14:15], s59, v34
	v_addc_co_u32_e64 v35, s[14:15], v36, v35, s[14:15]
	global_load_ushort v34, v[34:35], off
	s_branch .LBB107_43
.LBB107_46:                             ;   in Loop: Header=BB107_21 Depth=1
	s_or_b64 exec, exec, s[16:17]
	s_waitcnt lgkmcnt(0)
	s_barrier
	s_mov_b64 s[14:15], exec
	v_readlane_b32 s6, v48, 2
	v_readlane_b32 s7, v48, 3
	s_and_b64 s[6:7], s[14:15], s[6:7]
	s_mov_b64 exec, s[6:7]
	s_cbranch_execz .LBB107_48
; %bb.47:                               ;   in Loop: Header=BB107_21 Depth=1
	s_waitcnt vmcnt(0)
	v_mov_b32_e32 v2, s56
	ds_write_b32 v9, v2 offset:4104
.LBB107_48:                             ;   in Loop: Header=BB107_21 Depth=1
	s_or_b64 exec, exec, s[14:15]
	s_mov_b64 s[14:15], -1
	s_waitcnt lgkmcnt(0)
	s_barrier
                                        ; implicit-def: $sgpr69
.LBB107_49:                             ;   in Loop: Header=BB107_21 Depth=1
	s_and_b64 vcc, exec, s[14:15]
	s_cbranch_vccz .LBB107_51
; %bb.50:                               ;   in Loop: Header=BB107_21 Depth=1
	s_waitcnt vmcnt(0)
	ds_read_b32 v2, v9 offset:4104
	s_waitcnt lgkmcnt(0)
	v_readfirstlane_b32 s69, v2
.LBB107_51:                             ;   in Loop: Header=BB107_21 Depth=1
	s_cmp_lt_i32 s69, 1
	s_cbranch_scc0 .LBB107_63
; %bb.52:                               ;   in Loop: Header=BB107_21 Depth=1
	s_waitcnt vmcnt(0)
	v_mov_b32_e32 v2, 0
	s_mov_b32 s48, 0
	v_mov_b32_e32 v3, 0
	v_mov_b32_e32 v4, v2
	;; [unrolled: 1-line block ×3, first 2 shown]
	s_mov_b64 s[44:45], exec
	v_readlane_b32 s6, v48, 33
	v_readlane_b32 s7, v48, 34
	s_and_b64 s[6:7], s[44:45], s[6:7]
	s_mov_b64 exec, s[6:7]
	s_cbranch_execz .LBB107_56
; %bb.53:                               ;   in Loop: Header=BB107_21 Depth=1
	s_and_b32 s49, s1, 0xfe
	s_mov_b64 s[46:47], 0
	s_mov_b32 s50, 0
	s_mov_b32 s51, 0
	;; [unrolled: 1-line block ×4, first 2 shown]
	v_mov_b32_e32 v32, v16
.LBB107_54:                             ;   Parent Loop BB107_21 Depth=1
                                        ; =>  This Inner Loop Header: Depth=2
	v_add_u32_e32 v8, s48, v25
	v_lshlrev_b64 v[2:3], 1, v[8:9]
	v_mov_b32_e32 v33, s60
	v_add_u32_e32 v8, s48, v22
	v_add_co_u32_e64 v2, s[14:15], s59, v2
	v_lshlrev_b64 v[4:5], 1, v[8:9]
	v_addc_co_u32_e64 v3, s[14:15], v33, v3, s[14:15]
	v_add_u32_e32 v8, s48, v23
	v_add_co_u32_e64 v4, s[14:15], s59, v4
	v_lshlrev_b64 v[34:35], 1, v[8:9]
	v_add_u32_e32 v8, s48, v24
	v_addc_co_u32_e64 v5, s[14:15], v33, v5, s[14:15]
	global_load_sshort v36, v[2:3], off
	v_lshlrev_b64 v[2:3], 1, v[8:9]
	global_load_sshort v8, v[4:5], off
	v_add_co_u32_e64 v4, s[14:15], s59, v34
	v_addc_co_u32_e64 v5, s[14:15], v33, v35, s[14:15]
	global_load_sshort v4, v[4:5], off
	v_add_co_u32_e64 v2, s[14:15], s59, v2
	v_addc_co_u32_e64 v3, s[14:15], v33, v3, s[14:15]
	global_load_sshort v2, v[2:3], off
	v_add_u32_e32 v32, s76, v32
	v_cmp_le_u32_e32 vcc, s12, v32
	s_add_i32 s48, s48, s73
	s_waitcnt vmcnt(3)
	v_add_u32_e32 v3, 0x8000, v36
	s_waitcnt vmcnt(2)
	v_add_u32_e32 v5, 0x8000, v8
	v_and_b32_e32 v8, s13, v3
	v_bfe_u32 v3, v3, s49, 2
	v_cmp_eq_u32_e64 s[14:15], s74, v8
	v_cmp_eq_u32_e64 s[16:17], 0, v3
	v_and_b32_e32 v8, s13, v5
	v_bfe_u32 v5, v5, s49, 2
	v_cmp_eq_u32_e64 s[18:19], 1, v3
	s_and_b64 s[6:7], s[14:15], s[16:17]
	v_cmp_eq_u32_e64 s[20:21], 2, v3
	v_cmp_eq_u32_e64 s[26:27], 0, v5
	;; [unrolled: 1-line block ×5, first 2 shown]
	v_cndmask_b32_e64 v5, 0, 1, s[6:7]
	s_and_b64 s[6:7], s[14:15], s[18:19]
	v_cmp_eq_u32_e64 s[22:23], 3, v3
	v_cmp_eq_u32_e64 s[24:25], s74, v8
	v_cndmask_b32_e64 v8, 0, 1, s[6:7]
	s_and_b64 s[6:7], s[14:15], s[20:21]
	s_waitcnt vmcnt(1)
	v_add_u32_e32 v4, 0x8000, v4
	v_cndmask_b32_e64 v33, 0, 1, s[6:7]
	s_and_b64 s[6:7], s[14:15], s[22:23]
	v_and_b32_e32 v3, s13, v4
	v_bfe_u32 v4, v4, s49, 2
	v_cndmask_b32_e64 v34, 0, 1, s[6:7]
	s_and_b64 s[6:7], s[24:25], s[26:27]
	v_cmp_eq_u32_e64 s[16:17], 0, v4
	v_cmp_eq_u32_e64 s[18:19], 1, v4
	;; [unrolled: 1-line block ×4, first 2 shown]
	v_cndmask_b32_e64 v4, 0, 1, s[6:7]
	s_and_b64 s[6:7], s[24:25], s[28:29]
	v_cmp_ne_u32_e64 s[36:37], 0, v5
	v_cndmask_b32_e64 v5, 0, 1, s[6:7]
	s_and_b64 s[6:7], s[24:25], s[30:31]
	s_waitcnt vmcnt(0)
	v_add_u32_e32 v2, 0x8000, v2
	v_cmp_eq_u32_e64 s[14:15], s74, v3
	v_cmp_ne_u32_e64 s[26:27], 0, v8
	v_cndmask_b32_e64 v8, 0, 1, s[6:7]
	s_and_b64 s[6:7], s[24:25], s[34:35]
	v_and_b32_e32 v3, s13, v2
	v_bfe_u32 v2, v2, s49, 2
	v_cmp_ne_u32_e64 s[28:29], 0, v33
	v_cndmask_b32_e64 v33, 0, 1, s[6:7]
	s_and_b64 s[6:7], s[14:15], s[16:17]
	v_cmp_eq_u32_e64 s[34:35], 0, v2
	v_cmp_eq_u32_e64 s[38:39], 1, v2
	;; [unrolled: 1-line block ×4, first 2 shown]
	v_cndmask_b32_e64 v2, 0, 1, s[6:7]
	s_and_b64 s[6:7], s[14:15], s[18:19]
	v_cmp_eq_u32_e64 s[24:25], s74, v3
	v_cndmask_b32_e64 v3, 0, 1, s[6:7]
	s_and_b64 s[6:7], s[14:15], s[20:21]
	s_bcnt1_i32_b64 s8, s[36:37]
	v_cmp_ne_u32_e64 s[36:37], 0, v4
	v_cndmask_b32_e64 v4, 0, 1, s[6:7]
	s_and_b64 s[6:7], s[14:15], s[22:23]
	v_cmp_ne_u32_e64 s[16:17], 0, v5
	v_cndmask_b32_e64 v5, 0, 1, s[6:7]
	s_and_b64 s[6:7], s[24:25], s[34:35]
	;; [unrolled: 3-line block ×3, first 2 shown]
	v_cmp_ne_u32_e64 s[30:31], 0, v34
	v_cmp_ne_u32_e64 s[18:19], 0, v8
	s_bcnt1_i32_b64 s23, s[16:17]
	v_cmp_ne_u32_e64 s[16:17], 0, v3
	v_cndmask_b32_e64 v3, 0, 1, s[6:7]
	s_and_b64 s[6:7], s[24:25], s[40:41]
	s_bcnt1_i32_b64 s9, s[26:27]
	s_bcnt1_i32_b64 s26, s[28:29]
	;; [unrolled: 1-line block ×3, first 2 shown]
	v_cmp_ne_u32_e64 s[20:21], 0, v33
	s_bcnt1_i32_b64 s28, s[18:19]
	v_cmp_ne_u32_e64 s[18:19], 0, v4
	v_cndmask_b32_e64 v4, 0, 1, s[6:7]
	s_and_b64 s[6:7], s[24:25], s[42:43]
	s_bcnt1_i32_b64 s22, s[36:37]
	s_add_i32 s8, s53, s8
	s_add_i32 s9, s52, s9
	;; [unrolled: 1-line block ×3, first 2 shown]
	s_bcnt1_i32_b64 s29, s[20:21]
	v_cmp_ne_u32_e64 s[20:21], 0, v5
	v_cndmask_b32_e64 v5, 0, 1, s[6:7]
	s_add_i32 s6, s50, s27
	s_bcnt1_i32_b64 s7, s[14:15]
	v_cmp_ne_u32_e64 s[14:15], 0, v2
	s_add_i32 s8, s8, s22
	s_bcnt1_i32_b64 s22, s[16:17]
	v_cmp_ne_u32_e64 s[16:17], 0, v3
	;; [unrolled: 3-line block ×4, first 2 shown]
	s_add_i32 s6, s6, s29
	s_bcnt1_i32_b64 s14, s[14:15]
	s_add_i32 s7, s8, s7
	s_bcnt1_i32_b64 s8, s[16:17]
	;; [unrolled: 2-line block ×4, first 2 shown]
	s_add_i32 s6, s6, s25
	s_add_i32 s53, s7, s14
	;; [unrolled: 1-line block ×5, first 2 shown]
	s_or_b64 s[46:47], vcc, s[46:47]
	v_mov_b32_e32 v2, s53
	v_mov_b32_e32 v3, s52
	v_mov_b32_e32 v4, s51
	v_mov_b32_e32 v5, s50
	s_andn2_b64 exec, exec, s[46:47]
	s_cbranch_execnz .LBB107_54
; %bb.55:                               ;   in Loop: Header=BB107_21 Depth=1
	s_or_b64 exec, exec, s[46:47]
.LBB107_56:                             ;   in Loop: Header=BB107_21 Depth=1
	s_or_b64 exec, exec, s[44:45]
	v_mov_b32_e32 v32, 0
	s_and_saveexec_b64 s[14:15], s[10:11]
	s_cbranch_execz .LBB107_58
; %bb.57:                               ;   in Loop: Header=BB107_21 Depth=1
	global_load_ushort v32, v[14:15], off
.LBB107_58:                             ;   in Loop: Header=BB107_21 Depth=1
	s_or_b64 exec, exec, s[14:15]
	s_mov_b64 s[16:17], 0
	s_mov_b64 s[80:81], 0
	s_and_saveexec_b64 s[18:19], s[10:11]
	s_cbranch_execz .LBB107_65
; %bb.59:                               ;   in Loop: Header=BB107_21 Depth=1
	s_and_b32 s6, s1, 0xfe
	s_mov_b64 s[20:21], 0
	v_mov_b32_e32 v8, v26
	v_mov_b32_e32 v33, v21
	s_branch .LBB107_61
.LBB107_60:                             ;   in Loop: Header=BB107_61 Depth=2
	s_or_b64 exec, exec, s[22:23]
	s_waitcnt vmcnt(0)
	v_add_u32_sdwa v32, sext(v32), s0 dst_sel:DWORD dst_unused:UNUSED_PAD src0_sel:WORD_0 src1_sel:DWORD
	s_and_b64 s[8:9], exec, vcc
	v_and_b32_e32 v35, s13, v32
	v_bfe_u32 v32, v32, s6, 2
	s_or_b64 s[20:21], s[8:9], s[20:21]
	v_cmp_eq_u32_e32 vcc, s74, v35
	v_cmp_eq_u32_e64 s[14:15], 0, v32
	s_and_b64 s[8:9], vcc, s[14:15]
	v_cndmask_b32_e64 v35, 0, 1, s[8:9]
	v_cmp_ne_u32_e64 s[14:15], 0, v35
	s_bcnt1_i32_b64 s7, s[14:15]
	v_cmp_eq_u32_e64 s[14:15], 1, v32
	s_and_b64 s[8:9], vcc, s[14:15]
	v_cndmask_b32_e64 v35, 0, 1, s[8:9]
	v_cmp_ne_u32_e64 s[14:15], 0, v35
	v_add_u32_e32 v2, s7, v2
	s_bcnt1_i32_b64 s7, s[14:15]
	v_cmp_eq_u32_e64 s[14:15], 2, v32
	s_and_b64 s[8:9], vcc, s[14:15]
	v_cndmask_b32_e64 v35, 0, 1, s[8:9]
	v_cmp_ne_u32_e64 s[14:15], 0, v35
	v_add_u32_e32 v3, s7, v3
	s_bcnt1_i32_b64 s7, s[14:15]
	v_cmp_eq_u32_e64 s[14:15], 3, v32
	s_and_b64 s[8:9], vcc, s[14:15]
	v_cndmask_b32_e64 v32, 0, 1, s[8:9]
	v_cmp_ne_u32_e32 vcc, 0, v32
	v_add_u32_e32 v4, s7, v4
	s_bcnt1_i32_b64 s7, vcc
	v_add_u32_e32 v5, s7, v5
	v_add_u32_e32 v8, s77, v8
	v_mov_b32_e32 v32, v34
	s_andn2_b64 exec, exec, s[20:21]
	s_cbranch_execz .LBB107_64
.LBB107_61:                             ;   Parent Loop BB107_21 Depth=1
                                        ; =>  This Inner Loop Header: Depth=2
	v_add_u32_e32 v33, s62, v33
	v_cmp_gt_u32_e64 s[14:15], s56, v33
	v_cmp_le_u32_e32 vcc, s56, v33
	v_mov_b32_e32 v34, 0
	s_and_saveexec_b64 s[22:23], s[14:15]
	s_cbranch_execz .LBB107_60
; %bb.62:                               ;   in Loop: Header=BB107_61 Depth=2
	v_lshlrev_b64 v[34:35], 1, v[8:9]
	v_mov_b32_e32 v36, s60
	v_add_co_u32_e64 v34, s[14:15], s59, v34
	v_addc_co_u32_e64 v35, s[14:15], v36, v35, s[14:15]
	global_load_ushort v34, v[34:35], off
	s_branch .LBB107_60
.LBB107_63:                             ;   in Loop: Header=BB107_21 Depth=1
	s_mov_b64 s[80:81], 0
                                        ; implicit-def: $vgpr5
	s_cbranch_execnz .LBB107_66
	s_branch .LBB107_75
.LBB107_64:                             ;   in Loop: Header=BB107_21 Depth=1
	s_or_b64 exec, exec, s[20:21]
	s_mov_b64 s[80:81], exec
.LBB107_65:                             ;   in Loop: Header=BB107_21 Depth=1
	s_or_b64 exec, exec, s[18:19]
	s_and_b64 vcc, exec, s[16:17]
	s_cbranch_vccz .LBB107_75
.LBB107_66:                             ;   in Loop: Header=BB107_21 Depth=1
	s_mul_hi_u32 s6, s69, s71
	s_mul_i32 s6, s6, s76
	s_sub_i32 s6, s69, s6
	s_sub_i32 s7, s6, s76
	s_cmp_ge_u32 s6, s76
	s_cselect_b32 s6, s7, s6
	s_sub_i32 s7, s6, s76
	s_cmp_ge_u32 s6, s76
	s_cselect_b32 s6, s7, s6
	s_sub_i32 s8, s69, s6
	v_cmp_gt_u32_e32 vcc, s8, v16
	s_mov_b32 s79, 0
	s_waitcnt vmcnt(0)
	v_mov_b32_e32 v2, 0
	v_mov_b32_e32 v3, 0
	;; [unrolled: 1-line block ×4, first 2 shown]
	s_and_saveexec_b64 s[82:83], vcc
	s_cbranch_execz .LBB107_70
; %bb.67:                               ;   in Loop: Header=BB107_21 Depth=1
	s_mov_b32 s70, s54
	s_and_b32 s9, s1, 0xfe
	s_mov_b64 s[84:85], 0
	v_mov_b32_e32 v8, v27
	s_mov_b32 s68, 0
	s_mov_b32 s6, 0
	;; [unrolled: 1-line block ×3, first 2 shown]
	v_mov_b32_e32 v32, v16
.LBB107_68:                             ;   Parent Loop BB107_21 Depth=1
                                        ; =>  This Inner Loop Header: Depth=2
	ds_read_b64 v[2:3], v8
	v_add_u32_e32 v32, s76, v32
	v_cmp_le_u32_e32 vcc, s8, v32
	v_add_u32_e32 v8, s2, v8
	s_waitcnt lgkmcnt(0)
	v_add_u32_sdwa v4, sext(v2), s0 dst_sel:DWORD dst_unused:UNUSED_PAD src0_sel:WORD_0 src1_sel:DWORD
	v_add_u32_sdwa v2, sext(v2), s0 dst_sel:DWORD dst_unused:UNUSED_PAD src0_sel:WORD_1 src1_sel:DWORD
	v_and_b32_e32 v33, s13, v4
	v_bfe_u32 v4, v4, s9, 2
	v_add_u32_sdwa v5, sext(v3), s0 dst_sel:DWORD dst_unused:UNUSED_PAD src0_sel:WORD_0 src1_sel:DWORD
	v_and_b32_e32 v34, s13, v2
	v_bfe_u32 v2, v2, s9, 2
	v_cmp_eq_u32_e64 s[14:15], s74, v33
	v_cmp_eq_u32_e64 s[22:23], 0, v4
	v_add_u32_sdwa v3, sext(v3), s0 dst_sel:DWORD dst_unused:UNUSED_PAD src0_sel:WORD_1 src1_sel:DWORD
	v_and_b32_e32 v35, s13, v5
	v_bfe_u32 v5, v5, s9, 2
	v_cmp_eq_u32_e64 s[16:17], s74, v34
	v_cmp_eq_u32_e64 s[24:25], 0, v2
	s_and_b64 s[22:23], s[14:15], s[22:23]
	v_and_b32_e32 v36, s13, v3
	v_bfe_u32 v3, v3, s9, 2
	v_cmp_eq_u32_e64 s[18:19], s74, v35
	v_cmp_eq_u32_e64 s[26:27], 0, v5
	;; [unrolled: 1-line block ×5, first 2 shown]
	v_cndmask_b32_e64 v2, 0, 1, s[22:23]
	s_and_b64 s[22:23], s[16:17], s[24:25]
	v_cmp_eq_u32_e64 s[20:21], s74, v36
	v_cmp_eq_u32_e64 s[28:29], 0, v3
	;; [unrolled: 1-line block ×5, first 2 shown]
	v_cndmask_b32_e64 v3, 0, 1, s[22:23]
	s_and_b64 s[22:23], s[18:19], s[26:27]
	v_cmp_eq_u32_e64 s[30:31], 1, v4
	v_cmp_eq_u32_e64 s[40:41], 2, v4
	;; [unrolled: 1-line block ×3, first 2 shown]
	v_cndmask_b32_e64 v4, 0, 1, s[22:23]
	s_and_b64 s[22:23], s[20:21], s[28:29]
	v_cmp_eq_u32_e64 s[36:37], 1, v5
	v_cmp_eq_u32_e64 s[44:45], 2, v5
	;; [unrolled: 1-line block ×3, first 2 shown]
	v_cndmask_b32_e64 v5, 0, 1, s[22:23]
	s_and_b64 s[22:23], s[14:15], s[30:31]
	v_cndmask_b32_e64 v33, 0, 1, s[22:23]
	s_and_b64 s[22:23], s[16:17], s[34:35]
	;; [unrolled: 2-line block ×5, first 2 shown]
	s_and_b64 s[14:15], s[14:15], s[48:49]
	v_cndmask_b32_e64 v37, 0, 1, s[22:23]
	s_and_b64 s[22:23], s[16:17], s[42:43]
	v_cndmask_b32_e64 v41, 0, 1, s[14:15]
	s_and_b64 s[14:15], s[16:17], s[50:51]
	v_cndmask_b32_e64 v38, 0, 1, s[22:23]
	s_and_b64 s[22:23], s[18:19], s[44:45]
	v_cndmask_b32_e64 v42, 0, 1, s[14:15]
	s_and_b64 s[14:15], s[18:19], s[52:53]
	v_cndmask_b32_e64 v39, 0, 1, s[22:23]
	s_and_b64 s[22:23], s[20:21], s[46:47]
	v_cndmask_b32_e64 v43, 0, 1, s[14:15]
	s_and_b64 s[14:15], s[20:21], s[54:55]
	v_cndmask_b32_e64 v40, 0, 1, s[22:23]
	v_cndmask_b32_e64 v44, 0, 1, s[14:15]
	v_cmp_ne_u32_e64 s[14:15], 0, v2
	v_cmp_ne_u32_e64 s[16:17], 0, v3
	;; [unrolled: 1-line block ×11, first 2 shown]
	s_bcnt1_i32_b64 s14, s[14:15]
	s_bcnt1_i32_b64 s15, s[16:17]
	;; [unrolled: 1-line block ×8, first 2 shown]
	v_cmp_ne_u32_e64 s[28:29], 0, v36
	v_cmp_ne_u32_e64 s[36:37], 0, v39
	;; [unrolled: 1-line block ×3, first 2 shown]
	s_bcnt1_i32_b64 s19, s[24:25]
	s_bcnt1_i32_b64 s23, s[34:35]
	;; [unrolled: 1-line block ×3, first 2 shown]
	s_add_i32 s7, s7, s14
	s_add_i32 s6, s6, s18
	;; [unrolled: 1-line block ×4, first 2 shown]
	v_cmp_ne_u32_e64 s[38:39], 0, v40
	v_cmp_ne_u32_e64 s[46:47], 0, v44
	s_bcnt1_i32_b64 s21, s[28:29]
	s_bcnt1_i32_b64 s24, s[36:37]
	;; [unrolled: 1-line block ×3, first 2 shown]
	s_add_i32 s7, s7, s15
	s_add_i32 s6, s6, s19
	;; [unrolled: 1-line block ×4, first 2 shown]
	s_bcnt1_i32_b64 s25, s[38:39]
	s_bcnt1_i32_b64 s29, s[46:47]
	s_add_i32 s7, s7, s16
	s_add_i32 s6, s6, s20
	s_add_i32 s14, s14, s24
	s_add_i32 s15, s15, s28
	s_add_i32 s7, s7, s17
	s_add_i32 s6, s6, s21
	s_add_i32 s68, s14, s25
	s_add_i32 s79, s15, s29
	s_or_b64 s[84:85], vcc, s[84:85]
	v_mov_b32_e32 v2, s7
	v_mov_b32_e32 v3, s6
	;; [unrolled: 1-line block ×4, first 2 shown]
	s_andn2_b64 exec, exec, s[84:85]
	s_cbranch_execnz .LBB107_68
; %bb.69:                               ;   in Loop: Header=BB107_21 Depth=1
	s_or_b64 exec, exec, s[84:85]
	s_mov_b32 s54, s70
.LBB107_70:                             ;   in Loop: Header=BB107_21 Depth=1
	s_or_b64 exec, exec, s[82:83]
	v_add_u32_e32 v8, s8, v0
	v_cmp_gt_u32_e32 vcc, s69, v8
	s_and_saveexec_b64 s[24:25], vcc
	s_cbranch_execz .LBB107_74
; %bb.71:                               ;   in Loop: Header=BB107_21 Depth=1
	s_and_b32 s6, s1, 0xfe
	v_lshlrev_b32_e32 v32, 1, v8
	s_mov_b64 s[26:27], 0
.LBB107_72:                             ;   Parent Loop BB107_21 Depth=1
                                        ; =>  This Inner Loop Header: Depth=2
	ds_read_i16 v33, v32
	v_add_u32_e32 v8, s62, v8
	v_cmp_le_u32_e32 vcc, s69, v8
	v_add_u32_e32 v32, s3, v32
	s_waitcnt lgkmcnt(0)
	v_add_u32_e32 v33, 0x8000, v33
	v_and_b32_e32 v34, s13, v33
	v_bfe_u32 v33, v33, s6, 2
	v_cmp_eq_u32_e64 s[14:15], s74, v34
	v_cmp_eq_u32_e64 s[16:17], 0, v33
	;; [unrolled: 1-line block ×3, first 2 shown]
	s_and_b64 s[8:9], s[14:15], s[16:17]
	v_cmp_eq_u32_e64 s[20:21], 2, v33
	v_cmp_eq_u32_e64 s[22:23], 3, v33
	v_cndmask_b32_e64 v33, 0, 1, s[8:9]
	s_and_b64 s[8:9], s[14:15], s[18:19]
	v_cndmask_b32_e64 v34, 0, 1, s[8:9]
	s_and_b64 s[8:9], s[14:15], s[20:21]
	;; [unrolled: 2-line block ×3, first 2 shown]
	v_cndmask_b32_e64 v36, 0, 1, s[8:9]
	v_cmp_ne_u32_e64 s[14:15], 0, v33
	v_cmp_ne_u32_e64 s[16:17], 0, v34
	;; [unrolled: 1-line block ×4, first 2 shown]
	s_bcnt1_i32_b64 s7, s[14:15]
	s_bcnt1_i32_b64 s8, s[16:17]
	;; [unrolled: 1-line block ×4, first 2 shown]
	v_add_u32_e32 v2, s7, v2
	v_add_u32_e32 v3, s8, v3
	;; [unrolled: 1-line block ×3, first 2 shown]
	s_or_b64 s[26:27], vcc, s[26:27]
	v_add_u32_e32 v5, s14, v5
	s_andn2_b64 exec, exec, s[26:27]
	s_cbranch_execnz .LBB107_72
; %bb.73:                               ;   in Loop: Header=BB107_21 Depth=1
	s_or_b64 exec, exec, s[26:27]
	s_or_b64 s[80:81], s[80:81], exec
.LBB107_74:                             ;   in Loop: Header=BB107_21 Depth=1
	s_or_b64 exec, exec, s[24:25]
.LBB107_75:                             ;   in Loop: Header=BB107_21 Depth=1
	s_and_saveexec_b64 s[14:15], s[80:81]
	s_or_b64 exec, exec, s[14:15]
	s_lshl_b32 s6, s78, 6
	s_and_saveexec_b64 s[14:15], s[4:5]
	s_cbranch_execz .LBB107_77
; %bb.76:                               ;   in Loop: Header=BB107_21 Depth=1
	v_or_b32_e32 v8, s6, v19
	v_lshlrev_b32_e32 v8, 2, v8
	s_waitcnt vmcnt(0)
	ds_write_b128 v8, v[2:5] offset:3072
.LBB107_77:                             ;   in Loop: Header=BB107_21 Depth=1
	s_or_b64 exec, exec, s[14:15]
	s_waitcnt lgkmcnt(0)
	s_barrier
	s_mov_b64 s[14:15], exec
	v_readlane_b32 s8, v48, 10
	v_readlane_b32 s9, v48, 11
	s_and_b64 s[8:9], s[14:15], s[8:9]
	s_mov_b64 exec, s[8:9]
	s_cbranch_execz .LBB107_91
; %bb.78:                               ;   in Loop: Header=BB107_21 Depth=1
	v_readlane_b32 s8, v48, 15
	v_readlane_b32 s9, v48, 16
	v_add_u32_e32 v4, s6, v13
	s_andn2_b64 vcc, exec, s[8:9]
	s_waitcnt vmcnt(0)
	v_mov_b32_e32 v2, 0
	s_cbranch_vccnz .LBB107_90
; %bb.79:                               ;   in Loop: Header=BB107_21 Depth=1
	v_readlane_b32 s8, v48, 19
	v_readlane_b32 s9, v48, 20
	s_mov_b32 s7, 0
	s_and_b64 vcc, exec, s[8:9]
	v_mov_b32_e32 v2, 0
	s_cbranch_vccz .LBB107_83
; %bb.80:                               ;   in Loop: Header=BB107_21 Depth=1
	v_readlane_b32 s8, v48, 23
	v_readlane_b32 s9, v48, 24
	v_lshl_add_u32 v5, v4, 2, v29
	s_andn2_b64 vcc, exec, s[8:9]
	s_cbranch_vccnz .LBB107_84
; %bb.81:                               ;   in Loop: Header=BB107_21 Depth=1
	s_mov_b32 s17, 1
	s_mov_b32 s16, 0
	v_mov_b32_e32 v2, 0
	v_readlane_b32 s7, v48, 25
	v_mov_b32_e32 v3, 0
.LBB107_82:                             ;   Parent Loop BB107_21 Depth=1
                                        ; =>  This Inner Loop Header: Depth=2
	v_lshl_add_u32 v8, s16, 4, v5
	v_lshl_add_u32 v46, s17, 4, v5
	ds_read2_b32 v[32:33], v8 offset1:8
	ds_read2_b32 v[34:35], v46 offset1:8
	ds_read2_b32 v[36:37], v8 offset0:16 offset1:24
	ds_read2_b32 v[38:39], v46 offset0:16 offset1:24
	;; [unrolled: 1-line block ×6, first 2 shown]
	s_waitcnt lgkmcnt(7)
	v_add3_u32 v2, v32, v2, v33
	s_waitcnt lgkmcnt(6)
	v_add3_u32 v3, v34, v3, v35
	;; [unrolled: 2-line block ×3, first 2 shown]
	v_add3_u32 v2, v36, v2, v37
	s_add_i32 s17, s17, 16
	s_add_i32 s16, s16, 16
	s_add_i32 s7, s7, -8
	s_waitcnt lgkmcnt(3)
	v_add3_u32 v2, v40, v2, v41
	s_waitcnt lgkmcnt(2)
	v_add3_u32 v3, v42, v3, v43
	s_cmp_lg_u32 s7, 0
	s_waitcnt lgkmcnt(0)
	v_add3_u32 v3, v46, v3, v47
	v_add3_u32 v2, v44, v2, v45
	s_cbranch_scc1 .LBB107_82
	s_branch .LBB107_85
.LBB107_83:                             ;   in Loop: Header=BB107_21 Depth=1
	s_cbranch_execnz .LBB107_88
	s_branch .LBB107_90
.LBB107_84:                             ;   in Loop: Header=BB107_21 Depth=1
	s_mov_b32 s55, s54
	v_pk_mov_b32 v[2:3], s[54:55], s[54:55] op_sel:[0,1]
	s_mov_b32 s55, 1
	s_mov_b64 s[16:17], s[54:55]
.LBB107_85:                             ;   in Loop: Header=BB107_21 Depth=1
	v_readlane_b32 s8, v48, 27
	v_readlane_b32 s9, v48, 28
	s_andn2_b64 vcc, exec, s[8:9]
	v_readlane_b32 s7, v48, 26
	s_cbranch_vccnz .LBB107_87
.LBB107_86:                             ;   Parent Loop BB107_21 Depth=1
                                        ; =>  This Inner Loop Header: Depth=2
	v_lshl_add_u32 v8, s16, 4, v5
	v_lshl_add_u32 v32, s17, 4, v5
	ds_read_b32 v32, v32
	ds_read_b32 v8, v8
	s_add_i32 s17, s17, 2
	s_add_i32 s16, s16, 2
	s_add_i32 s7, s7, -1
	s_cmp_lg_u32 s7, 0
	s_waitcnt lgkmcnt(1)
	v_add_u32_e32 v3, v32, v3
	s_waitcnt lgkmcnt(0)
	v_add_u32_e32 v2, v8, v2
	s_cbranch_scc1 .LBB107_86
.LBB107_87:                             ;   in Loop: Header=BB107_21 Depth=1
	v_readlane_b32 s16, v48, 31
	v_add_u32_e32 v2, v2, v3
	v_readlane_b32 s7, v48, 30
	v_readlane_b32 s17, v48, 32
	s_and_b64 vcc, exec, s[16:17]
	s_cbranch_vccz .LBB107_90
.LBB107_88:                             ;   in Loop: Header=BB107_21 Depth=1
	s_lshl_b32 s8, s78, 8
	s_lshl_b32 s9, s7, 4
	s_add_i32 s8, s8, s9
	v_add_u32_e32 v3, s8, v28
	v_readlane_b32 s8, v48, 29
	s_sub_i32 s7, s8, s7
.LBB107_89:                             ;   Parent Loop BB107_21 Depth=1
                                        ; =>  This Inner Loop Header: Depth=2
	ds_read_b32 v5, v3
	s_add_i32 s7, s7, -1
	v_add_u32_e32 v3, 16, v3
	s_cmp_eq_u32 s7, 0
	s_waitcnt lgkmcnt(0)
	v_add_u32_e32 v2, v5, v2
	s_cbranch_scc0 .LBB107_89
.LBB107_90:                             ;   in Loop: Header=BB107_21 Depth=1
	v_lshlrev_b32_e32 v3, 2, v4
	ds_write_b32 v3, v2 offset:3072
.LBB107_91:                             ;   in Loop: Header=BB107_21 Depth=1
	s_or_b64 exec, exec, s[14:15]
	s_lshl_b32 s6, s6, 2
	s_waitcnt vmcnt(0)
	v_mov_b32_e32 v2, s6
	s_waitcnt lgkmcnt(0)
	s_barrier
	ds_read_b128 v[2:5], v2 offset:3072
	s_and_b32 s43, s1, 0xfe
	s_lshl_b32 s51, 3, s43
	s_not_b32 s44, s51
	s_mov_b64 s[18:19], -1
	s_waitcnt lgkmcnt(0)
	v_readfirstlane_b32 s28, v2
	s_cmp_eq_u32 s28, 1
	s_cselect_b64 s[6:7], -1, 0
	s_cmp_eq_u32 s75, 1
	s_cselect_b64 s[8:9], -1, 0
	s_and_b64 s[20:21], s[6:7], s[8:9]
	v_readfirstlane_b32 s34, v3
	v_readfirstlane_b32 s42, v4
	;; [unrolled: 1-line block ×3, first 2 shown]
	s_and_b64 vcc, exec, s[20:21]
	s_cbranch_vccz .LBB107_103
; %bb.92:                               ;   in Loop: Header=BB107_21 Depth=1
	ds_read_b32 v2, v9 offset:4104
	s_waitcnt lgkmcnt(0)
	s_barrier
	v_readfirstlane_b32 s6, v2
	s_mov_b64 s[14:15], exec
	v_readlane_b32 s8, v48, 21
	v_readlane_b32 s9, v48, 22
	s_and_b64 s[8:9], s[14:15], s[8:9]
	s_mov_b64 exec, s[8:9]
	s_cbranch_execz .LBB107_94
; %bb.93:                               ;   in Loop: Header=BB107_21 Depth=1
	ds_write_b16 v18, v9
.LBB107_94:                             ;   in Loop: Header=BB107_21 Depth=1
	s_or_b64 exec, exec, s[14:15]
	s_and_b32 s74, s74, s44
	s_or_b32 s13, s13, s51
	s_cmp_eq_u32 s6, 0
	s_waitcnt lgkmcnt(0)
	s_barrier
	s_cbranch_scc1 .LBB107_104
; %bb.95:                               ;   in Loop: Header=BB107_21 Depth=1
	v_readlane_b32 s7, v48, 12
	s_add_i32 s7, s6, s7
	v_readlane_b32 s8, v48, 35
	s_mul_hi_u32 s8, s7, s8
	s_mul_i32 s8, s8, s62
	s_sub_i32 s8, s7, s8
	s_sub_i32 s9, s8, s62
	s_cmp_ge_u32 s8, s62
	s_cselect_b32 s8, s9, s8
	s_sub_i32 s9, s8, s62
	s_cmp_ge_u32 s8, s62
	s_cselect_b32 s8, s9, s8
	s_sub_i32 s7, s7, s8
	v_cmp_gt_u32_e32 vcc, s7, v0
	s_mov_b64 s[14:15], 0
                                        ; implicit-def: $vgpr31
	s_and_saveexec_b64 s[16:17], vcc
	s_cbranch_execz .LBB107_106
; %bb.96:                               ;   in Loop: Header=BB107_21 Depth=1
	s_mov_b64 s[22:23], 0
	v_mov_b32_e32 v2, v17
	v_mov_b32_e32 v3, v0
                                        ; implicit-def: $sgpr24_sgpr25
	s_branch .LBB107_98
.LBB107_97:                             ;   in Loop: Header=BB107_98 Depth=2
	s_or_b64 exec, exec, s[14:15]
	s_waitcnt lgkmcnt(0)
	s_barrier
	ds_read_b32 v4, v9 offset:3072
	v_add_u32_e32 v3, s62, v3
	v_cmp_le_u32_e64 s[14:15], s7, v3
	v_add_u32_e32 v2, s3, v2
	s_waitcnt lgkmcnt(0)
	v_cmp_ne_u16_e32 vcc, 0, v4
	s_or_b64 s[8:9], s[14:15], vcc
	s_and_b64 s[8:9], exec, s[8:9]
	s_or_b64 s[22:23], s[8:9], s[22:23]
	s_andn2_b64 s[8:9], s[24:25], exec
	s_and_b64 s[14:15], vcc, exec
	s_or_b64 s[24:25], s[8:9], s[14:15]
	s_barrier
	s_andn2_b64 exec, exec, s[22:23]
	s_cbranch_execz .LBB107_105
.LBB107_98:                             ;   Parent Loop BB107_21 Depth=1
                                        ; =>  This Inner Loop Header: Depth=2
	v_cmp_gt_u32_e32 vcc, s6, v3
	v_mov_b32_e32 v4, 0
	s_and_saveexec_b64 s[14:15], vcc
	s_cbranch_execz .LBB107_100
; %bb.99:                               ;   in Loop: Header=BB107_98 Depth=2
	ds_read_u16 v4, v2
.LBB107_100:                            ;   in Loop: Header=BB107_98 Depth=2
	s_or_b64 exec, exec, s[14:15]
	s_and_saveexec_b64 s[14:15], vcc
	s_cbranch_execz .LBB107_97
; %bb.101:                              ;   in Loop: Header=BB107_98 Depth=2
	s_waitcnt lgkmcnt(0)
	v_add_u32_sdwa v5, sext(v4), s0 dst_sel:DWORD dst_unused:UNUSED_PAD src0_sel:WORD_0 src1_sel:DWORD
	v_and_b32_e32 v5, s13, v5
	v_cmp_eq_u32_e32 vcc, s74, v5
	s_and_b64 exec, exec, vcc
	s_cbranch_execz .LBB107_97
; %bb.102:                              ;   in Loop: Header=BB107_98 Depth=2
	v_perm_b32 v4, v4, 1, v30
	ds_write_b32 v9, v4 offset:3072
	s_branch .LBB107_97
.LBB107_103:                            ;   in Loop: Header=BB107_21 Depth=1
	s_mov_b64 s[14:15], -1
                                        ; implicit-def: $sgpr16_sgpr17
                                        ; implicit-def: $sgpr24_sgpr25
                                        ; implicit-def: $sgpr22_sgpr23
	s_branch .LBB107_117
.LBB107_104:                            ;   in Loop: Header=BB107_21 Depth=1
	s_mov_b64 s[16:17], -1
	s_mov_b64 s[14:15], 0
                                        ; implicit-def: $sgpr22_sgpr23
                                        ; implicit-def: $vgpr31
	s_mov_b64 s[24:25], s[16:17]
	s_cbranch_execnz .LBB107_107
	s_branch .LBB107_117
.LBB107_105:                            ;   in Loop: Header=BB107_21 Depth=1
	s_or_b64 exec, exec, s[22:23]
	v_lshrrev_b32_e32 v31, 16, v4
	s_and_b64 s[14:15], s[24:25], exec
.LBB107_106:                            ;   in Loop: Header=BB107_21 Depth=1
	s_or_b64 exec, exec, s[16:17]
	s_mov_b64 s[22:23], -1
	s_mov_b64 s[16:17], 0
	s_mov_b64 s[24:25], s[16:17]
	s_branch .LBB107_117
.LBB107_107:                            ;   in Loop: Header=BB107_21 Depth=1
	s_mov_b64 s[14:15], 0
                                        ; implicit-def: $vgpr31
	s_mov_b64 s[16:17], exec
	v_readlane_b32 s6, v48, 36
	v_readlane_b32 s7, v48, 37
	s_and_b64 s[6:7], s[16:17], s[6:7]
	s_mov_b64 exec, s[6:7]
	s_cbranch_execz .LBB107_116
; %bb.108:                              ;   in Loop: Header=BB107_21 Depth=1
	s_mov_b64 s[22:23], 0
	v_mov_b32_e32 v8, v6
	v_mov_b32_e32 v2, v0
                                        ; implicit-def: $sgpr24_sgpr25
	s_branch .LBB107_110
.LBB107_109:                            ;   in Loop: Header=BB107_110 Depth=2
	s_or_b64 exec, exec, s[14:15]
	s_waitcnt lgkmcnt(0)
	s_barrier
	s_waitcnt vmcnt(0)
	ds_read_b32 v3, v9 offset:3072
	v_add_u32_e32 v2, s62, v2
	v_cmp_le_u32_e64 s[14:15], s72, v2
	v_add_u32_e32 v8, s77, v8
	s_waitcnt lgkmcnt(0)
	v_cmp_ne_u16_e32 vcc, 0, v3
	s_or_b64 s[6:7], s[14:15], vcc
	s_and_b64 s[6:7], exec, s[6:7]
	s_or_b64 s[22:23], s[6:7], s[22:23]
	s_andn2_b64 s[6:7], s[24:25], exec
	s_and_b64 s[8:9], vcc, exec
	s_or_b64 s[24:25], s[6:7], s[8:9]
	s_barrier
	s_andn2_b64 exec, exec, s[22:23]
	s_cbranch_execz .LBB107_115
.LBB107_110:                            ;   Parent Loop BB107_21 Depth=1
                                        ; =>  This Inner Loop Header: Depth=2
	v_cmp_gt_u32_e32 vcc, s56, v2
	v_mov_b32_e32 v3, 0
	s_and_saveexec_b64 s[26:27], vcc
	s_cbranch_execz .LBB107_112
; %bb.111:                              ;   in Loop: Header=BB107_110 Depth=2
	v_lshlrev_b64 v[4:5], 1, v[8:9]
	v_mov_b32_e32 v3, s60
	v_add_co_u32_e64 v4, s[14:15], s59, v4
	v_addc_co_u32_e64 v5, s[14:15], v3, v5, s[14:15]
	global_load_ushort v3, v[4:5], off
.LBB107_112:                            ;   in Loop: Header=BB107_110 Depth=2
	s_or_b64 exec, exec, s[26:27]
	s_and_saveexec_b64 s[14:15], vcc
	s_cbranch_execz .LBB107_109
; %bb.113:                              ;   in Loop: Header=BB107_110 Depth=2
	s_waitcnt vmcnt(0)
	v_add_u32_sdwa v4, sext(v3), s0 dst_sel:DWORD dst_unused:UNUSED_PAD src0_sel:WORD_0 src1_sel:DWORD
	v_and_b32_e32 v4, s13, v4
	v_cmp_eq_u32_e32 vcc, s74, v4
	s_and_b64 exec, exec, vcc
	s_cbranch_execz .LBB107_109
; %bb.114:                              ;   in Loop: Header=BB107_110 Depth=2
	v_perm_b32 v3, v3, 1, v30
	ds_write_b32 v9, v3 offset:3072
	s_branch .LBB107_109
.LBB107_115:                            ;   in Loop: Header=BB107_21 Depth=1
	s_or_b64 exec, exec, s[22:23]
	v_lshrrev_b32_e32 v31, 16, v3
	s_and_b64 s[14:15], s[24:25], exec
.LBB107_116:                            ;   in Loop: Header=BB107_21 Depth=1
	s_or_b64 exec, exec, s[16:17]
	s_mov_b64 s[24:25], -1
	s_mov_b64 s[16:17], 0
	s_mov_b64 s[22:23], 0
.LBB107_117:                            ;   in Loop: Header=BB107_21 Depth=1
	s_andn2_b64 s[6:7], s[66:67], exec
	s_and_b64 s[8:9], s[16:17], exec
	s_or_b64 s[66:67], s[6:7], s[8:9]
	s_andn2_b64 s[6:7], s[64:65], exec
	s_and_b64 s[8:9], s[24:25], exec
	s_or_b64 s[64:65], s[6:7], s[8:9]
	;; [unrolled: 3-line block ×3, first 2 shown]
	s_and_saveexec_b64 s[16:17], s[14:15]
	s_cbranch_execz .LBB107_20
; %bb.118:                              ;   in Loop: Header=BB107_21 Depth=1
	s_xor_b64 s[6:7], s[20:21], -1
	s_mov_b64 s[14:15], 0
	s_andn2_b64 vcc, exec, s[6:7]
	s_mov_b32 s35, 1
	s_cbranch_vccnz .LBB107_129
; %bb.119:                              ;   in Loop: Header=BB107_21 Depth=1
	s_cmp_gt_u32 s75, s28
	s_mov_b64 s[14:15], -1
                                        ; implicit-def: $sgpr53
                                        ; implicit-def: $sgpr6
                                        ; implicit-def: $sgpr7
	s_cbranch_scc1 .LBB107_125
; %bb.120:                              ;   in Loop: Header=BB107_21 Depth=1
	ds_read_b32 v2, v9 offset:4104
	s_waitcnt lgkmcnt(0)
	v_cmp_ne_u32_e32 vcc, 0, v2
	s_cbranch_vccnz .LBB107_124
; %bb.121:                              ;   in Loop: Header=BB107_21 Depth=1
	s_mov_b64 s[14:15], exec
	v_readlane_b32 s6, v48, 2
	v_readlane_b32 s7, v48, 3
	s_and_b64 s[6:7], s[14:15], s[6:7]
	s_mov_b64 exec, s[6:7]
	s_cbranch_execz .LBB107_123
; %bb.122:                              ;   in Loop: Header=BB107_21 Depth=1
	v_mov_b32_e32 v2, s28
	ds_write_b32 v9, v2 offset:4108
.LBB107_123:                            ;   in Loop: Header=BB107_21 Depth=1
	s_or_b64 exec, exec, s[14:15]
	s_waitcnt lgkmcnt(0)
	s_barrier
.LBB107_124:                            ;   in Loop: Header=BB107_21 Depth=1
	s_and_b32 s6, s74, s44
	s_or_b32 s7, s13, s51
	s_mov_b64 s[14:15], 0
	s_mov_b32 s53, 8
.LBB107_125:                            ;   in Loop: Header=BB107_21 Depth=1
	s_andn2_b64 vcc, exec, s[14:15]
	s_cbranch_vccnz .LBB107_127
; %bb.126:                              ;   in Loop: Header=BB107_21 Depth=1
	s_sub_i32 s75, s75, s28
	s_mov_b64 s[14:15], -1
	s_mov_b32 s53, 0
	s_mov_b32 s6, s74
	s_mov_b32 s7, s13
.LBB107_127:                            ;   in Loop: Header=BB107_21 Depth=1
	s_mov_b32 s13, s7
	s_mov_b32 s74, s6
	;; [unrolled: 1-line block ×3, first 2 shown]
	s_mov_b64 s[18:19], -1
	s_and_b64 vcc, exec, s[14:15]
	s_cbranch_vccnz .LBB107_130
.LBB107_128:                            ;   in Loop: Header=BB107_21 Depth=1
	s_mov_b64 s[30:31], -1
                                        ; implicit-def: $sgpr20_sgpr21
                                        ; implicit-def: $sgpr24_sgpr25
                                        ; implicit-def: $sgpr22_sgpr23
                                        ; implicit-def: $sgpr75
	s_and_saveexec_b64 s[6:7], s[30:31]
	s_xor_b64 s[14:15], exec, s[6:7]
	s_cbranch_execz .LBB107_19
	s_branch .LBB107_253
.LBB107_129:                            ;   in Loop: Header=BB107_21 Depth=1
	s_mov_b32 s53, 1
	s_mov_b64 s[18:19], -1
	s_and_b64 vcc, exec, s[14:15]
	s_cbranch_vccz .LBB107_128
.LBB107_130:                            ;   in Loop: Header=BB107_21 Depth=1
	s_cmp_eq_u32 s34, 1
	s_cselect_b64 s[6:7], -1, 0
	s_cmp_eq_u32 s35, 1
	s_cselect_b64 s[8:9], -1, 0
	s_and_b64 s[28:29], s[6:7], s[8:9]
	s_mov_b64 s[14:15], -1
	s_and_b64 vcc, exec, s[28:29]
	s_cbranch_vccz .LBB107_142
; %bb.131:                              ;   in Loop: Header=BB107_21 Depth=1
	ds_read_b32 v2, v9 offset:4104
	s_waitcnt lgkmcnt(0)
	s_barrier
	v_readfirstlane_b32 s6, v2
	s_mov_b64 s[14:15], exec
	v_readlane_b32 s8, v48, 21
	v_readlane_b32 s9, v48, 22
	s_and_b64 s[8:9], s[14:15], s[8:9]
	s_mov_b64 exec, s[8:9]
	s_cbranch_execz .LBB107_133
; %bb.132:                              ;   in Loop: Header=BB107_21 Depth=1
	ds_write_b16 v18, v9
.LBB107_133:                            ;   in Loop: Header=BB107_21 Depth=1
	s_or_b64 exec, exec, s[14:15]
	s_lshl_b32 s7, 1, s43
	s_and_b32 s8, s74, s44
	s_or_b32 s74, s8, s7
	s_or_b32 s13, s13, s51
	s_cmp_eq_u32 s6, 0
	s_waitcnt lgkmcnt(0)
	s_barrier
	s_cbranch_scc1 .LBB107_143
; %bb.134:                              ;   in Loop: Header=BB107_21 Depth=1
	v_readlane_b32 s7, v48, 12
	s_add_i32 s7, s6, s7
	v_readlane_b32 s8, v48, 35
	s_mul_hi_u32 s8, s7, s8
	s_mul_i32 s8, s8, s62
	s_sub_i32 s8, s7, s8
	s_sub_i32 s9, s8, s62
	s_cmp_ge_u32 s8, s62
	s_cselect_b32 s8, s9, s8
	s_sub_i32 s9, s8, s62
	s_cmp_ge_u32 s8, s62
	s_cselect_b32 s8, s9, s8
	s_sub_i32 s7, s7, s8
	v_cmp_gt_u32_e32 vcc, s7, v0
	s_mov_b64 s[14:15], 0
                                        ; implicit-def: $vgpr31
	s_and_saveexec_b64 s[20:21], vcc
	s_cbranch_execz .LBB107_145
; %bb.135:                              ;   in Loop: Header=BB107_21 Depth=1
	s_mov_b64 s[22:23], 0
	v_mov_b32_e32 v2, v17
	v_mov_b32_e32 v3, v0
                                        ; implicit-def: $sgpr24_sgpr25
	s_branch .LBB107_137
.LBB107_136:                            ;   in Loop: Header=BB107_137 Depth=2
	s_or_b64 exec, exec, s[14:15]
	s_waitcnt lgkmcnt(0)
	s_barrier
	ds_read_b32 v4, v9 offset:3072
	v_add_u32_e32 v3, s62, v3
	v_cmp_le_u32_e64 s[14:15], s7, v3
	v_add_u32_e32 v2, s3, v2
	s_waitcnt lgkmcnt(0)
	v_cmp_ne_u16_e32 vcc, 0, v4
	s_or_b64 s[8:9], s[14:15], vcc
	s_and_b64 s[8:9], exec, s[8:9]
	s_or_b64 s[22:23], s[8:9], s[22:23]
	s_andn2_b64 s[8:9], s[24:25], exec
	s_and_b64 s[14:15], vcc, exec
	s_or_b64 s[24:25], s[8:9], s[14:15]
	s_barrier
	s_andn2_b64 exec, exec, s[22:23]
	s_cbranch_execz .LBB107_144
.LBB107_137:                            ;   Parent Loop BB107_21 Depth=1
                                        ; =>  This Inner Loop Header: Depth=2
	v_cmp_gt_u32_e32 vcc, s6, v3
	v_mov_b32_e32 v4, 0
	s_and_saveexec_b64 s[14:15], vcc
	s_cbranch_execz .LBB107_139
; %bb.138:                              ;   in Loop: Header=BB107_137 Depth=2
	ds_read_u16 v4, v2
.LBB107_139:                            ;   in Loop: Header=BB107_137 Depth=2
	s_or_b64 exec, exec, s[14:15]
	s_and_saveexec_b64 s[14:15], vcc
	s_cbranch_execz .LBB107_136
; %bb.140:                              ;   in Loop: Header=BB107_137 Depth=2
	s_waitcnt lgkmcnt(0)
	v_add_u32_sdwa v5, sext(v4), s0 dst_sel:DWORD dst_unused:UNUSED_PAD src0_sel:WORD_0 src1_sel:DWORD
	v_and_b32_e32 v5, s13, v5
	v_cmp_eq_u32_e32 vcc, s74, v5
	s_and_b64 exec, exec, vcc
	s_cbranch_execz .LBB107_136
; %bb.141:                              ;   in Loop: Header=BB107_137 Depth=2
	v_perm_b32 v4, v4, 1, v30
	ds_write_b32 v9, v4 offset:3072
	s_branch .LBB107_136
.LBB107_142:                            ;   in Loop: Header=BB107_21 Depth=1
                                        ; implicit-def: $sgpr22_sgpr23
                                        ; implicit-def: $sgpr24_sgpr25
                                        ; implicit-def: $sgpr20_sgpr21
	s_branch .LBB107_156
.LBB107_143:                            ;   in Loop: Header=BB107_21 Depth=1
	s_mov_b64 s[22:23], -1
	s_mov_b64 s[14:15], 0
                                        ; implicit-def: $sgpr20_sgpr21
                                        ; implicit-def: $vgpr31
	s_mov_b64 s[24:25], s[22:23]
	s_cbranch_execnz .LBB107_146
	s_branch .LBB107_156
.LBB107_144:                            ;   in Loop: Header=BB107_21 Depth=1
	s_or_b64 exec, exec, s[22:23]
	v_lshrrev_b32_e32 v31, 16, v4
	s_and_b64 s[14:15], s[24:25], exec
.LBB107_145:                            ;   in Loop: Header=BB107_21 Depth=1
	s_or_b64 exec, exec, s[20:21]
	s_mov_b64 s[20:21], -1
	s_mov_b64 s[22:23], 0
	s_mov_b64 s[24:25], s[22:23]
	s_branch .LBB107_156
.LBB107_146:                            ;   in Loop: Header=BB107_21 Depth=1
	s_mov_b64 s[14:15], 0
                                        ; implicit-def: $vgpr31
	s_mov_b64 s[20:21], exec
	v_readlane_b32 s6, v48, 36
	v_readlane_b32 s7, v48, 37
	s_and_b64 s[6:7], s[20:21], s[6:7]
	s_mov_b64 exec, s[6:7]
	s_cbranch_execz .LBB107_155
; %bb.147:                              ;   in Loop: Header=BB107_21 Depth=1
	s_mov_b64 s[22:23], 0
	v_mov_b32_e32 v8, v6
	v_mov_b32_e32 v2, v0
                                        ; implicit-def: $sgpr24_sgpr25
	s_branch .LBB107_149
.LBB107_148:                            ;   in Loop: Header=BB107_149 Depth=2
	s_or_b64 exec, exec, s[14:15]
	s_waitcnt lgkmcnt(0)
	s_barrier
	s_waitcnt vmcnt(0)
	ds_read_b32 v3, v9 offset:3072
	v_add_u32_e32 v2, s62, v2
	v_cmp_le_u32_e64 s[14:15], s72, v2
	v_add_u32_e32 v8, s77, v8
	s_waitcnt lgkmcnt(0)
	v_cmp_ne_u16_e32 vcc, 0, v3
	s_or_b64 s[6:7], s[14:15], vcc
	s_and_b64 s[6:7], exec, s[6:7]
	s_or_b64 s[22:23], s[6:7], s[22:23]
	s_andn2_b64 s[6:7], s[24:25], exec
	s_and_b64 s[8:9], vcc, exec
	s_or_b64 s[24:25], s[6:7], s[8:9]
	s_barrier
	s_andn2_b64 exec, exec, s[22:23]
	s_cbranch_execz .LBB107_154
.LBB107_149:                            ;   Parent Loop BB107_21 Depth=1
                                        ; =>  This Inner Loop Header: Depth=2
	v_cmp_gt_u32_e32 vcc, s56, v2
	v_mov_b32_e32 v3, 0
	s_and_saveexec_b64 s[26:27], vcc
	s_cbranch_execz .LBB107_151
; %bb.150:                              ;   in Loop: Header=BB107_149 Depth=2
	v_lshlrev_b64 v[4:5], 1, v[8:9]
	v_mov_b32_e32 v3, s60
	v_add_co_u32_e64 v4, s[14:15], s59, v4
	v_addc_co_u32_e64 v5, s[14:15], v3, v5, s[14:15]
	global_load_ushort v3, v[4:5], off
.LBB107_151:                            ;   in Loop: Header=BB107_149 Depth=2
	s_or_b64 exec, exec, s[26:27]
	s_and_saveexec_b64 s[14:15], vcc
	s_cbranch_execz .LBB107_148
; %bb.152:                              ;   in Loop: Header=BB107_149 Depth=2
	s_waitcnt vmcnt(0)
	v_add_u32_sdwa v4, sext(v3), s0 dst_sel:DWORD dst_unused:UNUSED_PAD src0_sel:WORD_0 src1_sel:DWORD
	v_and_b32_e32 v4, s13, v4
	v_cmp_eq_u32_e32 vcc, s74, v4
	s_and_b64 exec, exec, vcc
	s_cbranch_execz .LBB107_148
; %bb.153:                              ;   in Loop: Header=BB107_149 Depth=2
	v_perm_b32 v3, v3, 1, v30
	ds_write_b32 v9, v3 offset:3072
	s_branch .LBB107_148
.LBB107_154:                            ;   in Loop: Header=BB107_21 Depth=1
	s_or_b64 exec, exec, s[22:23]
	v_lshrrev_b32_e32 v31, 16, v3
	s_and_b64 s[14:15], s[24:25], exec
.LBB107_155:                            ;   in Loop: Header=BB107_21 Depth=1
	s_or_b64 exec, exec, s[20:21]
	s_mov_b64 s[24:25], -1
	s_mov_b64 s[22:23], 0
	s_mov_b64 s[20:21], 0
.LBB107_156:                            ;   in Loop: Header=BB107_21 Depth=1
	s_mov_b64 s[30:31], 0
                                        ; implicit-def: $sgpr53
	s_and_saveexec_b64 s[26:27], s[14:15]
	s_cbranch_execz .LBB107_252
; %bb.157:                              ;   in Loop: Header=BB107_21 Depth=1
	s_xor_b64 s[6:7], s[28:29], -1
	s_mov_b64 s[14:15], 0
	s_andn2_b64 vcc, exec, s[6:7]
	s_mov_b32 s45, 1
	s_cbranch_vccnz .LBB107_168
; %bb.158:                              ;   in Loop: Header=BB107_21 Depth=1
	s_cmp_gt_u32 s35, s34
	s_mov_b64 s[14:15], -1
                                        ; implicit-def: $sgpr53
                                        ; implicit-def: $sgpr6
                                        ; implicit-def: $sgpr7
	s_cbranch_scc1 .LBB107_164
; %bb.159:                              ;   in Loop: Header=BB107_21 Depth=1
	ds_read_b32 v2, v9 offset:4104
	s_waitcnt lgkmcnt(0)
	v_cmp_ne_u32_e32 vcc, 0, v2
	s_cbranch_vccnz .LBB107_163
; %bb.160:                              ;   in Loop: Header=BB107_21 Depth=1
	s_mov_b64 s[14:15], exec
	v_readlane_b32 s6, v48, 2
	v_readlane_b32 s7, v48, 3
	s_and_b64 s[6:7], s[14:15], s[6:7]
	s_mov_b64 exec, s[6:7]
	s_cbranch_execz .LBB107_162
; %bb.161:                              ;   in Loop: Header=BB107_21 Depth=1
	v_mov_b32_e32 v2, s34
	ds_write_b32 v9, v2 offset:4108
.LBB107_162:                            ;   in Loop: Header=BB107_21 Depth=1
	s_or_b64 exec, exec, s[14:15]
	s_waitcnt lgkmcnt(0)
	s_barrier
.LBB107_163:                            ;   in Loop: Header=BB107_21 Depth=1
	s_lshl_b32 s6, 1, s43
	s_and_b32 s7, s74, s44
	s_or_b32 s6, s7, s6
	s_or_b32 s7, s13, s51
	s_mov_b64 s[14:15], 0
	s_mov_b32 s53, 8
.LBB107_164:                            ;   in Loop: Header=BB107_21 Depth=1
	s_andn2_b64 vcc, exec, s[14:15]
	s_cbranch_vccnz .LBB107_166
; %bb.165:                              ;   in Loop: Header=BB107_21 Depth=1
	s_sub_i32 s35, s35, s34
	s_mov_b64 s[14:15], -1
	s_mov_b32 s53, 0
	s_mov_b32 s6, s74
	;; [unrolled: 1-line block ×3, first 2 shown]
.LBB107_166:                            ;   in Loop: Header=BB107_21 Depth=1
	s_mov_b32 s13, s7
	s_mov_b32 s74, s6
	;; [unrolled: 1-line block ×3, first 2 shown]
	s_andn2_b64 vcc, exec, s[14:15]
	s_mov_b64 s[40:41], -1
	s_cbranch_vccz .LBB107_169
.LBB107_167:                            ;   in Loop: Header=BB107_21 Depth=1
                                        ; implicit-def: $sgpr30_sgpr31
                                        ; implicit-def: $sgpr34_sgpr35
                                        ; implicit-def: $sgpr28_sgpr29
	s_branch .LBB107_251
.LBB107_168:                            ;   in Loop: Header=BB107_21 Depth=1
	s_mov_b32 s53, 1
	s_andn2_b64 vcc, exec, s[14:15]
	s_mov_b64 s[40:41], -1
	s_cbranch_vccnz .LBB107_167
.LBB107_169:                            ;   in Loop: Header=BB107_21 Depth=1
	s_cmp_eq_u32 s42, 1
	s_cselect_b64 s[6:7], -1, 0
	s_cmp_eq_u32 s45, 1
	s_cselect_b64 s[8:9], -1, 0
	s_and_b64 s[38:39], s[6:7], s[8:9]
	s_mov_b64 s[14:15], -1
	s_and_b64 vcc, exec, s[38:39]
	s_cbranch_vccz .LBB107_181
; %bb.170:                              ;   in Loop: Header=BB107_21 Depth=1
	ds_read_b32 v2, v9 offset:4104
	s_waitcnt lgkmcnt(0)
	s_barrier
	v_readfirstlane_b32 s6, v2
	s_mov_b64 s[14:15], exec
	v_readlane_b32 s8, v48, 21
	v_readlane_b32 s9, v48, 22
	s_and_b64 s[8:9], s[14:15], s[8:9]
	s_mov_b64 exec, s[8:9]
	s_cbranch_execz .LBB107_172
; %bb.171:                              ;   in Loop: Header=BB107_21 Depth=1
	ds_write_b16 v18, v9
.LBB107_172:                            ;   in Loop: Header=BB107_21 Depth=1
	s_or_b64 exec, exec, s[14:15]
	s_lshl_b32 s7, 2, s43
	s_and_b32 s8, s74, s44
	s_or_b32 s74, s8, s7
	s_or_b32 s13, s13, s51
	s_cmp_eq_u32 s6, 0
	s_waitcnt lgkmcnt(0)
	s_barrier
	s_cbranch_scc1 .LBB107_182
; %bb.173:                              ;   in Loop: Header=BB107_21 Depth=1
	v_readlane_b32 s7, v48, 12
	s_add_i32 s7, s6, s7
	v_readlane_b32 s8, v48, 35
	s_mul_hi_u32 s8, s7, s8
	s_mul_i32 s8, s8, s62
	s_sub_i32 s8, s7, s8
	s_sub_i32 s9, s8, s62
	s_cmp_ge_u32 s8, s62
	s_cselect_b32 s8, s9, s8
	s_sub_i32 s9, s8, s62
	s_cmp_ge_u32 s8, s62
	s_cselect_b32 s8, s9, s8
	s_sub_i32 s7, s7, s8
	v_cmp_gt_u32_e32 vcc, s7, v0
	s_mov_b64 s[14:15], 0
                                        ; implicit-def: $vgpr31
	s_and_saveexec_b64 s[28:29], vcc
	s_cbranch_execz .LBB107_184
; %bb.174:                              ;   in Loop: Header=BB107_21 Depth=1
	v_mov_b32_e32 v2, v17
	v_mov_b32_e32 v3, v0
                                        ; implicit-def: $sgpr34_sgpr35
	s_branch .LBB107_176
.LBB107_175:                            ;   in Loop: Header=BB107_176 Depth=2
	s_or_b64 exec, exec, s[14:15]
	s_waitcnt lgkmcnt(0)
	s_barrier
	ds_read_b32 v4, v9 offset:3072
	v_add_u32_e32 v3, s62, v3
	v_cmp_le_u32_e64 s[14:15], s7, v3
	v_add_u32_e32 v2, s3, v2
	s_waitcnt lgkmcnt(0)
	v_cmp_ne_u16_e32 vcc, 0, v4
	s_or_b64 s[8:9], s[14:15], vcc
	s_and_b64 s[8:9], exec, s[8:9]
	s_or_b64 s[30:31], s[8:9], s[30:31]
	s_andn2_b64 s[8:9], s[34:35], exec
	s_and_b64 s[14:15], vcc, exec
	s_or_b64 s[34:35], s[8:9], s[14:15]
	s_barrier
	s_andn2_b64 exec, exec, s[30:31]
	s_cbranch_execz .LBB107_183
.LBB107_176:                            ;   Parent Loop BB107_21 Depth=1
                                        ; =>  This Inner Loop Header: Depth=2
	v_cmp_gt_u32_e32 vcc, s6, v3
	v_mov_b32_e32 v4, 0
	s_and_saveexec_b64 s[14:15], vcc
	s_cbranch_execz .LBB107_178
; %bb.177:                              ;   in Loop: Header=BB107_176 Depth=2
	ds_read_u16 v4, v2
.LBB107_178:                            ;   in Loop: Header=BB107_176 Depth=2
	s_or_b64 exec, exec, s[14:15]
	s_and_saveexec_b64 s[14:15], vcc
	s_cbranch_execz .LBB107_175
; %bb.179:                              ;   in Loop: Header=BB107_176 Depth=2
	s_waitcnt lgkmcnt(0)
	v_add_u32_sdwa v5, sext(v4), s0 dst_sel:DWORD dst_unused:UNUSED_PAD src0_sel:WORD_0 src1_sel:DWORD
	v_and_b32_e32 v5, s13, v5
	v_cmp_eq_u32_e32 vcc, s74, v5
	s_and_b64 exec, exec, vcc
	s_cbranch_execz .LBB107_175
; %bb.180:                              ;   in Loop: Header=BB107_176 Depth=2
	v_perm_b32 v4, v4, 1, v30
	ds_write_b32 v9, v4 offset:3072
	s_branch .LBB107_175
.LBB107_181:                            ;   in Loop: Header=BB107_21 Depth=1
                                        ; implicit-def: $sgpr28_sgpr29
                                        ; implicit-def: $sgpr34_sgpr35
                                        ; implicit-def: $sgpr30_sgpr31
	s_branch .LBB107_195
.LBB107_182:                            ;   in Loop: Header=BB107_21 Depth=1
	s_mov_b64 s[28:29], -1
	s_mov_b64 s[14:15], 0
                                        ; implicit-def: $sgpr30_sgpr31
                                        ; implicit-def: $vgpr31
	s_mov_b64 s[34:35], s[28:29]
	s_cbranch_execnz .LBB107_185
	s_branch .LBB107_195
.LBB107_183:                            ;   in Loop: Header=BB107_21 Depth=1
	s_or_b64 exec, exec, s[30:31]
	v_lshrrev_b32_e32 v31, 16, v4
	s_and_b64 s[14:15], s[34:35], exec
.LBB107_184:                            ;   in Loop: Header=BB107_21 Depth=1
	s_or_b64 exec, exec, s[28:29]
	s_mov_b64 s[30:31], -1
	s_mov_b64 s[28:29], 0
	s_mov_b64 s[34:35], s[28:29]
	s_branch .LBB107_195
.LBB107_185:                            ;   in Loop: Header=BB107_21 Depth=1
	s_mov_b64 s[14:15], 0
                                        ; implicit-def: $vgpr31
	s_mov_b64 s[28:29], exec
	v_readlane_b32 s6, v48, 36
	v_readlane_b32 s7, v48, 37
	s_and_b64 s[6:7], s[28:29], s[6:7]
	s_mov_b64 exec, s[6:7]
	s_cbranch_execz .LBB107_194
; %bb.186:                              ;   in Loop: Header=BB107_21 Depth=1
	s_mov_b64 s[30:31], 0
	v_mov_b32_e32 v8, v6
	v_mov_b32_e32 v2, v0
                                        ; implicit-def: $sgpr34_sgpr35
	s_branch .LBB107_188
.LBB107_187:                            ;   in Loop: Header=BB107_188 Depth=2
	s_or_b64 exec, exec, s[14:15]
	s_waitcnt lgkmcnt(0)
	s_barrier
	s_waitcnt vmcnt(0)
	ds_read_b32 v3, v9 offset:3072
	v_add_u32_e32 v2, s62, v2
	v_cmp_le_u32_e64 s[14:15], s72, v2
	v_add_u32_e32 v8, s77, v8
	s_waitcnt lgkmcnt(0)
	v_cmp_ne_u16_e32 vcc, 0, v3
	s_or_b64 s[6:7], s[14:15], vcc
	s_and_b64 s[6:7], exec, s[6:7]
	s_or_b64 s[30:31], s[6:7], s[30:31]
	s_andn2_b64 s[6:7], s[34:35], exec
	s_and_b64 s[8:9], vcc, exec
	s_or_b64 s[34:35], s[6:7], s[8:9]
	s_barrier
	s_andn2_b64 exec, exec, s[30:31]
	s_cbranch_execz .LBB107_193
.LBB107_188:                            ;   Parent Loop BB107_21 Depth=1
                                        ; =>  This Inner Loop Header: Depth=2
	v_cmp_gt_u32_e32 vcc, s56, v2
	v_mov_b32_e32 v3, 0
	s_and_saveexec_b64 s[36:37], vcc
	s_cbranch_execz .LBB107_190
; %bb.189:                              ;   in Loop: Header=BB107_188 Depth=2
	v_lshlrev_b64 v[4:5], 1, v[8:9]
	v_mov_b32_e32 v3, s60
	v_add_co_u32_e64 v4, s[14:15], s59, v4
	v_addc_co_u32_e64 v5, s[14:15], v3, v5, s[14:15]
	global_load_ushort v3, v[4:5], off
.LBB107_190:                            ;   in Loop: Header=BB107_188 Depth=2
	s_or_b64 exec, exec, s[36:37]
	s_and_saveexec_b64 s[14:15], vcc
	s_cbranch_execz .LBB107_187
; %bb.191:                              ;   in Loop: Header=BB107_188 Depth=2
	s_waitcnt vmcnt(0)
	v_add_u32_sdwa v4, sext(v3), s0 dst_sel:DWORD dst_unused:UNUSED_PAD src0_sel:WORD_0 src1_sel:DWORD
	v_and_b32_e32 v4, s13, v4
	v_cmp_eq_u32_e32 vcc, s74, v4
	s_and_b64 exec, exec, vcc
	s_cbranch_execz .LBB107_187
; %bb.192:                              ;   in Loop: Header=BB107_188 Depth=2
	v_perm_b32 v3, v3, 1, v30
	ds_write_b32 v9, v3 offset:3072
	s_branch .LBB107_187
.LBB107_193:                            ;   in Loop: Header=BB107_21 Depth=1
	s_or_b64 exec, exec, s[30:31]
	v_lshrrev_b32_e32 v31, 16, v3
	s_and_b64 s[14:15], s[34:35], exec
.LBB107_194:                            ;   in Loop: Header=BB107_21 Depth=1
	s_or_b64 exec, exec, s[28:29]
	s_mov_b64 s[34:35], -1
	s_mov_b64 s[28:29], 0
	s_mov_b64 s[30:31], 0
.LBB107_195:                            ;   in Loop: Header=BB107_21 Depth=1
	s_mov_b64 s[40:41], 0
                                        ; implicit-def: $sgpr53
	s_and_saveexec_b64 s[36:37], s[14:15]
	s_cbranch_execz .LBB107_250
; %bb.196:                              ;   in Loop: Header=BB107_21 Depth=1
	s_xor_b64 s[6:7], s[38:39], -1
	s_mov_b64 s[14:15], 0
	s_andn2_b64 vcc, exec, s[6:7]
	s_mov_b32 s52, 1
	s_cbranch_vccnz .LBB107_207
; %bb.197:                              ;   in Loop: Header=BB107_21 Depth=1
	s_cmp_gt_u32 s45, s42
	s_mov_b64 s[14:15], -1
                                        ; implicit-def: $sgpr53
                                        ; implicit-def: $sgpr6
                                        ; implicit-def: $sgpr7
	s_cbranch_scc1 .LBB107_203
; %bb.198:                              ;   in Loop: Header=BB107_21 Depth=1
	ds_read_b32 v2, v9 offset:4104
	s_waitcnt lgkmcnt(0)
	v_cmp_ne_u32_e32 vcc, 0, v2
	s_cbranch_vccnz .LBB107_202
; %bb.199:                              ;   in Loop: Header=BB107_21 Depth=1
	s_mov_b64 s[14:15], exec
	v_readlane_b32 s6, v48, 2
	v_readlane_b32 s7, v48, 3
	s_and_b64 s[6:7], s[14:15], s[6:7]
	s_mov_b64 exec, s[6:7]
	s_cbranch_execz .LBB107_201
; %bb.200:                              ;   in Loop: Header=BB107_21 Depth=1
	v_mov_b32_e32 v2, s42
	ds_write_b32 v9, v2 offset:4108
.LBB107_201:                            ;   in Loop: Header=BB107_21 Depth=1
	s_or_b64 exec, exec, s[14:15]
	s_waitcnt lgkmcnt(0)
	s_barrier
.LBB107_202:                            ;   in Loop: Header=BB107_21 Depth=1
	s_lshl_b32 s6, 2, s43
	s_and_b32 s7, s74, s44
	s_or_b32 s6, s7, s6
	s_or_b32 s7, s13, s51
	s_mov_b64 s[14:15], 0
	s_mov_b32 s53, 8
.LBB107_203:                            ;   in Loop: Header=BB107_21 Depth=1
	s_andn2_b64 vcc, exec, s[14:15]
	s_cbranch_vccnz .LBB107_205
; %bb.204:                              ;   in Loop: Header=BB107_21 Depth=1
	s_sub_i32 s45, s45, s42
	s_mov_b64 s[14:15], -1
	s_mov_b32 s53, 0
	s_mov_b32 s6, s74
	;; [unrolled: 1-line block ×3, first 2 shown]
.LBB107_205:                            ;   in Loop: Header=BB107_21 Depth=1
	s_mov_b32 s13, s7
	s_mov_b32 s74, s6
	;; [unrolled: 1-line block ×3, first 2 shown]
	s_andn2_b64 vcc, exec, s[14:15]
	s_mov_b64 s[48:49], -1
	s_cbranch_vccz .LBB107_208
.LBB107_206:                            ;   in Loop: Header=BB107_21 Depth=1
                                        ; implicit-def: $sgpr14_sgpr15
                                        ; implicit-def: $sgpr42_sgpr43
                                        ; implicit-def: $sgpr40_sgpr41
	s_branch .LBB107_249
.LBB107_207:                            ;   in Loop: Header=BB107_21 Depth=1
	s_mov_b32 s53, 1
	s_andn2_b64 vcc, exec, s[14:15]
	s_mov_b64 s[48:49], -1
	s_cbranch_vccnz .LBB107_206
.LBB107_208:                            ;   in Loop: Header=BB107_21 Depth=1
	s_cmp_eq_u32 s50, 1
	s_cselect_b64 s[6:7], -1, 0
	s_cmp_eq_u32 s52, 1
	s_cselect_b64 s[8:9], -1, 0
	s_and_b64 s[38:39], s[6:7], s[8:9]
	s_mov_b64 s[44:45], -1
	s_and_b64 vcc, exec, s[38:39]
	s_cbranch_vccz .LBB107_220
; %bb.209:                              ;   in Loop: Header=BB107_21 Depth=1
	ds_read_b32 v2, v9 offset:4104
	s_waitcnt lgkmcnt(0)
	s_barrier
	v_readfirstlane_b32 s6, v2
	s_mov_b64 s[14:15], exec
	v_readlane_b32 s8, v48, 21
	v_readlane_b32 s9, v48, 22
	s_and_b64 s[8:9], s[14:15], s[8:9]
	s_mov_b64 exec, s[8:9]
	s_cbranch_execz .LBB107_211
; %bb.210:                              ;   in Loop: Header=BB107_21 Depth=1
	ds_write_b16 v18, v9
.LBB107_211:                            ;   in Loop: Header=BB107_21 Depth=1
	s_or_b64 exec, exec, s[14:15]
	s_or_b32 s74, s74, s51
	s_or_b32 s13, s13, s51
	s_cmp_eq_u32 s6, 0
	s_waitcnt lgkmcnt(0)
	s_barrier
	s_cbranch_scc1 .LBB107_221
; %bb.212:                              ;   in Loop: Header=BB107_21 Depth=1
	v_readlane_b32 s7, v48, 12
	s_add_i32 s7, s6, s7
	v_readlane_b32 s8, v48, 35
	s_mul_hi_u32 s8, s7, s8
	s_mul_i32 s8, s8, s62
	s_sub_i32 s8, s7, s8
	s_sub_i32 s9, s8, s62
	s_cmp_ge_u32 s8, s62
	s_cselect_b32 s8, s9, s8
	s_sub_i32 s9, s8, s62
	s_cmp_ge_u32 s8, s62
	s_cselect_b32 s8, s9, s8
	s_sub_i32 s7, s7, s8
	v_cmp_gt_u32_e32 vcc, s7, v0
	s_mov_b64 s[44:45], 0
                                        ; implicit-def: $vgpr31
	s_and_saveexec_b64 s[40:41], vcc
	s_cbranch_execz .LBB107_223
; %bb.213:                              ;   in Loop: Header=BB107_21 Depth=1
	s_mov_b64 s[42:43], 0
	v_mov_b32_e32 v2, v17
	v_mov_b32_e32 v3, v0
                                        ; implicit-def: $sgpr44_sgpr45
	s_branch .LBB107_215
.LBB107_214:                            ;   in Loop: Header=BB107_215 Depth=2
	s_or_b64 exec, exec, s[14:15]
	s_waitcnt lgkmcnt(0)
	s_barrier
	ds_read_b32 v4, v9 offset:3072
	v_add_u32_e32 v3, s62, v3
	v_cmp_le_u32_e64 s[14:15], s7, v3
	v_add_u32_e32 v2, s3, v2
	s_waitcnt lgkmcnt(0)
	v_cmp_ne_u16_e32 vcc, 0, v4
	s_or_b64 s[8:9], s[14:15], vcc
	s_and_b64 s[8:9], exec, s[8:9]
	s_or_b64 s[42:43], s[8:9], s[42:43]
	s_andn2_b64 s[8:9], s[44:45], exec
	s_and_b64 s[14:15], vcc, exec
	s_or_b64 s[44:45], s[8:9], s[14:15]
	s_barrier
	s_andn2_b64 exec, exec, s[42:43]
	s_cbranch_execz .LBB107_222
.LBB107_215:                            ;   Parent Loop BB107_21 Depth=1
                                        ; =>  This Inner Loop Header: Depth=2
	v_cmp_gt_u32_e32 vcc, s6, v3
	v_mov_b32_e32 v4, 0
	s_and_saveexec_b64 s[14:15], vcc
	s_cbranch_execz .LBB107_217
; %bb.216:                              ;   in Loop: Header=BB107_215 Depth=2
	ds_read_u16 v4, v2
.LBB107_217:                            ;   in Loop: Header=BB107_215 Depth=2
	s_or_b64 exec, exec, s[14:15]
	s_and_saveexec_b64 s[14:15], vcc
	s_cbranch_execz .LBB107_214
; %bb.218:                              ;   in Loop: Header=BB107_215 Depth=2
	s_waitcnt lgkmcnt(0)
	v_add_u32_sdwa v5, sext(v4), s0 dst_sel:DWORD dst_unused:UNUSED_PAD src0_sel:WORD_0 src1_sel:DWORD
	v_and_b32_e32 v5, s13, v5
	v_cmp_eq_u32_e32 vcc, s74, v5
	s_and_b64 exec, exec, vcc
	s_cbranch_execz .LBB107_214
; %bb.219:                              ;   in Loop: Header=BB107_215 Depth=2
	v_perm_b32 v4, v4, 1, v30
	ds_write_b32 v9, v4 offset:3072
	s_branch .LBB107_214
.LBB107_220:                            ;   in Loop: Header=BB107_21 Depth=1
                                        ; implicit-def: $sgpr14_sgpr15
                                        ; implicit-def: $sgpr42_sgpr43
                                        ; implicit-def: $sgpr40_sgpr41
	s_branch .LBB107_234
.LBB107_221:                            ;   in Loop: Header=BB107_21 Depth=1
	s_mov_b64 s[14:15], -1
	s_mov_b64 s[44:45], 0
                                        ; implicit-def: $sgpr40_sgpr41
                                        ; implicit-def: $vgpr31
	s_mov_b64 s[42:43], s[14:15]
	s_cbranch_execnz .LBB107_224
	s_branch .LBB107_234
.LBB107_222:                            ;   in Loop: Header=BB107_21 Depth=1
	s_or_b64 exec, exec, s[42:43]
	v_lshrrev_b32_e32 v31, 16, v4
	s_and_b64 s[44:45], s[44:45], exec
.LBB107_223:                            ;   in Loop: Header=BB107_21 Depth=1
	s_or_b64 exec, exec, s[40:41]
	s_mov_b64 s[40:41], -1
	s_mov_b64 s[14:15], 0
	s_mov_b64 s[42:43], s[14:15]
	s_branch .LBB107_234
.LBB107_224:                            ;   in Loop: Header=BB107_21 Depth=1
	s_mov_b64 s[44:45], 0
                                        ; implicit-def: $vgpr31
	s_mov_b64 s[40:41], exec
	v_readlane_b32 s6, v48, 36
	v_readlane_b32 s7, v48, 37
	s_and_b64 s[6:7], s[40:41], s[6:7]
	s_mov_b64 exec, s[6:7]
	s_cbranch_execz .LBB107_233
; %bb.225:                              ;   in Loop: Header=BB107_21 Depth=1
	s_mov_b64 s[42:43], 0
	v_mov_b32_e32 v8, v6
	v_mov_b32_e32 v2, v0
                                        ; implicit-def: $sgpr44_sgpr45
	s_branch .LBB107_227
.LBB107_226:                            ;   in Loop: Header=BB107_227 Depth=2
	s_or_b64 exec, exec, s[14:15]
	s_waitcnt lgkmcnt(0)
	s_barrier
	s_waitcnt vmcnt(0)
	ds_read_b32 v3, v9 offset:3072
	v_add_u32_e32 v2, s62, v2
	v_cmp_le_u32_e64 s[14:15], s72, v2
	v_add_u32_e32 v8, s77, v8
	s_waitcnt lgkmcnt(0)
	v_cmp_ne_u16_e32 vcc, 0, v3
	s_or_b64 s[6:7], s[14:15], vcc
	s_and_b64 s[6:7], exec, s[6:7]
	s_or_b64 s[42:43], s[6:7], s[42:43]
	s_andn2_b64 s[6:7], s[44:45], exec
	s_and_b64 s[8:9], vcc, exec
	s_or_b64 s[44:45], s[6:7], s[8:9]
	s_barrier
	s_andn2_b64 exec, exec, s[42:43]
	s_cbranch_execz .LBB107_232
.LBB107_227:                            ;   Parent Loop BB107_21 Depth=1
                                        ; =>  This Inner Loop Header: Depth=2
	v_cmp_gt_u32_e32 vcc, s56, v2
	v_mov_b32_e32 v3, 0
	s_and_saveexec_b64 s[46:47], vcc
	s_cbranch_execz .LBB107_229
; %bb.228:                              ;   in Loop: Header=BB107_227 Depth=2
	v_lshlrev_b64 v[4:5], 1, v[8:9]
	v_mov_b32_e32 v3, s60
	v_add_co_u32_e64 v4, s[14:15], s59, v4
	v_addc_co_u32_e64 v5, s[14:15], v3, v5, s[14:15]
	global_load_ushort v3, v[4:5], off
.LBB107_229:                            ;   in Loop: Header=BB107_227 Depth=2
	s_or_b64 exec, exec, s[46:47]
	s_and_saveexec_b64 s[14:15], vcc
	s_cbranch_execz .LBB107_226
; %bb.230:                              ;   in Loop: Header=BB107_227 Depth=2
	s_waitcnt vmcnt(0)
	v_add_u32_sdwa v4, sext(v3), s0 dst_sel:DWORD dst_unused:UNUSED_PAD src0_sel:WORD_0 src1_sel:DWORD
	v_and_b32_e32 v4, s13, v4
	v_cmp_eq_u32_e32 vcc, s74, v4
	s_and_b64 exec, exec, vcc
	s_cbranch_execz .LBB107_226
; %bb.231:                              ;   in Loop: Header=BB107_227 Depth=2
	v_perm_b32 v3, v3, 1, v30
	ds_write_b32 v9, v3 offset:3072
	s_branch .LBB107_226
.LBB107_232:                            ;   in Loop: Header=BB107_21 Depth=1
	s_or_b64 exec, exec, s[42:43]
	v_lshrrev_b32_e32 v31, 16, v3
	s_and_b64 s[44:45], s[44:45], exec
.LBB107_233:                            ;   in Loop: Header=BB107_21 Depth=1
	s_or_b64 exec, exec, s[40:41]
	s_mov_b64 s[42:43], -1
	s_mov_b64 s[14:15], 0
	s_mov_b64 s[40:41], 0
.LBB107_234:                            ;   in Loop: Header=BB107_21 Depth=1
	s_mov_b64 s[48:49], 0
                                        ; implicit-def: $sgpr53
	s_and_saveexec_b64 s[46:47], s[44:45]
	s_cbranch_execz .LBB107_248
; %bb.235:                              ;   in Loop: Header=BB107_21 Depth=1
	s_xor_b64 s[6:7], s[38:39], -1
	s_andn2_b64 vcc, exec, s[6:7]
	s_mov_b32 s53, 1
	s_cbranch_vccnz .LBB107_242
; %bb.236:                              ;   in Loop: Header=BB107_21 Depth=1
	s_cmp_gt_u32 s52, s50
	s_cbranch_scc1 .LBB107_243
; %bb.237:                              ;   in Loop: Header=BB107_21 Depth=1
	ds_read_b32 v2, v9 offset:4104
	s_waitcnt lgkmcnt(0)
	v_cmp_ne_u32_e32 vcc, 0, v2
	s_cbranch_vccnz .LBB107_241
; %bb.238:                              ;   in Loop: Header=BB107_21 Depth=1
	s_mov_b64 s[38:39], exec
	v_readlane_b32 s6, v48, 2
	v_readlane_b32 s7, v48, 3
	s_and_b64 s[6:7], s[38:39], s[6:7]
	s_mov_b64 exec, s[6:7]
	s_cbranch_execz .LBB107_240
; %bb.239:                              ;   in Loop: Header=BB107_21 Depth=1
	v_mov_b32_e32 v2, s50
	ds_write_b32 v9, v2 offset:4108
.LBB107_240:                            ;   in Loop: Header=BB107_21 Depth=1
	s_or_b64 exec, exec, s[38:39]
	s_waitcnt lgkmcnt(0)
	s_barrier
.LBB107_241:                            ;   in Loop: Header=BB107_21 Depth=1
	s_or_b32 s6, s74, s51
	s_or_b32 s7, s13, s51
	s_mov_b64 s[38:39], 0
	s_mov_b32 s53, 8
	s_branch .LBB107_244
.LBB107_242:                            ;   in Loop: Header=BB107_21 Depth=1
	s_mov_b32 s52, 1
	s_branch .LBB107_247
.LBB107_243:                            ;   in Loop: Header=BB107_21 Depth=1
	s_mov_b64 s[38:39], -1
                                        ; implicit-def: $sgpr53
                                        ; implicit-def: $sgpr6
                                        ; implicit-def: $sgpr7
.LBB107_244:                            ;   in Loop: Header=BB107_21 Depth=1
	s_andn2_b64 vcc, exec, s[38:39]
	s_cbranch_vccnz .LBB107_246
; %bb.245:                              ;   in Loop: Header=BB107_21 Depth=1
	s_sub_i32 s52, s52, s50
	s_mov_b32 s53, 8
	s_mov_b32 s6, s74
	;; [unrolled: 1-line block ×3, first 2 shown]
.LBB107_246:                            ;   in Loop: Header=BB107_21 Depth=1
	s_mov_b32 s74, s6
	s_mov_b32 s13, s7
.LBB107_247:                            ;   in Loop: Header=BB107_21 Depth=1
	s_mov_b64 s[48:49], exec
.LBB107_248:                            ;   in Loop: Header=BB107_21 Depth=1
	s_or_b64 exec, exec, s[46:47]
.LBB107_249:                            ;   in Loop: Header=BB107_21 Depth=1
	s_andn2_b64 s[6:7], s[28:29], exec
	s_and_b64 s[8:9], s[14:15], exec
	s_or_b64 s[28:29], s[6:7], s[8:9]
	s_andn2_b64 s[6:7], s[34:35], exec
	s_and_b64 s[8:9], s[42:43], exec
	s_or_b64 s[34:35], s[6:7], s[8:9]
	;; [unrolled: 3-line block ×3, first 2 shown]
	s_and_b64 s[40:41], s[48:49], exec
	s_mov_b32 s45, s52
.LBB107_250:                            ;   in Loop: Header=BB107_21 Depth=1
	s_or_b64 exec, exec, s[36:37]
.LBB107_251:                            ;   in Loop: Header=BB107_21 Depth=1
	s_andn2_b64 s[6:7], s[22:23], exec
	s_and_b64 s[8:9], s[28:29], exec
	s_or_b64 s[22:23], s[6:7], s[8:9]
	s_andn2_b64 s[6:7], s[24:25], exec
	s_and_b64 s[8:9], s[34:35], exec
	s_or_b64 s[24:25], s[6:7], s[8:9]
	;; [unrolled: 3-line block ×3, first 2 shown]
	s_and_b64 s[30:31], s[40:41], exec
	s_mov_b32 s35, s45
.LBB107_252:                            ;   in Loop: Header=BB107_21 Depth=1
	s_or_b64 exec, exec, s[26:27]
                                        ; implicit-def: $sgpr75
	s_and_saveexec_b64 s[6:7], s[30:31]
	s_xor_b64 s[14:15], exec, s[6:7]
	s_cbranch_execz .LBB107_19
.LBB107_253:                            ;   in Loop: Header=BB107_21 Depth=1
	s_and_b32 s6, s53, -9
	s_cmp_eq_u32 s6, 0
	s_cbranch_scc1 .LBB107_17
; %bb.254:                              ;   in Loop: Header=BB107_21 Depth=1
	s_mov_b64 s[18:19], -1
                                        ; implicit-def: $sgpr13
                                        ; implicit-def: $sgpr35
                                        ; implicit-def: $sgpr1
                                        ; implicit-def: $sgpr78
	s_mov_b64 s[26:27], -1
	s_branch .LBB107_18
.LBB107_255:
	s_or_b64 exec, exec, s[86:87]
	s_xor_b64 s[8:9], s[92:93], -1
	s_xor_b64 s[0:1], s[88:89], -1
	;; [unrolled: 1-line block ×3, first 2 shown]
	s_mov_b64 s[4:5], 0
	s_and_saveexec_b64 s[2:3], s[0:1]
	s_xor_b64 s[0:1], exec, s[2:3]
	s_cbranch_execnz .LBB107_260
; %bb.256:
	s_andn2_saveexec_b64 s[0:1], s[0:1]
	s_cbranch_execnz .LBB107_273
.LBB107_257:
	s_or_b64 exec, exec, s[0:1]
	s_and_saveexec_b64 s[0:1], s[4:5]
.LBB107_258:
	; divergent unreachable
.LBB107_259:
	s_endpgm
.LBB107_260:
	s_and_saveexec_b64 s[2:3], s[8:9]
	s_xor_b64 s[4:5], exec, s[2:3]
	s_cbranch_execz .LBB107_271
; %bb.261:
	s_and_saveexec_b64 s[2:3], s[6:7]
	s_xor_b64 s[6:7], exec, s[2:3]
; %bb.262:
	v_xor_b32_e32 v31, 0xffff8000, v2
; %bb.263:
	s_or_b64 exec, exec, s[6:7]
	v_readlane_b32 s2, v48, 0
	s_mul_i32 s2, s2, s33
	s_add_i32 s2, s2, s61
	s_mov_b32 s3, 0
	s_lshl_b64 s[2:3], s[2:3], 1
	v_readlane_b32 s6, v48, 4
	v_readlane_b32 s7, v48, 5
	s_add_u32 s2, s6, s2
	s_addc_u32 s3, s7, s3
	v_mov_b32_e32 v7, 0
	global_store_short v7, v31, s[2:3]
	s_mov_b64 s[6:7], exec
	v_readlane_b32 s2, v48, 8
	v_readlane_b32 s3, v48, 9
	s_and_b64 s[2:3], s[6:7], s[2:3]
	s_mov_b64 exec, s[2:3]
	s_cbranch_execz .LBB107_270
; %bb.264:
	s_mov_b64 s[2:3], 0
	v_mov_b32_e32 v1, s60
                                        ; implicit-def: $sgpr8_sgpr9
                                        ; implicit-def: $sgpr12_sgpr13
                                        ; implicit-def: $sgpr10_sgpr11
	s_branch .LBB107_266
.LBB107_265:                            ;   in Loop: Header=BB107_266 Depth=1
	s_or_b64 exec, exec, s[14:15]
	s_and_b64 s[14:15], exec, s[12:13]
	s_or_b64 s[2:3], s[14:15], s[2:3]
	s_andn2_b64 s[8:9], s[8:9], exec
	s_and_b64 s[14:15], s[10:11], exec
	s_or_b64 s[8:9], s[8:9], s[14:15]
	s_andn2_b64 exec, exec, s[2:3]
	s_cbranch_execz .LBB107_268
.LBB107_266:                            ; =>This Inner Loop Header: Depth=1
	v_lshlrev_b64 v[2:3], 1, v[6:7]
	v_add_co_u32_e32 v2, vcc, s59, v2
	v_addc_co_u32_e32 v3, vcc, v1, v3, vcc
	global_load_ushort v3, v[2:3], off
	v_mov_b32_e32 v2, v0
	s_or_b64 s[10:11], s[10:11], exec
	s_or_b64 s[12:13], s[12:13], exec
                                        ; implicit-def: $vgpr0
	s_waitcnt vmcnt(0)
	v_cmp_ne_u16_e32 vcc, v3, v31
	s_and_saveexec_b64 s[14:15], vcc
	s_cbranch_execz .LBB107_265
; %bb.267:                              ;   in Loop: Header=BB107_266 Depth=1
	v_add_u32_e32 v0, s62, v2
	v_cmp_le_u32_e32 vcc, s56, v0
	s_andn2_b64 s[12:13], s[12:13], exec
	s_and_b64 s[16:17], vcc, exec
	v_add_u32_e32 v6, s77, v6
	s_andn2_b64 s[10:11], s[10:11], exec
	s_or_b64 s[12:13], s[12:13], s[16:17]
	s_branch .LBB107_265
.LBB107_268:
	s_or_b64 exec, exec, s[2:3]
	s_and_saveexec_b64 s[2:3], s[8:9]
	s_xor_b64 s[2:3], exec, s[2:3]
	s_cbranch_execz .LBB107_270
; %bb.269:
	v_readlane_b32 s2, v48, 1
	s_mul_i32 s2, s2, s57
	s_add_i32 s2, s2, s63
	s_mov_b32 s3, 0
	s_lshl_b64 s[2:3], s[2:3], 3
	v_readlane_b32 s8, v48, 6
	v_readlane_b32 s9, v48, 7
	s_add_u32 s2, s8, s2
	s_addc_u32 s3, s9, s3
	v_mov_b32_e32 v3, 0
	global_store_dwordx2 v3, v[2:3], s[2:3]
.LBB107_270:
	s_or_b64 exec, exec, s[6:7]
.LBB107_271:
	s_or_saveexec_b64 s[2:3], s[4:5]
	s_mov_b64 s[4:5], 0
	s_xor_b64 exec, exec, s[2:3]
	s_cbranch_execnz .LBB107_274
.LBB107_272:
	s_or_b64 exec, exec, s[2:3]
	s_and_b64 s[4:5], s[4:5], exec
	s_andn2_saveexec_b64 s[0:1], s[0:1]
	s_cbranch_execz .LBB107_257
.LBB107_273:
	s_or_b64 s[4:5], s[4:5], exec
	s_trap 2
	s_or_b64 exec, exec, s[0:1]
	s_and_saveexec_b64 s[0:1], s[4:5]
	s_cbranch_execnz .LBB107_258
	s_branch .LBB107_259
.LBB107_274:
	s_mov_b64 s[4:5], exec
	s_trap 2
	s_branch .LBB107_272
	.section	.rodata,"a",@progbits
	.p2align	6, 0x0
	.amdhsa_kernel _ZN2at6native12_GLOBAL__N_112gatherMedianIsjLin1EEEvNS_4cuda6detail10TensorInfoIT_T0_EENS5_IlS7_EENS5_IKS6_S7_EES7_S7_S7_b
		.amdhsa_group_segment_fixed_size 4120
		.amdhsa_private_segment_fixed_size 0
		.amdhsa_kernarg_size 920
		.amdhsa_user_sgpr_count 6
		.amdhsa_user_sgpr_private_segment_buffer 1
		.amdhsa_user_sgpr_dispatch_ptr 0
		.amdhsa_user_sgpr_queue_ptr 0
		.amdhsa_user_sgpr_kernarg_segment_ptr 1
		.amdhsa_user_sgpr_dispatch_id 0
		.amdhsa_user_sgpr_flat_scratch_init 0
		.amdhsa_user_sgpr_kernarg_preload_length 0
		.amdhsa_user_sgpr_kernarg_preload_offset 0
		.amdhsa_user_sgpr_private_segment_size 0
		.amdhsa_uses_dynamic_stack 0
		.amdhsa_system_sgpr_private_segment_wavefront_offset 0
		.amdhsa_system_sgpr_workgroup_id_x 1
		.amdhsa_system_sgpr_workgroup_id_y 1
		.amdhsa_system_sgpr_workgroup_id_z 1
		.amdhsa_system_sgpr_workgroup_info 0
		.amdhsa_system_vgpr_workitem_id 0
		.amdhsa_next_free_vgpr 49
		.amdhsa_next_free_sgpr 96
		.amdhsa_accum_offset 52
		.amdhsa_reserve_vcc 1
		.amdhsa_reserve_flat_scratch 0
		.amdhsa_float_round_mode_32 0
		.amdhsa_float_round_mode_16_64 0
		.amdhsa_float_denorm_mode_32 3
		.amdhsa_float_denorm_mode_16_64 3
		.amdhsa_dx10_clamp 1
		.amdhsa_ieee_mode 1
		.amdhsa_fp16_overflow 0
		.amdhsa_tg_split 0
		.amdhsa_exception_fp_ieee_invalid_op 0
		.amdhsa_exception_fp_denorm_src 0
		.amdhsa_exception_fp_ieee_div_zero 0
		.amdhsa_exception_fp_ieee_overflow 0
		.amdhsa_exception_fp_ieee_underflow 0
		.amdhsa_exception_fp_ieee_inexact 0
		.amdhsa_exception_int_div_zero 0
	.end_amdhsa_kernel
	.section	.text._ZN2at6native12_GLOBAL__N_112gatherMedianIsjLin1EEEvNS_4cuda6detail10TensorInfoIT_T0_EENS5_IlS7_EENS5_IKS6_S7_EES7_S7_S7_b,"axG",@progbits,_ZN2at6native12_GLOBAL__N_112gatherMedianIsjLin1EEEvNS_4cuda6detail10TensorInfoIT_T0_EENS5_IlS7_EENS5_IKS6_S7_EES7_S7_S7_b,comdat
.Lfunc_end107:
	.size	_ZN2at6native12_GLOBAL__N_112gatherMedianIsjLin1EEEvNS_4cuda6detail10TensorInfoIT_T0_EENS5_IlS7_EENS5_IKS6_S7_EES7_S7_S7_b, .Lfunc_end107-_ZN2at6native12_GLOBAL__N_112gatherMedianIsjLin1EEEvNS_4cuda6detail10TensorInfoIT_T0_EENS5_IlS7_EENS5_IKS6_S7_EES7_S7_S7_b
                                        ; -- End function
	.section	.AMDGPU.csdata,"",@progbits
; Kernel info:
; codeLenInByte = 10488
; NumSgprs: 100
; NumVgprs: 49
; NumAgprs: 0
; TotalNumVgprs: 49
; ScratchSize: 0
; MemoryBound: 0
; FloatMode: 240
; IeeeMode: 1
; LDSByteSize: 4120 bytes/workgroup (compile time only)
; SGPRBlocks: 12
; VGPRBlocks: 6
; NumSGPRsForWavesPerEU: 100
; NumVGPRsForWavesPerEU: 49
; AccumOffset: 52
; Occupancy: 8
; WaveLimiterHint : 1
; COMPUTE_PGM_RSRC2:SCRATCH_EN: 0
; COMPUTE_PGM_RSRC2:USER_SGPR: 6
; COMPUTE_PGM_RSRC2:TRAP_HANDLER: 0
; COMPUTE_PGM_RSRC2:TGID_X_EN: 1
; COMPUTE_PGM_RSRC2:TGID_Y_EN: 1
; COMPUTE_PGM_RSRC2:TGID_Z_EN: 1
; COMPUTE_PGM_RSRC2:TIDIG_COMP_CNT: 0
; COMPUTE_PGM_RSRC3_GFX90A:ACCUM_OFFSET: 12
; COMPUTE_PGM_RSRC3_GFX90A:TG_SPLIT: 0
	.section	.text._ZN2at6native12_GLOBAL__N_112gatherMedianIsmLi1EEEvNS_4cuda6detail10TensorInfoIT_T0_EENS5_IlS7_EENS5_IKS6_S7_EES7_S7_S7_b,"axG",@progbits,_ZN2at6native12_GLOBAL__N_112gatherMedianIsmLi1EEEvNS_4cuda6detail10TensorInfoIT_T0_EENS5_IlS7_EENS5_IKS6_S7_EES7_S7_S7_b,comdat
	.globl	_ZN2at6native12_GLOBAL__N_112gatherMedianIsmLi1EEEvNS_4cuda6detail10TensorInfoIT_T0_EENS5_IlS7_EENS5_IKS6_S7_EES7_S7_S7_b ; -- Begin function _ZN2at6native12_GLOBAL__N_112gatherMedianIsmLi1EEEvNS_4cuda6detail10TensorInfoIT_T0_EENS5_IlS7_EENS5_IKS6_S7_EES7_S7_S7_b
	.p2align	8
	.type	_ZN2at6native12_GLOBAL__N_112gatherMedianIsmLi1EEEvNS_4cuda6detail10TensorInfoIT_T0_EENS5_IlS7_EENS5_IKS6_S7_EES7_S7_S7_b,@function
_ZN2at6native12_GLOBAL__N_112gatherMedianIsmLi1EEEvNS_4cuda6detail10TensorInfoIT_T0_EENS5_IlS7_EENS5_IKS6_S7_EES7_S7_S7_b: ; @_ZN2at6native12_GLOBAL__N_112gatherMedianIsmLi1EEEvNS_4cuda6detail10TensorInfoIT_T0_EENS5_IlS7_EENS5_IKS6_S7_EES7_S7_S7_b
; %bb.0:
	s_load_dwordx4 s[52:55], s[4:5], 0x4e0
	s_load_dwordx2 s[0:1], s[4:5], 0x500
	s_add_u32 s10, s4, 0x500
	s_addc_u32 s11, s5, 0
	s_mov_b32 s19, 0
	s_waitcnt lgkmcnt(0)
	v_mov_b32_e32 v2, s54
	s_mul_i32 s1, s1, s8
	s_add_i32 s1, s1, s7
	s_mul_i32 s1, s1, s0
	v_mov_b32_e32 v3, s55
	s_add_i32 s18, s1, s6
	v_cmp_ge_u64_e32 vcc, s[18:19], v[2:3]
	s_cbranch_vccnz .LBB108_280
; %bb.1:
	s_load_dwordx2 s[30:31], s[4:5], 0x4f0
	s_load_dwordx2 s[8:9], s[4:5], 0x410
	;; [unrolled: 1-line block ×3, first 2 shown]
	v_cmp_eq_u32_e64 s[14:15], 0, v0
	s_mov_b64 s[12:13], exec
                                        ; implicit-def: $vgpr48 : SGPR spill to VGPR lane
	v_writelane_b32 v48, s14, 0
	v_writelane_b32 v48, s15, 1
	s_and_b64 s[14:15], s[12:13], s[14:15]
	s_mov_b64 exec, s[14:15]
	s_cbranch_execz .LBB108_3
; %bb.2:
	v_mov_b32_e32 v2, 0
	v_mov_b32_e32 v3, v2
	ds_write_b64 v2, v[2:3] offset:5136
.LBB108_3:
	s_or_b64 exec, exec, s[12:13]
	s_load_dwordx2 s[12:13], s[4:5], 0x270
	v_mov_b32_e32 v13, 0
	s_waitcnt lgkmcnt(0)
	s_barrier
	v_writelane_b32 v48, s12, 2
	v_writelane_b32 v48, s13, 3
	s_load_dwordx2 s[12:13], s[4:5], 0x1a0
	s_waitcnt lgkmcnt(0)
	s_barrier
	ds_read_b64 v[2:3], v13 offset:5136
	v_writelane_b32 v48, s12, 4
	v_writelane_b32 v48, s13, 5
	s_load_dwordx2 s[12:13], s[4:5], 0xd0
	s_waitcnt lgkmcnt(0)
	v_writelane_b32 v48, s12, 6
	v_writelane_b32 v48, s13, 7
	s_load_dwordx2 s[12:13], s[4:5], 0x0
	s_waitcnt lgkmcnt(0)
	v_writelane_b32 v48, s12, 8
	v_writelane_b32 v48, s13, 9
	v_readfirstlane_b32 s12, v2
	v_readfirstlane_b32 s13, v3
	s_mov_b64 s[14:15], exec
	v_readlane_b32 s16, v48, 0
	v_readlane_b32 s17, v48, 1
	s_and_b64 s[16:17], s[14:15], s[16:17]
	s_mov_b64 exec, s[16:17]
	s_cbranch_execz .LBB108_5
; %bb.4:
	v_mov_b32_e32 v2, 0
	v_mov_b32_e32 v4, s52
	;; [unrolled: 1-line block ×4, first 2 shown]
	ds_write_b32 v2, v2 offset:5144
	ds_write_b128 v2, v[2:5] offset:5120
.LBB108_5:
	s_or_b64 exec, exec, s[14:15]
	s_load_dword s1, s[4:5], 0x4f8
	v_cmp_lt_i64_e64 s[4:5], s[12:13], 1
	s_mul_i32 s7, s9, s18
	v_mov_b32_e32 v1, 0
	v_mbcnt_lo_u32_b32 v2, -1, 0
	s_waitcnt lgkmcnt(0)
	s_bitcmp1_b32 s1, 0
	s_cselect_b64 s[14:15], -1, 0
	s_not_b64 s[12:13], s[12:13]
	s_or_b64 s[4:5], s[14:15], s[4:5]
	s_add_u32 s12, s12, s52
	s_addc_u32 s13, s13, s53
	s_lshr_b64 s[12:13], s[12:13], 1
	s_add_u32 s1, s12, 1
	s_addc_u32 s9, s13, 0
	s_and_b64 s[4:5], s[4:5], exec
	s_cselect_b32 s50, s1, s52
	s_mul_hi_u32 s1, s8, s18
	s_cselect_b32 s51, s9, s53
	s_add_i32 s5, s1, s7
	s_mov_b32 s4, s18
	v_writelane_b32 v48, s4, 10
	v_writelane_b32 v48, s5, 11
	s_mul_i32 s4, s8, s18
	s_lshl_b64 s[4:5], s[4:5], 1
	s_add_u32 s2, s2, s4
	s_addc_u32 s3, s3, s5
	v_cmp_gt_u64_e64 s[4:5], s[52:53], v[0:1]
	v_mbcnt_hi_u32_b32 v30, -1, v2
	v_writelane_b32 v48, s4, 12
	v_cmp_gt_u32_e32 vcc, 64, v0
	v_cmp_gt_i32_e64 s[8:9], 4, v30
	v_writelane_b32 v48, s5, 13
	s_and_b64 s[46:47], vcc, s[8:9]
	v_cmp_gt_u32_e64 s[8:9], 2, v0
	v_mov_b32_e32 v2, 0x600
	v_writelane_b32 v48, s8, 14
	v_mov_b32_e32 v3, 0
	s_barrier
	v_writelane_b32 v48, s9, 15
	v_cmp_gt_u64_e64 s[8:9], s[52:53], v[2:3]
	s_load_dword s1, s[10:11], 0xc
	v_writelane_b32 v48, s8, 16
	v_writelane_b32 v48, s9, 17
	v_mad_u64_u32 v[2:3], s[8:9], v0, s30, 0
	v_mov_b32_e32 v4, v3
	v_mad_u64_u32 v[4:5], s[8:9], v0, s31, v[4:5]
	s_waitcnt lgkmcnt(0)
	s_and_b32 s33, s1, 0xffff
	s_bfe_u32 s7, s1, 0xa0006
	v_cmp_gt_u16_e64 s[8:9], s1, 63
	v_writelane_b32 v48, s8, 18
	s_add_u32 s1, s33, -1
	v_writelane_b32 v48, s9, 19
	s_addc_u32 s8, 0, -1
	s_add_u32 s79, s1, s52
	s_addc_u32 s49, s8, s53
	s_cmp_lt_u32 s6, s0
	s_cselect_b32 s0, 12, 18
	s_add_u32 s68, s10, s0
	s_addc_u32 s69, s11, 0
	s_add_i32 s0, s7, -1
	s_bfe_u32 s6, s33, 0x30006
	v_writelane_b32 v48, s1, 20
	s_cmp_gt_u32 s0, 6
	v_writelane_b32 v48, s8, 21
	s_cselect_b64 s[0:1], -1, 0
	v_mov_b32_e32 v3, v4
	v_writelane_b32 v48, s0, 22
	s_and_b32 s86, s7, 0x3f8
	v_lshlrev_b64 v[4:5], 1, v[2:3]
	v_writelane_b32 v48, s1, 23
	s_cmp_lg_u32 s6, 0
	v_add_co_u32_e32 v10, vcc, s2, v4
	v_lshrrev_b32_e32 v4, 4, v0
	v_writelane_b32 v48, s6, 24
	s_cselect_b64 s[0:1], -1, 0
	v_mov_b32_e32 v6, s3
	v_and_b32_e32 v33, 60, v4
	v_lshlrev_b32_e32 v4, 2, v30
	v_writelane_b32 v48, s0, 25
	v_addc_co_u32_e32 v11, vcc, v6, v5, vcc
	v_and_b32_e32 v34, 0x100, v4
	v_lshlrev_b64 v[4:5], v30, -1
	v_writelane_b32 v48, s1, 26
	s_lshl_b64 s[0:1], s[30:31], 1
	v_lshlrev_b32_e32 v35, 3, v0
	v_not_b32_e32 v17, v5
	v_writelane_b32 v48, s0, 27
	v_or_b32_e32 v5, 6, v35
	v_writelane_b32 v48, s1, 28
	v_mad_u64_u32 v[18:19], s[0:1], s30, v5, 0
	v_not_b32_e32 v16, v4
	v_mov_b32_e32 v4, v19
	v_mad_u64_u32 v[4:5], s[0:1], s31, v5, v[4:5]
	s_lshl_b64 s[0:1], s[30:31], 3
	v_writelane_b32 v48, s0, 29
	v_or_b32_e32 v5, 4, v35
	v_writelane_b32 v48, s1, 30
	v_mad_u64_u32 v[20:21], s[0:1], s30, v5, 0
	v_mov_b32_e32 v19, v4
	v_mov_b32_e32 v4, v21
	v_mad_u64_u32 v[4:5], s[0:1], s31, v5, v[4:5]
	v_or_b32_e32 v5, 2, v35
	v_writelane_b32 v48, s46, 31
	v_cmp_eq_u32_e64 s[4:5], 0, v30
	v_mad_u64_u32 v[22:23], s[0:1], s30, v5, 0
	v_writelane_b32 v48, s47, 32
	v_mov_b32_e32 v21, v4
	v_mov_b32_e32 v4, v23
	v_writelane_b32 v48, s4, 33
	v_mad_u64_u32 v[4:5], s[0:1], s31, v5, v[4:5]
	v_writelane_b32 v48, s5, 34
	s_mul_i32 s0, s31, s33
	s_mul_hi_u32 s1, s30, s33
	v_writelane_b32 v48, s68, 35
	s_mov_b32 s71, 0
	v_lshlrev_b32_e32 v31, 1, v0
	v_lshlrev_b64 v[24:25], 3, v[2:3]
	v_mov_b32_e32 v2, 0xc00
	s_add_i32 s1, s1, s0
	s_mul_i32 s0, s30, s33
	v_writelane_b32 v48, s69, 36
	v_add_u32_e32 v32, 0xc00, v31
	v_lshlrev_b32_e32 v14, 2, v0
	v_mov_b32_e32 v15, v1
	s_mov_b32 s88, s71
	v_mov_b32_e32 v23, v4
	v_lshl_or_b32 v36, v30, 3, v2
	s_lshl_b32 s87, s33, 1
	s_lshl_b64 s[66:67], s[0:1], 1
	s_mov_b32 s73, 14
	s_mov_b64 s[90:91], 0
	s_mov_b32 s72, 0x8000
	v_mov_b32_e32 v37, 0x4f800000
	v_mov_b32_e32 v38, 0x5040100
	v_mov_b32_e32 v39, 0
	s_mov_b32 s74, 0
	s_mov_b32 s80, 0
	s_mov_b32 s81, 0
	v_writelane_b32 v48, s30, 37
                                        ; implicit-def: $sgpr36_sgpr37
                                        ; implicit-def: $sgpr64_sgpr65
                                        ; implicit-def: $sgpr38_sgpr39
                                        ; implicit-def: $sgpr60_sgpr61
                                        ; implicit-def: $sgpr62_sgpr63
                                        ; implicit-def: $sgpr94_sgpr95
	v_writelane_b32 v48, s31, 38
	s_branch .LBB108_10
.LBB108_6:                              ;   in Loop: Header=BB108_10 Depth=1
	s_xor_b32 s74, s74, 1
	s_add_i32 s10, s73, -2
	s_cmp_eq_u32 s73, 0
	s_mov_b64 s[6:7], 0
	s_cselect_b64 s[8:9], -1, 0
	s_mov_b32 s73, s10
.LBB108_7:                              ;   in Loop: Header=BB108_10 Depth=1
	s_andn2_b64 s[10:11], s[20:21], exec
	s_and_b64 s[6:7], s[6:7], exec
	s_or_b64 s[20:21], s[10:11], s[6:7]
	s_andn2_b64 s[22:23], s[22:23], exec
	s_andn2_b64 s[18:19], s[18:19], exec
	s_orn2_b64 s[14:15], s[8:9], exec
.LBB108_8:                              ;   in Loop: Header=BB108_10 Depth=1
	s_or_b64 exec, exec, s[0:1]
	s_andn2_b64 s[0:1], s[94:95], exec
	s_and_b64 s[6:7], s[20:21], exec
	s_or_b64 s[94:95], s[0:1], s[6:7]
	s_andn2_b64 s[0:1], s[62:63], exec
	s_and_b64 s[6:7], s[22:23], exec
	s_or_b64 s[62:63], s[0:1], s[6:7]
	;; [unrolled: 3-line block ×3, first 2 shown]
	s_orn2_b64 s[18:19], s[14:15], exec
.LBB108_9:                              ;   in Loop: Header=BB108_10 Depth=1
	s_or_b64 exec, exec, s[12:13]
	s_and_b64 s[0:1], exec, s[18:19]
	s_or_b64 s[90:91], s[0:1], s[90:91]
	s_andn2_b64 s[0:1], s[38:39], exec
	s_and_b64 s[6:7], s[94:95], exec
	s_or_b64 s[38:39], s[0:1], s[6:7]
	s_andn2_b64 s[0:1], s[64:65], exec
	s_and_b64 s[6:7], s[62:63], exec
	;; [unrolled: 3-line block ×3, first 2 shown]
	v_mov_b32_e32 v2, s80
	s_or_b64 s[36:37], s[0:1], s[6:7]
	s_andn2_b64 exec, exec, s[90:91]
	s_cbranch_execz .LBB108_276
.LBB108_10:                             ; =>This Loop Header: Depth=1
                                        ;     Child Loop BB108_15 Depth 2
                                        ;     Child Loop BB108_30 Depth 2
	;; [unrolled: 1-line block ×16, first 2 shown]
	ds_read_b128 v[2:5], v13 offset:5120
	s_waitcnt lgkmcnt(0)
	v_readfirstlane_b32 s83, v3
	v_readfirstlane_b32 s82, v2
	s_cmp_lg_u64 s[82:83], 0
	s_cbranch_scc1 .LBB108_37
; %bb.11:                               ;   in Loop: Header=BB108_10 Depth=1
	v_readlane_b32 s0, v48, 16
	v_readlane_b32 s1, v48, 17
	s_and_b64 vcc, exec, s[0:1]
	s_cbranch_vccz .LBB108_23
; %bb.12:                               ;   in Loop: Header=BB108_10 Depth=1
	s_mov_b64 s[0:1], 0x601
	v_cmp_gt_u64_e32 vcc, s[0:1], v[4:5]
	s_mov_b64 s[82:83], 0
	s_mov_b64 s[0:1], 0
	s_cbranch_vccz .LBB108_24
; %bb.13:                               ;   in Loop: Header=BB108_10 Depth=1
	global_load_ushort v6, v13, s[68:69]
	global_load_ushort v7, v[10:11], off
	v_readlane_b32 s10, v48, 27
	v_pk_mov_b32 v[2:3], s[2:3], s[2:3] op_sel:[0,1]
	v_readlane_b32 s11, v48, 28
	s_waitcnt vmcnt(1)
	v_readfirstlane_b32 s6, v6
	s_and_b32 s6, 0xffff, s6
	v_add_u32_e32 v5, s6, v0
	s_mul_i32 s8, s11, s6
	s_mul_hi_u32 s9, s10, s6
	s_mul_i32 s16, s10, s6
	v_mad_u64_u32 v[2:3], s[6:7], s10, v5, v[2:3]
	v_mov_b32_e32 v4, v3
	v_mad_u64_u32 v[4:5], s[6:7], s11, v5, v[4:5]
	s_add_i32 s17, s9, s8
	v_mov_b32_e32 v3, v4
	v_pk_mov_b32 v[4:5], v[0:1], v[0:1] op_sel:[0,1]
	s_branch .LBB108_15
.LBB108_14:                             ;   in Loop: Header=BB108_15 Depth=2
	s_or_b64 exec, exec, s[6:7]
	v_mov_b32_e32 v7, s17
	v_add_co_u32_e32 v2, vcc, s16, v2
	v_addc_co_u32_e32 v3, vcc, v3, v7, vcc
	v_mov_b32_e32 v7, v8
	s_andn2_b64 exec, exec, s[0:1]
	s_cbranch_execz .LBB108_140
.LBB108_15:                             ;   Parent Loop BB108_10 Depth=1
                                        ; =>  This Inner Loop Header: Depth=2
	v_add_co_u32_sdwa v4, vcc, v4, v6 dst_sel:DWORD dst_unused:UNUSED_PAD src0_sel:DWORD src1_sel:WORD_0
	v_addc_co_u32_e32 v5, vcc, 0, v5, vcc
	v_cmp_gt_u64_e64 s[6:7], s[52:53], v[4:5]
	v_cmp_le_u64_e32 vcc, s[52:53], v[4:5]
	s_waitcnt lgkmcnt(0)
	v_mov_b32_e32 v9, 0
	v_mov_b32_e32 v8, 0
	s_and_saveexec_b64 s[8:9], s[6:7]
	s_cbranch_execz .LBB108_17
; %bb.16:                               ;   in Loop: Header=BB108_15 Depth=2
	global_load_ushort v8, v[2:3], off
.LBB108_17:                             ;   in Loop: Header=BB108_15 Depth=2
	s_or_b64 exec, exec, s[8:9]
	s_waitcnt vmcnt(0)
	v_add_u32_sdwa v12, sext(v7), s72 dst_sel:DWORD dst_unused:UNUSED_PAD src0_sel:WORD_0 src1_sel:DWORD
	v_and_b32_e32 v12, s81, v12
	v_cmp_eq_u32_e64 s[10:11], s80, v12
	s_cmp_lg_u64 s[10:11], 0
	s_cselect_b64 s[6:7], -1, 0
	s_and_b64 s[6:7], s[4:5], s[6:7]
	s_and_saveexec_b64 s[8:9], s[6:7]
	s_cbranch_execz .LBB108_21
; %bb.18:                               ;   in Loop: Header=BB108_15 Depth=2
	s_mov_b64 s[14:15], exec
	v_mbcnt_lo_u32_b32 v9, s14, 0
	v_mbcnt_hi_u32_b32 v9, s15, v9
	s_bcnt1_i32_b64 s18, s[10:11]
	v_cmp_eq_u32_e64 s[6:7], 0, v9
                                        ; implicit-def: $vgpr12
	s_and_saveexec_b64 s[12:13], s[6:7]
	s_cbranch_execz .LBB108_20
; %bb.19:                               ;   in Loop: Header=BB108_15 Depth=2
	s_bcnt1_i32_b64 s6, s[14:15]
	s_mul_i32 s6, s18, s6
	v_mov_b32_e32 v12, s6
	ds_add_rtn_u32 v12, v13, v12 offset:5144
.LBB108_20:                             ;   in Loop: Header=BB108_15 Depth=2
	s_or_b64 exec, exec, s[12:13]
	s_waitcnt lgkmcnt(0)
	v_readfirstlane_b32 s6, v12
	v_mov_b32_e32 v12, s6
	v_mad_u32_u24 v9, s18, v9, v12
.LBB108_21:                             ;   in Loop: Header=BB108_15 Depth=2
	s_or_b64 exec, exec, s[8:9]
	ds_bpermute_b32 v9, v34, v9
	s_and_b64 s[6:7], exec, vcc
	s_or_b64 s[0:1], s[6:7], s[0:1]
	s_and_saveexec_b64 s[6:7], s[10:11]
	s_cbranch_execz .LBB108_14
; %bb.22:                               ;   in Loop: Header=BB108_15 Depth=2
	v_and_b32_e32 v26, s10, v16
	v_and_b32_e32 v12, s11, v17
	v_bcnt_u32_b32 v26, v26, 0
	v_bcnt_u32_b32 v12, v12, v26
	v_lshlrev_b32_e32 v12, 1, v12
	s_waitcnt lgkmcnt(0)
	v_lshl_add_u32 v9, v9, 1, v12
	ds_write_b16 v9, v7
	s_branch .LBB108_14
.LBB108_23:                             ;   in Loop: Header=BB108_10 Depth=1
	s_mov_b64 s[82:83], -1
	s_mov_b64 s[0:1], 0
.LBB108_24:                             ;   in Loop: Header=BB108_10 Depth=1
	s_and_b64 vcc, exec, s[82:83]
	s_cbranch_vccz .LBB108_35
.LBB108_25:                             ;   in Loop: Header=BB108_10 Depth=1
	v_mov_b32_e32 v6, 0
	s_mov_b64 s[0:1], exec
	v_readlane_b32 s6, v48, 12
	v_readlane_b32 s7, v48, 13
	s_and_b64 s[6:7], s[0:1], s[6:7]
	s_mov_b64 exec, s[6:7]
	s_cbranch_execz .LBB108_27
; %bb.26:                               ;   in Loop: Header=BB108_10 Depth=1
	global_load_ushort v6, v[10:11], off
.LBB108_27:                             ;   in Loop: Header=BB108_10 Depth=1
	s_or_b64 exec, exec, s[0:1]
	s_mov_b64 s[0:1], exec
	v_readlane_b32 s6, v48, 12
	v_readlane_b32 s7, v48, 13
	s_and_b64 s[6:7], s[0:1], s[6:7]
	s_mov_b64 exec, s[6:7]
	s_cbranch_execz .LBB108_32
; %bb.28:                               ;   in Loop: Header=BB108_10 Depth=1
	global_load_ushort v7, v13, s[68:69]
	v_readlane_b32 s14, v48, 27
	v_pk_mov_b32 v[2:3], s[2:3], s[2:3] op_sel:[0,1]
	v_readlane_b32 s15, v48, 28
	s_mov_b64 s[8:9], 0
	v_mov_b32_e32 v8, v31
	s_waitcnt vmcnt(0)
	v_readfirstlane_b32 s6, v7
	s_and_b32 s6, 0xffff, s6
	v_add_u32_e32 v5, s6, v0
	s_lshl_b32 s12, s6, 1
	s_mul_i32 s10, s15, s6
	s_mul_hi_u32 s11, s14, s6
	s_mul_i32 s13, s14, s6
	v_mad_u64_u32 v[2:3], s[6:7], s14, v5, v[2:3]
	v_mov_b32_e32 v4, v3
	v_mad_u64_u32 v[4:5], s[6:7], s15, v5, v[4:5]
	s_add_i32 s14, s11, s10
	v_mov_b32_e32 v3, v4
	v_pk_mov_b32 v[4:5], v[0:1], v[0:1] op_sel:[0,1]
	s_branch .LBB108_30
.LBB108_29:                             ;   in Loop: Header=BB108_30 Depth=2
	s_or_b64 exec, exec, s[10:11]
	s_and_b64 s[6:7], exec, vcc
	ds_write_b16 v8, v6
	v_mov_b32_e32 v6, s14
	v_add_co_u32_e32 v2, vcc, s13, v2
	s_or_b64 s[8:9], s[6:7], s[8:9]
	v_add_u32_e32 v8, s12, v8
	v_addc_co_u32_e32 v3, vcc, v3, v6, vcc
	s_waitcnt vmcnt(0)
	v_mov_b32_e32 v6, v9
	s_andn2_b64 exec, exec, s[8:9]
	s_cbranch_execz .LBB108_32
.LBB108_30:                             ;   Parent Loop BB108_10 Depth=1
                                        ; =>  This Inner Loop Header: Depth=2
	v_add_co_u32_sdwa v4, vcc, v4, v7 dst_sel:DWORD dst_unused:UNUSED_PAD src0_sel:DWORD src1_sel:WORD_0
	v_addc_co_u32_e32 v5, vcc, 0, v5, vcc
	v_cmp_gt_u64_e64 s[6:7], s[52:53], v[4:5]
	v_cmp_le_u64_e32 vcc, s[52:53], v[4:5]
	v_mov_b32_e32 v9, 0
	s_and_saveexec_b64 s[10:11], s[6:7]
	s_cbranch_execz .LBB108_29
; %bb.31:                               ;   in Loop: Header=BB108_30 Depth=2
	global_load_ushort v9, v[2:3], off
	s_branch .LBB108_29
.LBB108_32:                             ;   in Loop: Header=BB108_10 Depth=1
	s_or_b64 exec, exec, s[0:1]
	s_waitcnt lgkmcnt(0)
	s_barrier
	s_mov_b64 s[0:1], exec
	v_readlane_b32 s6, v48, 0
	v_readlane_b32 s7, v48, 1
	s_and_b64 s[6:7], s[0:1], s[6:7]
	s_mov_b64 exec, s[6:7]
	s_cbranch_execz .LBB108_34
; %bb.33:                               ;   in Loop: Header=BB108_10 Depth=1
	v_pk_mov_b32 v[2:3], s[52:53], s[52:53] op_sel:[0,1]
	ds_write_b64 v13, v[2:3] offset:5120
.LBB108_34:                             ;   in Loop: Header=BB108_10 Depth=1
	s_or_b64 exec, exec, s[0:1]
	s_mov_b64 s[0:1], -1
	s_waitcnt lgkmcnt(0)
	s_barrier
                                        ; implicit-def: $sgpr82_sgpr83
.LBB108_35:                             ;   in Loop: Header=BB108_10 Depth=1
	s_and_b64 vcc, exec, s[0:1]
	s_cbranch_vccz .LBB108_37
; %bb.36:                               ;   in Loop: Header=BB108_10 Depth=1
	ds_read_b64 v[2:3], v13 offset:5120
	s_waitcnt lgkmcnt(0)
	v_readfirstlane_b32 s82, v2
.LBB108_37:                             ;   in Loop: Header=BB108_10 Depth=1
	s_cmp_lt_i32 s82, 1
	s_cbranch_scc0 .LBB108_52
; %bb.38:                               ;   in Loop: Header=BB108_10 Depth=1
	global_load_ushort v2, v13, s[68:69]
	s_mov_b32 s0, s71
	s_waitcnt vmcnt(0)
	v_readfirstlane_b32 s1, v2
	s_and_b32 s70, s1, 0xffff
	s_lshl_b32 s78, s70, 2
	s_mov_b32 s1, s53
	s_cmp_lg_u64 s[0:1], 0
	s_cbranch_scc0 .LBB108_72
; %bb.39:                               ;   in Loop: Header=BB108_10 Depth=1
	v_cvt_f32_u32_e32 v2, s78
	s_sub_u32 s0, 0, s78
	s_subb_u32 s1, 0, 0
	v_mac_f32_e32 v2, 0, v37
	v_rcp_f32_e32 v2, v2
	v_mul_f32_e32 v2, 0x5f7ffffc, v2
	v_mul_f32_e32 v3, 0x2f800000, v2
	v_trunc_f32_e32 v3, v3
	v_mac_f32_e32 v2, 0xcf800000, v3
	v_cvt_u32_f32_e32 v3, v3
	v_cvt_u32_f32_e32 v2, v2
	v_readfirstlane_b32 s6, v3
	v_readfirstlane_b32 s7, v2
	s_mul_i32 s8, s0, s6
	s_mul_hi_u32 s10, s0, s7
	s_mul_i32 s9, s1, s7
	s_add_i32 s8, s10, s8
	s_mul_i32 s11, s0, s7
	s_add_i32 s8, s8, s9
	s_mul_hi_u32 s10, s7, s11
	s_mul_hi_u32 s9, s7, s8
	s_mul_i32 s7, s7, s8
	s_add_u32 s7, s10, s7
	s_addc_u32 s9, 0, s9
	s_mul_hi_u32 s12, s6, s11
	s_mul_i32 s11, s6, s11
	s_add_u32 s7, s7, s11
	s_mul_hi_u32 s10, s6, s8
	s_addc_u32 s7, s9, s12
	s_addc_u32 s9, s10, 0
	s_mul_i32 s8, s6, s8
	s_add_u32 s7, s7, s8
	s_addc_u32 s8, 0, s9
	v_add_co_u32_e32 v2, vcc, s7, v2
	s_cmp_lg_u64 vcc, 0
	s_addc_u32 s6, s6, s8
	v_readfirstlane_b32 s8, v2
	s_mul_i32 s7, s0, s6
	s_mul_hi_u32 s9, s0, s8
	s_add_i32 s7, s9, s7
	s_mul_i32 s1, s1, s8
	s_add_i32 s7, s7, s1
	s_mul_i32 s0, s0, s8
	s_mul_hi_u32 s9, s6, s0
	s_mul_i32 s10, s6, s0
	s_mul_i32 s12, s8, s7
	s_mul_hi_u32 s0, s8, s0
	s_mul_hi_u32 s11, s8, s7
	s_add_u32 s0, s0, s12
	s_addc_u32 s8, 0, s11
	s_add_u32 s0, s0, s10
	s_mul_hi_u32 s1, s6, s7
	s_addc_u32 s0, s8, s9
	s_addc_u32 s1, s1, 0
	s_mul_i32 s7, s6, s7
	s_add_u32 s0, s0, s7
	s_addc_u32 s1, 0, s1
	v_add_co_u32_e32 v2, vcc, s0, v2
	s_cmp_lg_u64 vcc, 0
	s_addc_u32 s0, s6, s1
	v_readfirstlane_b32 s7, v2
	s_mul_i32 s6, s52, s0
	s_mul_hi_u32 s8, s52, s7
	s_mul_hi_u32 s1, s52, s0
	s_add_u32 s6, s8, s6
	s_addc_u32 s1, 0, s1
	s_mul_hi_u32 s9, s53, s7
	s_mul_i32 s7, s53, s7
	s_add_u32 s6, s6, s7
	s_mul_hi_u32 s8, s53, s0
	s_addc_u32 s1, s1, s9
	s_addc_u32 s6, s8, 0
	s_mul_i32 s0, s53, s0
	s_add_u32 s0, s1, s0
	s_addc_u32 s1, 0, s6
	s_mul_hi_u32 s6, s78, s0
	s_mul_i32 s0, s78, s0
	s_mul_i32 s1, s78, s1
	v_mov_b32_e32 v2, s0
	s_add_i32 s6, s6, s1
	v_sub_co_u32_e32 v2, vcc, s52, v2
	s_cmp_lg_u64 vcc, 0
	s_subb_u32 s0, s53, s6
	v_subrev_co_u32_e32 v3, vcc, s78, v2
	s_cmp_lg_u64 vcc, 0
	s_subb_u32 s1, s0, 0
	v_subrev_co_u32_e32 v4, vcc, s78, v3
	s_cmp_lg_u64 vcc, 0
	s_subb_u32 s6, s1, 0
	v_cmp_le_u32_e32 vcc, s78, v3
	s_cmp_eq_u32 s1, 0
	v_cndmask_b32_e64 v5, 0, -1, vcc
	s_cselect_b64 vcc, -1, 0
	v_cndmask_b32_e32 v5, -1, v5, vcc
	v_mov_b32_e32 v6, s1
	v_mov_b32_e32 v7, s6
	v_cmp_ne_u32_e32 vcc, 0, v5
	v_cndmask_b32_e32 v5, v6, v7, vcc
	v_cndmask_b32_e32 v4, v3, v4, vcc
	v_cmp_le_u32_e32 vcc, s78, v2
	s_cmp_eq_u32 s0, 0
	v_cndmask_b32_e64 v3, 0, -1, vcc
	s_cselect_b64 vcc, -1, 0
	v_cndmask_b32_e32 v3, -1, v3, vcc
	v_mov_b32_e32 v6, s0
	v_cmp_ne_u32_e32 vcc, 0, v3
	v_cndmask_b32_e32 v3, v6, v5, vcc
	v_cndmask_b32_e32 v2, v2, v4, vcc
	s_cbranch_execnz .LBB108_41
.LBB108_40:                             ;   in Loop: Header=BB108_10 Depth=1
	v_cvt_f32_u32_e32 v2, s78
	s_sub_i32 s0, 0, s78
	v_rcp_iflag_f32_e32 v2, v2
	v_mul_f32_e32 v2, 0x4f7ffffe, v2
	v_cvt_u32_f32_e32 v2, v2
	v_mul_lo_u32 v3, s0, v2
	v_mul_hi_u32 v3, v2, v3
	v_add_u32_e32 v2, v2, v3
	v_mul_hi_u32 v2, s52, v2
	v_mul_lo_u32 v2, v2, s78
	v_sub_u32_e32 v2, s52, v2
	v_subrev_u32_e32 v3, s78, v2
	v_cmp_le_u32_e32 vcc, s78, v2
	v_cndmask_b32_e32 v2, v2, v3, vcc
	v_subrev_u32_e32 v3, s78, v2
	v_cmp_le_u32_e32 vcc, s78, v2
	v_cndmask_b32_e32 v12, v2, v3, vcc
	v_pk_mov_b32 v[2:3], v[12:13], v[12:13] op_sel:[0,1]
.LBB108_41:                             ;   in Loop: Header=BB108_10 Depth=1
	v_mov_b32_e32 v4, s53
	v_sub_co_u32_e32 v26, vcc, s52, v2
	v_subb_co_u32_e32 v27, vcc, v4, v3, vcc
	v_pk_mov_b32 v[2:3], 0, 0
	v_cmp_gt_u64_e32 vcc, v[26:27], v[14:15]
	s_mov_b64 s[54:55], 0
	v_pk_mov_b32 v[4:5], v[2:3], v[2:3] op_sel:[0,1]
	v_pk_mov_b32 v[6:7], v[2:3], v[2:3] op_sel:[0,1]
	;; [unrolled: 1-line block ×3, first 2 shown]
	s_and_saveexec_b64 s[84:85], vcc
	s_cbranch_execz .LBB108_45
; %bb.42:                               ;   in Loop: Header=BB108_10 Depth=1
	v_readlane_b32 s6, v48, 29
	v_readlane_b32 s7, v48, 30
	s_mul_i32 s0, s7, s70
	s_mul_hi_u32 s1, s6, s70
	s_mov_b64 s[58:59], s[38:39]
	s_mov_b64 s[56:57], s[36:37]
	;; [unrolled: 1-line block ×4, first 2 shown]
	s_mov_b32 s60, s74
	s_mov_b64 s[4:5], s[50:51]
	s_mov_b32 s75, s49
	s_mov_b32 s74, s73
	s_and_b32 s83, s73, 0xfe
	s_add_i32 s89, s1, s0
	s_mul_i32 s73, s6, s70
	s_mov_b64 s[68:69], s[2:3]
	s_mov_b64 s[8:9], 0
	;; [unrolled: 1-line block ×5, first 2 shown]
	v_pk_mov_b32 v[28:29], v[14:15], v[14:15] op_sel:[0,1]
.LBB108_43:                             ;   Parent Loop BB108_10 Depth=1
                                        ; =>  This Inner Loop Header: Depth=2
	v_add_co_u32_e64 v28, s[6:7], s78, v28
	v_addc_co_u32_e64 v29, s[6:7], 0, v29, s[6:7]
	v_mov_b32_e32 v7, s69
	v_add_co_u32_e32 v2, vcc, s68, v22
	v_add_co_u32_e64 v8, s[6:7], s68, v24
	v_add_co_u32_e64 v4, s[10:11], s68, v20
	v_add_co_u32_e64 v6, s[12:13], s68, v18
	v_addc_co_u32_e64 v9, s[6:7], v7, v25, s[6:7]
	v_addc_co_u32_e32 v3, vcc, v7, v23, vcc
	v_addc_co_u32_e64 v5, vcc, v7, v21, s[10:11]
	v_addc_co_u32_e64 v7, vcc, v7, v19, s[12:13]
	global_load_sshort v8, v[8:9], off
	s_nop 0
	global_load_sshort v2, v[2:3], off
	s_nop 0
	;; [unrolled: 2-line block ×3, first 2 shown]
	global_load_sshort v4, v[6:7], off
	v_cmp_ge_u64_e32 vcc, v[28:29], v[26:27]
	s_waitcnt vmcnt(3)
	v_add_u32_e32 v5, 0x8000, v8
	s_waitcnt vmcnt(2)
	v_add_u32_e32 v2, 0x8000, v2
	v_and_b32_e32 v6, s81, v5
	v_bfe_u32 v5, v5, s83, 2
	s_waitcnt vmcnt(1)
	v_add_u32_e32 v3, 0x8000, v3
	v_and_b32_e32 v7, s81, v2
	v_bfe_u32 v2, v2, s83, 2
	v_cmp_eq_u32_e64 s[16:17], s80, v6
	v_cmp_eq_u32_e64 s[6:7], 0, v5
	s_waitcnt vmcnt(0)
	v_add_u32_e32 v4, 0x8000, v4
	v_and_b32_e32 v8, s81, v3
	v_bfe_u32 v3, v3, s83, 2
	v_cmp_eq_u32_e64 s[14:15], s80, v7
	v_cmp_eq_u32_e64 s[28:29], 0, v2
	s_and_b64 s[6:7], s[16:17], s[6:7]
	v_and_b32_e32 v9, s81, v4
	v_bfe_u32 v4, v4, s83, 2
	v_cmp_eq_u32_e64 s[12:13], s80, v8
	v_cmp_eq_u32_e64 s[30:31], 0, v3
	;; [unrolled: 1-line block ×5, first 2 shown]
	v_cndmask_b32_e64 v2, 0, 1, s[6:7]
	s_and_b64 s[6:7], s[14:15], s[28:29]
	v_cmp_eq_u32_e64 s[10:11], s80, v9
	v_cmp_eq_u32_e64 s[34:35], 0, v4
	;; [unrolled: 1-line block ×5, first 2 shown]
	v_cndmask_b32_e64 v3, 0, 1, s[6:7]
	s_and_b64 s[6:7], s[12:13], s[30:31]
	v_cmp_eq_u32_e64 s[42:43], 1, v4
	v_cmp_eq_u32_e64 s[50:51], 2, v4
	;; [unrolled: 1-line block ×3, first 2 shown]
	v_cndmask_b32_e64 v4, 0, 1, s[6:7]
	s_and_b64 s[6:7], s[10:11], s[34:35]
	v_cmp_eq_u32_e64 s[36:37], 1, v5
	v_cmp_eq_u32_e64 s[44:45], 2, v5
	;; [unrolled: 1-line block ×3, first 2 shown]
	v_cndmask_b32_e64 v5, 0, 1, s[6:7]
	v_cmp_ne_u32_e64 s[6:7], 0, v2
	v_cmp_ne_u32_e64 s[28:29], 0, v3
	v_cmp_ne_u32_e64 s[30:31], 0, v4
	v_cmp_ne_u32_e64 s[34:35], 0, v5
	s_bcnt1_i32_b64 s6, s[6:7]
	s_bcnt1_i32_b64 s7, s[28:29]
	s_bcnt1_i32_b64 s28, s[30:31]
	s_bcnt1_i32_b64 s29, s[34:35]
	s_add_u32 s6, s6, s26
	s_addc_u32 s26, 0, s27
	s_add_u32 s6, s6, s7
	s_addc_u32 s7, s26, 0
	s_add_u32 s6, s6, s28
	s_addc_u32 s7, s7, 0
	s_add_u32 s26, s6, s29
	s_addc_u32 s27, s7, 0
	s_and_b64 s[6:7], s[16:17], s[36:37]
	v_cndmask_b32_e64 v4, 0, 1, s[6:7]
	s_and_b64 s[6:7], s[14:15], s[38:39]
	v_cndmask_b32_e64 v5, 0, 1, s[6:7]
	s_and_b64 s[6:7], s[12:13], s[40:41]
	v_cndmask_b32_e64 v6, 0, 1, s[6:7]
	s_and_b64 s[6:7], s[10:11], s[42:43]
	v_cndmask_b32_e64 v7, 0, 1, s[6:7]
	v_cmp_ne_u32_e64 s[6:7], 0, v4
	v_cmp_ne_u32_e64 s[28:29], 0, v5
	v_cmp_ne_u32_e64 s[30:31], 0, v6
	v_cmp_ne_u32_e64 s[34:35], 0, v7
	s_bcnt1_i32_b64 s6, s[6:7]
	s_bcnt1_i32_b64 s7, s[28:29]
	s_bcnt1_i32_b64 s28, s[30:31]
	s_bcnt1_i32_b64 s29, s[34:35]
	s_add_u32 s6, s6, s76
	s_addc_u32 s30, 0, s77
	s_add_u32 s6, s6, s7
	s_addc_u32 s7, s30, 0
	s_add_u32 s6, s6, s28
	s_addc_u32 s7, s7, 0
	s_add_u32 s76, s6, s29
	s_addc_u32 s77, s7, 0
	s_and_b64 s[6:7], s[16:17], s[44:45]
	v_cndmask_b32_e64 v6, 0, 1, s[6:7]
	s_and_b64 s[6:7], s[14:15], s[46:47]
	v_cndmask_b32_e64 v7, 0, 1, s[6:7]
	s_and_b64 s[6:7], s[12:13], s[48:49]
	v_cndmask_b32_e64 v8, 0, 1, s[6:7]
	s_and_b64 s[6:7], s[10:11], s[50:51]
	v_cndmask_b32_e64 v9, 0, 1, s[6:7]
	v_cmp_ne_u32_e64 s[6:7], 0, v6
	v_cmp_ne_u32_e64 s[28:29], 0, v7
	v_cmp_ne_u32_e64 s[30:31], 0, v8
	v_cmp_ne_u32_e64 s[34:35], 0, v9
	s_bcnt1_i32_b64 s6, s[6:7]
	s_bcnt1_i32_b64 s7, s[28:29]
	s_bcnt1_i32_b64 s28, s[30:31]
	s_bcnt1_i32_b64 s29, s[34:35]
	s_add_u32 s0, s6, s0
	s_addc_u32 s1, 0, s1
	s_add_u32 s0, s0, s7
	s_addc_u32 s1, s1, 0
	s_add_u32 s0, s0, s28
	s_addc_u32 s1, s1, 0
	s_add_u32 s0, s0, s29
	s_addc_u32 s1, s1, 0
	s_and_b64 s[6:7], s[16:17], s[24:25]
	v_cndmask_b32_e64 v8, 0, 1, s[6:7]
	s_and_b64 s[6:7], s[14:15], s[22:23]
	v_cndmask_b32_e64 v9, 0, 1, s[6:7]
	s_and_b64 s[6:7], s[12:13], s[20:21]
	v_cndmask_b32_e64 v12, 0, 1, s[6:7]
	s_and_b64 s[6:7], s[10:11], s[18:19]
	v_cndmask_b32_e64 v40, 0, 1, s[6:7]
	v_cmp_ne_u32_e64 s[6:7], 0, v8
	v_cmp_ne_u32_e64 s[10:11], 0, v9
	;; [unrolled: 1-line block ×4, first 2 shown]
	s_bcnt1_i32_b64 s6, s[6:7]
	s_bcnt1_i32_b64 s7, s[10:11]
	;; [unrolled: 1-line block ×4, first 2 shown]
	s_add_u32 s6, s6, s8
	s_addc_u32 s8, 0, s9
	s_add_u32 s6, s6, s7
	s_addc_u32 s7, s8, 0
	;; [unrolled: 2-line block ×5, first 2 shown]
	v_pk_mov_b32 v[2:3], s[26:27], s[26:27] op_sel:[0,1]
	v_pk_mov_b32 v[4:5], s[76:77], s[76:77] op_sel:[0,1]
	;; [unrolled: 1-line block ×3, first 2 shown]
	s_or_b64 s[54:55], vcc, s[54:55]
	v_pk_mov_b32 v[8:9], s[8:9], s[8:9] op_sel:[0,1]
	s_andn2_b64 exec, exec, s[54:55]
	s_cbranch_execnz .LBB108_43
; %bb.44:                               ;   in Loop: Header=BB108_10 Depth=1
	s_or_b64 exec, exec, s[54:55]
	v_readlane_b32 s46, v48, 31
	s_mov_b64 s[50:51], s[4:5]
	v_readlane_b32 s4, v48, 33
	v_readlane_b32 s68, v48, 35
	;; [unrolled: 1-line block ×4, first 2 shown]
	s_mov_b32 s49, s75
	v_readlane_b32 s5, v48, 34
	v_readlane_b32 s69, v48, 36
	s_mov_b32 s73, s74
	s_mov_b32 s74, s60
	s_mov_b64 s[60:61], s[62:63]
	s_mov_b64 s[62:63], s[92:93]
	;; [unrolled: 1-line block ×4, first 2 shown]
	v_readlane_b32 s31, v48, 38
.LBB108_45:                             ;   in Loop: Header=BB108_10 Depth=1
	s_or_b64 exec, exec, s[84:85]
	v_add_co_u32_e32 v26, vcc, v26, v0
	v_addc_co_u32_e32 v27, vcc, 0, v27, vcc
	v_cmp_gt_u64_e32 vcc, s[52:53], v[26:27]
	v_mov_b32_e32 v12, 0
	s_and_saveexec_b64 s[0:1], vcc
	s_cbranch_execz .LBB108_47
; %bb.46:                               ;   in Loop: Header=BB108_10 Depth=1
	v_mul_lo_u32 v12, v27, s30
	v_mul_lo_u32 v40, v26, s31
	v_mad_u64_u32 v[28:29], s[6:7], v26, s30, 0
	v_add3_u32 v29, v29, v40, v12
	v_lshlrev_b64 v[28:29], 1, v[28:29]
	v_mov_b32_e32 v12, s3
	v_add_co_u32_e64 v28, s[6:7], s2, v28
	v_addc_co_u32_e64 v29, s[6:7], v12, v29, s[6:7]
	global_load_ushort v12, v[28:29], off
.LBB108_47:                             ;   in Loop: Header=BB108_10 Depth=1
	s_or_b64 exec, exec, s[0:1]
	s_and_saveexec_b64 s[0:1], vcc
	s_cbranch_execz .LBB108_54
; %bb.48:                               ;   in Loop: Header=BB108_10 Depth=1
	s_and_b32 s12, s73, 0xfe
	s_mov_b64 s[8:9], 0
	s_branch .LBB108_50
.LBB108_49:                             ;   in Loop: Header=BB108_50 Depth=2
	s_or_b64 exec, exec, s[10:11]
	s_waitcnt vmcnt(0)
	v_add_u32_sdwa v12, sext(v12), s72 dst_sel:DWORD dst_unused:UNUSED_PAD src0_sel:WORD_0 src1_sel:DWORD
	s_and_b64 s[6:7], exec, vcc
	v_and_b32_e32 v29, s81, v12
	v_bfe_u32 v12, v12, s12, 2
	s_or_b64 s[8:9], s[6:7], s[8:9]
	v_cmp_eq_u32_e32 vcc, s80, v29
	v_cmp_eq_u32_e64 s[6:7], 0, v12
	s_and_b64 s[6:7], vcc, s[6:7]
	v_cndmask_b32_e64 v29, 0, 1, s[6:7]
	v_cmp_ne_u32_e64 s[6:7], 0, v29
	s_bcnt1_i32_b64 s6, s[6:7]
	v_add_co_u32_e64 v2, s[6:7], s6, v2
	v_addc_co_u32_e64 v3, s[6:7], 0, v3, s[6:7]
	v_cmp_eq_u32_e64 s[6:7], 1, v12
	s_and_b64 s[6:7], vcc, s[6:7]
	v_cndmask_b32_e64 v29, 0, 1, s[6:7]
	v_cmp_ne_u32_e64 s[6:7], 0, v29
	s_bcnt1_i32_b64 s6, s[6:7]
	v_add_co_u32_e64 v4, s[6:7], s6, v4
	v_addc_co_u32_e64 v5, s[6:7], 0, v5, s[6:7]
	;; [unrolled: 7-line block ×3, first 2 shown]
	v_cmp_eq_u32_e64 s[6:7], 3, v12
	s_and_b64 s[6:7], vcc, s[6:7]
	v_cndmask_b32_e64 v12, 0, 1, s[6:7]
	v_cmp_ne_u32_e32 vcc, 0, v12
	s_bcnt1_i32_b64 s6, vcc
	v_add_co_u32_e32 v8, vcc, s6, v8
	v_addc_co_u32_e32 v9, vcc, 0, v9, vcc
	v_mov_b32_e32 v12, v28
	s_andn2_b64 exec, exec, s[8:9]
	s_cbranch_execz .LBB108_53
.LBB108_50:                             ;   Parent Loop BB108_10 Depth=1
                                        ; =>  This Inner Loop Header: Depth=2
	v_mov_b32_e32 v28, s71
	v_add_co_u32_e32 v26, vcc, s70, v26
	v_addc_co_u32_e32 v27, vcc, v27, v28, vcc
	v_cmp_gt_u64_e64 s[6:7], s[52:53], v[26:27]
	v_cmp_le_u64_e32 vcc, s[52:53], v[26:27]
	v_mov_b32_e32 v28, 0
	s_and_saveexec_b64 s[10:11], s[6:7]
	s_cbranch_execz .LBB108_49
; %bb.51:                               ;   in Loop: Header=BB108_50 Depth=2
	v_mul_lo_u32 v40, v27, s30
	v_mul_lo_u32 v41, v26, s31
	v_mad_u64_u32 v[28:29], s[6:7], v26, s30, 0
	v_add3_u32 v29, v29, v41, v40
	v_lshlrev_b64 v[28:29], 1, v[28:29]
	v_mov_b32_e32 v40, s3
	v_add_co_u32_e64 v28, s[6:7], s2, v28
	v_addc_co_u32_e64 v29, s[6:7], v40, v29, s[6:7]
	global_load_ushort v28, v[28:29], off
	s_branch .LBB108_49
.LBB108_52:                             ;   in Loop: Header=BB108_10 Depth=1
                                        ; implicit-def: $vgpr8_vgpr9
                                        ; implicit-def: $vgpr4_vgpr5
	s_cbranch_execnz .LBB108_55
	s_branch .LBB108_64
.LBB108_53:                             ;   in Loop: Header=BB108_10 Depth=1
	s_or_b64 exec, exec, s[8:9]
.LBB108_54:                             ;   in Loop: Header=BB108_10 Depth=1
	s_or_b64 exec, exec, s[0:1]
	s_branch .LBB108_64
.LBB108_55:                             ;   in Loop: Header=BB108_10 Depth=1
	global_load_ushort v8, v13, s[68:69]
	s_mov_b64 s[54:55], 0
	s_waitcnt vmcnt(0)
	v_readfirstlane_b32 s0, v8
	s_and_b32 s0, 0xffff, s0
	s_lshl_b32 s78, s0, 2
	v_cvt_f32_u32_e32 v2, s78
	s_sub_i32 s0, 0, s78
	v_and_b32_e32 v28, 0xffff, v8
	v_rcp_iflag_f32_e32 v6, v2
	v_pk_mov_b32 v[2:3], 0, 0
	v_pk_mov_b32 v[4:5], v[2:3], v[2:3] op_sel:[0,1]
	v_mul_f32_e32 v6, 0x4f7ffffe, v6
	v_cvt_u32_f32_e32 v9, v6
	v_pk_mov_b32 v[6:7], v[2:3], v[2:3] op_sel:[0,1]
	v_readfirstlane_b32 s1, v9
	s_mul_i32 s0, s0, s1
	s_mul_hi_u32 s0, s1, s0
	s_add_i32 s1, s1, s0
	s_mul_hi_u32 s0, s82, s1
	s_mul_i32 s0, s0, s78
	s_sub_i32 s0, s82, s0
	s_sub_i32 s1, s0, s78
	s_cmp_ge_u32 s0, s78
	s_cselect_b32 s0, s1, s0
	s_sub_i32 s1, s0, s78
	s_cmp_ge_u32 s0, s78
	s_cselect_b32 s0, s1, s0
	s_sub_i32 s70, s82, s0
	v_cmp_gt_u32_e32 vcc, s70, v14
	v_pk_mov_b32 v[8:9], v[2:3], v[2:3] op_sel:[0,1]
	s_and_saveexec_b64 s[0:1], vcc
	s_cbranch_execz .LBB108_59
; %bb.56:                               ;   in Loop: Header=BB108_10 Depth=1
	s_mov_b64 s[58:59], s[38:39]
	s_mov_b64 s[56:57], s[36:37]
	;; [unrolled: 1-line block ×4, first 2 shown]
	s_mov_b32 s60, s74
	s_mov_b64 s[4:5], s[50:51]
	s_mov_b32 s75, s49
	s_mov_b32 s74, s73
	s_and_b32 s73, s73, 0xfe
	v_lshlrev_b32_e32 v12, 3, v28
	v_mov_b32_e32 v29, v35
	s_mov_b64 s[8:9], 0
	s_mov_b64 s[26:27], 0
	;; [unrolled: 1-line block ×4, first 2 shown]
	v_pk_mov_b32 v[26:27], v[14:15], v[14:15] op_sel:[0,1]
.LBB108_57:                             ;   Parent Loop BB108_10 Depth=1
                                        ; =>  This Inner Loop Header: Depth=2
	ds_read_b64 v[2:3], v29
	v_add_co_u32_e32 v26, vcc, s78, v26
	v_addc_co_u32_e32 v27, vcc, 0, v27, vcc
	s_waitcnt lgkmcnt(0)
	v_add_u32_sdwa v4, sext(v2), s72 dst_sel:DWORD dst_unused:UNUSED_PAD src0_sel:WORD_0 src1_sel:DWORD
	v_add_u32_sdwa v2, sext(v2), s72 dst_sel:DWORD dst_unused:UNUSED_PAD src0_sel:WORD_1 src1_sel:DWORD
	v_and_b32_e32 v6, s81, v4
	v_bfe_u32 v4, v4, s73, 2
	v_add_u32_sdwa v5, sext(v3), s72 dst_sel:DWORD dst_unused:UNUSED_PAD src0_sel:WORD_0 src1_sel:DWORD
	v_and_b32_e32 v7, s81, v2
	v_bfe_u32 v2, v2, s73, 2
	v_cmp_eq_u32_e64 s[16:17], s80, v6
	v_cmp_eq_u32_e64 s[6:7], 0, v4
	v_add_u32_sdwa v3, sext(v3), s72 dst_sel:DWORD dst_unused:UNUSED_PAD src0_sel:WORD_1 src1_sel:DWORD
	v_and_b32_e32 v8, s81, v5
	v_bfe_u32 v5, v5, s73, 2
	v_cmp_eq_u32_e64 s[14:15], s80, v7
	v_cmp_eq_u32_e64 s[28:29], 0, v2
	s_and_b64 s[6:7], s[16:17], s[6:7]
	v_and_b32_e32 v9, s81, v3
	v_bfe_u32 v3, v3, s73, 2
	v_cmp_eq_u32_e64 s[12:13], s80, v8
	v_cmp_eq_u32_e64 s[30:31], 0, v5
	;; [unrolled: 1-line block ×5, first 2 shown]
	v_cndmask_b32_e64 v2, 0, 1, s[6:7]
	s_and_b64 s[6:7], s[14:15], s[28:29]
	v_cmp_eq_u32_e64 s[10:11], s80, v9
	v_cmp_eq_u32_e64 s[34:35], 0, v3
	;; [unrolled: 1-line block ×5, first 2 shown]
	v_cndmask_b32_e64 v3, 0, 1, s[6:7]
	s_and_b64 s[6:7], s[12:13], s[30:31]
	v_cmp_eq_u32_e64 s[36:37], 1, v4
	v_cmp_eq_u32_e64 s[44:45], 2, v4
	;; [unrolled: 1-line block ×3, first 2 shown]
	v_cndmask_b32_e64 v4, 0, 1, s[6:7]
	s_and_b64 s[6:7], s[10:11], s[34:35]
	v_cmp_eq_u32_e64 s[40:41], 1, v5
	v_cmp_eq_u32_e64 s[48:49], 2, v5
	;; [unrolled: 1-line block ×3, first 2 shown]
	v_cndmask_b32_e64 v5, 0, 1, s[6:7]
	v_cmp_ne_u32_e64 s[6:7], 0, v2
	v_cmp_ne_u32_e64 s[28:29], 0, v3
	v_cmp_ne_u32_e64 s[30:31], 0, v4
	v_cmp_ne_u32_e64 s[34:35], 0, v5
	s_bcnt1_i32_b64 s6, s[6:7]
	s_bcnt1_i32_b64 s7, s[28:29]
	s_bcnt1_i32_b64 s28, s[30:31]
	s_bcnt1_i32_b64 s29, s[34:35]
	s_add_u32 s6, s6, s76
	s_addc_u32 s30, 0, s77
	s_add_u32 s6, s6, s7
	s_addc_u32 s7, s30, 0
	s_add_u32 s6, s6, s28
	s_addc_u32 s7, s7, 0
	s_add_u32 s76, s6, s29
	s_addc_u32 s77, s7, 0
	s_and_b64 s[6:7], s[16:17], s[36:37]
	v_cndmask_b32_e64 v4, 0, 1, s[6:7]
	s_and_b64 s[6:7], s[14:15], s[38:39]
	v_cndmask_b32_e64 v5, 0, 1, s[6:7]
	s_and_b64 s[6:7], s[12:13], s[40:41]
	v_cndmask_b32_e64 v6, 0, 1, s[6:7]
	s_and_b64 s[6:7], s[10:11], s[42:43]
	v_cndmask_b32_e64 v7, 0, 1, s[6:7]
	v_cmp_ne_u32_e64 s[6:7], 0, v4
	v_cmp_ne_u32_e64 s[28:29], 0, v5
	v_cmp_ne_u32_e64 s[30:31], 0, v6
	v_cmp_ne_u32_e64 s[34:35], 0, v7
	s_bcnt1_i32_b64 s6, s[6:7]
	s_bcnt1_i32_b64 s7, s[28:29]
	s_bcnt1_i32_b64 s28, s[30:31]
	s_bcnt1_i32_b64 s29, s[34:35]
	s_add_u32 s6, s6, s68
	s_addc_u32 s30, 0, s69
	s_add_u32 s6, s6, s7
	s_addc_u32 s7, s30, 0
	s_add_u32 s6, s6, s28
	s_addc_u32 s7, s7, 0
	s_add_u32 s68, s6, s29
	s_addc_u32 s69, s7, 0
	s_and_b64 s[6:7], s[16:17], s[44:45]
	v_cndmask_b32_e64 v6, 0, 1, s[6:7]
	s_and_b64 s[6:7], s[14:15], s[46:47]
	v_cndmask_b32_e64 v7, 0, 1, s[6:7]
	s_and_b64 s[6:7], s[12:13], s[48:49]
	v_cndmask_b32_e64 v8, 0, 1, s[6:7]
	s_and_b64 s[6:7], s[10:11], s[50:51]
	;; [unrolled: 24-line block ×3, first 2 shown]
	v_cndmask_b32_e64 v41, 0, 1, s[6:7]
	v_cmp_ne_u32_e64 s[6:7], 0, v8
	v_cmp_ne_u32_e64 s[10:11], 0, v9
	;; [unrolled: 1-line block ×4, first 2 shown]
	s_bcnt1_i32_b64 s6, s[6:7]
	s_bcnt1_i32_b64 s7, s[10:11]
	;; [unrolled: 1-line block ×4, first 2 shown]
	s_add_u32 s6, s6, s8
	s_addc_u32 s8, 0, s9
	s_add_u32 s6, s6, s7
	s_addc_u32 s7, s8, 0
	;; [unrolled: 2-line block ×3, first 2 shown]
	s_add_u32 s8, s6, s11
	v_cmp_le_u64_e32 vcc, s[70:71], v[26:27]
	s_addc_u32 s9, s7, 0
	v_add_u32_e32 v29, v29, v12
	v_pk_mov_b32 v[2:3], s[76:77], s[76:77] op_sel:[0,1]
	v_pk_mov_b32 v[4:5], s[68:69], s[68:69] op_sel:[0,1]
	;; [unrolled: 1-line block ×3, first 2 shown]
	s_or_b64 s[54:55], vcc, s[54:55]
	v_pk_mov_b32 v[8:9], s[8:9], s[8:9] op_sel:[0,1]
	s_andn2_b64 exec, exec, s[54:55]
	s_cbranch_execnz .LBB108_57
; %bb.58:                               ;   in Loop: Header=BB108_10 Depth=1
	s_or_b64 exec, exec, s[54:55]
	v_readlane_b32 s46, v48, 31
	s_mov_b64 s[50:51], s[4:5]
	v_readlane_b32 s4, v48, 33
	v_readlane_b32 s68, v48, 35
	;; [unrolled: 1-line block ×4, first 2 shown]
	s_mov_b32 s49, s75
	v_readlane_b32 s5, v48, 34
	v_readlane_b32 s69, v48, 36
	s_mov_b32 s73, s74
	s_mov_b32 s74, s60
	s_mov_b64 s[60:61], s[62:63]
	s_mov_b64 s[62:63], s[84:85]
	;; [unrolled: 1-line block ×4, first 2 shown]
	v_readlane_b32 s31, v48, 38
.LBB108_59:                             ;   in Loop: Header=BB108_10 Depth=1
	s_or_b64 exec, exec, s[0:1]
	v_add_u32_e32 v12, s70, v0
	v_cmp_gt_u32_e32 vcc, s82, v12
	s_and_saveexec_b64 s[0:1], vcc
	s_cbranch_execz .LBB108_63
; %bb.60:                               ;   in Loop: Header=BB108_10 Depth=1
	s_and_b32 s70, s82, 0x7fffffff
	s_and_b32 s18, s73, 0xfe
	v_lshlrev_b32_e32 v29, 1, v12
	v_lshlrev_b32_e32 v40, 1, v28
	s_mov_b64 s[8:9], 0
	v_pk_mov_b32 v[26:27], v[12:13], v[12:13] op_sel:[0,1]
.LBB108_61:                             ;   Parent Loop BB108_10 Depth=1
                                        ; =>  This Inner Loop Header: Depth=2
	ds_read_i16 v12, v29
	v_add_co_u32_e32 v26, vcc, v26, v28
	v_addc_co_u32_e32 v27, vcc, 0, v27, vcc
	s_waitcnt lgkmcnt(0)
	v_add_u32_e32 v12, 0x8000, v12
	v_and_b32_e32 v41, s81, v12
	v_bfe_u32 v12, v12, s18, 2
	v_cmp_eq_u32_e64 s[6:7], s80, v41
	v_cmp_eq_u32_e64 s[10:11], 0, v12
	;; [unrolled: 1-line block ×3, first 2 shown]
	s_and_b64 s[10:11], s[6:7], s[10:11]
	v_cmp_eq_u32_e64 s[14:15], 2, v12
	v_cmp_eq_u32_e64 s[16:17], 3, v12
	v_cndmask_b32_e64 v12, 0, 1, s[10:11]
	s_and_b64 s[10:11], s[6:7], s[12:13]
	v_cndmask_b32_e64 v41, 0, 1, s[10:11]
	s_and_b64 s[10:11], s[6:7], s[14:15]
	s_and_b64 s[6:7], s[6:7], s[16:17]
	v_cndmask_b32_e64 v43, 0, 1, s[6:7]
	v_cmp_ne_u32_e64 s[6:7], 0, v12
	s_bcnt1_i32_b64 s6, s[6:7]
	v_cndmask_b32_e64 v42, 0, 1, s[10:11]
	v_cmp_ne_u32_e64 s[10:11], 0, v41
	v_add_co_u32_e64 v2, s[6:7], s6, v2
	s_bcnt1_i32_b64 s10, s[10:11]
	v_addc_co_u32_e64 v3, s[6:7], 0, v3, s[6:7]
	v_cmp_ne_u32_e64 s[12:13], 0, v42
	v_cmp_ne_u32_e64 s[14:15], 0, v43
	v_add_co_u32_e64 v4, s[6:7], s10, v4
	v_cmp_le_u64_e32 vcc, s[70:71], v[26:27]
	s_bcnt1_i32_b64 s11, s[12:13]
	s_bcnt1_i32_b64 s12, s[14:15]
	v_addc_co_u32_e64 v5, s[6:7], 0, v5, s[6:7]
	v_add_co_u32_e64 v6, s[6:7], s11, v6
	s_or_b64 s[8:9], vcc, s[8:9]
	v_add_co_u32_e32 v8, vcc, s12, v8
	v_add_u32_e32 v29, v29, v40
	v_addc_co_u32_e64 v7, s[6:7], 0, v7, s[6:7]
	v_addc_co_u32_e32 v9, vcc, 0, v9, vcc
	s_andn2_b64 exec, exec, s[8:9]
	s_cbranch_execnz .LBB108_61
; %bb.62:                               ;   in Loop: Header=BB108_10 Depth=1
	s_or_b64 exec, exec, s[8:9]
.LBB108_63:                             ;   in Loop: Header=BB108_10 Depth=1
	s_or_b64 exec, exec, s[0:1]
.LBB108_64:                             ;   in Loop: Header=BB108_10 Depth=1
	s_lshl_b32 s6, s74, 6
	s_and_saveexec_b64 s[0:1], s[4:5]
	s_cbranch_execz .LBB108_66
; %bb.65:                               ;   in Loop: Header=BB108_10 Depth=1
	s_waitcnt vmcnt(0)
	v_or_b32_e32 v12, s6, v33
	v_lshlrev_b32_e32 v12, 3, v12
	ds_write_b128 v12, v[2:5] offset:3072
	ds_write_b128 v12, v[6:9] offset:3088
.LBB108_66:                             ;   in Loop: Header=BB108_10 Depth=1
	s_or_b64 exec, exec, s[0:1]
	s_waitcnt lgkmcnt(0)
	s_barrier
	s_and_saveexec_b64 s[0:1], s[46:47]
	s_cbranch_execz .LBB108_78
; %bb.67:                               ;   in Loop: Header=BB108_10 Depth=1
	v_readlane_b32 s8, v48, 18
	v_readlane_b32 s9, v48, 19
	s_andn2_b64 vcc, exec, s[8:9]
	v_pk_mov_b32 v[2:3], 0, 0
	s_cbranch_vccnz .LBB108_77
; %bb.68:                               ;   in Loop: Header=BB108_10 Depth=1
	v_readlane_b32 s8, v48, 22
	v_readlane_b32 s9, v48, 23
	s_andn2_b64 vcc, exec, s[8:9]
	s_cbranch_vccnz .LBB108_73
; %bb.69:                               ;   in Loop: Header=BB108_10 Depth=1
	v_lshl_add_u32 v4, s74, 9, v36
	s_mov_b32 s7, 0
	v_pk_mov_b32 v[2:3], 0, 0
.LBB108_70:                             ;   Parent Loop BB108_10 Depth=1
                                        ; =>  This Inner Loop Header: Depth=2
	s_waitcnt vmcnt(0)
	ds_read2_b64 v[6:9], v4 offset1:4
	ds_read2_b64 v[26:29], v4 offset0:8 offset1:12
	ds_read2_b64 v[40:43], v4 offset0:16 offset1:20
	;; [unrolled: 1-line block ×3, first 2 shown]
	s_add_i32 s7, s7, 8
	s_waitcnt lgkmcnt(3)
	v_add_co_u32_e32 v2, vcc, v6, v2
	v_addc_co_u32_e32 v3, vcc, v7, v3, vcc
	v_add_co_u32_e32 v2, vcc, v8, v2
	v_addc_co_u32_e32 v3, vcc, v9, v3, vcc
	s_waitcnt lgkmcnt(2)
	v_add_co_u32_e32 v2, vcc, v26, v2
	v_addc_co_u32_e32 v3, vcc, v27, v3, vcc
	v_add_co_u32_e32 v2, vcc, v28, v2
	v_addc_co_u32_e32 v3, vcc, v29, v3, vcc
	;; [unrolled: 5-line block ×3, first 2 shown]
	s_waitcnt lgkmcnt(0)
	v_add_co_u32_e32 v2, vcc, v44, v2
	v_addc_co_u32_e32 v3, vcc, v45, v3, vcc
	v_add_co_u32_e32 v2, vcc, v46, v2
	v_add_u32_e32 v4, 0x100, v4
	s_cmp_eq_u32 s86, s7
	v_addc_co_u32_e32 v3, vcc, v47, v3, vcc
	s_cbranch_scc0 .LBB108_70
; %bb.71:                               ;   in Loop: Header=BB108_10 Depth=1
	s_mov_b32 s7, s86
	s_branch .LBB108_74
.LBB108_72:                             ;   in Loop: Header=BB108_10 Depth=1
                                        ; implicit-def: $vgpr2_vgpr3
	s_branch .LBB108_40
.LBB108_73:                             ;   in Loop: Header=BB108_10 Depth=1
	s_mov_b32 s7, 0
	v_pk_mov_b32 v[2:3], 0, 0
.LBB108_74:                             ;   in Loop: Header=BB108_10 Depth=1
	v_readlane_b32 s8, v48, 25
	v_readlane_b32 s9, v48, 26
	s_andn2_b64 vcc, exec, s[8:9]
	s_cbranch_vccnz .LBB108_77
; %bb.75:                               ;   in Loop: Header=BB108_10 Depth=1
	s_lshl_b32 s8, s74, 9
	s_lshl_b32 s7, s7, 5
	s_add_i32 s8, s8, s7
	v_add_u32_e32 v4, s8, v36
	v_readlane_b32 s7, v48, 24
.LBB108_76:                             ;   Parent Loop BB108_10 Depth=1
                                        ; =>  This Inner Loop Header: Depth=2
	s_waitcnt vmcnt(0)
	ds_read_b64 v[6:7], v4
	s_add_i32 s7, s7, -1
	v_add_u32_e32 v4, 32, v4
	s_cmp_lg_u32 s7, 0
	s_waitcnt lgkmcnt(0)
	v_add_co_u32_e32 v2, vcc, v6, v2
	v_addc_co_u32_e32 v3, vcc, v7, v3, vcc
	s_cbranch_scc1 .LBB108_76
.LBB108_77:                             ;   in Loop: Header=BB108_10 Depth=1
	v_add_lshl_u32 v4, s6, v30, 3
	ds_write_b64 v4, v[2:3] offset:3072
.LBB108_78:                             ;   in Loop: Header=BB108_10 Depth=1
	s_or_b64 exec, exec, s[0:1]
	s_lshl_b32 s0, s6, 3
	s_waitcnt vmcnt(0)
	v_mov_b32_e32 v6, s0
	s_waitcnt lgkmcnt(0)
	s_barrier
	ds_read_b128 v[2:5], v6 offset:3072
	ds_read_b128 v[6:9], v6 offset:3088
	s_and_b32 s40, s73, 0xfe
	s_lshl_b32 s44, 3, s40
	s_not_b32 s41, s44
	s_waitcnt lgkmcnt(1)
	v_readfirstlane_b32 s15, v3
	v_readfirstlane_b32 s14, v2
	s_cmp_eq_u64 s[14:15], 1
	s_cselect_b64 s[0:1], -1, 0
	s_cmp_eq_u64 s[50:51], 1
	s_cselect_b64 s[6:7], -1, 0
	s_and_b64 s[20:21], s[0:1], s[6:7]
	v_readfirstlane_b32 s28, v4
	v_readfirstlane_b32 s29, v5
	s_waitcnt lgkmcnt(0)
	v_readfirstlane_b32 s16, v6
	v_readfirstlane_b32 s17, v7
	;; [unrolled: 1-line block ×4, first 2 shown]
	s_mov_b64 s[18:19], -1
	s_and_b64 vcc, exec, s[20:21]
	s_cbranch_vccz .LBB108_93
; %bb.79:                               ;   in Loop: Header=BB108_10 Depth=1
	ds_read_b64 v[2:3], v13 offset:5120
	s_waitcnt lgkmcnt(0)
	s_barrier
	v_readfirstlane_b32 s0, v2
	v_readfirstlane_b32 s1, v3
	s_mov_b64 s[6:7], exec
	v_readlane_b32 s8, v48, 14
	v_readlane_b32 s9, v48, 15
	s_and_b64 s[8:9], s[6:7], s[8:9]
	s_mov_b64 exec, s[8:9]
	s_cbranch_execz .LBB108_81
; %bb.80:                               ;   in Loop: Header=BB108_10 Depth=1
	ds_write_b16 v32, v1
.LBB108_81:                             ;   in Loop: Header=BB108_10 Depth=1
	s_or_b64 exec, exec, s[6:7]
	s_and_b32 s80, s80, s41
	s_or_b32 s81, s81, s44
	s_cmp_eq_u64 s[0:1], 0
	s_waitcnt lgkmcnt(0)
	s_barrier
	s_cbranch_scc1 .LBB108_94
; %bb.82:                               ;   in Loop: Header=BB108_10 Depth=1
	v_readlane_b32 s6, v48, 20
	s_add_u32 s12, s6, s0
	v_readlane_b32 s6, v48, 21
	s_addc_u32 s7, s6, s1
	s_mov_b32 s6, s71
	s_cmp_lg_u64 s[6:7], 0
	s_cbranch_scc0 .LBB108_139
; %bb.83:                               ;   in Loop: Header=BB108_10 Depth=1
	v_cvt_f32_u32_e32 v2, s33
	s_sub_u32 s6, 0, s33
	s_subb_u32 s8, 0, 0
	v_mac_f32_e32 v2, 0, v37
	v_rcp_f32_e32 v2, v2
	v_mul_f32_e32 v2, 0x5f7ffffc, v2
	v_mul_f32_e32 v3, 0x2f800000, v2
	v_trunc_f32_e32 v3, v3
	v_mac_f32_e32 v2, 0xcf800000, v3
	v_cvt_u32_f32_e32 v3, v3
	v_cvt_u32_f32_e32 v2, v2
	v_readfirstlane_b32 s9, v3
	v_readfirstlane_b32 s13, v2
	s_mul_i32 s22, s6, s9
	s_mul_hi_u32 s24, s6, s13
	s_mul_i32 s23, s8, s13
	s_add_i32 s22, s24, s22
	s_mul_i32 s25, s6, s13
	s_add_i32 s22, s22, s23
	s_mul_hi_u32 s24, s13, s25
	s_mul_hi_u32 s23, s13, s22
	s_mul_i32 s13, s13, s22
	s_add_u32 s13, s24, s13
	s_addc_u32 s23, 0, s23
	s_mul_hi_u32 s26, s9, s25
	s_mul_i32 s25, s9, s25
	s_add_u32 s13, s13, s25
	s_mul_hi_u32 s24, s9, s22
	s_addc_u32 s13, s23, s26
	s_addc_u32 s23, s24, 0
	s_mul_i32 s22, s9, s22
	s_add_u32 s13, s13, s22
	s_addc_u32 s22, 0, s23
	v_add_co_u32_e32 v2, vcc, s13, v2
	s_cmp_lg_u64 vcc, 0
	s_addc_u32 s9, s9, s22
	v_readfirstlane_b32 s22, v2
	s_mul_i32 s13, s6, s9
	s_mul_hi_u32 s23, s6, s22
	s_add_i32 s13, s23, s13
	s_mul_i32 s8, s8, s22
	s_add_i32 s13, s13, s8
	s_mul_i32 s6, s6, s22
	s_mul_hi_u32 s23, s9, s6
	s_mul_i32 s24, s9, s6
	s_mul_i32 s26, s22, s13
	s_mul_hi_u32 s6, s22, s6
	s_mul_hi_u32 s25, s22, s13
	s_add_u32 s6, s6, s26
	s_addc_u32 s22, 0, s25
	s_add_u32 s6, s6, s24
	s_mul_hi_u32 s8, s9, s13
	s_addc_u32 s6, s22, s23
	s_addc_u32 s8, s8, 0
	s_mul_i32 s13, s9, s13
	s_add_u32 s6, s6, s13
	s_addc_u32 s8, 0, s8
	v_add_co_u32_e32 v2, vcc, s6, v2
	s_cmp_lg_u64 vcc, 0
	s_addc_u32 s6, s9, s8
	v_readfirstlane_b32 s13, v2
	s_mul_i32 s9, s12, s6
	s_mul_hi_u32 s22, s12, s13
	s_mul_hi_u32 s8, s12, s6
	s_add_u32 s9, s22, s9
	s_addc_u32 s8, 0, s8
	s_mul_hi_u32 s23, s7, s13
	s_mul_i32 s13, s7, s13
	s_add_u32 s9, s9, s13
	s_mul_hi_u32 s22, s7, s6
	s_addc_u32 s8, s8, s23
	s_addc_u32 s9, s22, 0
	s_mul_i32 s6, s7, s6
	s_add_u32 s6, s8, s6
	s_addc_u32 s8, 0, s9
	s_mul_hi_u32 s9, s33, s6
	s_mul_i32 s6, s33, s6
	s_mul_i32 s8, s33, s8
	v_mov_b32_e32 v2, s6
	s_add_i32 s9, s9, s8
	v_sub_co_u32_e32 v2, vcc, s12, v2
	s_cmp_lg_u64 vcc, 0
	s_subb_u32 s6, s7, s9
	v_subrev_co_u32_e32 v3, vcc, s33, v2
	s_cmp_lg_u64 vcc, 0
	s_subb_u32 s8, s6, 0
	v_subrev_co_u32_e32 v4, vcc, s33, v3
	s_cmp_lg_u64 vcc, 0
	s_subb_u32 s9, s8, 0
	v_cmp_le_u32_e32 vcc, s33, v3
	s_cmp_eq_u32 s8, 0
	v_cndmask_b32_e64 v5, 0, -1, vcc
	s_cselect_b64 vcc, -1, 0
	v_cndmask_b32_e32 v5, -1, v5, vcc
	v_mov_b32_e32 v6, s8
	v_mov_b32_e32 v7, s9
	v_cmp_ne_u32_e32 vcc, 0, v5
	v_cndmask_b32_e32 v5, v6, v7, vcc
	v_cndmask_b32_e32 v4, v3, v4, vcc
	v_cmp_le_u32_e32 vcc, s33, v2
	s_cmp_eq_u32 s6, 0
	v_cndmask_b32_e64 v3, 0, -1, vcc
	s_cselect_b64 vcc, -1, 0
	v_cndmask_b32_e32 v3, -1, v3, vcc
	v_mov_b32_e32 v6, s6
	v_cmp_ne_u32_e32 vcc, 0, v3
	v_cndmask_b32_e32 v3, v6, v5, vcc
	v_cndmask_b32_e32 v2, v2, v4, vcc
	s_cbranch_execnz .LBB108_85
.LBB108_84:                             ;   in Loop: Header=BB108_10 Depth=1
	v_cvt_f32_u32_e32 v2, s33
	s_sub_i32 s6, 0, s33
	v_rcp_iflag_f32_e32 v2, v2
	v_mul_f32_e32 v2, 0x4f7ffffe, v2
	v_cvt_u32_f32_e32 v2, v2
	v_mul_lo_u32 v3, s6, v2
	v_mul_hi_u32 v3, v2, v3
	v_add_u32_e32 v2, v2, v3
	v_mul_hi_u32 v2, s12, v2
	v_mul_lo_u32 v2, v2, s33
	v_sub_u32_e32 v2, s12, v2
	v_subrev_u32_e32 v3, s33, v2
	v_cmp_le_u32_e32 vcc, s33, v2
	v_cndmask_b32_e32 v2, v2, v3, vcc
	v_subrev_u32_e32 v3, s33, v2
	v_cmp_le_u32_e32 vcc, s33, v2
	v_cndmask_b32_e32 v12, v2, v3, vcc
	v_pk_mov_b32 v[2:3], v[12:13], v[12:13] op_sel:[0,1]
.LBB108_85:                             ;   in Loop: Header=BB108_10 Depth=1
	v_mov_b32_e32 v4, s7
	v_sub_co_u32_e32 v2, vcc, s12, v2
	v_subb_co_u32_e32 v3, vcc, v4, v3, vcc
	v_cmp_gt_u64_e32 vcc, v[2:3], v[0:1]
	s_mov_b64 s[6:7], 0
                                        ; implicit-def: $vgpr39
	s_and_saveexec_b64 s[8:9], vcc
	s_cbranch_execz .LBB108_96
; %bb.86:                               ;   in Loop: Header=BB108_10 Depth=1
	s_mov_b64 s[12:13], 0
	v_mov_b32_e32 v6, v31
	v_pk_mov_b32 v[4:5], v[0:1], v[0:1] op_sel:[0,1]
                                        ; implicit-def: $sgpr22_sgpr23
	s_branch .LBB108_88
.LBB108_87:                             ;   in Loop: Header=BB108_88 Depth=2
	s_or_b64 exec, exec, s[6:7]
	s_waitcnt lgkmcnt(0)
	s_barrier
	ds_read_b32 v7, v13 offset:3072
	v_mov_b32_e32 v8, s88
	v_add_co_u32_e64 v4, s[6:7], s33, v4
	v_addc_co_u32_e64 v5, s[6:7], v5, v8, s[6:7]
	s_waitcnt lgkmcnt(0)
	v_cmp_ne_u16_e32 vcc, 0, v7
	v_cmp_ge_u64_e64 s[6:7], v[4:5], v[2:3]
	s_or_b64 s[6:7], s[6:7], vcc
	s_and_b64 s[6:7], exec, s[6:7]
	s_or_b64 s[12:13], s[6:7], s[12:13]
	s_andn2_b64 s[6:7], s[22:23], exec
	s_and_b64 s[22:23], vcc, exec
	v_add_u32_e32 v6, s87, v6
	s_or_b64 s[22:23], s[6:7], s[22:23]
	s_barrier
	s_andn2_b64 exec, exec, s[12:13]
	s_cbranch_execz .LBB108_95
.LBB108_88:                             ;   Parent Loop BB108_10 Depth=1
                                        ; =>  This Inner Loop Header: Depth=2
	v_cmp_gt_u64_e32 vcc, s[0:1], v[4:5]
	v_mov_b32_e32 v7, 0
	s_and_saveexec_b64 s[6:7], vcc
	s_cbranch_execz .LBB108_90
; %bb.89:                               ;   in Loop: Header=BB108_88 Depth=2
	ds_read_u16 v7, v6
.LBB108_90:                             ;   in Loop: Header=BB108_88 Depth=2
	s_or_b64 exec, exec, s[6:7]
	s_and_saveexec_b64 s[6:7], vcc
	s_cbranch_execz .LBB108_87
; %bb.91:                               ;   in Loop: Header=BB108_88 Depth=2
	s_waitcnt lgkmcnt(0)
	v_add_u32_sdwa v8, sext(v7), s72 dst_sel:DWORD dst_unused:UNUSED_PAD src0_sel:WORD_0 src1_sel:DWORD
	v_and_b32_e32 v8, s81, v8
	v_cmp_eq_u32_e32 vcc, s80, v8
	s_and_b64 exec, exec, vcc
	s_cbranch_execz .LBB108_87
; %bb.92:                               ;   in Loop: Header=BB108_88 Depth=2
	v_perm_b32 v7, v7, 1, v38
	ds_write_b32 v13, v7 offset:3072
	s_branch .LBB108_87
.LBB108_93:                             ;   in Loop: Header=BB108_10 Depth=1
	s_mov_b64 s[6:7], -1
                                        ; implicit-def: $sgpr0_sgpr1
                                        ; implicit-def: $sgpr12_sgpr13
                                        ; implicit-def: $sgpr8_sgpr9
	s_branch .LBB108_110
.LBB108_94:                             ;   in Loop: Header=BB108_10 Depth=1
	s_mov_b64 s[0:1], -1
	s_mov_b64 s[6:7], 0
                                        ; implicit-def: $sgpr8_sgpr9
                                        ; implicit-def: $vgpr39
	s_mov_b64 s[12:13], s[0:1]
	s_cbranch_execnz .LBB108_97
	s_branch .LBB108_110
.LBB108_95:                             ;   in Loop: Header=BB108_10 Depth=1
	s_or_b64 exec, exec, s[12:13]
	v_lshrrev_b32_e32 v39, 16, v7
	s_and_b64 s[6:7], s[22:23], exec
.LBB108_96:                             ;   in Loop: Header=BB108_10 Depth=1
	s_or_b64 exec, exec, s[8:9]
	s_mov_b64 s[8:9], -1
	s_mov_b64 s[0:1], 0
	s_mov_b64 s[12:13], s[0:1]
	s_branch .LBB108_110
.LBB108_97:                             ;   in Loop: Header=BB108_10 Depth=1
	s_mov_b32 s48, s71
	s_cmp_lg_u64 s[48:49], 0
	s_cbranch_scc0 .LBB108_143
; %bb.98:                               ;   in Loop: Header=BB108_10 Depth=1
	v_cvt_f32_u32_e32 v2, s33
	s_sub_u32 s0, 0, s33
	s_subb_u32 s1, 0, 0
	v_mac_f32_e32 v2, 0, v37
	v_rcp_f32_e32 v2, v2
	v_mul_f32_e32 v2, 0x5f7ffffc, v2
	v_mul_f32_e32 v3, 0x2f800000, v2
	v_trunc_f32_e32 v3, v3
	v_mac_f32_e32 v2, 0xcf800000, v3
	v_cvt_u32_f32_e32 v3, v3
	v_cvt_u32_f32_e32 v2, v2
	v_readfirstlane_b32 s6, v3
	v_readfirstlane_b32 s7, v2
	s_mul_i32 s8, s0, s6
	s_mul_hi_u32 s12, s0, s7
	s_mul_i32 s9, s1, s7
	s_add_i32 s8, s12, s8
	s_mul_i32 s13, s0, s7
	s_add_i32 s8, s8, s9
	s_mul_hi_u32 s12, s7, s13
	s_mul_hi_u32 s9, s7, s8
	s_mul_i32 s7, s7, s8
	s_add_u32 s7, s12, s7
	s_addc_u32 s9, 0, s9
	s_mul_hi_u32 s22, s6, s13
	s_mul_i32 s13, s6, s13
	s_add_u32 s7, s7, s13
	s_mul_hi_u32 s12, s6, s8
	s_addc_u32 s7, s9, s22
	s_addc_u32 s9, s12, 0
	s_mul_i32 s8, s6, s8
	s_add_u32 s7, s7, s8
	s_addc_u32 s8, 0, s9
	v_add_co_u32_e32 v2, vcc, s7, v2
	s_cmp_lg_u64 vcc, 0
	s_addc_u32 s6, s6, s8
	v_readfirstlane_b32 s8, v2
	s_mul_i32 s7, s0, s6
	s_mul_hi_u32 s9, s0, s8
	s_add_i32 s7, s9, s7
	s_mul_i32 s1, s1, s8
	s_add_i32 s7, s7, s1
	s_mul_i32 s0, s0, s8
	s_mul_hi_u32 s9, s6, s0
	s_mul_i32 s12, s6, s0
	s_mul_i32 s22, s8, s7
	s_mul_hi_u32 s0, s8, s0
	s_mul_hi_u32 s13, s8, s7
	s_add_u32 s0, s0, s22
	s_addc_u32 s8, 0, s13
	s_add_u32 s0, s0, s12
	s_mul_hi_u32 s1, s6, s7
	s_addc_u32 s0, s8, s9
	s_addc_u32 s1, s1, 0
	s_mul_i32 s7, s6, s7
	s_add_u32 s0, s0, s7
	s_addc_u32 s1, 0, s1
	v_add_co_u32_e32 v2, vcc, s0, v2
	s_cmp_lg_u64 vcc, 0
	s_addc_u32 s0, s6, s1
	v_readfirstlane_b32 s7, v2
	s_mul_i32 s6, s79, s0
	s_mul_hi_u32 s8, s79, s7
	s_mul_hi_u32 s1, s79, s0
	s_add_u32 s6, s8, s6
	s_addc_u32 s1, 0, s1
	s_mul_hi_u32 s9, s49, s7
	s_mul_i32 s7, s49, s7
	s_add_u32 s6, s6, s7
	s_mul_hi_u32 s8, s49, s0
	s_addc_u32 s1, s1, s9
	s_addc_u32 s6, s8, 0
	s_mul_i32 s0, s49, s0
	s_add_u32 s0, s1, s0
	s_addc_u32 s1, 0, s6
	s_mul_hi_u32 s6, s33, s0
	s_mul_i32 s0, s33, s0
	s_mul_i32 s1, s33, s1
	v_mov_b32_e32 v2, s0
	s_add_i32 s6, s6, s1
	v_sub_co_u32_e32 v2, vcc, s79, v2
	s_cmp_lg_u64 vcc, 0
	s_subb_u32 s0, s49, s6
	v_subrev_co_u32_e32 v3, vcc, s33, v2
	s_cmp_lg_u64 vcc, 0
	s_subb_u32 s1, s0, 0
	v_subrev_co_u32_e32 v4, vcc, s33, v3
	s_cmp_lg_u64 vcc, 0
	s_subb_u32 s6, s1, 0
	v_cmp_le_u32_e32 vcc, s33, v3
	s_cmp_eq_u32 s1, 0
	v_cndmask_b32_e64 v5, 0, -1, vcc
	s_cselect_b64 vcc, -1, 0
	v_cndmask_b32_e32 v5, -1, v5, vcc
	v_mov_b32_e32 v6, s1
	v_mov_b32_e32 v7, s6
	v_cmp_ne_u32_e32 vcc, 0, v5
	v_cndmask_b32_e32 v5, v6, v7, vcc
	v_cndmask_b32_e32 v4, v3, v4, vcc
	v_cmp_le_u32_e32 vcc, s33, v2
	s_cmp_eq_u32 s0, 0
	v_cndmask_b32_e64 v3, 0, -1, vcc
	s_cselect_b64 vcc, -1, 0
	v_cndmask_b32_e32 v3, -1, v3, vcc
	v_mov_b32_e32 v6, s0
	v_cmp_ne_u32_e32 vcc, 0, v3
	v_cndmask_b32_e32 v3, v6, v5, vcc
	v_cndmask_b32_e32 v2, v2, v4, vcc
	s_cbranch_execnz .LBB108_100
.LBB108_99:                             ;   in Loop: Header=BB108_10 Depth=1
	v_cvt_f32_u32_e32 v2, s33
	s_sub_i32 s0, 0, s33
	v_rcp_iflag_f32_e32 v2, v2
	v_mul_f32_e32 v2, 0x4f7ffffe, v2
	v_cvt_u32_f32_e32 v2, v2
	v_mul_lo_u32 v3, s0, v2
	v_mul_hi_u32 v3, v2, v3
	v_add_u32_e32 v2, v2, v3
	v_mul_hi_u32 v2, s79, v2
	v_mul_lo_u32 v2, v2, s33
	v_sub_u32_e32 v2, s79, v2
	v_subrev_u32_e32 v3, s33, v2
	v_cmp_le_u32_e32 vcc, s33, v2
	v_cndmask_b32_e32 v2, v2, v3, vcc
	v_subrev_u32_e32 v3, s33, v2
	v_cmp_le_u32_e32 vcc, s33, v2
	v_cndmask_b32_e32 v12, v2, v3, vcc
	v_pk_mov_b32 v[2:3], v[12:13], v[12:13] op_sel:[0,1]
.LBB108_100:                            ;   in Loop: Header=BB108_10 Depth=1
	v_mov_b32_e32 v4, s49
	v_sub_co_u32_e32 v2, vcc, s79, v2
	v_subb_co_u32_e32 v3, vcc, v4, v3, vcc
	v_cmp_gt_u64_e32 vcc, v[2:3], v[0:1]
	s_mov_b64 s[6:7], 0
                                        ; implicit-def: $vgpr39
	s_and_saveexec_b64 s[0:1], vcc
	s_cbranch_execz .LBB108_109
; %bb.101:                              ;   in Loop: Header=BB108_10 Depth=1
	s_mov_b64 s[8:9], 0
	v_pk_mov_b32 v[4:5], v[10:11], v[10:11] op_sel:[0,1]
	v_pk_mov_b32 v[6:7], v[0:1], v[0:1] op_sel:[0,1]
                                        ; implicit-def: $sgpr12_sgpr13
	s_branch .LBB108_103
.LBB108_102:                            ;   in Loop: Header=BB108_103 Depth=2
	s_or_b64 exec, exec, s[6:7]
	s_waitcnt lgkmcnt(0)
	s_barrier
	s_waitcnt vmcnt(0)
	ds_read_b32 v8, v13 offset:3072
	v_mov_b32_e32 v9, s88
	v_add_co_u32_e64 v6, s[6:7], s33, v6
	v_addc_co_u32_e64 v7, s[6:7], v7, v9, s[6:7]
	s_waitcnt lgkmcnt(0)
	v_cmp_ne_u16_e32 vcc, 0, v8
	v_cmp_ge_u64_e64 s[6:7], v[6:7], v[2:3]
	s_or_b64 s[22:23], s[6:7], vcc
	v_mov_b32_e32 v9, s67
	v_add_co_u32_e64 v4, s[6:7], s66, v4
	v_addc_co_u32_e64 v5, s[6:7], v5, v9, s[6:7]
	s_and_b64 s[6:7], exec, s[22:23]
	s_or_b64 s[8:9], s[6:7], s[8:9]
	s_andn2_b64 s[6:7], s[12:13], exec
	s_and_b64 s[12:13], vcc, exec
	s_or_b64 s[12:13], s[6:7], s[12:13]
	s_barrier
	s_andn2_b64 exec, exec, s[8:9]
	s_cbranch_execz .LBB108_108
.LBB108_103:                            ;   Parent Loop BB108_10 Depth=1
                                        ; =>  This Inner Loop Header: Depth=2
	v_cmp_gt_u64_e32 vcc, s[52:53], v[6:7]
	v_mov_b32_e32 v8, 0
	s_and_saveexec_b64 s[6:7], vcc
	s_cbranch_execz .LBB108_105
; %bb.104:                              ;   in Loop: Header=BB108_103 Depth=2
	global_load_ushort v8, v[4:5], off
.LBB108_105:                            ;   in Loop: Header=BB108_103 Depth=2
	s_or_b64 exec, exec, s[6:7]
	s_and_saveexec_b64 s[6:7], vcc
	s_cbranch_execz .LBB108_102
; %bb.106:                              ;   in Loop: Header=BB108_103 Depth=2
	s_waitcnt vmcnt(0)
	v_add_u32_sdwa v9, sext(v8), s72 dst_sel:DWORD dst_unused:UNUSED_PAD src0_sel:WORD_0 src1_sel:DWORD
	v_and_b32_e32 v9, s81, v9
	v_cmp_eq_u32_e32 vcc, s80, v9
	s_and_b64 exec, exec, vcc
	s_cbranch_execz .LBB108_102
; %bb.107:                              ;   in Loop: Header=BB108_103 Depth=2
	v_perm_b32 v8, v8, 1, v38
	ds_write_b32 v13, v8 offset:3072
	s_branch .LBB108_102
.LBB108_108:                            ;   in Loop: Header=BB108_10 Depth=1
	s_or_b64 exec, exec, s[8:9]
	v_lshrrev_b32_e32 v39, 16, v8
	s_and_b64 s[6:7], s[12:13], exec
.LBB108_109:                            ;   in Loop: Header=BB108_10 Depth=1
	s_or_b64 exec, exec, s[0:1]
	s_mov_b64 s[12:13], -1
	s_mov_b64 s[0:1], 0
	s_mov_b64 s[8:9], 0
.LBB108_110:                            ;   in Loop: Header=BB108_10 Depth=1
	s_andn2_b64 s[22:23], s[94:95], exec
	s_and_b64 s[0:1], s[0:1], exec
	s_or_b64 s[94:95], s[22:23], s[0:1]
	s_andn2_b64 s[0:1], s[62:63], exec
	s_and_b64 s[12:13], s[12:13], exec
	s_or_b64 s[62:63], s[0:1], s[12:13]
	;; [unrolled: 3-line block ×3, first 2 shown]
	s_and_saveexec_b64 s[12:13], s[6:7]
	s_cbranch_execz .LBB108_9
; %bb.111:                              ;   in Loop: Header=BB108_10 Depth=1
	s_xor_b64 s[0:1], s[20:21], -1
	s_andn2_b64 vcc, exec, s[0:1]
	s_mov_b32 s45, 1
	s_cbranch_vccnz .LBB108_122
; %bb.112:                              ;   in Loop: Header=BB108_10 Depth=1
	v_pk_mov_b32 v[2:3], s[14:15], s[14:15] op_sel:[0,1]
	v_cmp_gt_u64_e32 vcc, s[50:51], v[2:3]
	s_mov_b64 s[0:1], -1
                                        ; implicit-def: $sgpr45
                                        ; implicit-def: $sgpr6
                                        ; implicit-def: $sgpr7
	s_cbranch_vccnz .LBB108_118
; %bb.113:                              ;   in Loop: Header=BB108_10 Depth=1
	ds_read_b64 v[2:3], v13 offset:5120
	s_waitcnt lgkmcnt(0)
	v_cmp_ne_u64_e32 vcc, 0, v[2:3]
	s_cbranch_vccnz .LBB108_117
; %bb.114:                              ;   in Loop: Header=BB108_10 Depth=1
	s_mov_b64 s[0:1], exec
	v_readlane_b32 s6, v48, 0
	v_readlane_b32 s7, v48, 1
	s_and_b64 s[6:7], s[0:1], s[6:7]
	s_mov_b64 exec, s[6:7]
	s_cbranch_execz .LBB108_116
; %bb.115:                              ;   in Loop: Header=BB108_10 Depth=1
	v_pk_mov_b32 v[2:3], s[14:15], s[14:15] op_sel:[0,1]
	ds_write_b64 v13, v[2:3] offset:5128
.LBB108_116:                            ;   in Loop: Header=BB108_10 Depth=1
	s_or_b64 exec, exec, s[0:1]
	s_waitcnt lgkmcnt(0)
	s_barrier
.LBB108_117:                            ;   in Loop: Header=BB108_10 Depth=1
	s_and_b32 s6, s80, s41
	s_or_b32 s7, s81, s44
	s_mov_b64 s[0:1], 0
	s_mov_b32 s45, 8
.LBB108_118:                            ;   in Loop: Header=BB108_10 Depth=1
	s_andn2_b64 vcc, exec, s[0:1]
	s_cbranch_vccnz .LBB108_120
; %bb.119:                              ;   in Loop: Header=BB108_10 Depth=1
	s_sub_u32 s50, s50, s14
	s_subb_u32 s51, s51, s15
	s_mov_b64 s[0:1], -1
	s_mov_b32 s45, 0
	s_mov_b32 s6, s80
	;; [unrolled: 1-line block ×3, first 2 shown]
.LBB108_120:                            ;   in Loop: Header=BB108_10 Depth=1
	s_mov_b32 s81, s7
	s_mov_b32 s80, s6
	s_mov_b64 s[14:15], -1
	s_and_b64 vcc, exec, s[0:1]
	s_cbranch_vccnz .LBB108_123
.LBB108_121:                            ;   in Loop: Header=BB108_10 Depth=1
	s_mov_b64 s[0:1], -1
                                        ; implicit-def: $sgpr18_sgpr19
                                        ; implicit-def: $sgpr22_sgpr23
                                        ; implicit-def: $sgpr20_sgpr21
	s_and_saveexec_b64 s[6:7], s[0:1]
	s_xor_b64 s[0:1], exec, s[6:7]
	s_cbranch_execz .LBB108_8
	s_branch .LBB108_272
.LBB108_122:                            ;   in Loop: Header=BB108_10 Depth=1
	s_mov_b64 s[50:51], 1
	s_mov_b64 s[14:15], -1
	s_branch .LBB108_121
.LBB108_123:                            ;   in Loop: Header=BB108_10 Depth=1
	s_cmp_eq_u64 s[28:29], 1
	s_cselect_b64 s[0:1], -1, 0
	s_cmp_eq_u64 s[50:51], 1
	s_cselect_b64 s[6:7], -1, 0
	s_and_b64 s[30:31], s[0:1], s[6:7]
	s_mov_b64 s[6:7], -1
	s_and_b64 vcc, exec, s[30:31]
	s_cbranch_vccz .LBB108_138
; %bb.124:                              ;   in Loop: Header=BB108_10 Depth=1
	ds_read_b64 v[2:3], v13 offset:5120
	s_waitcnt lgkmcnt(0)
	s_barrier
	v_readfirstlane_b32 s0, v2
	v_readfirstlane_b32 s1, v3
	s_mov_b64 s[6:7], exec
	v_readlane_b32 s8, v48, 14
	v_readlane_b32 s9, v48, 15
	s_and_b64 s[8:9], s[6:7], s[8:9]
	s_mov_b64 exec, s[8:9]
	s_cbranch_execz .LBB108_126
; %bb.125:                              ;   in Loop: Header=BB108_10 Depth=1
	ds_write_b16 v32, v1
.LBB108_126:                            ;   in Loop: Header=BB108_10 Depth=1
	s_or_b64 exec, exec, s[6:7]
	s_lshl_b32 s6, 1, s40
	s_and_b32 s7, s80, s41
	s_or_b32 s80, s7, s6
	s_or_b32 s81, s81, s44
	s_cmp_eq_u64 s[0:1], 0
	s_waitcnt lgkmcnt(0)
	s_barrier
	s_cbranch_scc1 .LBB108_144
; %bb.127:                              ;   in Loop: Header=BB108_10 Depth=1
	v_readlane_b32 s6, v48, 20
	s_add_u32 s18, s6, s0
	v_readlane_b32 s6, v48, 21
	s_addc_u32 s7, s6, s1
	s_mov_b32 s6, s71
	s_cmp_lg_u64 s[6:7], 0
	s_cbranch_scc0 .LBB108_189
; %bb.128:                              ;   in Loop: Header=BB108_10 Depth=1
	v_cvt_f32_u32_e32 v2, s33
	s_sub_u32 s6, 0, s33
	s_subb_u32 s8, 0, 0
	v_mac_f32_e32 v2, 0, v37
	v_rcp_f32_e32 v2, v2
	v_mul_f32_e32 v2, 0x5f7ffffc, v2
	v_mul_f32_e32 v3, 0x2f800000, v2
	v_trunc_f32_e32 v3, v3
	v_mac_f32_e32 v2, 0xcf800000, v3
	v_cvt_u32_f32_e32 v3, v3
	v_cvt_u32_f32_e32 v2, v2
	v_readfirstlane_b32 s9, v3
	v_readfirstlane_b32 s19, v2
	s_mul_i32 s20, s6, s9
	s_mul_hi_u32 s22, s6, s19
	s_mul_i32 s21, s8, s19
	s_add_i32 s20, s22, s20
	s_mul_i32 s23, s6, s19
	s_add_i32 s20, s20, s21
	s_mul_hi_u32 s22, s19, s23
	s_mul_hi_u32 s21, s19, s20
	s_mul_i32 s19, s19, s20
	s_add_u32 s19, s22, s19
	s_addc_u32 s21, 0, s21
	s_mul_hi_u32 s24, s9, s23
	s_mul_i32 s23, s9, s23
	s_add_u32 s19, s19, s23
	s_mul_hi_u32 s22, s9, s20
	s_addc_u32 s19, s21, s24
	s_addc_u32 s21, s22, 0
	s_mul_i32 s20, s9, s20
	s_add_u32 s19, s19, s20
	s_addc_u32 s20, 0, s21
	v_add_co_u32_e32 v2, vcc, s19, v2
	s_cmp_lg_u64 vcc, 0
	s_addc_u32 s9, s9, s20
	v_readfirstlane_b32 s20, v2
	s_mul_i32 s19, s6, s9
	s_mul_hi_u32 s21, s6, s20
	s_add_i32 s19, s21, s19
	s_mul_i32 s8, s8, s20
	s_add_i32 s19, s19, s8
	s_mul_i32 s6, s6, s20
	s_mul_hi_u32 s21, s9, s6
	s_mul_i32 s22, s9, s6
	s_mul_i32 s24, s20, s19
	s_mul_hi_u32 s6, s20, s6
	s_mul_hi_u32 s23, s20, s19
	s_add_u32 s6, s6, s24
	s_addc_u32 s20, 0, s23
	s_add_u32 s6, s6, s22
	s_mul_hi_u32 s8, s9, s19
	s_addc_u32 s6, s20, s21
	s_addc_u32 s8, s8, 0
	s_mul_i32 s19, s9, s19
	s_add_u32 s6, s6, s19
	s_addc_u32 s8, 0, s8
	v_add_co_u32_e32 v2, vcc, s6, v2
	s_cmp_lg_u64 vcc, 0
	s_addc_u32 s6, s9, s8
	v_readfirstlane_b32 s19, v2
	s_mul_i32 s9, s18, s6
	s_mul_hi_u32 s20, s18, s19
	s_mul_hi_u32 s8, s18, s6
	s_add_u32 s9, s20, s9
	s_addc_u32 s8, 0, s8
	s_mul_hi_u32 s21, s7, s19
	s_mul_i32 s19, s7, s19
	s_add_u32 s9, s9, s19
	s_mul_hi_u32 s20, s7, s6
	s_addc_u32 s8, s8, s21
	s_addc_u32 s9, s20, 0
	s_mul_i32 s6, s7, s6
	s_add_u32 s6, s8, s6
	s_addc_u32 s8, 0, s9
	s_mul_hi_u32 s9, s33, s6
	s_mul_i32 s6, s33, s6
	s_mul_i32 s8, s33, s8
	v_mov_b32_e32 v2, s6
	s_add_i32 s9, s9, s8
	v_sub_co_u32_e32 v2, vcc, s18, v2
	s_cmp_lg_u64 vcc, 0
	s_subb_u32 s6, s7, s9
	v_subrev_co_u32_e32 v3, vcc, s33, v2
	s_cmp_lg_u64 vcc, 0
	s_subb_u32 s8, s6, 0
	v_subrev_co_u32_e32 v4, vcc, s33, v3
	s_cmp_lg_u64 vcc, 0
	s_subb_u32 s9, s8, 0
	v_cmp_le_u32_e32 vcc, s33, v3
	s_cmp_eq_u32 s8, 0
	v_cndmask_b32_e64 v5, 0, -1, vcc
	s_cselect_b64 vcc, -1, 0
	v_cndmask_b32_e32 v5, -1, v5, vcc
	v_mov_b32_e32 v6, s8
	v_mov_b32_e32 v7, s9
	v_cmp_ne_u32_e32 vcc, 0, v5
	v_cndmask_b32_e32 v5, v6, v7, vcc
	v_cndmask_b32_e32 v4, v3, v4, vcc
	v_cmp_le_u32_e32 vcc, s33, v2
	s_cmp_eq_u32 s6, 0
	v_cndmask_b32_e64 v3, 0, -1, vcc
	s_cselect_b64 vcc, -1, 0
	v_cndmask_b32_e32 v3, -1, v3, vcc
	v_mov_b32_e32 v6, s6
	v_cmp_ne_u32_e32 vcc, 0, v3
	v_cndmask_b32_e32 v3, v6, v5, vcc
	v_cndmask_b32_e32 v2, v2, v4, vcc
	s_cbranch_execnz .LBB108_130
.LBB108_129:                            ;   in Loop: Header=BB108_10 Depth=1
	v_cvt_f32_u32_e32 v2, s33
	s_sub_i32 s6, 0, s33
	v_rcp_iflag_f32_e32 v2, v2
	v_mul_f32_e32 v2, 0x4f7ffffe, v2
	v_cvt_u32_f32_e32 v2, v2
	v_mul_lo_u32 v3, s6, v2
	v_mul_hi_u32 v3, v2, v3
	v_add_u32_e32 v2, v2, v3
	v_mul_hi_u32 v2, s18, v2
	v_mul_lo_u32 v2, v2, s33
	v_sub_u32_e32 v2, s18, v2
	v_subrev_u32_e32 v3, s33, v2
	v_cmp_le_u32_e32 vcc, s33, v2
	v_cndmask_b32_e32 v2, v2, v3, vcc
	v_subrev_u32_e32 v3, s33, v2
	v_cmp_le_u32_e32 vcc, s33, v2
	v_cndmask_b32_e32 v12, v2, v3, vcc
	v_pk_mov_b32 v[2:3], v[12:13], v[12:13] op_sel:[0,1]
.LBB108_130:                            ;   in Loop: Header=BB108_10 Depth=1
	v_mov_b32_e32 v4, s7
	v_sub_co_u32_e32 v2, vcc, s18, v2
	v_subb_co_u32_e32 v3, vcc, v4, v3, vcc
	v_cmp_gt_u64_e32 vcc, v[2:3], v[0:1]
	s_mov_b64 s[6:7], 0
                                        ; implicit-def: $vgpr39
	s_and_saveexec_b64 s[8:9], vcc
	s_cbranch_execz .LBB108_146
; %bb.131:                              ;   in Loop: Header=BB108_10 Depth=1
	s_mov_b64 s[18:19], 0
	v_mov_b32_e32 v6, v31
	v_pk_mov_b32 v[4:5], v[0:1], v[0:1] op_sel:[0,1]
                                        ; implicit-def: $sgpr20_sgpr21
	s_branch .LBB108_133
.LBB108_132:                            ;   in Loop: Header=BB108_133 Depth=2
	s_or_b64 exec, exec, s[6:7]
	s_waitcnt lgkmcnt(0)
	s_barrier
	ds_read_b32 v7, v13 offset:3072
	v_mov_b32_e32 v8, s88
	v_add_co_u32_e64 v4, s[6:7], s33, v4
	v_addc_co_u32_e64 v5, s[6:7], v5, v8, s[6:7]
	s_waitcnt lgkmcnt(0)
	v_cmp_ne_u16_e32 vcc, 0, v7
	v_cmp_ge_u64_e64 s[6:7], v[4:5], v[2:3]
	s_or_b64 s[6:7], s[6:7], vcc
	s_and_b64 s[6:7], exec, s[6:7]
	s_or_b64 s[18:19], s[6:7], s[18:19]
	s_andn2_b64 s[6:7], s[20:21], exec
	s_and_b64 s[20:21], vcc, exec
	v_add_u32_e32 v6, s87, v6
	s_or_b64 s[20:21], s[6:7], s[20:21]
	s_barrier
	s_andn2_b64 exec, exec, s[18:19]
	s_cbranch_execz .LBB108_145
.LBB108_133:                            ;   Parent Loop BB108_10 Depth=1
                                        ; =>  This Inner Loop Header: Depth=2
	v_cmp_gt_u64_e32 vcc, s[0:1], v[4:5]
	v_mov_b32_e32 v7, 0
	s_and_saveexec_b64 s[6:7], vcc
	s_cbranch_execz .LBB108_135
; %bb.134:                              ;   in Loop: Header=BB108_133 Depth=2
	ds_read_u16 v7, v6
.LBB108_135:                            ;   in Loop: Header=BB108_133 Depth=2
	s_or_b64 exec, exec, s[6:7]
	s_and_saveexec_b64 s[6:7], vcc
	s_cbranch_execz .LBB108_132
; %bb.136:                              ;   in Loop: Header=BB108_133 Depth=2
	s_waitcnt lgkmcnt(0)
	v_add_u32_sdwa v8, sext(v7), s72 dst_sel:DWORD dst_unused:UNUSED_PAD src0_sel:WORD_0 src1_sel:DWORD
	v_and_b32_e32 v8, s81, v8
	v_cmp_eq_u32_e32 vcc, s80, v8
	s_and_b64 exec, exec, vcc
	s_cbranch_execz .LBB108_132
; %bb.137:                              ;   in Loop: Header=BB108_133 Depth=2
	v_perm_b32 v7, v7, 1, v38
	ds_write_b32 v13, v7 offset:3072
	s_branch .LBB108_132
.LBB108_138:                            ;   in Loop: Header=BB108_10 Depth=1
                                        ; implicit-def: $sgpr20_sgpr21
                                        ; implicit-def: $sgpr22_sgpr23
                                        ; implicit-def: $sgpr18_sgpr19
	s_branch .LBB108_160
.LBB108_139:                            ;   in Loop: Header=BB108_10 Depth=1
                                        ; implicit-def: $vgpr2_vgpr3
	s_branch .LBB108_84
.LBB108_140:                            ;   in Loop: Header=BB108_10 Depth=1
	s_or_b64 exec, exec, s[0:1]
	s_waitcnt lgkmcnt(0)
	s_barrier
	s_mov_b64 s[0:1], exec
	v_readlane_b32 s6, v48, 0
	v_readlane_b32 s7, v48, 1
	s_and_b64 s[6:7], s[0:1], s[6:7]
	s_mov_b64 exec, s[6:7]
	s_cbranch_execz .LBB108_142
; %bb.141:                              ;   in Loop: Header=BB108_10 Depth=1
	ds_read_b32 v2, v13 offset:5144
	s_waitcnt lgkmcnt(0)
	v_ashrrev_i32_e32 v3, 31, v2
	ds_write_b64 v13, v[2:3] offset:5120
.LBB108_142:                            ;   in Loop: Header=BB108_10 Depth=1
	s_or_b64 exec, exec, s[0:1]
	s_waitcnt lgkmcnt(0)
	s_barrier
	s_mov_b64 s[0:1], -1
	s_and_b64 vcc, exec, s[82:83]
	s_cbranch_vccnz .LBB108_25
	s_branch .LBB108_35
.LBB108_143:                            ;   in Loop: Header=BB108_10 Depth=1
                                        ; implicit-def: $vgpr2_vgpr3
	s_branch .LBB108_99
.LBB108_144:                            ;   in Loop: Header=BB108_10 Depth=1
	s_mov_b64 s[20:21], -1
	s_mov_b64 s[6:7], 0
                                        ; implicit-def: $sgpr18_sgpr19
                                        ; implicit-def: $vgpr39
	s_mov_b64 s[22:23], s[20:21]
	s_cbranch_execnz .LBB108_147
	s_branch .LBB108_160
.LBB108_145:                            ;   in Loop: Header=BB108_10 Depth=1
	s_or_b64 exec, exec, s[18:19]
	v_lshrrev_b32_e32 v39, 16, v7
	s_and_b64 s[6:7], s[20:21], exec
.LBB108_146:                            ;   in Loop: Header=BB108_10 Depth=1
	s_or_b64 exec, exec, s[8:9]
	s_mov_b64 s[18:19], -1
	s_mov_b64 s[20:21], 0
	s_mov_b64 s[22:23], s[20:21]
	s_branch .LBB108_160
.LBB108_147:                            ;   in Loop: Header=BB108_10 Depth=1
	s_mov_b32 s48, s71
	s_cmp_lg_u64 s[48:49], 0
	s_cbranch_scc0 .LBB108_190
; %bb.148:                              ;   in Loop: Header=BB108_10 Depth=1
	v_cvt_f32_u32_e32 v2, s33
	s_sub_u32 s0, 0, s33
	s_subb_u32 s1, 0, 0
	v_mac_f32_e32 v2, 0, v37
	v_rcp_f32_e32 v2, v2
	v_mul_f32_e32 v2, 0x5f7ffffc, v2
	v_mul_f32_e32 v3, 0x2f800000, v2
	v_trunc_f32_e32 v3, v3
	v_mac_f32_e32 v2, 0xcf800000, v3
	v_cvt_u32_f32_e32 v3, v3
	v_cvt_u32_f32_e32 v2, v2
	v_readfirstlane_b32 s6, v3
	v_readfirstlane_b32 s7, v2
	s_mul_i32 s8, s0, s6
	s_mul_hi_u32 s18, s0, s7
	s_mul_i32 s9, s1, s7
	s_add_i32 s8, s18, s8
	s_mul_i32 s19, s0, s7
	s_add_i32 s8, s8, s9
	s_mul_hi_u32 s18, s7, s19
	s_mul_hi_u32 s9, s7, s8
	s_mul_i32 s7, s7, s8
	s_add_u32 s7, s18, s7
	s_addc_u32 s9, 0, s9
	s_mul_hi_u32 s20, s6, s19
	s_mul_i32 s19, s6, s19
	s_add_u32 s7, s7, s19
	s_mul_hi_u32 s18, s6, s8
	s_addc_u32 s7, s9, s20
	s_addc_u32 s9, s18, 0
	s_mul_i32 s8, s6, s8
	s_add_u32 s7, s7, s8
	s_addc_u32 s8, 0, s9
	v_add_co_u32_e32 v2, vcc, s7, v2
	s_cmp_lg_u64 vcc, 0
	s_addc_u32 s6, s6, s8
	v_readfirstlane_b32 s8, v2
	s_mul_i32 s7, s0, s6
	s_mul_hi_u32 s9, s0, s8
	s_add_i32 s7, s9, s7
	s_mul_i32 s1, s1, s8
	s_add_i32 s7, s7, s1
	s_mul_i32 s0, s0, s8
	s_mul_hi_u32 s9, s6, s0
	s_mul_i32 s18, s6, s0
	s_mul_i32 s20, s8, s7
	s_mul_hi_u32 s0, s8, s0
	s_mul_hi_u32 s19, s8, s7
	s_add_u32 s0, s0, s20
	s_addc_u32 s8, 0, s19
	s_add_u32 s0, s0, s18
	s_mul_hi_u32 s1, s6, s7
	s_addc_u32 s0, s8, s9
	s_addc_u32 s1, s1, 0
	s_mul_i32 s7, s6, s7
	s_add_u32 s0, s0, s7
	s_addc_u32 s1, 0, s1
	v_add_co_u32_e32 v2, vcc, s0, v2
	s_cmp_lg_u64 vcc, 0
	s_addc_u32 s0, s6, s1
	v_readfirstlane_b32 s7, v2
	s_mul_i32 s6, s79, s0
	s_mul_hi_u32 s8, s79, s7
	s_mul_hi_u32 s1, s79, s0
	s_add_u32 s6, s8, s6
	s_addc_u32 s1, 0, s1
	s_mul_hi_u32 s9, s49, s7
	s_mul_i32 s7, s49, s7
	s_add_u32 s6, s6, s7
	s_mul_hi_u32 s8, s49, s0
	s_addc_u32 s1, s1, s9
	s_addc_u32 s6, s8, 0
	s_mul_i32 s0, s49, s0
	s_add_u32 s0, s1, s0
	s_addc_u32 s1, 0, s6
	s_mul_hi_u32 s6, s33, s0
	s_mul_i32 s0, s33, s0
	s_mul_i32 s1, s33, s1
	v_mov_b32_e32 v2, s0
	s_add_i32 s6, s6, s1
	v_sub_co_u32_e32 v2, vcc, s79, v2
	s_cmp_lg_u64 vcc, 0
	s_subb_u32 s0, s49, s6
	v_subrev_co_u32_e32 v3, vcc, s33, v2
	s_cmp_lg_u64 vcc, 0
	s_subb_u32 s1, s0, 0
	v_subrev_co_u32_e32 v4, vcc, s33, v3
	s_cmp_lg_u64 vcc, 0
	s_subb_u32 s6, s1, 0
	v_cmp_le_u32_e32 vcc, s33, v3
	s_cmp_eq_u32 s1, 0
	v_cndmask_b32_e64 v5, 0, -1, vcc
	s_cselect_b64 vcc, -1, 0
	v_cndmask_b32_e32 v5, -1, v5, vcc
	v_mov_b32_e32 v6, s1
	v_mov_b32_e32 v7, s6
	v_cmp_ne_u32_e32 vcc, 0, v5
	v_cndmask_b32_e32 v5, v6, v7, vcc
	v_cndmask_b32_e32 v4, v3, v4, vcc
	v_cmp_le_u32_e32 vcc, s33, v2
	s_cmp_eq_u32 s0, 0
	v_cndmask_b32_e64 v3, 0, -1, vcc
	s_cselect_b64 vcc, -1, 0
	v_cndmask_b32_e32 v3, -1, v3, vcc
	v_mov_b32_e32 v6, s0
	v_cmp_ne_u32_e32 vcc, 0, v3
	v_cndmask_b32_e32 v3, v6, v5, vcc
	v_cndmask_b32_e32 v2, v2, v4, vcc
	s_cbranch_execnz .LBB108_150
.LBB108_149:                            ;   in Loop: Header=BB108_10 Depth=1
	v_cvt_f32_u32_e32 v2, s33
	s_sub_i32 s0, 0, s33
	v_rcp_iflag_f32_e32 v2, v2
	v_mul_f32_e32 v2, 0x4f7ffffe, v2
	v_cvt_u32_f32_e32 v2, v2
	v_mul_lo_u32 v3, s0, v2
	v_mul_hi_u32 v3, v2, v3
	v_add_u32_e32 v2, v2, v3
	v_mul_hi_u32 v2, s79, v2
	v_mul_lo_u32 v2, v2, s33
	v_sub_u32_e32 v2, s79, v2
	v_subrev_u32_e32 v3, s33, v2
	v_cmp_le_u32_e32 vcc, s33, v2
	v_cndmask_b32_e32 v2, v2, v3, vcc
	v_subrev_u32_e32 v3, s33, v2
	v_cmp_le_u32_e32 vcc, s33, v2
	v_cndmask_b32_e32 v12, v2, v3, vcc
	v_pk_mov_b32 v[2:3], v[12:13], v[12:13] op_sel:[0,1]
.LBB108_150:                            ;   in Loop: Header=BB108_10 Depth=1
	v_mov_b32_e32 v4, s49
	v_sub_co_u32_e32 v2, vcc, s79, v2
	v_subb_co_u32_e32 v3, vcc, v4, v3, vcc
	v_cmp_gt_u64_e32 vcc, v[2:3], v[0:1]
	s_mov_b64 s[6:7], 0
                                        ; implicit-def: $vgpr39
	s_and_saveexec_b64 s[0:1], vcc
	s_cbranch_execz .LBB108_159
; %bb.151:                              ;   in Loop: Header=BB108_10 Depth=1
	s_mov_b64 s[8:9], 0
	v_pk_mov_b32 v[4:5], v[10:11], v[10:11] op_sel:[0,1]
	v_pk_mov_b32 v[6:7], v[0:1], v[0:1] op_sel:[0,1]
                                        ; implicit-def: $sgpr18_sgpr19
	s_branch .LBB108_153
.LBB108_152:                            ;   in Loop: Header=BB108_153 Depth=2
	s_or_b64 exec, exec, s[6:7]
	s_waitcnt lgkmcnt(0)
	s_barrier
	s_waitcnt vmcnt(0)
	ds_read_b32 v8, v13 offset:3072
	v_mov_b32_e32 v9, s88
	v_add_co_u32_e64 v6, s[6:7], s33, v6
	v_addc_co_u32_e64 v7, s[6:7], v7, v9, s[6:7]
	s_waitcnt lgkmcnt(0)
	v_cmp_ne_u16_e32 vcc, 0, v8
	v_cmp_ge_u64_e64 s[6:7], v[6:7], v[2:3]
	s_or_b64 s[20:21], s[6:7], vcc
	v_mov_b32_e32 v9, s67
	v_add_co_u32_e64 v4, s[6:7], s66, v4
	v_addc_co_u32_e64 v5, s[6:7], v5, v9, s[6:7]
	s_and_b64 s[6:7], exec, s[20:21]
	s_or_b64 s[8:9], s[6:7], s[8:9]
	s_andn2_b64 s[6:7], s[18:19], exec
	s_and_b64 s[18:19], vcc, exec
	s_or_b64 s[18:19], s[6:7], s[18:19]
	s_barrier
	s_andn2_b64 exec, exec, s[8:9]
	s_cbranch_execz .LBB108_158
.LBB108_153:                            ;   Parent Loop BB108_10 Depth=1
                                        ; =>  This Inner Loop Header: Depth=2
	v_cmp_gt_u64_e32 vcc, s[52:53], v[6:7]
	v_mov_b32_e32 v8, 0
	s_and_saveexec_b64 s[6:7], vcc
	s_cbranch_execz .LBB108_155
; %bb.154:                              ;   in Loop: Header=BB108_153 Depth=2
	global_load_ushort v8, v[4:5], off
.LBB108_155:                            ;   in Loop: Header=BB108_153 Depth=2
	s_or_b64 exec, exec, s[6:7]
	s_and_saveexec_b64 s[6:7], vcc
	s_cbranch_execz .LBB108_152
; %bb.156:                              ;   in Loop: Header=BB108_153 Depth=2
	s_waitcnt vmcnt(0)
	v_add_u32_sdwa v9, sext(v8), s72 dst_sel:DWORD dst_unused:UNUSED_PAD src0_sel:WORD_0 src1_sel:DWORD
	v_and_b32_e32 v9, s81, v9
	v_cmp_eq_u32_e32 vcc, s80, v9
	s_and_b64 exec, exec, vcc
	s_cbranch_execz .LBB108_152
; %bb.157:                              ;   in Loop: Header=BB108_153 Depth=2
	v_perm_b32 v8, v8, 1, v38
	ds_write_b32 v13, v8 offset:3072
	s_branch .LBB108_152
.LBB108_158:                            ;   in Loop: Header=BB108_10 Depth=1
	s_or_b64 exec, exec, s[8:9]
	v_lshrrev_b32_e32 v39, 16, v8
	s_and_b64 s[6:7], s[18:19], exec
.LBB108_159:                            ;   in Loop: Header=BB108_10 Depth=1
	s_or_b64 exec, exec, s[0:1]
	s_mov_b64 s[22:23], -1
	s_mov_b64 s[20:21], 0
	s_mov_b64 s[18:19], 0
.LBB108_160:                            ;   in Loop: Header=BB108_10 Depth=1
	s_mov_b64 s[0:1], 0
                                        ; implicit-def: $sgpr45
	s_and_saveexec_b64 s[24:25], s[6:7]
	s_cbranch_execz .LBB108_271
; %bb.161:                              ;   in Loop: Header=BB108_10 Depth=1
	s_xor_b64 s[0:1], s[30:31], -1
	s_andn2_b64 vcc, exec, s[0:1]
	s_mov_b32 s45, 1
	s_cbranch_vccnz .LBB108_172
; %bb.162:                              ;   in Loop: Header=BB108_10 Depth=1
	v_pk_mov_b32 v[2:3], s[28:29], s[28:29] op_sel:[0,1]
	v_cmp_gt_u64_e32 vcc, s[50:51], v[2:3]
	s_mov_b64 s[0:1], -1
                                        ; implicit-def: $sgpr45
                                        ; implicit-def: $sgpr6
                                        ; implicit-def: $sgpr7
	s_cbranch_vccnz .LBB108_168
; %bb.163:                              ;   in Loop: Header=BB108_10 Depth=1
	ds_read_b64 v[2:3], v13 offset:5120
	s_waitcnt lgkmcnt(0)
	v_cmp_ne_u64_e32 vcc, 0, v[2:3]
	s_cbranch_vccnz .LBB108_167
; %bb.164:                              ;   in Loop: Header=BB108_10 Depth=1
	s_mov_b64 s[0:1], exec
	v_readlane_b32 s6, v48, 0
	v_readlane_b32 s7, v48, 1
	s_and_b64 s[6:7], s[0:1], s[6:7]
	s_mov_b64 exec, s[6:7]
	s_cbranch_execz .LBB108_166
; %bb.165:                              ;   in Loop: Header=BB108_10 Depth=1
	v_pk_mov_b32 v[2:3], s[28:29], s[28:29] op_sel:[0,1]
	ds_write_b64 v13, v[2:3] offset:5128
.LBB108_166:                            ;   in Loop: Header=BB108_10 Depth=1
	s_or_b64 exec, exec, s[0:1]
	s_waitcnt lgkmcnt(0)
	s_barrier
.LBB108_167:                            ;   in Loop: Header=BB108_10 Depth=1
	s_lshl_b32 s0, 1, s40
	s_and_b32 s1, s80, s41
	s_or_b32 s6, s1, s0
	s_or_b32 s7, s81, s44
	s_mov_b64 s[0:1], 0
	s_mov_b32 s45, 8
.LBB108_168:                            ;   in Loop: Header=BB108_10 Depth=1
	s_andn2_b64 vcc, exec, s[0:1]
	s_cbranch_vccnz .LBB108_170
; %bb.169:                              ;   in Loop: Header=BB108_10 Depth=1
	s_sub_u32 s50, s50, s28
	s_subb_u32 s51, s51, s29
	s_mov_b64 s[0:1], -1
	s_mov_b32 s45, 0
	s_mov_b32 s6, s80
	;; [unrolled: 1-line block ×3, first 2 shown]
.LBB108_170:                            ;   in Loop: Header=BB108_10 Depth=1
	s_mov_b32 s81, s7
	s_mov_b32 s80, s6
	s_andn2_b64 vcc, exec, s[0:1]
	s_mov_b64 s[0:1], -1
	s_cbranch_vccz .LBB108_173
.LBB108_171:                            ;   in Loop: Header=BB108_10 Depth=1
                                        ; implicit-def: $sgpr30_sgpr31
                                        ; implicit-def: $sgpr34_sgpr35
                                        ; implicit-def: $sgpr28_sgpr29
	s_branch .LBB108_270
.LBB108_172:                            ;   in Loop: Header=BB108_10 Depth=1
	s_mov_b64 s[50:51], 1
	s_mov_b64 s[0:1], -1
	s_cbranch_execnz .LBB108_171
.LBB108_173:                            ;   in Loop: Header=BB108_10 Depth=1
	s_cmp_eq_u64 s[16:17], 1
	s_cselect_b64 s[0:1], -1, 0
	s_cmp_eq_u64 s[50:51], 1
	s_cselect_b64 s[6:7], -1, 0
	s_mov_b64 s[56:57], s[38:39]
	s_and_b64 s[38:39], s[0:1], s[6:7]
	s_mov_b64 s[54:55], s[36:37]
	s_mov_b64 s[6:7], -1
	s_and_b64 vcc, exec, s[38:39]
	s_cbranch_vccz .LBB108_188
; %bb.174:                              ;   in Loop: Header=BB108_10 Depth=1
	ds_read_b64 v[2:3], v13 offset:5120
	s_waitcnt lgkmcnt(0)
	s_barrier
	v_readfirstlane_b32 s0, v2
	v_readfirstlane_b32 s1, v3
	s_mov_b64 s[6:7], exec
	v_readlane_b32 s8, v48, 14
	v_readlane_b32 s9, v48, 15
	s_and_b64 s[8:9], s[6:7], s[8:9]
	s_mov_b64 exec, s[8:9]
	s_cbranch_execz .LBB108_176
; %bb.175:                              ;   in Loop: Header=BB108_10 Depth=1
	ds_write_b16 v32, v1
.LBB108_176:                            ;   in Loop: Header=BB108_10 Depth=1
	s_or_b64 exec, exec, s[6:7]
	s_lshl_b32 s6, 2, s40
	s_and_b32 s7, s80, s41
	s_or_b32 s80, s7, s6
	s_or_b32 s81, s81, s44
	s_cmp_eq_u64 s[0:1], 0
	s_waitcnt lgkmcnt(0)
	s_barrier
	s_cbranch_scc1 .LBB108_191
; %bb.177:                              ;   in Loop: Header=BB108_10 Depth=1
	v_readlane_b32 s6, v48, 20
	s_add_u32 s26, s6, s0
	v_readlane_b32 s6, v48, 21
	s_addc_u32 s7, s6, s1
	s_mov_b32 s6, s71
	s_cmp_lg_u64 s[6:7], 0
	s_cbranch_scc0 .LBB108_236
; %bb.178:                              ;   in Loop: Header=BB108_10 Depth=1
	v_cvt_f32_u32_e32 v2, s33
	s_sub_u32 s6, 0, s33
	s_subb_u32 s8, 0, 0
	v_mac_f32_e32 v2, 0, v37
	v_rcp_f32_e32 v2, v2
	v_mul_f32_e32 v2, 0x5f7ffffc, v2
	v_mul_f32_e32 v3, 0x2f800000, v2
	v_trunc_f32_e32 v3, v3
	v_mac_f32_e32 v2, 0xcf800000, v3
	v_cvt_u32_f32_e32 v3, v3
	v_cvt_u32_f32_e32 v2, v2
	v_readfirstlane_b32 s9, v3
	v_readfirstlane_b32 s27, v2
	s_mul_i32 s28, s6, s9
	s_mul_hi_u32 s30, s6, s27
	s_mul_i32 s29, s8, s27
	s_add_i32 s28, s30, s28
	s_mul_i32 s31, s6, s27
	s_add_i32 s28, s28, s29
	s_mul_hi_u32 s30, s27, s31
	s_mul_hi_u32 s29, s27, s28
	s_mul_i32 s27, s27, s28
	s_add_u32 s27, s30, s27
	s_addc_u32 s29, 0, s29
	s_mul_hi_u32 s34, s9, s31
	s_mul_i32 s31, s9, s31
	s_add_u32 s27, s27, s31
	s_mul_hi_u32 s30, s9, s28
	s_addc_u32 s27, s29, s34
	s_addc_u32 s29, s30, 0
	s_mul_i32 s28, s9, s28
	s_add_u32 s27, s27, s28
	s_addc_u32 s28, 0, s29
	v_add_co_u32_e32 v2, vcc, s27, v2
	s_cmp_lg_u64 vcc, 0
	s_addc_u32 s9, s9, s28
	v_readfirstlane_b32 s28, v2
	s_mul_i32 s27, s6, s9
	s_mul_hi_u32 s29, s6, s28
	s_add_i32 s27, s29, s27
	s_mul_i32 s8, s8, s28
	s_add_i32 s27, s27, s8
	s_mul_i32 s6, s6, s28
	s_mul_hi_u32 s29, s9, s6
	s_mul_i32 s30, s9, s6
	s_mul_i32 s34, s28, s27
	s_mul_hi_u32 s6, s28, s6
	s_mul_hi_u32 s31, s28, s27
	s_add_u32 s6, s6, s34
	s_addc_u32 s28, 0, s31
	s_add_u32 s6, s6, s30
	s_mul_hi_u32 s8, s9, s27
	s_addc_u32 s6, s28, s29
	s_addc_u32 s8, s8, 0
	s_mul_i32 s27, s9, s27
	s_add_u32 s6, s6, s27
	s_addc_u32 s8, 0, s8
	v_add_co_u32_e32 v2, vcc, s6, v2
	s_cmp_lg_u64 vcc, 0
	s_addc_u32 s6, s9, s8
	v_readfirstlane_b32 s27, v2
	s_mul_i32 s9, s26, s6
	s_mul_hi_u32 s28, s26, s27
	s_mul_hi_u32 s8, s26, s6
	s_add_u32 s9, s28, s9
	s_addc_u32 s8, 0, s8
	s_mul_hi_u32 s29, s7, s27
	s_mul_i32 s27, s7, s27
	s_add_u32 s9, s9, s27
	s_mul_hi_u32 s28, s7, s6
	s_addc_u32 s8, s8, s29
	s_addc_u32 s9, s28, 0
	s_mul_i32 s6, s7, s6
	s_add_u32 s6, s8, s6
	s_addc_u32 s8, 0, s9
	s_mul_hi_u32 s9, s33, s6
	s_mul_i32 s6, s33, s6
	s_mul_i32 s8, s33, s8
	v_mov_b32_e32 v2, s6
	s_add_i32 s9, s9, s8
	v_sub_co_u32_e32 v2, vcc, s26, v2
	s_cmp_lg_u64 vcc, 0
	s_subb_u32 s6, s7, s9
	v_subrev_co_u32_e32 v3, vcc, s33, v2
	s_cmp_lg_u64 vcc, 0
	s_subb_u32 s8, s6, 0
	v_subrev_co_u32_e32 v4, vcc, s33, v3
	s_cmp_lg_u64 vcc, 0
	s_subb_u32 s9, s8, 0
	v_cmp_le_u32_e32 vcc, s33, v3
	s_cmp_eq_u32 s8, 0
	v_cndmask_b32_e64 v5, 0, -1, vcc
	s_cselect_b64 vcc, -1, 0
	v_cndmask_b32_e32 v5, -1, v5, vcc
	v_mov_b32_e32 v6, s8
	v_mov_b32_e32 v7, s9
	v_cmp_ne_u32_e32 vcc, 0, v5
	v_cndmask_b32_e32 v5, v6, v7, vcc
	v_cndmask_b32_e32 v4, v3, v4, vcc
	v_cmp_le_u32_e32 vcc, s33, v2
	s_cmp_eq_u32 s6, 0
	v_cndmask_b32_e64 v3, 0, -1, vcc
	s_cselect_b64 vcc, -1, 0
	v_cndmask_b32_e32 v3, -1, v3, vcc
	v_mov_b32_e32 v6, s6
	v_cmp_ne_u32_e32 vcc, 0, v3
	v_cndmask_b32_e32 v3, v6, v5, vcc
	v_cndmask_b32_e32 v2, v2, v4, vcc
	s_cbranch_execnz .LBB108_180
.LBB108_179:                            ;   in Loop: Header=BB108_10 Depth=1
	v_cvt_f32_u32_e32 v2, s33
	s_sub_i32 s6, 0, s33
	v_rcp_iflag_f32_e32 v2, v2
	v_mul_f32_e32 v2, 0x4f7ffffe, v2
	v_cvt_u32_f32_e32 v2, v2
	v_mul_lo_u32 v3, s6, v2
	v_mul_hi_u32 v3, v2, v3
	v_add_u32_e32 v2, v2, v3
	v_mul_hi_u32 v2, s26, v2
	v_mul_lo_u32 v2, v2, s33
	v_sub_u32_e32 v2, s26, v2
	v_subrev_u32_e32 v3, s33, v2
	v_cmp_le_u32_e32 vcc, s33, v2
	v_cndmask_b32_e32 v2, v2, v3, vcc
	v_subrev_u32_e32 v3, s33, v2
	v_cmp_le_u32_e32 vcc, s33, v2
	v_cndmask_b32_e32 v12, v2, v3, vcc
	v_pk_mov_b32 v[2:3], v[12:13], v[12:13] op_sel:[0,1]
.LBB108_180:                            ;   in Loop: Header=BB108_10 Depth=1
	v_mov_b32_e32 v4, s7
	v_sub_co_u32_e32 v2, vcc, s26, v2
	v_subb_co_u32_e32 v3, vcc, v4, v3, vcc
	v_cmp_gt_u64_e32 vcc, v[2:3], v[0:1]
	s_mov_b64 s[6:7], 0
                                        ; implicit-def: $vgpr39
	s_and_saveexec_b64 s[8:9], vcc
	s_cbranch_execz .LBB108_193
; %bb.181:                              ;   in Loop: Header=BB108_10 Depth=1
	s_mov_b64 s[26:27], 0
	v_mov_b32_e32 v6, v31
	v_pk_mov_b32 v[4:5], v[0:1], v[0:1] op_sel:[0,1]
                                        ; implicit-def: $sgpr28_sgpr29
	s_branch .LBB108_183
.LBB108_182:                            ;   in Loop: Header=BB108_183 Depth=2
	s_or_b64 exec, exec, s[6:7]
	s_waitcnt lgkmcnt(0)
	s_barrier
	ds_read_b32 v7, v13 offset:3072
	v_mov_b32_e32 v8, s88
	v_add_co_u32_e64 v4, s[6:7], s33, v4
	v_addc_co_u32_e64 v5, s[6:7], v5, v8, s[6:7]
	s_waitcnt lgkmcnt(0)
	v_cmp_ne_u16_e32 vcc, 0, v7
	v_cmp_ge_u64_e64 s[6:7], v[4:5], v[2:3]
	s_or_b64 s[6:7], s[6:7], vcc
	s_and_b64 s[6:7], exec, s[6:7]
	s_or_b64 s[26:27], s[6:7], s[26:27]
	s_andn2_b64 s[6:7], s[28:29], exec
	s_and_b64 s[28:29], vcc, exec
	v_add_u32_e32 v6, s87, v6
	s_or_b64 s[28:29], s[6:7], s[28:29]
	s_barrier
	s_andn2_b64 exec, exec, s[26:27]
	s_cbranch_execz .LBB108_192
.LBB108_183:                            ;   Parent Loop BB108_10 Depth=1
                                        ; =>  This Inner Loop Header: Depth=2
	v_cmp_gt_u64_e32 vcc, s[0:1], v[4:5]
	v_mov_b32_e32 v7, 0
	s_and_saveexec_b64 s[6:7], vcc
	s_cbranch_execz .LBB108_185
; %bb.184:                              ;   in Loop: Header=BB108_183 Depth=2
	ds_read_u16 v7, v6
.LBB108_185:                            ;   in Loop: Header=BB108_183 Depth=2
	s_or_b64 exec, exec, s[6:7]
	s_and_saveexec_b64 s[6:7], vcc
	s_cbranch_execz .LBB108_182
; %bb.186:                              ;   in Loop: Header=BB108_183 Depth=2
	s_waitcnt lgkmcnt(0)
	v_add_u32_sdwa v8, sext(v7), s72 dst_sel:DWORD dst_unused:UNUSED_PAD src0_sel:WORD_0 src1_sel:DWORD
	v_and_b32_e32 v8, s81, v8
	v_cmp_eq_u32_e32 vcc, s80, v8
	s_and_b64 exec, exec, vcc
	s_cbranch_execz .LBB108_182
; %bb.187:                              ;   in Loop: Header=BB108_183 Depth=2
	v_perm_b32 v7, v7, 1, v38
	ds_write_b32 v13, v7 offset:3072
	s_branch .LBB108_182
.LBB108_188:                            ;   in Loop: Header=BB108_10 Depth=1
                                        ; implicit-def: $sgpr28_sgpr29
                                        ; implicit-def: $sgpr34_sgpr35
                                        ; implicit-def: $sgpr30_sgpr31
	s_branch .LBB108_207
.LBB108_189:                            ;   in Loop: Header=BB108_10 Depth=1
                                        ; implicit-def: $vgpr2_vgpr3
	s_branch .LBB108_129
.LBB108_190:                            ;   in Loop: Header=BB108_10 Depth=1
                                        ; implicit-def: $vgpr2_vgpr3
	s_branch .LBB108_149
.LBB108_191:                            ;   in Loop: Header=BB108_10 Depth=1
	s_mov_b64 s[28:29], -1
	s_mov_b64 s[6:7], 0
                                        ; implicit-def: $sgpr30_sgpr31
                                        ; implicit-def: $vgpr39
	s_mov_b64 s[34:35], s[28:29]
	s_cbranch_execnz .LBB108_194
	s_branch .LBB108_207
.LBB108_192:                            ;   in Loop: Header=BB108_10 Depth=1
	s_or_b64 exec, exec, s[26:27]
	v_lshrrev_b32_e32 v39, 16, v7
	s_and_b64 s[6:7], s[28:29], exec
.LBB108_193:                            ;   in Loop: Header=BB108_10 Depth=1
	s_or_b64 exec, exec, s[8:9]
	s_mov_b64 s[30:31], -1
	s_mov_b64 s[28:29], 0
	s_mov_b64 s[34:35], s[28:29]
	s_branch .LBB108_207
.LBB108_194:                            ;   in Loop: Header=BB108_10 Depth=1
	s_mov_b32 s48, s71
	s_cmp_lg_u64 s[48:49], 0
	s_cbranch_scc0 .LBB108_237
; %bb.195:                              ;   in Loop: Header=BB108_10 Depth=1
	v_cvt_f32_u32_e32 v2, s33
	s_sub_u32 s0, 0, s33
	s_subb_u32 s1, 0, 0
	v_mac_f32_e32 v2, 0, v37
	v_rcp_f32_e32 v2, v2
	v_mul_f32_e32 v2, 0x5f7ffffc, v2
	v_mul_f32_e32 v3, 0x2f800000, v2
	v_trunc_f32_e32 v3, v3
	v_mac_f32_e32 v2, 0xcf800000, v3
	v_cvt_u32_f32_e32 v3, v3
	v_cvt_u32_f32_e32 v2, v2
	v_readfirstlane_b32 s6, v3
	v_readfirstlane_b32 s7, v2
	s_mul_i32 s8, s0, s6
	s_mul_hi_u32 s26, s0, s7
	s_mul_i32 s9, s1, s7
	s_add_i32 s8, s26, s8
	s_mul_i32 s27, s0, s7
	s_add_i32 s8, s8, s9
	s_mul_hi_u32 s26, s7, s27
	s_mul_hi_u32 s9, s7, s8
	s_mul_i32 s7, s7, s8
	s_add_u32 s7, s26, s7
	s_addc_u32 s9, 0, s9
	s_mul_hi_u32 s28, s6, s27
	s_mul_i32 s27, s6, s27
	s_add_u32 s7, s7, s27
	s_mul_hi_u32 s26, s6, s8
	s_addc_u32 s7, s9, s28
	s_addc_u32 s9, s26, 0
	s_mul_i32 s8, s6, s8
	s_add_u32 s7, s7, s8
	s_addc_u32 s8, 0, s9
	v_add_co_u32_e32 v2, vcc, s7, v2
	s_cmp_lg_u64 vcc, 0
	s_addc_u32 s6, s6, s8
	v_readfirstlane_b32 s8, v2
	s_mul_i32 s7, s0, s6
	s_mul_hi_u32 s9, s0, s8
	s_add_i32 s7, s9, s7
	s_mul_i32 s1, s1, s8
	s_add_i32 s7, s7, s1
	s_mul_i32 s0, s0, s8
	s_mul_hi_u32 s9, s6, s0
	s_mul_i32 s26, s6, s0
	s_mul_i32 s28, s8, s7
	s_mul_hi_u32 s0, s8, s0
	s_mul_hi_u32 s27, s8, s7
	s_add_u32 s0, s0, s28
	s_addc_u32 s8, 0, s27
	s_add_u32 s0, s0, s26
	s_mul_hi_u32 s1, s6, s7
	s_addc_u32 s0, s8, s9
	s_addc_u32 s1, s1, 0
	s_mul_i32 s7, s6, s7
	s_add_u32 s0, s0, s7
	s_addc_u32 s1, 0, s1
	v_add_co_u32_e32 v2, vcc, s0, v2
	s_cmp_lg_u64 vcc, 0
	s_addc_u32 s0, s6, s1
	v_readfirstlane_b32 s7, v2
	s_mul_i32 s6, s79, s0
	s_mul_hi_u32 s8, s79, s7
	s_mul_hi_u32 s1, s79, s0
	s_add_u32 s6, s8, s6
	s_addc_u32 s1, 0, s1
	s_mul_hi_u32 s9, s49, s7
	s_mul_i32 s7, s49, s7
	s_add_u32 s6, s6, s7
	s_mul_hi_u32 s8, s49, s0
	s_addc_u32 s1, s1, s9
	s_addc_u32 s6, s8, 0
	s_mul_i32 s0, s49, s0
	s_add_u32 s0, s1, s0
	s_addc_u32 s1, 0, s6
	s_mul_hi_u32 s6, s33, s0
	s_mul_i32 s0, s33, s0
	s_mul_i32 s1, s33, s1
	v_mov_b32_e32 v2, s0
	s_add_i32 s6, s6, s1
	v_sub_co_u32_e32 v2, vcc, s79, v2
	s_cmp_lg_u64 vcc, 0
	s_subb_u32 s0, s49, s6
	v_subrev_co_u32_e32 v3, vcc, s33, v2
	s_cmp_lg_u64 vcc, 0
	s_subb_u32 s1, s0, 0
	v_subrev_co_u32_e32 v4, vcc, s33, v3
	s_cmp_lg_u64 vcc, 0
	s_subb_u32 s6, s1, 0
	v_cmp_le_u32_e32 vcc, s33, v3
	s_cmp_eq_u32 s1, 0
	v_cndmask_b32_e64 v5, 0, -1, vcc
	s_cselect_b64 vcc, -1, 0
	v_cndmask_b32_e32 v5, -1, v5, vcc
	v_mov_b32_e32 v6, s1
	v_mov_b32_e32 v7, s6
	v_cmp_ne_u32_e32 vcc, 0, v5
	v_cndmask_b32_e32 v5, v6, v7, vcc
	v_cndmask_b32_e32 v4, v3, v4, vcc
	v_cmp_le_u32_e32 vcc, s33, v2
	s_cmp_eq_u32 s0, 0
	v_cndmask_b32_e64 v3, 0, -1, vcc
	s_cselect_b64 vcc, -1, 0
	v_cndmask_b32_e32 v3, -1, v3, vcc
	v_mov_b32_e32 v6, s0
	v_cmp_ne_u32_e32 vcc, 0, v3
	v_cndmask_b32_e32 v3, v6, v5, vcc
	v_cndmask_b32_e32 v2, v2, v4, vcc
	s_cbranch_execnz .LBB108_197
.LBB108_196:                            ;   in Loop: Header=BB108_10 Depth=1
	v_cvt_f32_u32_e32 v2, s33
	s_sub_i32 s0, 0, s33
	v_rcp_iflag_f32_e32 v2, v2
	v_mul_f32_e32 v2, 0x4f7ffffe, v2
	v_cvt_u32_f32_e32 v2, v2
	v_mul_lo_u32 v3, s0, v2
	v_mul_hi_u32 v3, v2, v3
	v_add_u32_e32 v2, v2, v3
	v_mul_hi_u32 v2, s79, v2
	v_mul_lo_u32 v2, v2, s33
	v_sub_u32_e32 v2, s79, v2
	v_subrev_u32_e32 v3, s33, v2
	v_cmp_le_u32_e32 vcc, s33, v2
	v_cndmask_b32_e32 v2, v2, v3, vcc
	v_subrev_u32_e32 v3, s33, v2
	v_cmp_le_u32_e32 vcc, s33, v2
	v_cndmask_b32_e32 v12, v2, v3, vcc
	v_pk_mov_b32 v[2:3], v[12:13], v[12:13] op_sel:[0,1]
.LBB108_197:                            ;   in Loop: Header=BB108_10 Depth=1
	v_mov_b32_e32 v4, s49
	v_sub_co_u32_e32 v2, vcc, s79, v2
	v_subb_co_u32_e32 v3, vcc, v4, v3, vcc
	v_cmp_gt_u64_e32 vcc, v[2:3], v[0:1]
	s_mov_b64 s[6:7], 0
                                        ; implicit-def: $vgpr39
	s_and_saveexec_b64 s[0:1], vcc
	s_cbranch_execz .LBB108_206
; %bb.198:                              ;   in Loop: Header=BB108_10 Depth=1
	s_mov_b64 s[8:9], 0
	v_pk_mov_b32 v[4:5], v[10:11], v[10:11] op_sel:[0,1]
	v_pk_mov_b32 v[6:7], v[0:1], v[0:1] op_sel:[0,1]
                                        ; implicit-def: $sgpr26_sgpr27
	s_branch .LBB108_200
.LBB108_199:                            ;   in Loop: Header=BB108_200 Depth=2
	s_or_b64 exec, exec, s[6:7]
	s_waitcnt lgkmcnt(0)
	s_barrier
	s_waitcnt vmcnt(0)
	ds_read_b32 v8, v13 offset:3072
	v_mov_b32_e32 v9, s88
	v_add_co_u32_e64 v6, s[6:7], s33, v6
	v_addc_co_u32_e64 v7, s[6:7], v7, v9, s[6:7]
	s_waitcnt lgkmcnt(0)
	v_cmp_ne_u16_e32 vcc, 0, v8
	v_cmp_ge_u64_e64 s[6:7], v[6:7], v[2:3]
	s_or_b64 s[28:29], s[6:7], vcc
	v_mov_b32_e32 v9, s67
	v_add_co_u32_e64 v4, s[6:7], s66, v4
	v_addc_co_u32_e64 v5, s[6:7], v5, v9, s[6:7]
	s_and_b64 s[6:7], exec, s[28:29]
	s_or_b64 s[8:9], s[6:7], s[8:9]
	s_andn2_b64 s[6:7], s[26:27], exec
	s_and_b64 s[26:27], vcc, exec
	s_or_b64 s[26:27], s[6:7], s[26:27]
	s_barrier
	s_andn2_b64 exec, exec, s[8:9]
	s_cbranch_execz .LBB108_205
.LBB108_200:                            ;   Parent Loop BB108_10 Depth=1
                                        ; =>  This Inner Loop Header: Depth=2
	v_cmp_gt_u64_e32 vcc, s[52:53], v[6:7]
	v_mov_b32_e32 v8, 0
	s_and_saveexec_b64 s[6:7], vcc
	s_cbranch_execz .LBB108_202
; %bb.201:                              ;   in Loop: Header=BB108_200 Depth=2
	global_load_ushort v8, v[4:5], off
.LBB108_202:                            ;   in Loop: Header=BB108_200 Depth=2
	s_or_b64 exec, exec, s[6:7]
	s_and_saveexec_b64 s[6:7], vcc
	s_cbranch_execz .LBB108_199
; %bb.203:                              ;   in Loop: Header=BB108_200 Depth=2
	s_waitcnt vmcnt(0)
	v_add_u32_sdwa v9, sext(v8), s72 dst_sel:DWORD dst_unused:UNUSED_PAD src0_sel:WORD_0 src1_sel:DWORD
	v_and_b32_e32 v9, s81, v9
	v_cmp_eq_u32_e32 vcc, s80, v9
	s_and_b64 exec, exec, vcc
	s_cbranch_execz .LBB108_199
; %bb.204:                              ;   in Loop: Header=BB108_200 Depth=2
	v_perm_b32 v8, v8, 1, v38
	ds_write_b32 v13, v8 offset:3072
	s_branch .LBB108_199
.LBB108_205:                            ;   in Loop: Header=BB108_10 Depth=1
	s_or_b64 exec, exec, s[8:9]
	v_lshrrev_b32_e32 v39, 16, v8
	s_and_b64 s[6:7], s[26:27], exec
.LBB108_206:                            ;   in Loop: Header=BB108_10 Depth=1
	s_or_b64 exec, exec, s[0:1]
	s_mov_b64 s[34:35], -1
	s_mov_b64 s[28:29], 0
	s_mov_b64 s[30:31], 0
.LBB108_207:                            ;   in Loop: Header=BB108_10 Depth=1
	s_mov_b64 s[0:1], 0
                                        ; implicit-def: $sgpr45
	s_and_saveexec_b64 s[36:37], s[6:7]
	s_cbranch_execz .LBB108_269
; %bb.208:                              ;   in Loop: Header=BB108_10 Depth=1
	s_xor_b64 s[0:1], s[38:39], -1
	s_andn2_b64 vcc, exec, s[0:1]
	s_mov_b32 s45, 1
	s_cbranch_vccnz .LBB108_219
; %bb.209:                              ;   in Loop: Header=BB108_10 Depth=1
	v_pk_mov_b32 v[2:3], s[16:17], s[16:17] op_sel:[0,1]
	v_cmp_gt_u64_e32 vcc, s[50:51], v[2:3]
	s_mov_b64 s[0:1], -1
                                        ; implicit-def: $sgpr45
                                        ; implicit-def: $sgpr6
                                        ; implicit-def: $sgpr7
	s_cbranch_vccnz .LBB108_215
; %bb.210:                              ;   in Loop: Header=BB108_10 Depth=1
	ds_read_b64 v[2:3], v13 offset:5120
	s_waitcnt lgkmcnt(0)
	v_cmp_ne_u64_e32 vcc, 0, v[2:3]
	s_cbranch_vccnz .LBB108_214
; %bb.211:                              ;   in Loop: Header=BB108_10 Depth=1
	s_mov_b64 s[0:1], exec
	v_readlane_b32 s6, v48, 0
	v_readlane_b32 s7, v48, 1
	s_and_b64 s[6:7], s[0:1], s[6:7]
	s_mov_b64 exec, s[6:7]
	s_cbranch_execz .LBB108_213
; %bb.212:                              ;   in Loop: Header=BB108_10 Depth=1
	v_pk_mov_b32 v[2:3], s[16:17], s[16:17] op_sel:[0,1]
	ds_write_b64 v13, v[2:3] offset:5128
.LBB108_213:                            ;   in Loop: Header=BB108_10 Depth=1
	s_or_b64 exec, exec, s[0:1]
	s_waitcnt lgkmcnt(0)
	s_barrier
.LBB108_214:                            ;   in Loop: Header=BB108_10 Depth=1
	s_lshl_b32 s0, 2, s40
	s_and_b32 s1, s80, s41
	s_or_b32 s6, s1, s0
	s_or_b32 s7, s81, s44
	s_mov_b64 s[0:1], 0
	s_mov_b32 s45, 8
.LBB108_215:                            ;   in Loop: Header=BB108_10 Depth=1
	s_andn2_b64 vcc, exec, s[0:1]
	s_cbranch_vccnz .LBB108_217
; %bb.216:                              ;   in Loop: Header=BB108_10 Depth=1
	s_sub_u32 s50, s50, s16
	s_subb_u32 s51, s51, s17
	s_mov_b64 s[0:1], -1
	s_mov_b32 s45, 0
	s_mov_b32 s6, s80
	;; [unrolled: 1-line block ×3, first 2 shown]
.LBB108_217:                            ;   in Loop: Header=BB108_10 Depth=1
	s_mov_b32 s81, s7
	s_mov_b32 s80, s6
	s_andn2_b64 vcc, exec, s[0:1]
	s_mov_b64 s[40:41], -1
	s_cbranch_vccz .LBB108_220
.LBB108_218:                            ;   in Loop: Header=BB108_10 Depth=1
                                        ; implicit-def: $sgpr0_sgpr1
                                        ; implicit-def: $sgpr8_sgpr9
                                        ; implicit-def: $sgpr6_sgpr7
	s_branch .LBB108_268
.LBB108_219:                            ;   in Loop: Header=BB108_10 Depth=1
	s_mov_b64 s[50:51], 1
	s_mov_b64 s[40:41], -1
	s_cbranch_execnz .LBB108_218
.LBB108_220:                            ;   in Loop: Header=BB108_10 Depth=1
	s_cmp_eq_u64 s[10:11], 1
	s_cselect_b64 s[0:1], -1, 0
	s_cmp_eq_u64 s[50:51], 1
	s_cselect_b64 s[6:7], -1, 0
	s_and_b64 s[16:17], s[0:1], s[6:7]
	s_mov_b64 s[26:27], -1
	s_and_b64 vcc, exec, s[16:17]
	s_cbranch_vccz .LBB108_235
; %bb.221:                              ;   in Loop: Header=BB108_10 Depth=1
	ds_read_b64 v[2:3], v13 offset:5120
	s_waitcnt lgkmcnt(0)
	s_barrier
	v_readfirstlane_b32 s0, v2
	v_readfirstlane_b32 s1, v3
	s_mov_b64 s[6:7], exec
	v_readlane_b32 s8, v48, 14
	v_readlane_b32 s9, v48, 15
	s_and_b64 s[8:9], s[6:7], s[8:9]
	s_mov_b64 exec, s[8:9]
	s_cbranch_execz .LBB108_223
; %bb.222:                              ;   in Loop: Header=BB108_10 Depth=1
	ds_write_b16 v32, v1
.LBB108_223:                            ;   in Loop: Header=BB108_10 Depth=1
	s_or_b64 exec, exec, s[6:7]
	s_or_b32 s80, s80, s44
	s_or_b32 s81, s81, s44
	s_cmp_eq_u64 s[0:1], 0
	s_waitcnt lgkmcnt(0)
	s_barrier
	s_cbranch_scc1 .LBB108_238
; %bb.224:                              ;   in Loop: Header=BB108_10 Depth=1
	v_readlane_b32 s6, v48, 20
	s_add_u32 s26, s6, s0
	v_readlane_b32 s6, v48, 21
	s_addc_u32 s7, s6, s1
	s_mov_b32 s6, s71
	s_cmp_lg_u64 s[6:7], 0
	s_cbranch_scc0 .LBB108_274
; %bb.225:                              ;   in Loop: Header=BB108_10 Depth=1
	v_cvt_f32_u32_e32 v2, s33
	s_sub_u32 s6, 0, s33
	s_subb_u32 s8, 0, 0
	v_mac_f32_e32 v2, 0, v37
	v_rcp_f32_e32 v2, v2
	v_mul_f32_e32 v2, 0x5f7ffffc, v2
	v_mul_f32_e32 v3, 0x2f800000, v2
	v_trunc_f32_e32 v3, v3
	v_mac_f32_e32 v2, 0xcf800000, v3
	v_cvt_u32_f32_e32 v3, v3
	v_cvt_u32_f32_e32 v2, v2
	v_readfirstlane_b32 s9, v3
	v_readfirstlane_b32 s27, v2
	s_mul_i32 s38, s6, s9
	s_mul_hi_u32 s40, s6, s27
	s_mul_i32 s39, s8, s27
	s_add_i32 s38, s40, s38
	s_mul_i32 s41, s6, s27
	s_add_i32 s38, s38, s39
	s_mul_hi_u32 s40, s27, s41
	s_mul_hi_u32 s39, s27, s38
	s_mul_i32 s27, s27, s38
	s_add_u32 s27, s40, s27
	s_addc_u32 s39, 0, s39
	s_mul_hi_u32 s42, s9, s41
	s_mul_i32 s41, s9, s41
	s_add_u32 s27, s27, s41
	s_mul_hi_u32 s40, s9, s38
	s_addc_u32 s27, s39, s42
	s_addc_u32 s39, s40, 0
	s_mul_i32 s38, s9, s38
	s_add_u32 s27, s27, s38
	s_addc_u32 s38, 0, s39
	v_add_co_u32_e32 v2, vcc, s27, v2
	s_cmp_lg_u64 vcc, 0
	s_addc_u32 s9, s9, s38
	v_readfirstlane_b32 s38, v2
	s_mul_i32 s27, s6, s9
	s_mul_hi_u32 s39, s6, s38
	s_add_i32 s27, s39, s27
	s_mul_i32 s8, s8, s38
	s_add_i32 s27, s27, s8
	s_mul_i32 s6, s6, s38
	s_mul_hi_u32 s39, s9, s6
	s_mul_i32 s40, s9, s6
	s_mul_i32 s42, s38, s27
	s_mul_hi_u32 s6, s38, s6
	s_mul_hi_u32 s41, s38, s27
	s_add_u32 s6, s6, s42
	s_addc_u32 s38, 0, s41
	s_add_u32 s6, s6, s40
	s_mul_hi_u32 s8, s9, s27
	s_addc_u32 s6, s38, s39
	s_addc_u32 s8, s8, 0
	s_mul_i32 s27, s9, s27
	s_add_u32 s6, s6, s27
	s_addc_u32 s8, 0, s8
	v_add_co_u32_e32 v2, vcc, s6, v2
	s_cmp_lg_u64 vcc, 0
	s_addc_u32 s6, s9, s8
	v_readfirstlane_b32 s27, v2
	s_mul_i32 s9, s26, s6
	s_mul_hi_u32 s38, s26, s27
	s_mul_hi_u32 s8, s26, s6
	s_add_u32 s9, s38, s9
	s_addc_u32 s8, 0, s8
	s_mul_hi_u32 s39, s7, s27
	s_mul_i32 s27, s7, s27
	s_add_u32 s9, s9, s27
	s_mul_hi_u32 s38, s7, s6
	s_addc_u32 s8, s8, s39
	s_addc_u32 s9, s38, 0
	s_mul_i32 s6, s7, s6
	s_add_u32 s6, s8, s6
	s_addc_u32 s8, 0, s9
	s_mul_hi_u32 s9, s33, s6
	s_mul_i32 s6, s33, s6
	s_mul_i32 s8, s33, s8
	v_mov_b32_e32 v2, s6
	s_add_i32 s9, s9, s8
	v_sub_co_u32_e32 v2, vcc, s26, v2
	s_cmp_lg_u64 vcc, 0
	s_subb_u32 s6, s7, s9
	v_subrev_co_u32_e32 v3, vcc, s33, v2
	s_cmp_lg_u64 vcc, 0
	s_subb_u32 s8, s6, 0
	v_subrev_co_u32_e32 v4, vcc, s33, v3
	s_cmp_lg_u64 vcc, 0
	s_subb_u32 s9, s8, 0
	v_cmp_le_u32_e32 vcc, s33, v3
	s_cmp_eq_u32 s8, 0
	v_cndmask_b32_e64 v5, 0, -1, vcc
	s_cselect_b64 vcc, -1, 0
	v_cndmask_b32_e32 v5, -1, v5, vcc
	v_mov_b32_e32 v6, s8
	v_mov_b32_e32 v7, s9
	v_cmp_ne_u32_e32 vcc, 0, v5
	v_cndmask_b32_e32 v5, v6, v7, vcc
	v_cndmask_b32_e32 v4, v3, v4, vcc
	v_cmp_le_u32_e32 vcc, s33, v2
	s_cmp_eq_u32 s6, 0
	v_cndmask_b32_e64 v3, 0, -1, vcc
	s_cselect_b64 vcc, -1, 0
	v_cndmask_b32_e32 v3, -1, v3, vcc
	v_mov_b32_e32 v6, s6
	v_cmp_ne_u32_e32 vcc, 0, v3
	v_cndmask_b32_e32 v3, v6, v5, vcc
	v_cndmask_b32_e32 v2, v2, v4, vcc
	s_cbranch_execnz .LBB108_227
.LBB108_226:                            ;   in Loop: Header=BB108_10 Depth=1
	v_cvt_f32_u32_e32 v2, s33
	s_sub_i32 s6, 0, s33
	v_rcp_iflag_f32_e32 v2, v2
	v_mul_f32_e32 v2, 0x4f7ffffe, v2
	v_cvt_u32_f32_e32 v2, v2
	v_mul_lo_u32 v3, s6, v2
	v_mul_hi_u32 v3, v2, v3
	v_add_u32_e32 v2, v2, v3
	v_mul_hi_u32 v2, s26, v2
	v_mul_lo_u32 v2, v2, s33
	v_sub_u32_e32 v2, s26, v2
	v_subrev_u32_e32 v3, s33, v2
	v_cmp_le_u32_e32 vcc, s33, v2
	v_cndmask_b32_e32 v2, v2, v3, vcc
	v_subrev_u32_e32 v3, s33, v2
	v_cmp_le_u32_e32 vcc, s33, v2
	v_cndmask_b32_e32 v12, v2, v3, vcc
	v_pk_mov_b32 v[2:3], v[12:13], v[12:13] op_sel:[0,1]
.LBB108_227:                            ;   in Loop: Header=BB108_10 Depth=1
	v_mov_b32_e32 v4, s7
	v_sub_co_u32_e32 v2, vcc, s26, v2
	v_subb_co_u32_e32 v3, vcc, v4, v3, vcc
	v_cmp_gt_u64_e32 vcc, v[2:3], v[0:1]
	s_mov_b64 s[26:27], 0
                                        ; implicit-def: $vgpr39
	s_and_saveexec_b64 s[8:9], vcc
	s_cbranch_execz .LBB108_240
; %bb.228:                              ;   in Loop: Header=BB108_10 Depth=1
	v_mov_b32_e32 v6, v31
	v_pk_mov_b32 v[4:5], v[0:1], v[0:1] op_sel:[0,1]
                                        ; implicit-def: $sgpr38_sgpr39
	s_branch .LBB108_230
.LBB108_229:                            ;   in Loop: Header=BB108_230 Depth=2
	s_or_b64 exec, exec, s[6:7]
	s_waitcnt lgkmcnt(0)
	s_barrier
	ds_read_b32 v7, v13 offset:3072
	v_mov_b32_e32 v8, s88
	v_add_co_u32_e64 v4, s[6:7], s33, v4
	v_addc_co_u32_e64 v5, s[6:7], v5, v8, s[6:7]
	s_waitcnt lgkmcnt(0)
	v_cmp_ne_u16_e32 vcc, 0, v7
	v_cmp_ge_u64_e64 s[6:7], v[4:5], v[2:3]
	s_or_b64 s[6:7], s[6:7], vcc
	s_and_b64 s[6:7], exec, s[6:7]
	s_or_b64 s[26:27], s[6:7], s[26:27]
	s_andn2_b64 s[6:7], s[38:39], exec
	s_and_b64 s[38:39], vcc, exec
	v_add_u32_e32 v6, s87, v6
	s_or_b64 s[38:39], s[6:7], s[38:39]
	s_barrier
	s_andn2_b64 exec, exec, s[26:27]
	s_cbranch_execz .LBB108_239
.LBB108_230:                            ;   Parent Loop BB108_10 Depth=1
                                        ; =>  This Inner Loop Header: Depth=2
	v_cmp_gt_u64_e32 vcc, s[0:1], v[4:5]
	v_mov_b32_e32 v7, 0
	s_and_saveexec_b64 s[6:7], vcc
	s_cbranch_execz .LBB108_232
; %bb.231:                              ;   in Loop: Header=BB108_230 Depth=2
	ds_read_u16 v7, v6
.LBB108_232:                            ;   in Loop: Header=BB108_230 Depth=2
	s_or_b64 exec, exec, s[6:7]
	s_and_saveexec_b64 s[6:7], vcc
	s_cbranch_execz .LBB108_229
; %bb.233:                              ;   in Loop: Header=BB108_230 Depth=2
	s_waitcnt lgkmcnt(0)
	v_add_u32_sdwa v8, sext(v7), s72 dst_sel:DWORD dst_unused:UNUSED_PAD src0_sel:WORD_0 src1_sel:DWORD
	v_and_b32_e32 v8, s81, v8
	v_cmp_eq_u32_e32 vcc, s80, v8
	s_and_b64 exec, exec, vcc
	s_cbranch_execz .LBB108_229
; %bb.234:                              ;   in Loop: Header=BB108_230 Depth=2
	v_perm_b32 v7, v7, 1, v38
	ds_write_b32 v13, v7 offset:3072
	s_branch .LBB108_229
.LBB108_235:                            ;   in Loop: Header=BB108_10 Depth=1
                                        ; implicit-def: $sgpr0_sgpr1
                                        ; implicit-def: $sgpr8_sgpr9
                                        ; implicit-def: $sgpr6_sgpr7
	s_branch .LBB108_254
.LBB108_236:                            ;   in Loop: Header=BB108_10 Depth=1
                                        ; implicit-def: $vgpr2_vgpr3
	s_branch .LBB108_179
.LBB108_237:                            ;   in Loop: Header=BB108_10 Depth=1
                                        ; implicit-def: $vgpr2_vgpr3
	s_branch .LBB108_196
.LBB108_238:                            ;   in Loop: Header=BB108_10 Depth=1
	s_mov_b64 s[0:1], -1
	s_mov_b64 s[26:27], 0
                                        ; implicit-def: $sgpr6_sgpr7
                                        ; implicit-def: $vgpr39
	s_mov_b64 s[8:9], s[0:1]
	s_cbranch_execnz .LBB108_241
	s_branch .LBB108_254
.LBB108_239:                            ;   in Loop: Header=BB108_10 Depth=1
	s_or_b64 exec, exec, s[26:27]
	v_lshrrev_b32_e32 v39, 16, v7
	s_and_b64 s[26:27], s[38:39], exec
.LBB108_240:                            ;   in Loop: Header=BB108_10 Depth=1
	s_or_b64 exec, exec, s[8:9]
	s_mov_b64 s[6:7], -1
	s_mov_b64 s[0:1], 0
	s_mov_b64 s[8:9], s[0:1]
	s_branch .LBB108_254
.LBB108_241:                            ;   in Loop: Header=BB108_10 Depth=1
	s_mov_b32 s48, s71
	s_cmp_lg_u64 s[48:49], 0
	s_cbranch_scc0 .LBB108_275
; %bb.242:                              ;   in Loop: Header=BB108_10 Depth=1
	v_cvt_f32_u32_e32 v2, s33
	s_sub_u32 s0, 0, s33
	s_subb_u32 s1, 0, 0
	v_mac_f32_e32 v2, 0, v37
	v_rcp_f32_e32 v2, v2
	v_mul_f32_e32 v2, 0x5f7ffffc, v2
	v_mul_f32_e32 v3, 0x2f800000, v2
	v_trunc_f32_e32 v3, v3
	v_mac_f32_e32 v2, 0xcf800000, v3
	v_cvt_u32_f32_e32 v3, v3
	v_cvt_u32_f32_e32 v2, v2
	v_readfirstlane_b32 s6, v3
	v_readfirstlane_b32 s7, v2
	s_mul_i32 s8, s0, s6
	s_mul_hi_u32 s26, s0, s7
	s_mul_i32 s9, s1, s7
	s_add_i32 s8, s26, s8
	s_mul_i32 s27, s0, s7
	s_add_i32 s8, s8, s9
	s_mul_hi_u32 s26, s7, s27
	s_mul_hi_u32 s9, s7, s8
	s_mul_i32 s7, s7, s8
	s_add_u32 s7, s26, s7
	s_addc_u32 s9, 0, s9
	s_mul_hi_u32 s38, s6, s27
	s_mul_i32 s27, s6, s27
	s_add_u32 s7, s7, s27
	s_mul_hi_u32 s26, s6, s8
	s_addc_u32 s7, s9, s38
	s_addc_u32 s9, s26, 0
	s_mul_i32 s8, s6, s8
	s_add_u32 s7, s7, s8
	s_addc_u32 s8, 0, s9
	v_add_co_u32_e32 v2, vcc, s7, v2
	s_cmp_lg_u64 vcc, 0
	s_addc_u32 s6, s6, s8
	v_readfirstlane_b32 s8, v2
	s_mul_i32 s7, s0, s6
	s_mul_hi_u32 s9, s0, s8
	s_add_i32 s7, s9, s7
	s_mul_i32 s1, s1, s8
	s_add_i32 s7, s7, s1
	s_mul_i32 s0, s0, s8
	s_mul_hi_u32 s9, s6, s0
	s_mul_i32 s26, s6, s0
	s_mul_i32 s38, s8, s7
	s_mul_hi_u32 s0, s8, s0
	s_mul_hi_u32 s27, s8, s7
	s_add_u32 s0, s0, s38
	s_addc_u32 s8, 0, s27
	s_add_u32 s0, s0, s26
	s_mul_hi_u32 s1, s6, s7
	s_addc_u32 s0, s8, s9
	s_addc_u32 s1, s1, 0
	s_mul_i32 s7, s6, s7
	s_add_u32 s0, s0, s7
	s_addc_u32 s1, 0, s1
	v_add_co_u32_e32 v2, vcc, s0, v2
	s_cmp_lg_u64 vcc, 0
	s_addc_u32 s0, s6, s1
	v_readfirstlane_b32 s7, v2
	s_mul_i32 s6, s79, s0
	s_mul_hi_u32 s8, s79, s7
	s_mul_hi_u32 s1, s79, s0
	s_add_u32 s6, s8, s6
	s_addc_u32 s1, 0, s1
	s_mul_hi_u32 s9, s49, s7
	s_mul_i32 s7, s49, s7
	s_add_u32 s6, s6, s7
	s_mul_hi_u32 s8, s49, s0
	s_addc_u32 s1, s1, s9
	s_addc_u32 s6, s8, 0
	s_mul_i32 s0, s49, s0
	s_add_u32 s0, s1, s0
	s_addc_u32 s1, 0, s6
	s_mul_hi_u32 s6, s33, s0
	s_mul_i32 s0, s33, s0
	s_mul_i32 s1, s33, s1
	v_mov_b32_e32 v2, s0
	s_add_i32 s6, s6, s1
	v_sub_co_u32_e32 v2, vcc, s79, v2
	s_cmp_lg_u64 vcc, 0
	s_subb_u32 s0, s49, s6
	v_subrev_co_u32_e32 v3, vcc, s33, v2
	s_cmp_lg_u64 vcc, 0
	s_subb_u32 s1, s0, 0
	v_subrev_co_u32_e32 v4, vcc, s33, v3
	s_cmp_lg_u64 vcc, 0
	s_subb_u32 s6, s1, 0
	v_cmp_le_u32_e32 vcc, s33, v3
	s_cmp_eq_u32 s1, 0
	v_cndmask_b32_e64 v5, 0, -1, vcc
	s_cselect_b64 vcc, -1, 0
	v_cndmask_b32_e32 v5, -1, v5, vcc
	v_mov_b32_e32 v6, s1
	v_mov_b32_e32 v7, s6
	v_cmp_ne_u32_e32 vcc, 0, v5
	v_cndmask_b32_e32 v5, v6, v7, vcc
	v_cndmask_b32_e32 v4, v3, v4, vcc
	v_cmp_le_u32_e32 vcc, s33, v2
	s_cmp_eq_u32 s0, 0
	v_cndmask_b32_e64 v3, 0, -1, vcc
	s_cselect_b64 vcc, -1, 0
	v_cndmask_b32_e32 v3, -1, v3, vcc
	v_mov_b32_e32 v6, s0
	v_cmp_ne_u32_e32 vcc, 0, v3
	v_cndmask_b32_e32 v3, v6, v5, vcc
	v_cndmask_b32_e32 v2, v2, v4, vcc
	s_cbranch_execnz .LBB108_244
.LBB108_243:                            ;   in Loop: Header=BB108_10 Depth=1
	v_cvt_f32_u32_e32 v2, s33
	s_sub_i32 s0, 0, s33
	v_rcp_iflag_f32_e32 v2, v2
	v_mul_f32_e32 v2, 0x4f7ffffe, v2
	v_cvt_u32_f32_e32 v2, v2
	v_mul_lo_u32 v3, s0, v2
	v_mul_hi_u32 v3, v2, v3
	v_add_u32_e32 v2, v2, v3
	v_mul_hi_u32 v2, s79, v2
	v_mul_lo_u32 v2, v2, s33
	v_sub_u32_e32 v2, s79, v2
	v_subrev_u32_e32 v3, s33, v2
	v_cmp_le_u32_e32 vcc, s33, v2
	v_cndmask_b32_e32 v2, v2, v3, vcc
	v_subrev_u32_e32 v3, s33, v2
	v_cmp_le_u32_e32 vcc, s33, v2
	v_cndmask_b32_e32 v12, v2, v3, vcc
	v_pk_mov_b32 v[2:3], v[12:13], v[12:13] op_sel:[0,1]
.LBB108_244:                            ;   in Loop: Header=BB108_10 Depth=1
	v_mov_b32_e32 v4, s49
	v_sub_co_u32_e32 v2, vcc, s79, v2
	v_subb_co_u32_e32 v3, vcc, v4, v3, vcc
	v_cmp_gt_u64_e32 vcc, v[2:3], v[0:1]
	s_mov_b64 s[26:27], 0
                                        ; implicit-def: $vgpr39
	s_and_saveexec_b64 s[0:1], vcc
	s_cbranch_execz .LBB108_253
; %bb.245:                              ;   in Loop: Header=BB108_10 Depth=1
	s_mov_b64 s[8:9], 0
	v_pk_mov_b32 v[4:5], v[10:11], v[10:11] op_sel:[0,1]
	v_pk_mov_b32 v[6:7], v[0:1], v[0:1] op_sel:[0,1]
                                        ; implicit-def: $sgpr26_sgpr27
	s_branch .LBB108_247
.LBB108_246:                            ;   in Loop: Header=BB108_247 Depth=2
	s_or_b64 exec, exec, s[6:7]
	s_waitcnt lgkmcnt(0)
	s_barrier
	s_waitcnt vmcnt(0)
	ds_read_b32 v8, v13 offset:3072
	v_mov_b32_e32 v9, s88
	v_add_co_u32_e64 v6, s[6:7], s33, v6
	v_addc_co_u32_e64 v7, s[6:7], v7, v9, s[6:7]
	s_waitcnt lgkmcnt(0)
	v_cmp_ne_u16_e32 vcc, 0, v8
	v_cmp_ge_u64_e64 s[6:7], v[6:7], v[2:3]
	s_or_b64 s[38:39], s[6:7], vcc
	v_mov_b32_e32 v9, s67
	v_add_co_u32_e64 v4, s[6:7], s66, v4
	v_addc_co_u32_e64 v5, s[6:7], v5, v9, s[6:7]
	s_and_b64 s[6:7], exec, s[38:39]
	s_or_b64 s[8:9], s[6:7], s[8:9]
	s_andn2_b64 s[6:7], s[26:27], exec
	s_and_b64 s[26:27], vcc, exec
	s_or_b64 s[26:27], s[6:7], s[26:27]
	s_barrier
	s_andn2_b64 exec, exec, s[8:9]
	s_cbranch_execz .LBB108_252
.LBB108_247:                            ;   Parent Loop BB108_10 Depth=1
                                        ; =>  This Inner Loop Header: Depth=2
	v_cmp_gt_u64_e32 vcc, s[52:53], v[6:7]
	v_mov_b32_e32 v8, 0
	s_and_saveexec_b64 s[6:7], vcc
	s_cbranch_execz .LBB108_249
; %bb.248:                              ;   in Loop: Header=BB108_247 Depth=2
	global_load_ushort v8, v[4:5], off
.LBB108_249:                            ;   in Loop: Header=BB108_247 Depth=2
	s_or_b64 exec, exec, s[6:7]
	s_and_saveexec_b64 s[6:7], vcc
	s_cbranch_execz .LBB108_246
; %bb.250:                              ;   in Loop: Header=BB108_247 Depth=2
	s_waitcnt vmcnt(0)
	v_add_u32_sdwa v9, sext(v8), s72 dst_sel:DWORD dst_unused:UNUSED_PAD src0_sel:WORD_0 src1_sel:DWORD
	v_and_b32_e32 v9, s81, v9
	v_cmp_eq_u32_e32 vcc, s80, v9
	s_and_b64 exec, exec, vcc
	s_cbranch_execz .LBB108_246
; %bb.251:                              ;   in Loop: Header=BB108_247 Depth=2
	v_perm_b32 v8, v8, 1, v38
	ds_write_b32 v13, v8 offset:3072
	s_branch .LBB108_246
.LBB108_252:                            ;   in Loop: Header=BB108_10 Depth=1
	s_or_b64 exec, exec, s[8:9]
	v_lshrrev_b32_e32 v39, 16, v8
	s_and_b64 s[26:27], s[26:27], exec
.LBB108_253:                            ;   in Loop: Header=BB108_10 Depth=1
	s_or_b64 exec, exec, s[0:1]
	s_mov_b64 s[8:9], -1
	s_mov_b64 s[0:1], 0
	s_mov_b64 s[6:7], 0
.LBB108_254:                            ;   in Loop: Header=BB108_10 Depth=1
	s_mov_b64 s[40:41], 0
                                        ; implicit-def: $sgpr45
                                        ; implicit-def: $sgpr42_sgpr43
	s_and_saveexec_b64 s[38:39], s[26:27]
	s_cbranch_execz .LBB108_267
; %bb.255:                              ;   in Loop: Header=BB108_10 Depth=1
	s_xor_b64 s[16:17], s[16:17], -1
	s_mov_b64 s[42:43], 1
	s_andn2_b64 vcc, exec, s[16:17]
	s_mov_b32 s45, 1
	s_cbranch_vccnz .LBB108_266
; %bb.256:                              ;   in Loop: Header=BB108_10 Depth=1
	v_pk_mov_b32 v[2:3], s[10:11], s[10:11] op_sel:[0,1]
	v_cmp_gt_u64_e32 vcc, s[50:51], v[2:3]
	s_cbranch_vccnz .LBB108_262
; %bb.257:                              ;   in Loop: Header=BB108_10 Depth=1
	ds_read_b64 v[2:3], v13 offset:5120
	s_waitcnt lgkmcnt(0)
	v_cmp_ne_u64_e32 vcc, 0, v[2:3]
	s_cbranch_vccnz .LBB108_261
; %bb.258:                              ;   in Loop: Header=BB108_10 Depth=1
	s_mov_b64 s[16:17], exec
	v_readlane_b32 s26, v48, 0
	v_readlane_b32 s27, v48, 1
	s_and_b64 s[26:27], s[16:17], s[26:27]
	s_mov_b64 exec, s[26:27]
	s_cbranch_execz .LBB108_260
; %bb.259:                              ;   in Loop: Header=BB108_10 Depth=1
	v_pk_mov_b32 v[2:3], s[10:11], s[10:11] op_sel:[0,1]
	ds_write_b64 v13, v[2:3] offset:5128
.LBB108_260:                            ;   in Loop: Header=BB108_10 Depth=1
	s_or_b64 exec, exec, s[16:17]
	s_waitcnt lgkmcnt(0)
	s_barrier
.LBB108_261:                            ;   in Loop: Header=BB108_10 Depth=1
	s_or_b32 s26, s80, s44
	s_or_b32 s27, s81, s44
	s_mov_b64 s[16:17], 0
	s_mov_b32 s45, 8
	s_branch .LBB108_263
.LBB108_262:                            ;   in Loop: Header=BB108_10 Depth=1
	s_mov_b64 s[16:17], -1
                                        ; implicit-def: $sgpr45
                                        ; implicit-def: $sgpr26
                                        ; implicit-def: $sgpr27
.LBB108_263:                            ;   in Loop: Header=BB108_10 Depth=1
	s_andn2_b64 vcc, exec, s[16:17]
	s_cbranch_vccnz .LBB108_265
; %bb.264:                              ;   in Loop: Header=BB108_10 Depth=1
	s_sub_u32 s50, s50, s10
	s_subb_u32 s51, s51, s11
	s_mov_b32 s45, 8
	s_mov_b32 s26, s80
	;; [unrolled: 1-line block ×3, first 2 shown]
.LBB108_265:                            ;   in Loop: Header=BB108_10 Depth=1
	s_mov_b64 s[42:43], s[50:51]
	s_mov_b32 s80, s26
	s_mov_b32 s81, s27
.LBB108_266:                            ;   in Loop: Header=BB108_10 Depth=1
	s_mov_b64 s[40:41], exec
.LBB108_267:                            ;   in Loop: Header=BB108_10 Depth=1
	s_or_b64 exec, exec, s[38:39]
	s_mov_b64 s[50:51], s[42:43]
.LBB108_268:                            ;   in Loop: Header=BB108_10 Depth=1
	s_andn2_b64 s[10:11], s[28:29], exec
	s_and_b64 s[0:1], s[0:1], exec
	s_or_b64 s[28:29], s[10:11], s[0:1]
	s_andn2_b64 s[0:1], s[34:35], exec
	s_and_b64 s[8:9], s[8:9], exec
	s_or_b64 s[34:35], s[0:1], s[8:9]
	;; [unrolled: 3-line block ×3, first 2 shown]
	s_and_b64 s[0:1], s[40:41], exec
.LBB108_269:                            ;   in Loop: Header=BB108_10 Depth=1
	s_or_b64 exec, exec, s[36:37]
	s_mov_b64 s[36:37], s[54:55]
	s_mov_b64 s[38:39], s[56:57]
.LBB108_270:                            ;   in Loop: Header=BB108_10 Depth=1
	s_andn2_b64 s[6:7], s[20:21], exec
	s_and_b64 s[8:9], s[28:29], exec
	s_or_b64 s[20:21], s[6:7], s[8:9]
	s_andn2_b64 s[6:7], s[22:23], exec
	s_and_b64 s[8:9], s[34:35], exec
	s_or_b64 s[22:23], s[6:7], s[8:9]
	;; [unrolled: 3-line block ×3, first 2 shown]
	s_and_b64 s[0:1], s[0:1], exec
.LBB108_271:                            ;   in Loop: Header=BB108_10 Depth=1
	s_or_b64 exec, exec, s[24:25]
	v_readlane_b32 s30, v48, 37
	v_readlane_b32 s31, v48, 38
	s_and_saveexec_b64 s[6:7], s[0:1]
	s_xor_b64 s[0:1], exec, s[6:7]
	s_cbranch_execz .LBB108_8
.LBB108_272:                            ;   in Loop: Header=BB108_10 Depth=1
	s_and_b32 s6, s45, -9
	s_cmp_eq_u32 s6, 0
	s_cbranch_scc1 .LBB108_6
; %bb.273:                              ;   in Loop: Header=BB108_10 Depth=1
	s_mov_b64 s[6:7], -1
                                        ; implicit-def: $sgpr81
                                        ; implicit-def: $sgpr50_sgpr51
                                        ; implicit-def: $sgpr73
                                        ; implicit-def: $sgpr74
	s_mov_b64 s[8:9], -1
	s_branch .LBB108_7
.LBB108_274:                            ;   in Loop: Header=BB108_10 Depth=1
                                        ; implicit-def: $vgpr2_vgpr3
	s_branch .LBB108_226
.LBB108_275:                            ;   in Loop: Header=BB108_10 Depth=1
                                        ; implicit-def: $vgpr2_vgpr3
	s_branch .LBB108_243
.LBB108_276:
	s_or_b64 exec, exec, s[90:91]
	s_xor_b64 s[6:7], s[64:65], -1
	s_xor_b64 s[0:1], s[36:37], -1
	;; [unrolled: 1-line block ×3, first 2 shown]
	s_mov_b64 s[2:3], 0
	s_and_saveexec_b64 s[8:9], s[0:1]
	s_xor_b64 s[0:1], exec, s[8:9]
	s_cbranch_execnz .LBB108_281
; %bb.277:
	s_andn2_saveexec_b64 s[0:1], s[0:1]
	s_cbranch_execnz .LBB108_294
.LBB108_278:
	s_or_b64 exec, exec, s[0:1]
	s_and_saveexec_b64 s[0:1], s[2:3]
.LBB108_279:
	; divergent unreachable
.LBB108_280:
	s_endpgm
.LBB108_281:
	s_and_saveexec_b64 s[2:3], s[6:7]
	s_xor_b64 s[2:3], exec, s[2:3]
	s_cbranch_execz .LBB108_292
; %bb.282:
	s_and_saveexec_b64 s[6:7], s[4:5]
	s_xor_b64 s[4:5], exec, s[6:7]
; %bb.283:
	v_xor_b32_e32 v39, 0xffff8000, v2
; %bb.284:
	s_or_b64 exec, exec, s[4:5]
	v_readlane_b32 s6, v48, 6
	v_readlane_b32 s18, v48, 10
	;; [unrolled: 1-line block ×3, first 2 shown]
	s_mul_i32 s4, s7, s18
	s_mul_hi_u32 s5, s6, s18
	s_add_i32 s5, s5, s4
	s_mul_i32 s4, s6, s18
	s_lshl_b64 s[4:5], s[4:5], 1
	v_readlane_b32 s6, v48, 8
	v_readlane_b32 s7, v48, 9
	s_add_u32 s4, s6, s4
	s_addc_u32 s5, s7, s5
	v_mov_b32_e32 v2, 0
	v_readlane_b32 s19, v48, 11
	global_store_short v2, v39, s[4:5]
	s_mov_b64 s[4:5], exec
	v_readlane_b32 s6, v48, 12
	v_readlane_b32 s7, v48, 13
	s_and_b64 s[6:7], s[4:5], s[6:7]
	s_mov_b64 exec, s[6:7]
	s_cbranch_execz .LBB108_291
; %bb.285:
	s_mov_b64 s[6:7], 0
                                        ; implicit-def: $sgpr8_sgpr9
                                        ; implicit-def: $sgpr12_sgpr13
                                        ; implicit-def: $sgpr10_sgpr11
	s_branch .LBB108_287
.LBB108_286:                            ;   in Loop: Header=BB108_287 Depth=1
	s_or_b64 exec, exec, s[14:15]
	s_and_b64 s[14:15], exec, s[12:13]
	s_or_b64 s[6:7], s[14:15], s[6:7]
	s_andn2_b64 s[8:9], s[8:9], exec
	s_and_b64 s[14:15], s[10:11], exec
	s_or_b64 s[8:9], s[8:9], s[14:15]
	s_andn2_b64 exec, exec, s[6:7]
	s_cbranch_execz .LBB108_289
.LBB108_287:                            ; =>This Inner Loop Header: Depth=1
	global_load_ushort v4, v[10:11], off
	v_pk_mov_b32 v[2:3], v[0:1], v[0:1] op_sel:[0,1]
	s_or_b64 s[10:11], s[10:11], exec
	s_or_b64 s[12:13], s[12:13], exec
                                        ; implicit-def: $vgpr0_vgpr1
	s_waitcnt vmcnt(0)
	v_cmp_ne_u16_e32 vcc, v4, v39
	s_and_saveexec_b64 s[14:15], vcc
	s_cbranch_execz .LBB108_286
; %bb.288:                              ;   in Loop: Header=BB108_287 Depth=1
	v_mov_b32_e32 v1, s88
	v_add_co_u32_e32 v0, vcc, s33, v2
	v_addc_co_u32_e32 v1, vcc, v3, v1, vcc
	v_mov_b32_e32 v4, s67
	v_add_co_u32_e32 v10, vcc, s66, v10
	v_addc_co_u32_e32 v11, vcc, v11, v4, vcc
	v_cmp_le_u64_e32 vcc, s[52:53], v[0:1]
	s_andn2_b64 s[12:13], s[12:13], exec
	s_and_b64 s[16:17], vcc, exec
	s_andn2_b64 s[10:11], s[10:11], exec
	s_or_b64 s[12:13], s[12:13], s[16:17]
	s_branch .LBB108_286
.LBB108_289:
	s_or_b64 exec, exec, s[6:7]
	s_and_saveexec_b64 s[6:7], s[8:9]
	s_xor_b64 s[6:7], exec, s[6:7]
	s_cbranch_execz .LBB108_291
; %bb.290:
	v_readlane_b32 s8, v48, 2
	v_readlane_b32 s9, v48, 3
	s_mul_i32 s6, s9, s18
	s_mul_hi_u32 s7, s8, s18
	s_add_i32 s7, s7, s6
	s_mul_i32 s6, s8, s18
	s_lshl_b64 s[6:7], s[6:7], 3
	v_readlane_b32 s8, v48, 4
	v_readlane_b32 s9, v48, 5
	s_add_u32 s6, s8, s6
	s_addc_u32 s7, s9, s7
	v_mov_b32_e32 v0, 0
	global_store_dwordx2 v0, v[2:3], s[6:7]
.LBB108_291:
	s_or_b64 exec, exec, s[4:5]
.LBB108_292:
	s_or_saveexec_b64 s[2:3], s[2:3]
	s_mov_b64 s[4:5], 0
	s_xor_b64 exec, exec, s[2:3]
	s_cbranch_execnz .LBB108_295
.LBB108_293:
	s_or_b64 exec, exec, s[2:3]
	s_and_b64 s[2:3], s[4:5], exec
	s_andn2_saveexec_b64 s[0:1], s[0:1]
	s_cbranch_execz .LBB108_278
.LBB108_294:
	s_or_b64 s[2:3], s[2:3], exec
	s_trap 2
	s_or_b64 exec, exec, s[0:1]
	s_and_saveexec_b64 s[0:1], s[2:3]
	s_cbranch_execnz .LBB108_279
	s_branch .LBB108_280
.LBB108_295:
	s_mov_b64 s[4:5], exec
	s_trap 2
	s_branch .LBB108_293
	.section	.rodata,"a",@progbits
	.p2align	6, 0x0
	.amdhsa_kernel _ZN2at6native12_GLOBAL__N_112gatherMedianIsmLi1EEEvNS_4cuda6detail10TensorInfoIT_T0_EENS5_IlS7_EENS5_IKS6_S7_EES7_S7_S7_b
		.amdhsa_group_segment_fixed_size 5152
		.amdhsa_private_segment_fixed_size 0
		.amdhsa_kernarg_size 1536
		.amdhsa_user_sgpr_count 6
		.amdhsa_user_sgpr_private_segment_buffer 1
		.amdhsa_user_sgpr_dispatch_ptr 0
		.amdhsa_user_sgpr_queue_ptr 0
		.amdhsa_user_sgpr_kernarg_segment_ptr 1
		.amdhsa_user_sgpr_dispatch_id 0
		.amdhsa_user_sgpr_flat_scratch_init 0
		.amdhsa_user_sgpr_kernarg_preload_length 0
		.amdhsa_user_sgpr_kernarg_preload_offset 0
		.amdhsa_user_sgpr_private_segment_size 0
		.amdhsa_uses_dynamic_stack 0
		.amdhsa_system_sgpr_private_segment_wavefront_offset 0
		.amdhsa_system_sgpr_workgroup_id_x 1
		.amdhsa_system_sgpr_workgroup_id_y 1
		.amdhsa_system_sgpr_workgroup_id_z 1
		.amdhsa_system_sgpr_workgroup_info 0
		.amdhsa_system_vgpr_workitem_id 0
		.amdhsa_next_free_vgpr 49
		.amdhsa_next_free_sgpr 96
		.amdhsa_accum_offset 52
		.amdhsa_reserve_vcc 1
		.amdhsa_reserve_flat_scratch 0
		.amdhsa_float_round_mode_32 0
		.amdhsa_float_round_mode_16_64 0
		.amdhsa_float_denorm_mode_32 3
		.amdhsa_float_denorm_mode_16_64 3
		.amdhsa_dx10_clamp 1
		.amdhsa_ieee_mode 1
		.amdhsa_fp16_overflow 0
		.amdhsa_tg_split 0
		.amdhsa_exception_fp_ieee_invalid_op 0
		.amdhsa_exception_fp_denorm_src 0
		.amdhsa_exception_fp_ieee_div_zero 0
		.amdhsa_exception_fp_ieee_overflow 0
		.amdhsa_exception_fp_ieee_underflow 0
		.amdhsa_exception_fp_ieee_inexact 0
		.amdhsa_exception_int_div_zero 0
	.end_amdhsa_kernel
	.section	.text._ZN2at6native12_GLOBAL__N_112gatherMedianIsmLi1EEEvNS_4cuda6detail10TensorInfoIT_T0_EENS5_IlS7_EENS5_IKS6_S7_EES7_S7_S7_b,"axG",@progbits,_ZN2at6native12_GLOBAL__N_112gatherMedianIsmLi1EEEvNS_4cuda6detail10TensorInfoIT_T0_EENS5_IlS7_EENS5_IKS6_S7_EES7_S7_S7_b,comdat
.Lfunc_end108:
	.size	_ZN2at6native12_GLOBAL__N_112gatherMedianIsmLi1EEEvNS_4cuda6detail10TensorInfoIT_T0_EENS5_IlS7_EENS5_IKS6_S7_EES7_S7_S7_b, .Lfunc_end108-_ZN2at6native12_GLOBAL__N_112gatherMedianIsmLi1EEEvNS_4cuda6detail10TensorInfoIT_T0_EENS5_IlS7_EENS5_IKS6_S7_EES7_S7_S7_b
                                        ; -- End function
	.section	.AMDGPU.csdata,"",@progbits
; Kernel info:
; codeLenInByte = 15548
; NumSgprs: 100
; NumVgprs: 49
; NumAgprs: 0
; TotalNumVgprs: 49
; ScratchSize: 0
; MemoryBound: 0
; FloatMode: 240
; IeeeMode: 1
; LDSByteSize: 5152 bytes/workgroup (compile time only)
; SGPRBlocks: 12
; VGPRBlocks: 6
; NumSGPRsForWavesPerEU: 100
; NumVGPRsForWavesPerEU: 49
; AccumOffset: 52
; Occupancy: 8
; WaveLimiterHint : 1
; COMPUTE_PGM_RSRC2:SCRATCH_EN: 0
; COMPUTE_PGM_RSRC2:USER_SGPR: 6
; COMPUTE_PGM_RSRC2:TRAP_HANDLER: 0
; COMPUTE_PGM_RSRC2:TGID_X_EN: 1
; COMPUTE_PGM_RSRC2:TGID_Y_EN: 1
; COMPUTE_PGM_RSRC2:TGID_Z_EN: 1
; COMPUTE_PGM_RSRC2:TIDIG_COMP_CNT: 0
; COMPUTE_PGM_RSRC3_GFX90A:ACCUM_OFFSET: 12
; COMPUTE_PGM_RSRC3_GFX90A:TG_SPLIT: 0
	.section	.text._ZN2at6native12_GLOBAL__N_112gatherMedianIsmLi2EEEvNS_4cuda6detail10TensorInfoIT_T0_EENS5_IlS7_EENS5_IKS6_S7_EES7_S7_S7_b,"axG",@progbits,_ZN2at6native12_GLOBAL__N_112gatherMedianIsmLi2EEEvNS_4cuda6detail10TensorInfoIT_T0_EENS5_IlS7_EENS5_IKS6_S7_EES7_S7_S7_b,comdat
	.globl	_ZN2at6native12_GLOBAL__N_112gatherMedianIsmLi2EEEvNS_4cuda6detail10TensorInfoIT_T0_EENS5_IlS7_EENS5_IKS6_S7_EES7_S7_S7_b ; -- Begin function _ZN2at6native12_GLOBAL__N_112gatherMedianIsmLi2EEEvNS_4cuda6detail10TensorInfoIT_T0_EENS5_IlS7_EENS5_IKS6_S7_EES7_S7_S7_b
	.p2align	8
	.type	_ZN2at6native12_GLOBAL__N_112gatherMedianIsmLi2EEEvNS_4cuda6detail10TensorInfoIT_T0_EENS5_IlS7_EENS5_IKS6_S7_EES7_S7_S7_b,@function
_ZN2at6native12_GLOBAL__N_112gatherMedianIsmLi2EEEvNS_4cuda6detail10TensorInfoIT_T0_EENS5_IlS7_EENS5_IKS6_S7_EES7_S7_S7_b: ; @_ZN2at6native12_GLOBAL__N_112gatherMedianIsmLi2EEEvNS_4cuda6detail10TensorInfoIT_T0_EENS5_IlS7_EENS5_IKS6_S7_EES7_S7_S7_b
; %bb.0:
	s_load_dwordx4 s[52:55], s[4:5], 0x4e0
	s_load_dwordx2 s[12:13], s[4:5], 0x500
	s_add_u32 s14, s4, 0x500
	s_addc_u32 s15, s5, 0
	s_mov_b32 s25, 0
	s_waitcnt lgkmcnt(0)
	v_mov_b32_e32 v2, s54
	s_mul_i32 s0, s13, s8
	s_add_i32 s0, s0, s7
	s_mul_i32 s0, s0, s12
	v_mov_b32_e32 v3, s55
	s_add_i32 s24, s0, s6
	v_cmp_ge_u64_e32 vcc, s[24:25], v[2:3]
	s_cbranch_vccnz .LBB109_286
; %bb.1:
	s_load_dwordx2 s[18:19], s[4:5], 0x10
	s_load_dwordx2 s[2:3], s[4:5], 0x350
	;; [unrolled: 1-line block ×3, first 2 shown]
	s_mov_b64 s[16:17], 0
	s_mov_b64 s[0:1], 0
	s_waitcnt lgkmcnt(0)
	v_pk_mov_b32 v[2:3], s[18:19], s[18:19] op_sel:[0,1]
	v_cmp_lt_u64_e32 vcc, s[24:25], v[2:3]
	s_cbranch_vccnz .LBB109_3
; %bb.2:
	v_cvt_f32_u32_e32 v1, s18
	s_sub_i32 s0, 0, s18
	v_rcp_iflag_f32_e32 v1, v1
	v_mul_f32_e32 v1, 0x4f7ffffe, v1
	v_cvt_u32_f32_e32 v1, v1
	v_readfirstlane_b32 s1, v1
	s_mul_i32 s0, s0, s1
	s_mul_hi_u32 s0, s1, s0
	s_add_i32 s1, s1, s0
	s_mul_hi_u32 s0, s24, s1
	s_mul_i32 s7, s0, s18
	s_sub_i32 s7, s24, s7
	s_add_i32 s1, s0, 1
	s_sub_i32 s8, s7, s18
	s_cmp_ge_u32 s7, s18
	s_cselect_b32 s0, s1, s0
	s_cselect_b32 s7, s8, s7
	s_add_i32 s1, s0, 1
	s_cmp_ge_u32 s7, s18
	s_cselect_b32 s0, s1, s0
.LBB109_3:
	s_load_dwordx2 s[68:69], s[4:5], 0x4f0
                                        ; implicit-def: $vgpr42 : SGPR spill to VGPR lane
	v_pk_mov_b32 v[2:3], s[10:11], s[10:11] op_sel:[0,1]
	v_writelane_b32 v42, s0, 0
	v_writelane_b32 v42, s1, 1
	v_cmp_lt_u64_e32 vcc, s[24:25], v[2:3]
	v_writelane_b32 v42, s18, 2
	v_writelane_b32 v42, s19, 3
	s_cbranch_vccnz .LBB109_5
; %bb.4:
	v_cvt_f32_u32_e32 v1, s10
	s_sub_i32 s0, 0, s10
	v_rcp_iflag_f32_e32 v1, v1
	v_mul_f32_e32 v1, 0x4f7ffffe, v1
	v_cvt_u32_f32_e32 v1, v1
	v_readfirstlane_b32 s1, v1
	s_mul_i32 s0, s0, s1
	s_mul_hi_u32 s0, s1, s0
	s_add_i32 s1, s1, s0
	s_mul_hi_u32 s0, s24, s1
	s_mul_i32 s7, s0, s10
	s_sub_i32 s7, s24, s7
	s_add_i32 s1, s0, 1
	s_sub_i32 s8, s7, s10
	s_cmp_ge_u32 s7, s10
	s_cselect_b32 s0, s1, s0
	s_cselect_b32 s7, s8, s7
	s_add_i32 s1, s0, 1
	s_cmp_ge_u32 s7, s10
	s_cselect_b32 s16, s1, s0
.LBB109_5:
	v_writelane_b32 v42, s16, 4
	v_pk_mov_b32 v[2:3], s[2:3], s[2:3] op_sel:[0,1]
	v_writelane_b32 v42, s17, 5
	v_cmp_lt_u64_e32 vcc, s[24:25], v[2:3]
	v_writelane_b32 v42, s10, 6
	s_mov_b64 s[16:17], 0
	v_writelane_b32 v42, s11, 7
	s_cbranch_vccnz .LBB109_7
; %bb.6:
	v_cvt_f32_u32_e32 v1, s2
	s_sub_i32 s0, 0, s2
	v_rcp_iflag_f32_e32 v1, v1
	v_mul_f32_e32 v1, 0x4f7ffffe, v1
	v_cvt_u32_f32_e32 v1, v1
	v_readfirstlane_b32 s1, v1
	s_mul_i32 s0, s0, s1
	s_mul_hi_u32 s0, s1, s0
	s_add_i32 s1, s1, s0
	s_mul_hi_u32 s0, s24, s1
	s_mul_i32 s7, s0, s2
	s_sub_i32 s7, s24, s7
	s_add_i32 s1, s0, 1
	s_sub_i32 s8, s7, s2
	s_cmp_ge_u32 s7, s2
	s_cselect_b32 s0, s1, s0
	s_cselect_b32 s7, s8, s7
	s_add_i32 s1, s0, 1
	s_cmp_ge_u32 s7, s2
	s_cselect_b32 s16, s1, s0
.LBB109_7:
	s_load_dwordx2 s[18:19], s[4:5], 0x340
	v_cmp_eq_u32_e64 s[0:1], 0, v0
	s_mov_b64 s[8:9], exec
	v_writelane_b32 v42, s0, 8
	v_writelane_b32 v42, s1, 9
	s_and_b64 s[0:1], s[8:9], s[0:1]
	s_mov_b64 exec, s[0:1]
	s_cbranch_execz .LBB109_9
; %bb.8:
	v_mov_b32_e32 v2, 0
	v_mov_b32_e32 v3, v2
	ds_write_b64 v2, v[2:3] offset:5136
.LBB109_9:
	s_or_b64 exec, exec, s[8:9]
	s_load_dwordx2 s[0:1], s[4:5], 0x1a0
	v_mov_b32_e32 v11, 0
	s_waitcnt lgkmcnt(0)
	s_barrier
	v_writelane_b32 v42, s0, 10
	s_barrier
	ds_read_b64 v[2:3], v11 offset:5136
	v_writelane_b32 v42, s1, 11
	s_load_dwordx2 s[0:1], s[4:5], 0x0
	s_load_dwordx4 s[8:11], s[4:5], 0x410
	s_waitcnt lgkmcnt(0)
	v_readfirstlane_b32 s20, v2
	v_readfirstlane_b32 s21, v3
	v_writelane_b32 v42, s0, 12
	v_writelane_b32 v42, s1, 13
	s_mov_b64 s[22:23], exec
	v_readlane_b32 s0, v42, 8
	v_readlane_b32 s1, v42, 9
	s_and_b64 s[0:1], s[22:23], s[0:1]
	s_mov_b64 exec, s[0:1]
	s_cbranch_execz .LBB109_11
; %bb.10:
	v_mov_b32_e32 v2, 0
	v_mov_b32_e32 v4, s52
	;; [unrolled: 1-line block ×4, first 2 shown]
	ds_write_b32 v2, v2 offset:5144
	ds_write_b128 v2, v[2:5] offset:5120
.LBB109_11:
	s_or_b64 exec, exec, s[22:23]
	s_load_dword s7, s[4:5], 0x4f8
	s_load_dwordx4 s[28:31], s[4:5], 0x270
                                        ; kill: killed $sgpr4 killed $sgpr5
	v_cmp_lt_i64_e64 s[0:1], s[20:21], 1
	v_mov_b32_e32 v1, 0
	v_mbcnt_lo_u32_b32 v2, -1, 0
	s_waitcnt lgkmcnt(0)
	s_bitcmp1_b32 s7, 0
	v_writelane_b32 v42, s28, 14
	v_writelane_b32 v42, s29, 15
	;; [unrolled: 1-line block ×4, first 2 shown]
	s_load_dwordx4 s[28:31], s[4:5], 0xd0
	s_cselect_b64 s[4:5], -1, 0
	s_not_b64 s[20:21], s[20:21]
	s_or_b64 s[0:1], s[4:5], s[0:1]
	s_add_u32 s4, s20, s52
	s_addc_u32 s5, s21, s53
	s_lshr_b64 s[4:5], s[4:5], 1
	s_add_u32 s4, s4, 1
	s_waitcnt lgkmcnt(0)
	v_writelane_b32 v42, s28, 18
	s_addc_u32 s5, s5, 0
	v_writelane_b32 v42, s29, 19
	s_and_b64 s[0:1], s[0:1], exec
	v_writelane_b32 v42, s30, 20
	s_mul_i32 s0, s16, s3
	s_mul_hi_u32 s1, s16, s2
	v_writelane_b32 v42, s31, 21
	s_cselect_b32 s83, s5, s53
	s_cselect_b32 s82, s4, s52
	s_add_i32 s1, s1, s0
	s_mul_i32 s0, s16, s2
	s_mov_b32 s2, s24
	v_writelane_b32 v42, s2, 22
	s_sub_u32 s0, s24, s0
	v_writelane_b32 v42, s3, 23
	s_subb_u32 s1, 0, s1
	s_mul_i32 s2, s0, s11
	s_mul_hi_u32 s3, s0, s10
	s_add_i32 s2, s3, s2
	s_mul_i32 s1, s1, s10
	s_add_i32 s1, s2, s1
	s_mul_i32 s2, s16, s9
	s_mul_hi_u32 s3, s16, s8
	s_add_i32 s3, s3, s2
	s_mul_i32 s2, s16, s8
	s_lshl_b64 s[2:3], s[2:3], 1
	s_mul_i32 s0, s0, s10
	s_add_u32 s2, s18, s2
	s_addc_u32 s3, s19, s3
	s_lshl_b64 s[0:1], s[0:1], 1
	s_add_u32 s33, s2, s0
	s_addc_u32 s84, s3, s1
	v_cmp_gt_u64_e64 s[0:1], s[52:53], v[0:1]
	v_writelane_b32 v42, s0, 24
	v_writelane_b32 v42, s1, 25
	v_mbcnt_hi_u32_b32 v22, -1, v2
	v_cmp_gt_u32_e64 s[0:1], 2, v0
	v_mov_b32_e32 v2, 0x600
	v_writelane_b32 v42, s0, 26
	v_mov_b32_e32 v3, 0
	v_writelane_b32 v42, s1, 27
	v_cmp_gt_u64_e64 s[0:1], s[52:53], v[2:3]
	v_writelane_b32 v42, s0, 28
	v_writelane_b32 v42, s1, 29
	v_mad_u64_u32 v[2:3], s[0:1], v0, s68, 0
	v_mov_b32_e32 v4, v3
	v_mad_u64_u32 v[4:5], s[0:1], v0, s69, v[4:5]
	s_barrier
	s_load_dword s0, s[14:15], 0xc
	v_cmp_gt_u32_e32 vcc, 64, v0
	v_cmp_gt_i32_e64 s[8:9], 4, v22
	s_and_b64 s[74:75], vcc, s[8:9]
	v_mov_b32_e32 v3, v4
	s_waitcnt lgkmcnt(0)
	s_and_b32 s55, s0, 0xffff
	s_bfe_u32 s2, s0, 0xa0006
	v_cmp_gt_u16_e64 s[0:1], s0, 63
	v_writelane_b32 v42, s0, 30
	v_writelane_b32 v42, s1, 31
	s_add_u32 s0, s55, -1
	s_addc_u32 s3, 0, -1
	s_add_u32 s1, s0, s52
	s_addc_u32 s87, s3, s53
	s_cmp_lt_u32 s6, s12
	v_writelane_b32 v42, s0, 32
	s_cselect_b32 s0, 12, 18
	s_add_u32 s88, s14, s0
	v_writelane_b32 v42, s3, 33
	s_addc_u32 s89, s15, 0
	s_add_i32 s0, s2, -1
	s_bfe_u32 s3, s55, 0x30006
	s_cmp_gt_u32 s0, 6
	s_cselect_b64 s[6:7], -1, 0
	v_lshlrev_b64 v[2:3], 1, v[2:3]
	v_writelane_b32 v42, s6, 34
	s_and_b32 s85, s2, 0x3f8
	v_add_co_u32_e32 v12, vcc, s33, v2
	v_lshrrev_b32_e32 v2, 4, v0
	v_writelane_b32 v42, s7, 35
	s_cmp_lg_u32 s3, 0
	v_mov_b32_e32 v25, s84
	v_and_b32_e32 v26, 60, v2
	v_lshlrev_b32_e32 v2, 2, v22
	v_writelane_b32 v42, s3, 36
	s_cselect_b64 s[2:3], -1, 0
	v_addc_co_u32_e32 v13, vcc, v25, v3, vcc
	v_and_b32_e32 v27, 0x100, v2
	v_lshlrev_b64 v[2:3], v22, -1
	v_writelane_b32 v42, s2, 37
	s_mov_b32 s79, 0
	v_lshlrev_b32_e32 v23, 1, v0
	v_not_b32_e32 v16, v2
	v_writelane_b32 v42, s3, 38
	v_mov_b32_e32 v2, 0xc00
	v_cmp_eq_u32_e64 s[4:5], 0, v22
	v_add_u32_e32 v24, 0xc00, v23
	v_lshlrev_b32_e32 v14, 2, v0
	v_mov_b32_e32 v15, v1
	v_not_b32_e32 v17, v3
	s_mov_b32 s54, s79
	v_lshlrev_b32_e32 v28, 3, v0
	v_lshl_or_b32 v29, v22, 3, v2
	s_lshl_b32 s0, s55, 1
	s_mov_b32 s3, 14
	s_mov_b64 s[94:95], 0
	s_mov_b32 s2, 0x8000
	v_mov_b32_e32 v30, 0x4f800000
	v_mov_b32_e32 v31, 0x5040100
	;; [unrolled: 1-line block ×3, first 2 shown]
	s_mov_b32 s26, 0
	s_mov_b32 s80, 0
	;; [unrolled: 1-line block ×3, first 2 shown]
	v_writelane_b32 v42, s74, 39
                                        ; implicit-def: $sgpr56_sgpr57
                                        ; implicit-def: $sgpr76_sgpr77
                                        ; implicit-def: $sgpr58_sgpr59
                                        ; implicit-def: $sgpr60_sgpr61
                                        ; implicit-def: $sgpr62_sgpr63
                                        ; implicit-def: $sgpr66_sgpr67
	v_writelane_b32 v42, s75, 40
	s_branch .LBB109_16
.LBB109_12:                             ;   in Loop: Header=BB109_16 Depth=1
	s_xor_b32 s26, s26, 1
	s_add_i32 s14, s3, -2
	s_cmp_eq_u32 s3, 0
	s_mov_b64 s[8:9], 0
	s_cselect_b64 s[10:11], -1, 0
	s_mov_b32 s3, s14
.LBB109_13:                             ;   in Loop: Header=BB109_16 Depth=1
	s_andn2_b64 s[14:15], s[20:21], exec
	s_and_b64 s[8:9], s[8:9], exec
	s_or_b64 s[20:21], s[14:15], s[8:9]
	s_andn2_b64 s[22:23], s[22:23], exec
	s_andn2_b64 s[18:19], s[18:19], exec
	s_orn2_b64 s[14:15], s[10:11], exec
.LBB109_14:                             ;   in Loop: Header=BB109_16 Depth=1
	s_or_b64 exec, exec, s[6:7]
	s_andn2_b64 s[6:7], s[66:67], exec
	s_and_b64 s[8:9], s[20:21], exec
	s_or_b64 s[66:67], s[6:7], s[8:9]
	s_andn2_b64 s[6:7], s[62:63], exec
	s_and_b64 s[8:9], s[22:23], exec
	s_or_b64 s[62:63], s[6:7], s[8:9]
	;; [unrolled: 3-line block ×3, first 2 shown]
	s_orn2_b64 s[18:19], s[14:15], exec
.LBB109_15:                             ;   in Loop: Header=BB109_16 Depth=1
	s_or_b64 exec, exec, s[12:13]
	s_and_b64 s[6:7], exec, s[18:19]
	s_or_b64 s[94:95], s[6:7], s[94:95]
	s_andn2_b64 s[6:7], s[58:59], exec
	s_and_b64 s[8:9], s[66:67], exec
	s_or_b64 s[58:59], s[6:7], s[8:9]
	s_andn2_b64 s[6:7], s[76:77], exec
	s_and_b64 s[8:9], s[62:63], exec
	s_or_b64 s[76:77], s[6:7], s[8:9]
	s_andn2_b64 s[6:7], s[56:57], exec
	s_and_b64 s[8:9], s[60:61], exec
	v_mov_b32_e32 v2, s80
	s_or_b64 s[56:57], s[6:7], s[8:9]
	s_andn2_b64 exec, exec, s[94:95]
	s_cbranch_execz .LBB109_282
.LBB109_16:                             ; =>This Loop Header: Depth=1
                                        ;     Child Loop BB109_21 Depth 2
                                        ;     Child Loop BB109_36 Depth 2
                                        ;     Child Loop BB109_63 Depth 2
                                        ;     Child Loop BB109_67 Depth 2
                                        ;     Child Loop BB109_49 Depth 2
                                        ;     Child Loop BB109_56 Depth 2
                                        ;     Child Loop BB109_76 Depth 2
                                        ;     Child Loop BB109_82 Depth 2
                                        ;     Child Loop BB109_109 Depth 2
                                        ;     Child Loop BB109_94 Depth 2
                                        ;     Child Loop BB109_159 Depth 2
                                        ;     Child Loop BB109_139 Depth 2
                                        ;     Child Loop BB109_206 Depth 2
                                        ;     Child Loop BB109_189 Depth 2
                                        ;     Child Loop BB109_253 Depth 2
                                        ;     Child Loop BB109_236 Depth 2
	ds_read_b128 v[2:5], v11 offset:5120
	s_waitcnt lgkmcnt(0)
	v_readfirstlane_b32 s65, v3
	v_readfirstlane_b32 s64, v2
	s_cmp_lg_u64 s[64:65], 0
	s_cbranch_scc1 .LBB109_43
; %bb.17:                               ;   in Loop: Header=BB109_16 Depth=1
	v_readlane_b32 s6, v42, 28
	v_readlane_b32 s7, v42, 29
	s_and_b64 vcc, exec, s[6:7]
	s_cbranch_vccz .LBB109_29
; %bb.18:                               ;   in Loop: Header=BB109_16 Depth=1
	s_mov_b64 s[6:7], 0x601
	v_cmp_gt_u64_e32 vcc, s[6:7], v[4:5]
	s_mov_b64 s[64:65], 0
	s_mov_b64 s[6:7], 0
	s_cbranch_vccz .LBB109_30
; %bb.19:                               ;   in Loop: Header=BB109_16 Depth=1
	global_load_ushort v5, v[12:13], off
	global_load_ushort v4, v11, s[88:89]
	s_mov_b64 s[8:9], 0
	v_pk_mov_b32 v[2:3], v[0:1], v[0:1] op_sel:[0,1]
	s_branch .LBB109_21
.LBB109_20:                             ;   in Loop: Header=BB109_21 Depth=2
	s_or_b64 exec, exec, s[6:7]
	s_waitcnt vmcnt(0)
	v_mov_b32_e32 v5, v6
	s_andn2_b64 exec, exec, s[8:9]
	s_cbranch_execz .LBB109_146
.LBB109_21:                             ;   Parent Loop BB109_16 Depth=1
                                        ; =>  This Inner Loop Header: Depth=2
	s_waitcnt vmcnt(0)
	v_add_co_u32_sdwa v2, vcc, v2, v4 dst_sel:DWORD dst_unused:UNUSED_PAD src0_sel:DWORD src1_sel:WORD_0
	v_addc_co_u32_e32 v3, vcc, 0, v3, vcc
	v_cmp_gt_u64_e64 s[6:7], s[52:53], v[2:3]
	v_cmp_le_u64_e32 vcc, s[52:53], v[2:3]
	s_waitcnt lgkmcnt(0)
	v_mov_b32_e32 v7, 0
	v_mov_b32_e32 v6, 0
	s_and_saveexec_b64 s[10:11], s[6:7]
	s_cbranch_execz .LBB109_23
; %bb.22:                               ;   in Loop: Header=BB109_21 Depth=2
	v_mul_lo_u32 v6, v3, s68
	v_mul_lo_u32 v10, v2, s69
	v_mad_u64_u32 v[8:9], s[6:7], v2, s68, 0
	v_add3_u32 v9, v9, v10, v6
	v_lshlrev_b64 v[8:9], 1, v[8:9]
	v_add_co_u32_e64 v8, s[6:7], s33, v8
	v_addc_co_u32_e64 v9, s[6:7], v25, v9, s[6:7]
	global_load_ushort v6, v[8:9], off
.LBB109_23:                             ;   in Loop: Header=BB109_21 Depth=2
	s_or_b64 exec, exec, s[10:11]
	v_add_u32_sdwa v8, sext(v5), s2 dst_sel:DWORD dst_unused:UNUSED_PAD src0_sel:WORD_0 src1_sel:DWORD
	v_and_b32_e32 v8, s27, v8
	v_cmp_eq_u32_e64 s[10:11], s80, v8
	s_cmp_lg_u64 s[10:11], 0
	s_cselect_b64 s[6:7], -1, 0
	s_and_b64 s[6:7], s[4:5], s[6:7]
	s_and_saveexec_b64 s[12:13], s[6:7]
	s_cbranch_execz .LBB109_27
; %bb.24:                               ;   in Loop: Header=BB109_21 Depth=2
	s_mov_b64 s[16:17], exec
	v_mbcnt_lo_u32_b32 v7, s16, 0
	v_mbcnt_hi_u32_b32 v7, s17, v7
	s_bcnt1_i32_b64 s18, s[10:11]
	v_cmp_eq_u32_e64 s[6:7], 0, v7
                                        ; implicit-def: $vgpr8
	s_and_saveexec_b64 s[14:15], s[6:7]
	s_cbranch_execz .LBB109_26
; %bb.25:                               ;   in Loop: Header=BB109_21 Depth=2
	s_bcnt1_i32_b64 s6, s[16:17]
	s_mul_i32 s6, s18, s6
	v_mov_b32_e32 v8, s6
	ds_add_rtn_u32 v8, v11, v8 offset:5144
.LBB109_26:                             ;   in Loop: Header=BB109_21 Depth=2
	s_or_b64 exec, exec, s[14:15]
	s_waitcnt lgkmcnt(0)
	v_readfirstlane_b32 s6, v8
	v_mov_b32_e32 v8, s6
	v_mad_u32_u24 v7, s18, v7, v8
.LBB109_27:                             ;   in Loop: Header=BB109_21 Depth=2
	s_or_b64 exec, exec, s[12:13]
	ds_bpermute_b32 v7, v27, v7
	s_and_b64 s[6:7], exec, vcc
	s_or_b64 s[8:9], s[6:7], s[8:9]
	s_and_saveexec_b64 s[6:7], s[10:11]
	s_cbranch_execz .LBB109_20
; %bb.28:                               ;   in Loop: Header=BB109_21 Depth=2
	v_and_b32_e32 v9, s10, v16
	v_and_b32_e32 v8, s11, v17
	v_bcnt_u32_b32 v9, v9, 0
	v_bcnt_u32_b32 v8, v8, v9
	v_lshlrev_b32_e32 v8, 1, v8
	s_waitcnt lgkmcnt(0)
	v_lshl_add_u32 v7, v7, 1, v8
	ds_write_b16 v7, v5
	s_branch .LBB109_20
.LBB109_29:                             ;   in Loop: Header=BB109_16 Depth=1
	s_mov_b64 s[64:65], -1
	s_mov_b64 s[6:7], 0
.LBB109_30:                             ;   in Loop: Header=BB109_16 Depth=1
	s_and_b64 vcc, exec, s[64:65]
	s_cbranch_vccz .LBB109_41
.LBB109_31:                             ;   in Loop: Header=BB109_16 Depth=1
	v_mov_b32_e32 v4, 0
	s_mov_b64 s[6:7], exec
	v_readlane_b32 s8, v42, 24
	v_readlane_b32 s9, v42, 25
	s_and_b64 s[8:9], s[6:7], s[8:9]
	s_mov_b64 exec, s[8:9]
	s_cbranch_execz .LBB109_33
; %bb.32:                               ;   in Loop: Header=BB109_16 Depth=1
	global_load_ushort v4, v[12:13], off
.LBB109_33:                             ;   in Loop: Header=BB109_16 Depth=1
	s_or_b64 exec, exec, s[6:7]
	s_mov_b64 s[8:9], exec
	v_readlane_b32 s6, v42, 24
	v_readlane_b32 s7, v42, 25
	s_and_b64 s[6:7], s[8:9], s[6:7]
	s_mov_b64 exec, s[6:7]
	s_cbranch_execz .LBB109_38
; %bb.34:                               ;   in Loop: Header=BB109_16 Depth=1
	global_load_ushort v2, v11, s[88:89]
	s_mov_b64 s[10:11], 0
	v_mov_b32_e32 v5, v23
	s_waitcnt vmcnt(0)
	v_and_b32_e32 v6, 0xffff, v2
	v_lshlrev_b32_e32 v7, 1, v6
	v_pk_mov_b32 v[2:3], v[0:1], v[0:1] op_sel:[0,1]
	s_branch .LBB109_36
.LBB109_35:                             ;   in Loop: Header=BB109_36 Depth=2
	s_or_b64 exec, exec, s[12:13]
	s_and_b64 s[6:7], exec, vcc
	s_or_b64 s[10:11], s[6:7], s[10:11]
	ds_write_b16 v5, v4
	v_add_u32_e32 v5, v5, v7
	s_waitcnt vmcnt(0)
	v_mov_b32_e32 v4, v8
	s_andn2_b64 exec, exec, s[10:11]
	s_cbranch_execz .LBB109_38
.LBB109_36:                             ;   Parent Loop BB109_16 Depth=1
                                        ; =>  This Inner Loop Header: Depth=2
	v_add_co_u32_e32 v2, vcc, v2, v6
	v_addc_co_u32_e32 v3, vcc, 0, v3, vcc
	v_cmp_gt_u64_e64 s[6:7], s[52:53], v[2:3]
	v_cmp_le_u64_e32 vcc, s[52:53], v[2:3]
	v_mov_b32_e32 v8, 0
	s_and_saveexec_b64 s[12:13], s[6:7]
	s_cbranch_execz .LBB109_35
; %bb.37:                               ;   in Loop: Header=BB109_36 Depth=2
	v_mul_lo_u32 v10, v3, s68
	v_mul_lo_u32 v18, v2, s69
	v_mad_u64_u32 v[8:9], s[6:7], v2, s68, 0
	v_add3_u32 v9, v9, v18, v10
	v_lshlrev_b64 v[8:9], 1, v[8:9]
	v_mov_b32_e32 v10, s84
	v_add_co_u32_e64 v8, s[6:7], s33, v8
	v_addc_co_u32_e64 v9, s[6:7], v10, v9, s[6:7]
	global_load_ushort v8, v[8:9], off
	s_branch .LBB109_35
.LBB109_38:                             ;   in Loop: Header=BB109_16 Depth=1
	s_or_b64 exec, exec, s[8:9]
	s_waitcnt lgkmcnt(0)
	s_barrier
	s_mov_b64 s[6:7], exec
	v_readlane_b32 s8, v42, 8
	v_readlane_b32 s9, v42, 9
	s_and_b64 s[8:9], s[6:7], s[8:9]
	s_mov_b64 exec, s[8:9]
	s_cbranch_execz .LBB109_40
; %bb.39:                               ;   in Loop: Header=BB109_16 Depth=1
	v_pk_mov_b32 v[2:3], s[52:53], s[52:53] op_sel:[0,1]
	ds_write_b64 v11, v[2:3] offset:5120
.LBB109_40:                             ;   in Loop: Header=BB109_16 Depth=1
	s_or_b64 exec, exec, s[6:7]
	s_mov_b64 s[6:7], -1
	s_waitcnt lgkmcnt(0)
	s_barrier
                                        ; implicit-def: $sgpr64_sgpr65
.LBB109_41:                             ;   in Loop: Header=BB109_16 Depth=1
	s_and_b64 vcc, exec, s[6:7]
	s_cbranch_vccz .LBB109_43
; %bb.42:                               ;   in Loop: Header=BB109_16 Depth=1
	ds_read_b64 v[2:3], v11 offset:5120
	s_waitcnt lgkmcnt(0)
	v_readfirstlane_b32 s64, v2
.LBB109_43:                             ;   in Loop: Header=BB109_16 Depth=1
	s_cmp_lt_i32 s64, 1
	s_cbranch_scc0 .LBB109_58
; %bb.44:                               ;   in Loop: Header=BB109_16 Depth=1
	global_load_ushort v33, v11, s[88:89]
	s_mov_b32 s6, s79
	s_waitcnt vmcnt(0)
	v_readfirstlane_b32 s7, v33
	s_and_b32 s7, 0xffff, s7
	s_lshl_b32 s65, s7, 2
	s_mov_b32 s7, s53
	s_cmp_lg_u64 s[6:7], 0
	s_cbranch_scc0 .LBB109_78
; %bb.45:                               ;   in Loop: Header=BB109_16 Depth=1
	v_cvt_f32_u32_e32 v2, s65
	s_sub_u32 s6, 0, s65
	s_subb_u32 s7, 0, 0
	v_mac_f32_e32 v2, 0, v30
	v_rcp_f32_e32 v2, v2
	v_mul_f32_e32 v2, 0x5f7ffffc, v2
	v_mul_f32_e32 v3, 0x2f800000, v2
	v_trunc_f32_e32 v3, v3
	v_mac_f32_e32 v2, 0xcf800000, v3
	v_cvt_u32_f32_e32 v3, v3
	v_cvt_u32_f32_e32 v2, v2
	v_readfirstlane_b32 s8, v3
	v_readfirstlane_b32 s9, v2
	s_mul_i32 s10, s6, s8
	s_mul_hi_u32 s12, s6, s9
	s_mul_i32 s11, s7, s9
	s_add_i32 s10, s12, s10
	s_mul_i32 s13, s6, s9
	s_add_i32 s10, s10, s11
	s_mul_hi_u32 s12, s9, s13
	s_mul_hi_u32 s11, s9, s10
	s_mul_i32 s9, s9, s10
	s_add_u32 s9, s12, s9
	s_addc_u32 s11, 0, s11
	s_mul_hi_u32 s14, s8, s13
	s_mul_i32 s13, s8, s13
	s_add_u32 s9, s9, s13
	s_mul_hi_u32 s12, s8, s10
	s_addc_u32 s9, s11, s14
	s_addc_u32 s11, s12, 0
	s_mul_i32 s10, s8, s10
	s_add_u32 s9, s9, s10
	s_addc_u32 s10, 0, s11
	v_add_co_u32_e32 v2, vcc, s9, v2
	s_cmp_lg_u64 vcc, 0
	s_addc_u32 s8, s8, s10
	v_readfirstlane_b32 s10, v2
	s_mul_i32 s9, s6, s8
	s_mul_hi_u32 s11, s6, s10
	s_add_i32 s9, s11, s9
	s_mul_i32 s7, s7, s10
	s_add_i32 s9, s9, s7
	s_mul_i32 s6, s6, s10
	s_mul_hi_u32 s11, s8, s6
	s_mul_i32 s12, s8, s6
	s_mul_i32 s14, s10, s9
	s_mul_hi_u32 s6, s10, s6
	s_mul_hi_u32 s13, s10, s9
	s_add_u32 s6, s6, s14
	s_addc_u32 s10, 0, s13
	s_add_u32 s6, s6, s12
	s_mul_hi_u32 s7, s8, s9
	s_addc_u32 s6, s10, s11
	s_addc_u32 s7, s7, 0
	s_mul_i32 s9, s8, s9
	s_add_u32 s6, s6, s9
	s_addc_u32 s7, 0, s7
	v_add_co_u32_e32 v2, vcc, s6, v2
	s_cmp_lg_u64 vcc, 0
	s_addc_u32 s6, s8, s7
	v_readfirstlane_b32 s9, v2
	s_mul_i32 s8, s52, s6
	s_mul_hi_u32 s10, s52, s9
	s_mul_hi_u32 s7, s52, s6
	s_add_u32 s8, s10, s8
	s_addc_u32 s7, 0, s7
	s_mul_hi_u32 s11, s53, s9
	s_mul_i32 s9, s53, s9
	s_add_u32 s8, s8, s9
	s_mul_hi_u32 s10, s53, s6
	s_addc_u32 s7, s7, s11
	s_addc_u32 s8, s10, 0
	s_mul_i32 s6, s53, s6
	s_add_u32 s6, s7, s6
	s_addc_u32 s7, 0, s8
	s_mul_hi_u32 s8, s65, s6
	s_mul_i32 s6, s65, s6
	s_mul_i32 s7, s65, s7
	v_mov_b32_e32 v2, s6
	s_add_i32 s8, s8, s7
	v_sub_co_u32_e32 v2, vcc, s52, v2
	s_cmp_lg_u64 vcc, 0
	s_subb_u32 s6, s53, s8
	v_subrev_co_u32_e32 v3, vcc, s65, v2
	s_cmp_lg_u64 vcc, 0
	s_subb_u32 s7, s6, 0
	v_subrev_co_u32_e32 v4, vcc, s65, v3
	s_cmp_lg_u64 vcc, 0
	s_subb_u32 s8, s7, 0
	v_cmp_le_u32_e32 vcc, s65, v3
	s_cmp_eq_u32 s7, 0
	v_cndmask_b32_e64 v5, 0, -1, vcc
	s_cselect_b64 vcc, -1, 0
	v_cndmask_b32_e32 v5, -1, v5, vcc
	v_mov_b32_e32 v6, s7
	v_mov_b32_e32 v7, s8
	v_cmp_ne_u32_e32 vcc, 0, v5
	v_cndmask_b32_e32 v5, v6, v7, vcc
	v_cndmask_b32_e32 v4, v3, v4, vcc
	v_cmp_le_u32_e32 vcc, s65, v2
	s_cmp_eq_u32 s6, 0
	v_cndmask_b32_e64 v3, 0, -1, vcc
	s_cselect_b64 vcc, -1, 0
	v_cndmask_b32_e32 v3, -1, v3, vcc
	v_mov_b32_e32 v6, s6
	v_cmp_ne_u32_e32 vcc, 0, v3
	v_cndmask_b32_e32 v3, v6, v5, vcc
	v_cndmask_b32_e32 v2, v2, v4, vcc
	s_cbranch_execnz .LBB109_47
.LBB109_46:                             ;   in Loop: Header=BB109_16 Depth=1
	v_cvt_f32_u32_e32 v2, s65
	s_sub_i32 s6, 0, s65
	v_rcp_iflag_f32_e32 v2, v2
	v_mul_f32_e32 v2, 0x4f7ffffe, v2
	v_cvt_u32_f32_e32 v2, v2
	v_mul_lo_u32 v3, s6, v2
	v_mul_hi_u32 v3, v2, v3
	v_add_u32_e32 v2, v2, v3
	v_mul_hi_u32 v2, s52, v2
	v_mul_lo_u32 v2, v2, s65
	v_sub_u32_e32 v2, s52, v2
	v_subrev_u32_e32 v3, s65, v2
	v_cmp_le_u32_e32 vcc, s65, v2
	v_cndmask_b32_e32 v2, v2, v3, vcc
	v_subrev_u32_e32 v3, s65, v2
	v_cmp_le_u32_e32 vcc, s65, v2
	v_cndmask_b32_e32 v10, v2, v3, vcc
	v_pk_mov_b32 v[2:3], v[10:11], v[10:11] op_sel:[0,1]
.LBB109_47:                             ;   in Loop: Header=BB109_16 Depth=1
	v_mov_b32_e32 v4, s53
	v_sub_co_u32_e32 v18, vcc, s52, v2
	v_subb_co_u32_e32 v19, vcc, v4, v3, vcc
	v_pk_mov_b32 v[2:3], 0, 0
	v_cmp_gt_u64_e32 vcc, v[18:19], v[14:15]
	s_mov_b64 s[70:71], 0
	v_pk_mov_b32 v[4:5], v[2:3], v[2:3] op_sel:[0,1]
	v_pk_mov_b32 v[6:7], v[2:3], v[2:3] op_sel:[0,1]
	v_pk_mov_b32 v[8:9], v[2:3], v[2:3] op_sel:[0,1]
	s_and_saveexec_b64 s[50:51], vcc
	s_cbranch_execz .LBB109_51
; %bb.48:                               ;   in Loop: Header=BB109_16 Depth=1
	s_and_b32 s78, s3, 0xfe
	s_mov_b64 s[74:75], 0
	s_mov_b64 s[72:73], 0
	;; [unrolled: 1-line block ×4, first 2 shown]
	v_pk_mov_b32 v[20:21], v[14:15], v[14:15] op_sel:[0,1]
.LBB109_49:                             ;   Parent Loop BB109_16 Depth=1
                                        ; =>  This Inner Loop Header: Depth=2
	v_mul_lo_u32 v4, v21, s68
	v_mul_lo_u32 v5, v20, s69
	v_mad_u64_u32 v[2:3], s[6:7], v20, s68, 0
	v_add3_u32 v3, v3, v5, v4
	v_lshlrev_b64 v[2:3], 1, v[2:3]
	v_mov_b32_e32 v6, s84
	v_add_co_u32_e64 v2, s[6:7], s33, v2
	s_lshl_b64 s[8:9], s[68:69], 1
	v_addc_co_u32_e64 v3, s[6:7], v6, v3, s[6:7]
	v_mov_b32_e32 v7, s9
	v_add_co_u32_e64 v4, s[6:7], s8, v2
	v_addc_co_u32_e64 v5, s[6:7], v3, v7, s[6:7]
	global_load_sshort v6, v[2:3], off
	global_load_sshort v8, v[4:5], off
	v_add_co_u32_e64 v2, s[6:7], s8, v4
	v_addc_co_u32_e64 v3, s[6:7], v5, v7, s[6:7]
	global_load_sshort v4, v[2:3], off
	v_add_co_u32_e64 v2, s[6:7], s8, v2
	v_addc_co_u32_e64 v3, s[6:7], v3, v7, s[6:7]
	global_load_sshort v2, v[2:3], off
	v_add_co_u32_e32 v20, vcc, s65, v20
	v_addc_co_u32_e32 v21, vcc, 0, v21, vcc
	v_cmp_ge_u64_e32 vcc, v[20:21], v[18:19]
	s_waitcnt vmcnt(3)
	v_add_u32_e32 v3, 0x8000, v6
	v_and_b32_e32 v6, s27, v3
	v_bfe_u32 v3, v3, s78, 2
	s_waitcnt vmcnt(2)
	v_add_u32_e32 v5, 0x8000, v8
	v_cmp_eq_u32_e64 s[10:11], s80, v6
	v_cmp_eq_u32_e64 s[6:7], 0, v3
	s_waitcnt vmcnt(1)
	v_add_u32_e32 v4, 0x8000, v4
	v_and_b32_e32 v6, s27, v5
	v_bfe_u32 v5, v5, s78, 2
	v_cmp_eq_u32_e64 s[28:29], 1, v3
	v_cmp_eq_u32_e64 s[30:31], 2, v3
	;; [unrolled: 1-line block ×3, first 2 shown]
	s_waitcnt vmcnt(0)
	v_add_u32_e32 v2, 0x8000, v2
	v_and_b32_e32 v3, s27, v4
	v_bfe_u32 v4, v4, s78, 2
	s_and_b64 s[6:7], s[10:11], s[6:7]
	v_cmp_eq_u32_e64 s[12:13], s80, v6
	v_cmp_eq_u32_e64 s[22:23], 0, v5
	;; [unrolled: 1-line block ×5, first 2 shown]
	v_cndmask_b32_e64 v5, 0, 1, s[6:7]
	v_cmp_eq_u32_e64 s[18:19], s80, v3
	v_and_b32_e32 v3, s27, v2
	v_bfe_u32 v2, v2, s78, 2
	v_cmp_eq_u32_e64 s[6:7], 0, v4
	s_and_b64 s[8:9], s[12:13], s[22:23]
	v_cmp_eq_u32_e64 s[22:23], s80, v3
	v_cmp_eq_u32_e64 s[44:45], 0, v2
	s_and_b64 s[6:7], s[18:19], s[6:7]
	v_cmp_eq_u32_e64 s[38:39], 1, v4
	v_cmp_eq_u32_e64 s[40:41], 2, v4
	;; [unrolled: 1-line block ×3, first 2 shown]
	v_cndmask_b32_e64 v4, 0, 1, s[8:9]
	v_cmp_eq_u32_e64 s[46:47], 1, v2
	v_cmp_eq_u32_e64 s[48:49], 2, v2
	;; [unrolled: 1-line block ×3, first 2 shown]
	v_cndmask_b32_e64 v2, 0, 1, s[6:7]
	s_and_b64 s[8:9], s[22:23], s[44:45]
	v_cmp_ne_u32_e64 s[42:43], 0, v5
	v_cmp_ne_u32_e64 s[6:7], 0, v2
	v_cndmask_b32_e64 v2, 0, 1, s[8:9]
	s_bcnt1_i32_b64 s81, s[42:43]
	v_cmp_ne_u32_e64 s[42:43], 0, v4
	s_bcnt1_i32_b64 s8, s[6:7]
	v_cmp_ne_u32_e64 s[6:7], 0, v2
	s_bcnt1_i32_b64 s42, s[42:43]
	s_bcnt1_i32_b64 s6, s[6:7]
	s_add_u32 s7, s81, s92
	s_addc_u32 s9, 0, s93
	s_add_u32 s7, s7, s42
	s_addc_u32 s9, s9, 0
	s_add_u32 s7, s7, s8
	s_addc_u32 s8, s9, 0
	s_add_u32 s92, s7, s6
	s_addc_u32 s93, s8, 0
	s_and_b64 s[6:7], s[10:11], s[28:29]
	v_cndmask_b32_e64 v4, 0, 1, s[6:7]
	s_and_b64 s[6:7], s[12:13], s[34:35]
	v_cndmask_b32_e64 v5, 0, 1, s[6:7]
	s_and_b64 s[6:7], s[18:19], s[38:39]
	v_cndmask_b32_e64 v6, 0, 1, s[6:7]
	s_and_b64 s[6:7], s[22:23], s[46:47]
	v_cndmask_b32_e64 v7, 0, 1, s[6:7]
	v_cmp_ne_u32_e64 s[6:7], 0, v4
	v_cmp_ne_u32_e64 s[28:29], 0, v5
	v_cmp_ne_u32_e64 s[34:35], 0, v6
	v_cmp_ne_u32_e64 s[38:39], 0, v7
	s_bcnt1_i32_b64 s6, s[6:7]
	s_bcnt1_i32_b64 s7, s[28:29]
	s_bcnt1_i32_b64 s8, s[34:35]
	s_bcnt1_i32_b64 s9, s[38:39]
	s_add_u32 s6, s6, s90
	s_addc_u32 s28, 0, s91
	s_add_u32 s6, s6, s7
	s_addc_u32 s7, s28, 0
	s_add_u32 s6, s6, s8
	s_addc_u32 s7, s7, 0
	s_add_u32 s90, s6, s9
	s_addc_u32 s91, s7, 0
	s_and_b64 s[6:7], s[10:11], s[30:31]
	v_cndmask_b32_e64 v6, 0, 1, s[6:7]
	s_and_b64 s[6:7], s[12:13], s[36:37]
	v_cndmask_b32_e64 v7, 0, 1, s[6:7]
	s_and_b64 s[6:7], s[18:19], s[40:41]
	v_cndmask_b32_e64 v8, 0, 1, s[6:7]
	s_and_b64 s[6:7], s[22:23], s[48:49]
	v_cndmask_b32_e64 v9, 0, 1, s[6:7]
	v_cmp_ne_u32_e64 s[6:7], 0, v6
	v_cmp_ne_u32_e64 s[28:29], 0, v7
	v_cmp_ne_u32_e64 s[30:31], 0, v8
	v_cmp_ne_u32_e64 s[34:35], 0, v9
	s_bcnt1_i32_b64 s6, s[6:7]
	s_bcnt1_i32_b64 s7, s[28:29]
	;; [unrolled: 24-line block ×3, first 2 shown]
	s_bcnt1_i32_b64 s8, s[12:13]
	s_bcnt1_i32_b64 s9, s[14:15]
	s_add_u32 s6, s6, s74
	s_addc_u32 s10, 0, s75
	s_add_u32 s6, s6, s7
	s_addc_u32 s7, s10, 0
	;; [unrolled: 2-line block ×4, first 2 shown]
	v_pk_mov_b32 v[2:3], s[92:93], s[92:93] op_sel:[0,1]
	v_pk_mov_b32 v[4:5], s[90:91], s[90:91] op_sel:[0,1]
	;; [unrolled: 1-line block ×3, first 2 shown]
	s_or_b64 s[70:71], vcc, s[70:71]
	v_pk_mov_b32 v[8:9], s[74:75], s[74:75] op_sel:[0,1]
	s_andn2_b64 exec, exec, s[70:71]
	s_cbranch_execnz .LBB109_49
; %bb.50:                               ;   in Loop: Header=BB109_16 Depth=1
	s_or_b64 exec, exec, s[70:71]
	v_readlane_b32 s74, v42, 39
	v_readlane_b32 s75, v42, 40
.LBB109_51:                             ;   in Loop: Header=BB109_16 Depth=1
	s_or_b64 exec, exec, s[50:51]
	v_add_co_u32_e32 v18, vcc, v18, v0
	v_addc_co_u32_e32 v19, vcc, 0, v19, vcc
	v_cmp_gt_u64_e32 vcc, s[52:53], v[18:19]
	v_mov_b32_e32 v10, 0
	s_and_saveexec_b64 s[8:9], vcc
	s_cbranch_execz .LBB109_53
; %bb.52:                               ;   in Loop: Header=BB109_16 Depth=1
	v_mul_lo_u32 v10, v19, s68
	v_mul_lo_u32 v34, v18, s69
	v_mad_u64_u32 v[20:21], s[6:7], v18, s68, 0
	v_add3_u32 v21, v21, v34, v10
	v_lshlrev_b64 v[20:21], 1, v[20:21]
	v_mov_b32_e32 v10, s84
	v_add_co_u32_e64 v20, s[6:7], s33, v20
	v_addc_co_u32_e64 v21, s[6:7], v10, v21, s[6:7]
	global_load_ushort v10, v[20:21], off
.LBB109_53:                             ;   in Loop: Header=BB109_16 Depth=1
	s_or_b64 exec, exec, s[8:9]
	s_and_saveexec_b64 s[8:9], vcc
	s_cbranch_execz .LBB109_60
; %bb.54:                               ;   in Loop: Header=BB109_16 Depth=1
	s_and_b32 s14, s3, 0xfe
	s_mov_b64 s[10:11], 0
	s_branch .LBB109_56
.LBB109_55:                             ;   in Loop: Header=BB109_56 Depth=2
	s_or_b64 exec, exec, s[12:13]
	s_waitcnt vmcnt(0)
	v_add_u32_sdwa v10, sext(v10), s2 dst_sel:DWORD dst_unused:UNUSED_PAD src0_sel:WORD_0 src1_sel:DWORD
	s_and_b64 s[6:7], exec, vcc
	v_and_b32_e32 v21, s27, v10
	v_bfe_u32 v10, v10, s14, 2
	s_or_b64 s[10:11], s[6:7], s[10:11]
	v_cmp_eq_u32_e32 vcc, s80, v21
	v_cmp_eq_u32_e64 s[6:7], 0, v10
	s_and_b64 s[6:7], vcc, s[6:7]
	v_cndmask_b32_e64 v21, 0, 1, s[6:7]
	v_cmp_ne_u32_e64 s[6:7], 0, v21
	s_bcnt1_i32_b64 s6, s[6:7]
	v_add_co_u32_e64 v2, s[6:7], s6, v2
	v_addc_co_u32_e64 v3, s[6:7], 0, v3, s[6:7]
	v_cmp_eq_u32_e64 s[6:7], 1, v10
	s_and_b64 s[6:7], vcc, s[6:7]
	v_cndmask_b32_e64 v21, 0, 1, s[6:7]
	v_cmp_ne_u32_e64 s[6:7], 0, v21
	s_bcnt1_i32_b64 s6, s[6:7]
	v_add_co_u32_e64 v4, s[6:7], s6, v4
	v_addc_co_u32_e64 v5, s[6:7], 0, v5, s[6:7]
	;; [unrolled: 7-line block ×3, first 2 shown]
	v_cmp_eq_u32_e64 s[6:7], 3, v10
	s_and_b64 s[6:7], vcc, s[6:7]
	v_cndmask_b32_e64 v10, 0, 1, s[6:7]
	v_cmp_ne_u32_e32 vcc, 0, v10
	s_bcnt1_i32_b64 s6, vcc
	v_add_co_u32_e32 v8, vcc, s6, v8
	v_addc_co_u32_e32 v9, vcc, 0, v9, vcc
	v_mov_b32_e32 v10, v20
	s_andn2_b64 exec, exec, s[10:11]
	s_cbranch_execz .LBB109_59
.LBB109_56:                             ;   Parent Loop BB109_16 Depth=1
                                        ; =>  This Inner Loop Header: Depth=2
	v_add_co_u32_sdwa v18, vcc, v18, v33 dst_sel:DWORD dst_unused:UNUSED_PAD src0_sel:DWORD src1_sel:WORD_0
	v_addc_co_u32_e32 v19, vcc, 0, v19, vcc
	v_cmp_gt_u64_e64 s[6:7], s[52:53], v[18:19]
	v_cmp_le_u64_e32 vcc, s[52:53], v[18:19]
	v_mov_b32_e32 v20, 0
	s_and_saveexec_b64 s[12:13], s[6:7]
	s_cbranch_execz .LBB109_55
; %bb.57:                               ;   in Loop: Header=BB109_56 Depth=2
	v_mul_lo_u32 v34, v19, s68
	v_mul_lo_u32 v35, v18, s69
	v_mad_u64_u32 v[20:21], s[6:7], v18, s68, 0
	v_add3_u32 v21, v21, v35, v34
	v_lshlrev_b64 v[20:21], 1, v[20:21]
	v_mov_b32_e32 v34, s84
	v_add_co_u32_e64 v20, s[6:7], s33, v20
	v_addc_co_u32_e64 v21, s[6:7], v34, v21, s[6:7]
	global_load_ushort v20, v[20:21], off
	s_branch .LBB109_55
.LBB109_58:                             ;   in Loop: Header=BB109_16 Depth=1
                                        ; implicit-def: $vgpr8_vgpr9
                                        ; implicit-def: $vgpr4_vgpr5
	s_cbranch_execnz .LBB109_61
	s_branch .LBB109_70
.LBB109_59:                             ;   in Loop: Header=BB109_16 Depth=1
	s_or_b64 exec, exec, s[10:11]
.LBB109_60:                             ;   in Loop: Header=BB109_16 Depth=1
	s_or_b64 exec, exec, s[8:9]
	s_branch .LBB109_70
.LBB109_61:                             ;   in Loop: Header=BB109_16 Depth=1
	global_load_ushort v8, v11, s[88:89]
	s_mov_b64 s[70:71], 0
	s_waitcnt vmcnt(0)
	v_readfirstlane_b32 s6, v8
	s_and_b32 s6, 0xffff, s6
	s_lshl_b32 s65, s6, 2
	v_cvt_f32_u32_e32 v2, s65
	s_sub_i32 s6, 0, s65
	v_and_b32_e32 v20, 0xffff, v8
	v_rcp_iflag_f32_e32 v6, v2
	v_pk_mov_b32 v[2:3], 0, 0
	v_pk_mov_b32 v[4:5], v[2:3], v[2:3] op_sel:[0,1]
	v_mul_f32_e32 v6, 0x4f7ffffe, v6
	v_cvt_u32_f32_e32 v9, v6
	v_pk_mov_b32 v[6:7], v[2:3], v[2:3] op_sel:[0,1]
	v_readfirstlane_b32 s7, v9
	s_mul_i32 s6, s6, s7
	s_mul_hi_u32 s6, s7, s6
	s_add_i32 s7, s7, s6
	s_mul_hi_u32 s6, s64, s7
	s_mul_i32 s6, s6, s65
	s_sub_i32 s6, s64, s6
	s_sub_i32 s7, s6, s65
	s_cmp_ge_u32 s6, s65
	s_cselect_b32 s6, s7, s6
	s_sub_i32 s7, s6, s65
	s_cmp_ge_u32 s6, s65
	s_cselect_b32 s6, s7, s6
	s_sub_i32 s78, s64, s6
	v_cmp_gt_u32_e32 vcc, s78, v14
	v_pk_mov_b32 v[8:9], v[2:3], v[2:3] op_sel:[0,1]
	s_and_saveexec_b64 s[72:73], vcc
	s_cbranch_execz .LBB109_65
; %bb.62:                               ;   in Loop: Header=BB109_16 Depth=1
	s_and_b32 s81, s3, 0xfe
	v_lshlrev_b32_e32 v10, 3, v20
	v_mov_b32_e32 v21, v28
	s_mov_b64 s[74:75], 0
	s_mov_b64 s[90:91], 0
	;; [unrolled: 1-line block ×4, first 2 shown]
	v_pk_mov_b32 v[18:19], v[14:15], v[14:15] op_sel:[0,1]
.LBB109_63:                             ;   Parent Loop BB109_16 Depth=1
                                        ; =>  This Inner Loop Header: Depth=2
	ds_read_b64 v[2:3], v21
	v_add_co_u32_e32 v18, vcc, s65, v18
	v_addc_co_u32_e32 v19, vcc, 0, v19, vcc
	s_waitcnt lgkmcnt(0)
	v_add_u32_sdwa v4, sext(v2), s2 dst_sel:DWORD dst_unused:UNUSED_PAD src0_sel:WORD_0 src1_sel:DWORD
	v_add_u32_sdwa v2, sext(v2), s2 dst_sel:DWORD dst_unused:UNUSED_PAD src0_sel:WORD_1 src1_sel:DWORD
	v_and_b32_e32 v6, s27, v4
	v_bfe_u32 v4, v4, s81, 2
	v_add_u32_sdwa v5, sext(v3), s2 dst_sel:DWORD dst_unused:UNUSED_PAD src0_sel:WORD_0 src1_sel:DWORD
	v_and_b32_e32 v7, s27, v2
	v_bfe_u32 v2, v2, s81, 2
	v_cmp_eq_u32_e64 s[16:17], s80, v6
	v_cmp_eq_u32_e64 s[6:7], 0, v4
	v_add_u32_sdwa v3, sext(v3), s2 dst_sel:DWORD dst_unused:UNUSED_PAD src0_sel:WORD_1 src1_sel:DWORD
	v_and_b32_e32 v8, s27, v5
	v_bfe_u32 v5, v5, s81, 2
	v_cmp_eq_u32_e64 s[14:15], s80, v7
	v_cmp_eq_u32_e64 s[28:29], 0, v2
	s_and_b64 s[6:7], s[16:17], s[6:7]
	v_and_b32_e32 v9, s27, v3
	v_bfe_u32 v3, v3, s81, 2
	v_cmp_eq_u32_e64 s[12:13], s80, v8
	v_cmp_eq_u32_e64 s[30:31], 0, v5
	;; [unrolled: 1-line block ×5, first 2 shown]
	v_cndmask_b32_e64 v2, 0, 1, s[6:7]
	s_and_b64 s[6:7], s[14:15], s[28:29]
	v_cmp_eq_u32_e64 s[10:11], s80, v9
	v_cmp_eq_u32_e64 s[34:35], 0, v3
	;; [unrolled: 1-line block ×5, first 2 shown]
	v_cndmask_b32_e64 v3, 0, 1, s[6:7]
	s_and_b64 s[6:7], s[12:13], s[30:31]
	v_cmp_eq_u32_e64 s[36:37], 1, v4
	v_cmp_eq_u32_e64 s[44:45], 2, v4
	;; [unrolled: 1-line block ×3, first 2 shown]
	v_cndmask_b32_e64 v4, 0, 1, s[6:7]
	s_and_b64 s[6:7], s[10:11], s[34:35]
	v_cmp_eq_u32_e64 s[40:41], 1, v5
	v_cmp_eq_u32_e64 s[48:49], 2, v5
	;; [unrolled: 1-line block ×3, first 2 shown]
	v_cndmask_b32_e64 v5, 0, 1, s[6:7]
	v_cmp_ne_u32_e64 s[6:7], 0, v2
	v_cmp_ne_u32_e64 s[28:29], 0, v3
	v_cmp_ne_u32_e64 s[30:31], 0, v4
	v_cmp_ne_u32_e64 s[34:35], 0, v5
	s_bcnt1_i32_b64 s6, s[6:7]
	s_bcnt1_i32_b64 s7, s[28:29]
	s_bcnt1_i32_b64 s28, s[30:31]
	s_bcnt1_i32_b64 s29, s[34:35]
	s_add_u32 s6, s6, s8
	s_addc_u32 s8, 0, s9
	s_add_u32 s6, s6, s7
	s_addc_u32 s7, s8, 0
	s_add_u32 s6, s6, s28
	s_addc_u32 s7, s7, 0
	s_add_u32 s8, s6, s29
	s_addc_u32 s9, s7, 0
	s_and_b64 s[6:7], s[16:17], s[36:37]
	v_cndmask_b32_e64 v4, 0, 1, s[6:7]
	s_and_b64 s[6:7], s[14:15], s[38:39]
	v_cndmask_b32_e64 v5, 0, 1, s[6:7]
	s_and_b64 s[6:7], s[12:13], s[40:41]
	v_cndmask_b32_e64 v6, 0, 1, s[6:7]
	s_and_b64 s[6:7], s[10:11], s[42:43]
	v_cndmask_b32_e64 v7, 0, 1, s[6:7]
	v_cmp_ne_u32_e64 s[6:7], 0, v4
	v_cmp_ne_u32_e64 s[28:29], 0, v5
	v_cmp_ne_u32_e64 s[30:31], 0, v6
	v_cmp_ne_u32_e64 s[34:35], 0, v7
	s_bcnt1_i32_b64 s6, s[6:7]
	s_bcnt1_i32_b64 s7, s[28:29]
	s_bcnt1_i32_b64 s28, s[30:31]
	s_bcnt1_i32_b64 s29, s[34:35]
	s_add_u32 s6, s6, s92
	s_addc_u32 s30, 0, s93
	s_add_u32 s6, s6, s7
	s_addc_u32 s7, s30, 0
	s_add_u32 s6, s6, s28
	s_addc_u32 s7, s7, 0
	s_add_u32 s92, s6, s29
	s_addc_u32 s93, s7, 0
	s_and_b64 s[6:7], s[16:17], s[44:45]
	v_cndmask_b32_e64 v6, 0, 1, s[6:7]
	s_and_b64 s[6:7], s[14:15], s[46:47]
	v_cndmask_b32_e64 v7, 0, 1, s[6:7]
	s_and_b64 s[6:7], s[12:13], s[48:49]
	v_cndmask_b32_e64 v8, 0, 1, s[6:7]
	s_and_b64 s[6:7], s[10:11], s[50:51]
	;; [unrolled: 24-line block ×3, first 2 shown]
	v_cndmask_b32_e64 v34, 0, 1, s[6:7]
	v_cmp_ne_u32_e64 s[6:7], 0, v8
	v_cmp_ne_u32_e64 s[10:11], 0, v9
	;; [unrolled: 1-line block ×4, first 2 shown]
	s_bcnt1_i32_b64 s6, s[6:7]
	s_bcnt1_i32_b64 s7, s[10:11]
	;; [unrolled: 1-line block ×4, first 2 shown]
	s_add_u32 s6, s6, s74
	s_addc_u32 s12, 0, s75
	s_add_u32 s6, s6, s7
	s_addc_u32 s7, s12, 0
	;; [unrolled: 2-line block ×3, first 2 shown]
	s_add_u32 s74, s6, s11
	v_cmp_le_u64_e32 vcc, s[78:79], v[18:19]
	s_addc_u32 s75, s7, 0
	v_add_u32_e32 v21, v21, v10
	v_pk_mov_b32 v[2:3], s[8:9], s[8:9] op_sel:[0,1]
	v_pk_mov_b32 v[4:5], s[92:93], s[92:93] op_sel:[0,1]
	;; [unrolled: 1-line block ×3, first 2 shown]
	s_or_b64 s[70:71], vcc, s[70:71]
	v_pk_mov_b32 v[8:9], s[74:75], s[74:75] op_sel:[0,1]
	s_andn2_b64 exec, exec, s[70:71]
	s_cbranch_execnz .LBB109_63
; %bb.64:                               ;   in Loop: Header=BB109_16 Depth=1
	s_or_b64 exec, exec, s[70:71]
	v_readlane_b32 s74, v42, 39
	v_readlane_b32 s75, v42, 40
.LBB109_65:                             ;   in Loop: Header=BB109_16 Depth=1
	s_or_b64 exec, exec, s[72:73]
	v_add_u32_e32 v10, s78, v0
	v_cmp_gt_u32_e32 vcc, s64, v10
	s_and_saveexec_b64 s[8:9], vcc
	s_cbranch_execz .LBB109_69
; %bb.66:                               ;   in Loop: Header=BB109_16 Depth=1
	s_and_b32 s78, s64, 0x7fffffff
	s_and_b32 s20, s3, 0xfe
	v_lshlrev_b32_e32 v21, 1, v10
	v_lshlrev_b32_e32 v33, 1, v20
	s_mov_b64 s[18:19], 0
	v_pk_mov_b32 v[18:19], v[10:11], v[10:11] op_sel:[0,1]
.LBB109_67:                             ;   Parent Loop BB109_16 Depth=1
                                        ; =>  This Inner Loop Header: Depth=2
	ds_read_i16 v10, v21
	v_add_co_u32_e32 v18, vcc, v18, v20
	v_addc_co_u32_e32 v19, vcc, 0, v19, vcc
	s_waitcnt lgkmcnt(0)
	v_add_u32_e32 v10, 0x8000, v10
	v_and_b32_e32 v34, s27, v10
	v_bfe_u32 v10, v10, s20, 2
	v_cmp_eq_u32_e64 s[6:7], s80, v34
	v_cmp_eq_u32_e64 s[10:11], 0, v10
	;; [unrolled: 1-line block ×3, first 2 shown]
	s_and_b64 s[10:11], s[6:7], s[10:11]
	v_cmp_eq_u32_e64 s[14:15], 2, v10
	v_cmp_eq_u32_e64 s[16:17], 3, v10
	v_cndmask_b32_e64 v10, 0, 1, s[10:11]
	s_and_b64 s[10:11], s[6:7], s[12:13]
	v_cndmask_b32_e64 v34, 0, 1, s[10:11]
	s_and_b64 s[10:11], s[6:7], s[14:15]
	s_and_b64 s[6:7], s[6:7], s[16:17]
	v_cndmask_b32_e64 v36, 0, 1, s[6:7]
	v_cmp_ne_u32_e64 s[6:7], 0, v10
	s_bcnt1_i32_b64 s6, s[6:7]
	v_cndmask_b32_e64 v35, 0, 1, s[10:11]
	v_cmp_ne_u32_e64 s[10:11], 0, v34
	v_add_co_u32_e64 v2, s[6:7], s6, v2
	s_bcnt1_i32_b64 s10, s[10:11]
	v_addc_co_u32_e64 v3, s[6:7], 0, v3, s[6:7]
	v_cmp_ne_u32_e64 s[12:13], 0, v35
	v_cmp_ne_u32_e64 s[14:15], 0, v36
	v_add_co_u32_e64 v4, s[6:7], s10, v4
	v_cmp_le_u64_e32 vcc, s[78:79], v[18:19]
	s_bcnt1_i32_b64 s11, s[12:13]
	s_bcnt1_i32_b64 s12, s[14:15]
	v_addc_co_u32_e64 v5, s[6:7], 0, v5, s[6:7]
	v_add_co_u32_e64 v6, s[6:7], s11, v6
	s_or_b64 s[18:19], vcc, s[18:19]
	v_add_co_u32_e32 v8, vcc, s12, v8
	v_add_u32_e32 v21, v21, v33
	v_addc_co_u32_e64 v7, s[6:7], 0, v7, s[6:7]
	v_addc_co_u32_e32 v9, vcc, 0, v9, vcc
	s_andn2_b64 exec, exec, s[18:19]
	s_cbranch_execnz .LBB109_67
; %bb.68:                               ;   in Loop: Header=BB109_16 Depth=1
	s_or_b64 exec, exec, s[18:19]
.LBB109_69:                             ;   in Loop: Header=BB109_16 Depth=1
	s_or_b64 exec, exec, s[8:9]
.LBB109_70:                             ;   in Loop: Header=BB109_16 Depth=1
	s_lshl_b32 s8, s26, 6
	s_and_saveexec_b64 s[6:7], s[4:5]
	s_cbranch_execz .LBB109_72
; %bb.71:                               ;   in Loop: Header=BB109_16 Depth=1
	s_waitcnt vmcnt(0)
	v_or_b32_e32 v10, s8, v26
	v_lshlrev_b32_e32 v10, 3, v10
	ds_write_b128 v10, v[2:5] offset:3072
	ds_write_b128 v10, v[6:9] offset:3088
.LBB109_72:                             ;   in Loop: Header=BB109_16 Depth=1
	s_or_b64 exec, exec, s[6:7]
	s_waitcnt lgkmcnt(0)
	s_barrier
	s_and_saveexec_b64 s[6:7], s[74:75]
	s_cbranch_execz .LBB109_84
; %bb.73:                               ;   in Loop: Header=BB109_16 Depth=1
	v_readlane_b32 s10, v42, 30
	v_readlane_b32 s11, v42, 31
	s_andn2_b64 vcc, exec, s[10:11]
	v_pk_mov_b32 v[2:3], 0, 0
	s_cbranch_vccnz .LBB109_83
; %bb.74:                               ;   in Loop: Header=BB109_16 Depth=1
	v_readlane_b32 s10, v42, 34
	v_readlane_b32 s11, v42, 35
	s_andn2_b64 vcc, exec, s[10:11]
	s_cbranch_vccnz .LBB109_79
; %bb.75:                               ;   in Loop: Header=BB109_16 Depth=1
	s_waitcnt vmcnt(0)
	v_lshl_add_u32 v4, s26, 9, v29
	s_mov_b32 s9, 0
	v_pk_mov_b32 v[2:3], 0, 0
.LBB109_76:                             ;   Parent Loop BB109_16 Depth=1
                                        ; =>  This Inner Loop Header: Depth=2
	ds_read2_b64 v[6:9], v4 offset1:4
	ds_read2_b64 v[18:21], v4 offset0:8 offset1:12
	ds_read2_b64 v[34:37], v4 offset0:16 offset1:20
	ds_read2_b64 v[38:41], v4 offset0:24 offset1:28
	s_add_i32 s9, s9, 8
	s_waitcnt lgkmcnt(3)
	v_add_co_u32_e32 v2, vcc, v6, v2
	v_addc_co_u32_e32 v3, vcc, v7, v3, vcc
	v_add_co_u32_e32 v2, vcc, v8, v2
	v_addc_co_u32_e32 v3, vcc, v9, v3, vcc
	s_waitcnt lgkmcnt(2)
	v_add_co_u32_e32 v2, vcc, v18, v2
	v_addc_co_u32_e32 v3, vcc, v19, v3, vcc
	v_add_co_u32_e32 v2, vcc, v20, v2
	v_addc_co_u32_e32 v3, vcc, v21, v3, vcc
	;; [unrolled: 5-line block ×3, first 2 shown]
	s_waitcnt lgkmcnt(0)
	v_add_co_u32_e32 v2, vcc, v38, v2
	v_addc_co_u32_e32 v3, vcc, v39, v3, vcc
	v_add_co_u32_e32 v2, vcc, v40, v2
	v_add_u32_e32 v4, 0x100, v4
	s_cmp_eq_u32 s85, s9
	v_addc_co_u32_e32 v3, vcc, v41, v3, vcc
	s_cbranch_scc0 .LBB109_76
; %bb.77:                               ;   in Loop: Header=BB109_16 Depth=1
	s_mov_b32 s9, s85
	s_branch .LBB109_80
.LBB109_78:                             ;   in Loop: Header=BB109_16 Depth=1
                                        ; implicit-def: $vgpr2_vgpr3
	s_branch .LBB109_46
.LBB109_79:                             ;   in Loop: Header=BB109_16 Depth=1
	s_mov_b32 s9, 0
	v_pk_mov_b32 v[2:3], 0, 0
.LBB109_80:                             ;   in Loop: Header=BB109_16 Depth=1
	v_readlane_b32 s10, v42, 37
	v_readlane_b32 s11, v42, 38
	s_andn2_b64 vcc, exec, s[10:11]
	s_cbranch_vccnz .LBB109_83
; %bb.81:                               ;   in Loop: Header=BB109_16 Depth=1
	s_lshl_b32 s10, s26, 9
	s_lshl_b32 s9, s9, 5
	s_add_i32 s10, s10, s9
	s_waitcnt vmcnt(0)
	v_add_u32_e32 v4, s10, v29
	v_readlane_b32 s9, v42, 36
.LBB109_82:                             ;   Parent Loop BB109_16 Depth=1
                                        ; =>  This Inner Loop Header: Depth=2
	ds_read_b64 v[6:7], v4
	s_add_i32 s9, s9, -1
	v_add_u32_e32 v4, 32, v4
	s_cmp_lg_u32 s9, 0
	s_waitcnt lgkmcnt(0)
	v_add_co_u32_e32 v2, vcc, v6, v2
	v_addc_co_u32_e32 v3, vcc, v7, v3, vcc
	s_cbranch_scc1 .LBB109_82
.LBB109_83:                             ;   in Loop: Header=BB109_16 Depth=1
	s_waitcnt vmcnt(0)
	v_add_lshl_u32 v4, s8, v22, 3
	ds_write_b64 v4, v[2:3] offset:3072
.LBB109_84:                             ;   in Loop: Header=BB109_16 Depth=1
	s_or_b64 exec, exec, s[6:7]
	s_lshl_b32 s6, s8, 3
	v_mov_b32_e32 v6, s6
	s_waitcnt lgkmcnt(0)
	s_barrier
	s_waitcnt vmcnt(0)
	ds_read_b128 v[2:5], v6 offset:3072
	ds_read_b128 v[6:9], v6 offset:3088
	s_and_b32 s40, s3, 0xfe
	s_lshl_b32 s48, 3, s40
	s_not_b32 s41, s48
	s_waitcnt lgkmcnt(1)
	v_readfirstlane_b32 s15, v3
	v_readfirstlane_b32 s14, v2
	s_cmp_eq_u64 s[14:15], 1
	s_cselect_b64 s[6:7], -1, 0
	s_cmp_eq_u64 s[82:83], 1
	s_cselect_b64 s[8:9], -1, 0
	s_and_b64 s[20:21], s[6:7], s[8:9]
	v_readfirstlane_b32 s28, v4
	v_readfirstlane_b32 s29, v5
	s_waitcnt lgkmcnt(0)
	v_readfirstlane_b32 s16, v6
	v_readfirstlane_b32 s17, v7
	;; [unrolled: 1-line block ×4, first 2 shown]
	s_mov_b64 s[18:19], -1
	s_and_b64 vcc, exec, s[20:21]
	s_cbranch_vccz .LBB109_99
; %bb.85:                               ;   in Loop: Header=BB109_16 Depth=1
	ds_read_b64 v[2:3], v11 offset:5120
	s_waitcnt lgkmcnt(0)
	s_barrier
	v_readfirstlane_b32 s8, v2
	v_readfirstlane_b32 s9, v3
	s_mov_b64 s[6:7], exec
	v_readlane_b32 s12, v42, 26
	v_readlane_b32 s13, v42, 27
	s_and_b64 s[12:13], s[6:7], s[12:13]
	s_mov_b64 exec, s[12:13]
	s_cbranch_execz .LBB109_87
; %bb.86:                               ;   in Loop: Header=BB109_16 Depth=1
	ds_write_b16 v24, v1
.LBB109_87:                             ;   in Loop: Header=BB109_16 Depth=1
	s_or_b64 exec, exec, s[6:7]
	s_and_b32 s80, s80, s41
	s_or_b32 s27, s27, s48
	s_cmp_eq_u64 s[8:9], 0
	s_waitcnt lgkmcnt(0)
	s_barrier
	s_cbranch_scc1 .LBB109_100
; %bb.88:                               ;   in Loop: Header=BB109_16 Depth=1
	v_readlane_b32 s6, v42, 32
	s_add_u32 s22, s6, s8
	v_readlane_b32 s6, v42, 33
	s_addc_u32 s7, s6, s9
	s_mov_b32 s6, s79
	s_cmp_lg_u64 s[6:7], 0
	s_cbranch_scc0 .LBB109_145
; %bb.89:                               ;   in Loop: Header=BB109_16 Depth=1
	v_cvt_f32_u32_e32 v2, s55
	s_sub_u32 s6, 0, s55
	s_subb_u32 s12, 0, 0
	v_mac_f32_e32 v2, 0, v30
	v_rcp_f32_e32 v2, v2
	v_mul_f32_e32 v2, 0x5f7ffffc, v2
	v_mul_f32_e32 v3, 0x2f800000, v2
	v_trunc_f32_e32 v3, v3
	v_mac_f32_e32 v2, 0xcf800000, v3
	v_cvt_u32_f32_e32 v3, v3
	v_cvt_u32_f32_e32 v2, v2
	v_readfirstlane_b32 s13, v3
	v_readfirstlane_b32 s23, v2
	s_mul_i32 s24, s6, s13
	s_mul_hi_u32 s30, s6, s23
	s_mul_i32 s25, s12, s23
	s_add_i32 s24, s30, s24
	s_mul_i32 s31, s6, s23
	s_add_i32 s24, s24, s25
	s_mul_hi_u32 s30, s23, s31
	s_mul_hi_u32 s25, s23, s24
	s_mul_i32 s23, s23, s24
	s_add_u32 s23, s30, s23
	s_addc_u32 s25, 0, s25
	s_mul_hi_u32 s34, s13, s31
	s_mul_i32 s31, s13, s31
	s_add_u32 s23, s23, s31
	s_mul_hi_u32 s30, s13, s24
	s_addc_u32 s23, s25, s34
	s_addc_u32 s25, s30, 0
	s_mul_i32 s24, s13, s24
	s_add_u32 s23, s23, s24
	s_addc_u32 s24, 0, s25
	v_add_co_u32_e32 v2, vcc, s23, v2
	s_cmp_lg_u64 vcc, 0
	s_addc_u32 s13, s13, s24
	v_readfirstlane_b32 s24, v2
	s_mul_i32 s23, s6, s13
	s_mul_hi_u32 s25, s6, s24
	s_add_i32 s23, s25, s23
	s_mul_i32 s12, s12, s24
	s_add_i32 s23, s23, s12
	s_mul_i32 s6, s6, s24
	s_mul_hi_u32 s25, s13, s6
	s_mul_i32 s30, s13, s6
	s_mul_i32 s34, s24, s23
	s_mul_hi_u32 s6, s24, s6
	s_mul_hi_u32 s31, s24, s23
	s_add_u32 s6, s6, s34
	s_addc_u32 s24, 0, s31
	s_add_u32 s6, s6, s30
	s_mul_hi_u32 s12, s13, s23
	s_addc_u32 s6, s24, s25
	s_addc_u32 s12, s12, 0
	s_mul_i32 s23, s13, s23
	s_add_u32 s6, s6, s23
	s_addc_u32 s12, 0, s12
	v_add_co_u32_e32 v2, vcc, s6, v2
	s_cmp_lg_u64 vcc, 0
	s_addc_u32 s6, s13, s12
	v_readfirstlane_b32 s23, v2
	s_mul_i32 s13, s22, s6
	s_mul_hi_u32 s24, s22, s23
	s_mul_hi_u32 s12, s22, s6
	s_add_u32 s13, s24, s13
	s_addc_u32 s12, 0, s12
	s_mul_hi_u32 s25, s7, s23
	s_mul_i32 s23, s7, s23
	s_add_u32 s13, s13, s23
	s_mul_hi_u32 s24, s7, s6
	s_addc_u32 s12, s12, s25
	s_addc_u32 s13, s24, 0
	s_mul_i32 s6, s7, s6
	s_add_u32 s6, s12, s6
	s_addc_u32 s12, 0, s13
	s_mul_hi_u32 s13, s55, s6
	s_mul_i32 s6, s55, s6
	s_mul_i32 s12, s55, s12
	v_mov_b32_e32 v2, s6
	s_add_i32 s13, s13, s12
	v_sub_co_u32_e32 v2, vcc, s22, v2
	s_cmp_lg_u64 vcc, 0
	s_subb_u32 s6, s7, s13
	v_subrev_co_u32_e32 v3, vcc, s55, v2
	s_cmp_lg_u64 vcc, 0
	s_subb_u32 s12, s6, 0
	v_subrev_co_u32_e32 v4, vcc, s55, v3
	s_cmp_lg_u64 vcc, 0
	s_subb_u32 s13, s12, 0
	v_cmp_le_u32_e32 vcc, s55, v3
	s_cmp_eq_u32 s12, 0
	v_cndmask_b32_e64 v5, 0, -1, vcc
	s_cselect_b64 vcc, -1, 0
	v_cndmask_b32_e32 v5, -1, v5, vcc
	v_mov_b32_e32 v6, s12
	v_mov_b32_e32 v7, s13
	v_cmp_ne_u32_e32 vcc, 0, v5
	v_cndmask_b32_e32 v5, v6, v7, vcc
	v_cndmask_b32_e32 v4, v3, v4, vcc
	v_cmp_le_u32_e32 vcc, s55, v2
	s_cmp_eq_u32 s6, 0
	v_cndmask_b32_e64 v3, 0, -1, vcc
	s_cselect_b64 vcc, -1, 0
	v_cndmask_b32_e32 v3, -1, v3, vcc
	v_mov_b32_e32 v6, s6
	v_cmp_ne_u32_e32 vcc, 0, v3
	v_cndmask_b32_e32 v3, v6, v5, vcc
	v_cndmask_b32_e32 v2, v2, v4, vcc
	s_cbranch_execnz .LBB109_91
.LBB109_90:                             ;   in Loop: Header=BB109_16 Depth=1
	v_cvt_f32_u32_e32 v2, s55
	s_sub_i32 s6, 0, s55
	v_rcp_iflag_f32_e32 v2, v2
	v_mul_f32_e32 v2, 0x4f7ffffe, v2
	v_cvt_u32_f32_e32 v2, v2
	v_mul_lo_u32 v3, s6, v2
	v_mul_hi_u32 v3, v2, v3
	v_add_u32_e32 v2, v2, v3
	v_mul_hi_u32 v2, s22, v2
	v_mul_lo_u32 v2, v2, s55
	v_sub_u32_e32 v2, s22, v2
	v_subrev_u32_e32 v3, s55, v2
	v_cmp_le_u32_e32 vcc, s55, v2
	v_cndmask_b32_e32 v2, v2, v3, vcc
	v_subrev_u32_e32 v3, s55, v2
	v_cmp_le_u32_e32 vcc, s55, v2
	v_cndmask_b32_e32 v10, v2, v3, vcc
	v_pk_mov_b32 v[2:3], v[10:11], v[10:11] op_sel:[0,1]
.LBB109_91:                             ;   in Loop: Header=BB109_16 Depth=1
	v_mov_b32_e32 v4, s7
	v_sub_co_u32_e32 v2, vcc, s22, v2
	v_subb_co_u32_e32 v3, vcc, v4, v3, vcc
	v_cmp_gt_u64_e32 vcc, v[2:3], v[0:1]
	s_mov_b64 s[6:7], 0
                                        ; implicit-def: $vgpr32
	s_and_saveexec_b64 s[12:13], vcc
	s_cbranch_execz .LBB109_102
; %bb.92:                               ;   in Loop: Header=BB109_16 Depth=1
	s_mov_b64 s[22:23], 0
	v_mov_b32_e32 v6, v23
	v_pk_mov_b32 v[4:5], v[0:1], v[0:1] op_sel:[0,1]
                                        ; implicit-def: $sgpr24_sgpr25
	s_branch .LBB109_94
.LBB109_93:                             ;   in Loop: Header=BB109_94 Depth=2
	s_or_b64 exec, exec, s[6:7]
	s_waitcnt lgkmcnt(0)
	s_barrier
	ds_read_b32 v7, v11 offset:3072
	v_mov_b32_e32 v8, s54
	v_add_co_u32_e64 v4, s[6:7], s55, v4
	v_addc_co_u32_e64 v5, s[6:7], v5, v8, s[6:7]
	s_waitcnt lgkmcnt(0)
	v_cmp_ne_u16_e32 vcc, 0, v7
	v_cmp_ge_u64_e64 s[6:7], v[4:5], v[2:3]
	s_or_b64 s[6:7], s[6:7], vcc
	s_and_b64 s[6:7], exec, s[6:7]
	s_or_b64 s[22:23], s[6:7], s[22:23]
	s_andn2_b64 s[6:7], s[24:25], exec
	s_and_b64 s[24:25], vcc, exec
	v_add_u32_e32 v6, s0, v6
	s_or_b64 s[24:25], s[6:7], s[24:25]
	s_barrier
	s_andn2_b64 exec, exec, s[22:23]
	s_cbranch_execz .LBB109_101
.LBB109_94:                             ;   Parent Loop BB109_16 Depth=1
                                        ; =>  This Inner Loop Header: Depth=2
	v_cmp_gt_u64_e32 vcc, s[8:9], v[4:5]
	v_mov_b32_e32 v7, 0
	s_and_saveexec_b64 s[6:7], vcc
	s_cbranch_execz .LBB109_96
; %bb.95:                               ;   in Loop: Header=BB109_94 Depth=2
	ds_read_u16 v7, v6
.LBB109_96:                             ;   in Loop: Header=BB109_94 Depth=2
	s_or_b64 exec, exec, s[6:7]
	s_and_saveexec_b64 s[6:7], vcc
	s_cbranch_execz .LBB109_93
; %bb.97:                               ;   in Loop: Header=BB109_94 Depth=2
	s_waitcnt lgkmcnt(0)
	v_add_u32_sdwa v8, sext(v7), s2 dst_sel:DWORD dst_unused:UNUSED_PAD src0_sel:WORD_0 src1_sel:DWORD
	v_and_b32_e32 v8, s27, v8
	v_cmp_eq_u32_e32 vcc, s80, v8
	s_and_b64 exec, exec, vcc
	s_cbranch_execz .LBB109_93
; %bb.98:                               ;   in Loop: Header=BB109_94 Depth=2
	v_perm_b32 v7, v7, 1, v31
	ds_write_b32 v11, v7 offset:3072
	s_branch .LBB109_93
.LBB109_99:                             ;   in Loop: Header=BB109_16 Depth=1
	s_mov_b64 s[6:7], -1
                                        ; implicit-def: $sgpr8_sgpr9
                                        ; implicit-def: $sgpr22_sgpr23
                                        ; implicit-def: $sgpr12_sgpr13
	s_branch .LBB109_116
.LBB109_100:                            ;   in Loop: Header=BB109_16 Depth=1
	s_mov_b64 s[8:9], -1
	s_mov_b64 s[6:7], 0
                                        ; implicit-def: $sgpr12_sgpr13
                                        ; implicit-def: $vgpr32
	s_mov_b64 s[22:23], s[8:9]
	s_cbranch_execnz .LBB109_103
	s_branch .LBB109_116
.LBB109_101:                            ;   in Loop: Header=BB109_16 Depth=1
	s_or_b64 exec, exec, s[22:23]
	v_lshrrev_b32_e32 v32, 16, v7
	s_and_b64 s[6:7], s[24:25], exec
.LBB109_102:                            ;   in Loop: Header=BB109_16 Depth=1
	s_or_b64 exec, exec, s[12:13]
	s_mov_b64 s[12:13], -1
	s_mov_b64 s[8:9], 0
	s_mov_b64 s[22:23], s[8:9]
	s_branch .LBB109_116
.LBB109_103:                            ;   in Loop: Header=BB109_16 Depth=1
	s_mov_b32 s86, s79
	s_cmp_lg_u64 s[86:87], 0
	s_cbranch_scc0 .LBB109_149
; %bb.104:                              ;   in Loop: Header=BB109_16 Depth=1
	v_cvt_f32_u32_e32 v2, s55
	s_sub_u32 s6, 0, s55
	s_subb_u32 s7, 0, 0
	v_mac_f32_e32 v2, 0, v30
	v_rcp_f32_e32 v2, v2
	v_mul_f32_e32 v2, 0x5f7ffffc, v2
	v_mul_f32_e32 v3, 0x2f800000, v2
	v_trunc_f32_e32 v3, v3
	v_mac_f32_e32 v2, 0xcf800000, v3
	v_cvt_u32_f32_e32 v3, v3
	v_cvt_u32_f32_e32 v2, v2
	v_readfirstlane_b32 s8, v3
	v_readfirstlane_b32 s9, v2
	s_mul_i32 s12, s6, s8
	s_mul_hi_u32 s22, s6, s9
	s_mul_i32 s13, s7, s9
	s_add_i32 s12, s22, s12
	s_mul_i32 s23, s6, s9
	s_add_i32 s12, s12, s13
	s_mul_hi_u32 s22, s9, s23
	s_mul_hi_u32 s13, s9, s12
	s_mul_i32 s9, s9, s12
	s_add_u32 s9, s22, s9
	s_addc_u32 s13, 0, s13
	s_mul_hi_u32 s24, s8, s23
	s_mul_i32 s23, s8, s23
	s_add_u32 s9, s9, s23
	s_mul_hi_u32 s22, s8, s12
	s_addc_u32 s9, s13, s24
	s_addc_u32 s13, s22, 0
	s_mul_i32 s12, s8, s12
	s_add_u32 s9, s9, s12
	s_addc_u32 s12, 0, s13
	v_add_co_u32_e32 v2, vcc, s9, v2
	s_cmp_lg_u64 vcc, 0
	s_addc_u32 s8, s8, s12
	v_readfirstlane_b32 s12, v2
	s_mul_i32 s9, s6, s8
	s_mul_hi_u32 s13, s6, s12
	s_add_i32 s9, s13, s9
	s_mul_i32 s7, s7, s12
	s_add_i32 s9, s9, s7
	s_mul_i32 s6, s6, s12
	s_mul_hi_u32 s13, s8, s6
	s_mul_i32 s22, s8, s6
	s_mul_i32 s24, s12, s9
	s_mul_hi_u32 s6, s12, s6
	s_mul_hi_u32 s23, s12, s9
	s_add_u32 s6, s6, s24
	s_addc_u32 s12, 0, s23
	s_add_u32 s6, s6, s22
	s_mul_hi_u32 s7, s8, s9
	s_addc_u32 s6, s12, s13
	s_addc_u32 s7, s7, 0
	s_mul_i32 s9, s8, s9
	s_add_u32 s6, s6, s9
	s_addc_u32 s7, 0, s7
	v_add_co_u32_e32 v2, vcc, s6, v2
	s_cmp_lg_u64 vcc, 0
	s_addc_u32 s6, s8, s7
	v_readfirstlane_b32 s9, v2
	s_mul_i32 s8, s1, s6
	s_mul_hi_u32 s12, s1, s9
	s_mul_hi_u32 s7, s1, s6
	s_add_u32 s8, s12, s8
	s_addc_u32 s7, 0, s7
	s_mul_hi_u32 s13, s87, s9
	s_mul_i32 s9, s87, s9
	s_add_u32 s8, s8, s9
	s_mul_hi_u32 s12, s87, s6
	s_addc_u32 s7, s7, s13
	s_addc_u32 s8, s12, 0
	s_mul_i32 s6, s87, s6
	s_add_u32 s6, s7, s6
	s_addc_u32 s7, 0, s8
	s_mul_hi_u32 s8, s55, s6
	s_mul_i32 s6, s55, s6
	s_mul_i32 s7, s55, s7
	v_mov_b32_e32 v2, s6
	s_add_i32 s8, s8, s7
	v_sub_co_u32_e32 v2, vcc, s1, v2
	s_cmp_lg_u64 vcc, 0
	s_subb_u32 s6, s87, s8
	v_subrev_co_u32_e32 v3, vcc, s55, v2
	s_cmp_lg_u64 vcc, 0
	s_subb_u32 s7, s6, 0
	v_subrev_co_u32_e32 v4, vcc, s55, v3
	s_cmp_lg_u64 vcc, 0
	s_subb_u32 s8, s7, 0
	v_cmp_le_u32_e32 vcc, s55, v3
	s_cmp_eq_u32 s7, 0
	v_cndmask_b32_e64 v5, 0, -1, vcc
	s_cselect_b64 vcc, -1, 0
	v_cndmask_b32_e32 v5, -1, v5, vcc
	v_mov_b32_e32 v6, s7
	v_mov_b32_e32 v7, s8
	v_cmp_ne_u32_e32 vcc, 0, v5
	v_cndmask_b32_e32 v5, v6, v7, vcc
	v_cndmask_b32_e32 v4, v3, v4, vcc
	v_cmp_le_u32_e32 vcc, s55, v2
	s_cmp_eq_u32 s6, 0
	v_cndmask_b32_e64 v3, 0, -1, vcc
	s_cselect_b64 vcc, -1, 0
	v_cndmask_b32_e32 v3, -1, v3, vcc
	v_mov_b32_e32 v6, s6
	v_cmp_ne_u32_e32 vcc, 0, v3
	v_cndmask_b32_e32 v3, v6, v5, vcc
	v_cndmask_b32_e32 v2, v2, v4, vcc
	s_cbranch_execnz .LBB109_106
.LBB109_105:                            ;   in Loop: Header=BB109_16 Depth=1
	v_cvt_f32_u32_e32 v2, s55
	s_sub_i32 s6, 0, s55
	v_rcp_iflag_f32_e32 v2, v2
	v_mul_f32_e32 v2, 0x4f7ffffe, v2
	v_cvt_u32_f32_e32 v2, v2
	v_mul_lo_u32 v3, s6, v2
	v_mul_hi_u32 v3, v2, v3
	v_add_u32_e32 v2, v2, v3
	v_mul_hi_u32 v2, s1, v2
	v_mul_lo_u32 v2, v2, s55
	v_sub_u32_e32 v2, s1, v2
	v_subrev_u32_e32 v3, s55, v2
	v_cmp_le_u32_e32 vcc, s55, v2
	v_cndmask_b32_e32 v2, v2, v3, vcc
	v_subrev_u32_e32 v3, s55, v2
	v_cmp_le_u32_e32 vcc, s55, v2
	v_cndmask_b32_e32 v10, v2, v3, vcc
	v_pk_mov_b32 v[2:3], v[10:11], v[10:11] op_sel:[0,1]
.LBB109_106:                            ;   in Loop: Header=BB109_16 Depth=1
	v_mov_b32_e32 v4, s87
	v_sub_co_u32_e32 v2, vcc, s1, v2
	v_subb_co_u32_e32 v3, vcc, v4, v3, vcc
	v_cmp_gt_u64_e32 vcc, v[2:3], v[0:1]
	s_mov_b64 s[6:7], 0
                                        ; implicit-def: $vgpr32
	s_and_saveexec_b64 s[8:9], vcc
	s_cbranch_execz .LBB109_115
; %bb.107:                              ;   in Loop: Header=BB109_16 Depth=1
	s_mov_b64 s[12:13], 0
	v_pk_mov_b32 v[4:5], v[0:1], v[0:1] op_sel:[0,1]
                                        ; implicit-def: $sgpr22_sgpr23
	s_branch .LBB109_109
.LBB109_108:                            ;   in Loop: Header=BB109_109 Depth=2
	s_or_b64 exec, exec, s[6:7]
	s_waitcnt lgkmcnt(0)
	s_barrier
	s_waitcnt vmcnt(0)
	ds_read_b32 v6, v11 offset:3072
	v_mov_b32_e32 v7, s54
	v_add_co_u32_e64 v4, s[6:7], s55, v4
	v_addc_co_u32_e64 v5, s[6:7], v5, v7, s[6:7]
	s_waitcnt lgkmcnt(0)
	v_cmp_ne_u16_e32 vcc, 0, v6
	v_cmp_ge_u64_e64 s[6:7], v[4:5], v[2:3]
	s_or_b64 s[6:7], s[6:7], vcc
	s_and_b64 s[6:7], exec, s[6:7]
	s_or_b64 s[12:13], s[6:7], s[12:13]
	s_andn2_b64 s[6:7], s[22:23], exec
	s_and_b64 s[22:23], vcc, exec
	s_or_b64 s[22:23], s[6:7], s[22:23]
	s_barrier
	s_andn2_b64 exec, exec, s[12:13]
	s_cbranch_execz .LBB109_114
.LBB109_109:                            ;   Parent Loop BB109_16 Depth=1
                                        ; =>  This Inner Loop Header: Depth=2
	v_cmp_gt_u64_e32 vcc, s[52:53], v[4:5]
	v_mov_b32_e32 v6, 0
	s_and_saveexec_b64 s[24:25], vcc
	s_cbranch_execz .LBB109_111
; %bb.110:                              ;   in Loop: Header=BB109_109 Depth=2
	v_mul_lo_u32 v8, v5, s68
	v_mul_lo_u32 v9, v4, s69
	v_mad_u64_u32 v[6:7], s[6:7], v4, s68, 0
	v_add3_u32 v7, v7, v9, v8
	v_lshlrev_b64 v[6:7], 1, v[6:7]
	v_mov_b32_e32 v8, s84
	v_add_co_u32_e64 v6, s[6:7], s33, v6
	v_addc_co_u32_e64 v7, s[6:7], v8, v7, s[6:7]
	global_load_ushort v6, v[6:7], off
.LBB109_111:                            ;   in Loop: Header=BB109_109 Depth=2
	s_or_b64 exec, exec, s[24:25]
	s_and_saveexec_b64 s[6:7], vcc
	s_cbranch_execz .LBB109_108
; %bb.112:                              ;   in Loop: Header=BB109_109 Depth=2
	s_waitcnt vmcnt(0)
	v_add_u32_sdwa v7, sext(v6), s2 dst_sel:DWORD dst_unused:UNUSED_PAD src0_sel:WORD_0 src1_sel:DWORD
	v_and_b32_e32 v7, s27, v7
	v_cmp_eq_u32_e32 vcc, s80, v7
	s_and_b64 exec, exec, vcc
	s_cbranch_execz .LBB109_108
; %bb.113:                              ;   in Loop: Header=BB109_109 Depth=2
	v_perm_b32 v6, v6, 1, v31
	ds_write_b32 v11, v6 offset:3072
	s_branch .LBB109_108
.LBB109_114:                            ;   in Loop: Header=BB109_16 Depth=1
	s_or_b64 exec, exec, s[12:13]
	v_lshrrev_b32_e32 v32, 16, v6
	s_and_b64 s[6:7], s[22:23], exec
.LBB109_115:                            ;   in Loop: Header=BB109_16 Depth=1
	s_or_b64 exec, exec, s[8:9]
	s_mov_b64 s[22:23], -1
	s_mov_b64 s[8:9], 0
	s_mov_b64 s[12:13], 0
.LBB109_116:                            ;   in Loop: Header=BB109_16 Depth=1
	s_andn2_b64 s[24:25], s[66:67], exec
	s_and_b64 s[8:9], s[8:9], exec
	s_or_b64 s[66:67], s[24:25], s[8:9]
	s_andn2_b64 s[8:9], s[62:63], exec
	s_and_b64 s[22:23], s[22:23], exec
	s_or_b64 s[62:63], s[8:9], s[22:23]
	;; [unrolled: 3-line block ×3, first 2 shown]
	s_and_saveexec_b64 s[12:13], s[6:7]
	s_cbranch_execz .LBB109_15
; %bb.117:                              ;   in Loop: Header=BB109_16 Depth=1
	s_xor_b64 s[6:7], s[20:21], -1
	s_andn2_b64 vcc, exec, s[6:7]
	s_mov_b32 s49, 1
	s_cbranch_vccnz .LBB109_128
; %bb.118:                              ;   in Loop: Header=BB109_16 Depth=1
	v_pk_mov_b32 v[2:3], s[14:15], s[14:15] op_sel:[0,1]
	v_cmp_gt_u64_e32 vcc, s[82:83], v[2:3]
	s_mov_b64 s[6:7], -1
                                        ; implicit-def: $sgpr49
                                        ; implicit-def: $sgpr8
                                        ; implicit-def: $sgpr9
	s_cbranch_vccnz .LBB109_124
; %bb.119:                              ;   in Loop: Header=BB109_16 Depth=1
	ds_read_b64 v[2:3], v11 offset:5120
	s_waitcnt lgkmcnt(0)
	v_cmp_ne_u64_e32 vcc, 0, v[2:3]
	s_cbranch_vccnz .LBB109_123
; %bb.120:                              ;   in Loop: Header=BB109_16 Depth=1
	s_mov_b64 s[6:7], exec
	v_readlane_b32 s8, v42, 8
	v_readlane_b32 s9, v42, 9
	s_and_b64 s[8:9], s[6:7], s[8:9]
	s_mov_b64 exec, s[8:9]
	s_cbranch_execz .LBB109_122
; %bb.121:                              ;   in Loop: Header=BB109_16 Depth=1
	v_pk_mov_b32 v[2:3], s[14:15], s[14:15] op_sel:[0,1]
	ds_write_b64 v11, v[2:3] offset:5128
.LBB109_122:                            ;   in Loop: Header=BB109_16 Depth=1
	s_or_b64 exec, exec, s[6:7]
	s_waitcnt lgkmcnt(0)
	s_barrier
.LBB109_123:                            ;   in Loop: Header=BB109_16 Depth=1
	s_and_b32 s8, s80, s41
	s_or_b32 s9, s27, s48
	s_mov_b64 s[6:7], 0
	s_mov_b32 s49, 8
.LBB109_124:                            ;   in Loop: Header=BB109_16 Depth=1
	s_andn2_b64 vcc, exec, s[6:7]
	s_cbranch_vccnz .LBB109_126
; %bb.125:                              ;   in Loop: Header=BB109_16 Depth=1
	s_sub_u32 s82, s82, s14
	s_subb_u32 s83, s83, s15
	s_mov_b64 s[6:7], -1
	s_mov_b32 s49, 0
	s_mov_b32 s8, s80
	;; [unrolled: 1-line block ×3, first 2 shown]
.LBB109_126:                            ;   in Loop: Header=BB109_16 Depth=1
	s_mov_b32 s27, s9
	s_mov_b32 s80, s8
	s_mov_b64 s[14:15], -1
	s_and_b64 vcc, exec, s[6:7]
	s_cbranch_vccnz .LBB109_129
.LBB109_127:                            ;   in Loop: Header=BB109_16 Depth=1
	s_mov_b64 s[8:9], -1
                                        ; implicit-def: $sgpr18_sgpr19
                                        ; implicit-def: $sgpr22_sgpr23
                                        ; implicit-def: $sgpr20_sgpr21
	s_and_saveexec_b64 s[6:7], s[8:9]
	s_xor_b64 s[6:7], exec, s[6:7]
	s_cbranch_execz .LBB109_14
	s_branch .LBB109_278
.LBB109_128:                            ;   in Loop: Header=BB109_16 Depth=1
	s_mov_b64 s[82:83], 1
	s_mov_b64 s[14:15], -1
	s_branch .LBB109_127
.LBB109_129:                            ;   in Loop: Header=BB109_16 Depth=1
	s_cmp_eq_u64 s[28:29], 1
	s_cselect_b64 s[6:7], -1, 0
	s_cmp_eq_u64 s[82:83], 1
	s_cselect_b64 s[8:9], -1, 0
	s_and_b64 s[30:31], s[6:7], s[8:9]
	s_mov_b64 s[6:7], -1
	s_and_b64 vcc, exec, s[30:31]
	s_cbranch_vccz .LBB109_144
; %bb.130:                              ;   in Loop: Header=BB109_16 Depth=1
	ds_read_b64 v[2:3], v11 offset:5120
	s_waitcnt lgkmcnt(0)
	s_barrier
	v_readfirstlane_b32 s8, v2
	v_readfirstlane_b32 s9, v3
	s_mov_b64 s[6:7], exec
	v_readlane_b32 s18, v42, 26
	v_readlane_b32 s19, v42, 27
	s_and_b64 s[18:19], s[6:7], s[18:19]
	s_mov_b64 exec, s[18:19]
	s_cbranch_execz .LBB109_132
; %bb.131:                              ;   in Loop: Header=BB109_16 Depth=1
	ds_write_b16 v24, v1
.LBB109_132:                            ;   in Loop: Header=BB109_16 Depth=1
	s_or_b64 exec, exec, s[6:7]
	s_lshl_b32 s6, 1, s40
	s_and_b32 s7, s80, s41
	s_or_b32 s80, s7, s6
	s_or_b32 s27, s27, s48
	s_cmp_eq_u64 s[8:9], 0
	s_waitcnt lgkmcnt(0)
	s_barrier
	s_cbranch_scc1 .LBB109_150
; %bb.133:                              ;   in Loop: Header=BB109_16 Depth=1
	v_readlane_b32 s6, v42, 32
	s_add_u32 s20, s6, s8
	v_readlane_b32 s6, v42, 33
	s_addc_u32 s7, s6, s9
	s_mov_b32 s6, s79
	s_cmp_lg_u64 s[6:7], 0
	s_cbranch_scc0 .LBB109_195
; %bb.134:                              ;   in Loop: Header=BB109_16 Depth=1
	v_cvt_f32_u32_e32 v2, s55
	s_sub_u32 s6, 0, s55
	s_subb_u32 s18, 0, 0
	v_mac_f32_e32 v2, 0, v30
	v_rcp_f32_e32 v2, v2
	v_mul_f32_e32 v2, 0x5f7ffffc, v2
	v_mul_f32_e32 v3, 0x2f800000, v2
	v_trunc_f32_e32 v3, v3
	v_mac_f32_e32 v2, 0xcf800000, v3
	v_cvt_u32_f32_e32 v3, v3
	v_cvt_u32_f32_e32 v2, v2
	v_readfirstlane_b32 s19, v3
	v_readfirstlane_b32 s21, v2
	s_mul_i32 s22, s6, s19
	s_mul_hi_u32 s24, s6, s21
	s_mul_i32 s23, s18, s21
	s_add_i32 s22, s24, s22
	s_mul_i32 s25, s6, s21
	s_add_i32 s22, s22, s23
	s_mul_hi_u32 s24, s21, s25
	s_mul_hi_u32 s23, s21, s22
	s_mul_i32 s21, s21, s22
	s_add_u32 s21, s24, s21
	s_addc_u32 s23, 0, s23
	s_mul_hi_u32 s34, s19, s25
	s_mul_i32 s25, s19, s25
	s_add_u32 s21, s21, s25
	s_mul_hi_u32 s24, s19, s22
	s_addc_u32 s21, s23, s34
	s_addc_u32 s23, s24, 0
	s_mul_i32 s22, s19, s22
	s_add_u32 s21, s21, s22
	s_addc_u32 s22, 0, s23
	v_add_co_u32_e32 v2, vcc, s21, v2
	s_cmp_lg_u64 vcc, 0
	s_addc_u32 s19, s19, s22
	v_readfirstlane_b32 s22, v2
	s_mul_i32 s21, s6, s19
	s_mul_hi_u32 s23, s6, s22
	s_add_i32 s21, s23, s21
	s_mul_i32 s18, s18, s22
	s_add_i32 s21, s21, s18
	s_mul_i32 s6, s6, s22
	s_mul_hi_u32 s23, s19, s6
	s_mul_i32 s24, s19, s6
	s_mul_i32 s34, s22, s21
	s_mul_hi_u32 s6, s22, s6
	s_mul_hi_u32 s25, s22, s21
	s_add_u32 s6, s6, s34
	s_addc_u32 s22, 0, s25
	s_add_u32 s6, s6, s24
	s_mul_hi_u32 s18, s19, s21
	s_addc_u32 s6, s22, s23
	s_addc_u32 s18, s18, 0
	s_mul_i32 s21, s19, s21
	s_add_u32 s6, s6, s21
	s_addc_u32 s18, 0, s18
	v_add_co_u32_e32 v2, vcc, s6, v2
	s_cmp_lg_u64 vcc, 0
	s_addc_u32 s6, s19, s18
	v_readfirstlane_b32 s21, v2
	s_mul_i32 s19, s20, s6
	s_mul_hi_u32 s22, s20, s21
	s_mul_hi_u32 s18, s20, s6
	s_add_u32 s19, s22, s19
	s_addc_u32 s18, 0, s18
	s_mul_hi_u32 s23, s7, s21
	s_mul_i32 s21, s7, s21
	s_add_u32 s19, s19, s21
	s_mul_hi_u32 s22, s7, s6
	s_addc_u32 s18, s18, s23
	s_addc_u32 s19, s22, 0
	s_mul_i32 s6, s7, s6
	s_add_u32 s6, s18, s6
	s_addc_u32 s18, 0, s19
	s_mul_hi_u32 s19, s55, s6
	s_mul_i32 s6, s55, s6
	s_mul_i32 s18, s55, s18
	v_mov_b32_e32 v2, s6
	s_add_i32 s19, s19, s18
	v_sub_co_u32_e32 v2, vcc, s20, v2
	s_cmp_lg_u64 vcc, 0
	s_subb_u32 s6, s7, s19
	v_subrev_co_u32_e32 v3, vcc, s55, v2
	s_cmp_lg_u64 vcc, 0
	s_subb_u32 s18, s6, 0
	v_subrev_co_u32_e32 v4, vcc, s55, v3
	s_cmp_lg_u64 vcc, 0
	s_subb_u32 s19, s18, 0
	v_cmp_le_u32_e32 vcc, s55, v3
	s_cmp_eq_u32 s18, 0
	v_cndmask_b32_e64 v5, 0, -1, vcc
	s_cselect_b64 vcc, -1, 0
	v_cndmask_b32_e32 v5, -1, v5, vcc
	v_mov_b32_e32 v6, s18
	v_mov_b32_e32 v7, s19
	v_cmp_ne_u32_e32 vcc, 0, v5
	v_cndmask_b32_e32 v5, v6, v7, vcc
	v_cndmask_b32_e32 v4, v3, v4, vcc
	v_cmp_le_u32_e32 vcc, s55, v2
	s_cmp_eq_u32 s6, 0
	v_cndmask_b32_e64 v3, 0, -1, vcc
	s_cselect_b64 vcc, -1, 0
	v_cndmask_b32_e32 v3, -1, v3, vcc
	v_mov_b32_e32 v6, s6
	v_cmp_ne_u32_e32 vcc, 0, v3
	v_cndmask_b32_e32 v3, v6, v5, vcc
	v_cndmask_b32_e32 v2, v2, v4, vcc
	s_cbranch_execnz .LBB109_136
.LBB109_135:                            ;   in Loop: Header=BB109_16 Depth=1
	v_cvt_f32_u32_e32 v2, s55
	s_sub_i32 s6, 0, s55
	v_rcp_iflag_f32_e32 v2, v2
	v_mul_f32_e32 v2, 0x4f7ffffe, v2
	v_cvt_u32_f32_e32 v2, v2
	v_mul_lo_u32 v3, s6, v2
	v_mul_hi_u32 v3, v2, v3
	v_add_u32_e32 v2, v2, v3
	v_mul_hi_u32 v2, s20, v2
	v_mul_lo_u32 v2, v2, s55
	v_sub_u32_e32 v2, s20, v2
	v_subrev_u32_e32 v3, s55, v2
	v_cmp_le_u32_e32 vcc, s55, v2
	v_cndmask_b32_e32 v2, v2, v3, vcc
	v_subrev_u32_e32 v3, s55, v2
	v_cmp_le_u32_e32 vcc, s55, v2
	v_cndmask_b32_e32 v10, v2, v3, vcc
	v_pk_mov_b32 v[2:3], v[10:11], v[10:11] op_sel:[0,1]
.LBB109_136:                            ;   in Loop: Header=BB109_16 Depth=1
	v_mov_b32_e32 v4, s7
	v_sub_co_u32_e32 v2, vcc, s20, v2
	v_subb_co_u32_e32 v3, vcc, v4, v3, vcc
	v_cmp_gt_u64_e32 vcc, v[2:3], v[0:1]
	s_mov_b64 s[6:7], 0
                                        ; implicit-def: $vgpr32
	s_and_saveexec_b64 s[18:19], vcc
	s_cbranch_execz .LBB109_152
; %bb.137:                              ;   in Loop: Header=BB109_16 Depth=1
	s_mov_b64 s[20:21], 0
	v_mov_b32_e32 v6, v23
	v_pk_mov_b32 v[4:5], v[0:1], v[0:1] op_sel:[0,1]
                                        ; implicit-def: $sgpr22_sgpr23
	s_branch .LBB109_139
.LBB109_138:                            ;   in Loop: Header=BB109_139 Depth=2
	s_or_b64 exec, exec, s[6:7]
	s_waitcnt lgkmcnt(0)
	s_barrier
	ds_read_b32 v7, v11 offset:3072
	v_mov_b32_e32 v8, s54
	v_add_co_u32_e64 v4, s[6:7], s55, v4
	v_addc_co_u32_e64 v5, s[6:7], v5, v8, s[6:7]
	s_waitcnt lgkmcnt(0)
	v_cmp_ne_u16_e32 vcc, 0, v7
	v_cmp_ge_u64_e64 s[6:7], v[4:5], v[2:3]
	s_or_b64 s[6:7], s[6:7], vcc
	s_and_b64 s[6:7], exec, s[6:7]
	s_or_b64 s[20:21], s[6:7], s[20:21]
	s_andn2_b64 s[6:7], s[22:23], exec
	s_and_b64 s[22:23], vcc, exec
	v_add_u32_e32 v6, s0, v6
	s_or_b64 s[22:23], s[6:7], s[22:23]
	s_barrier
	s_andn2_b64 exec, exec, s[20:21]
	s_cbranch_execz .LBB109_151
.LBB109_139:                            ;   Parent Loop BB109_16 Depth=1
                                        ; =>  This Inner Loop Header: Depth=2
	v_cmp_gt_u64_e32 vcc, s[8:9], v[4:5]
	v_mov_b32_e32 v7, 0
	s_and_saveexec_b64 s[6:7], vcc
	s_cbranch_execz .LBB109_141
; %bb.140:                              ;   in Loop: Header=BB109_139 Depth=2
	ds_read_u16 v7, v6
.LBB109_141:                            ;   in Loop: Header=BB109_139 Depth=2
	s_or_b64 exec, exec, s[6:7]
	s_and_saveexec_b64 s[6:7], vcc
	s_cbranch_execz .LBB109_138
; %bb.142:                              ;   in Loop: Header=BB109_139 Depth=2
	s_waitcnt lgkmcnt(0)
	v_add_u32_sdwa v8, sext(v7), s2 dst_sel:DWORD dst_unused:UNUSED_PAD src0_sel:WORD_0 src1_sel:DWORD
	v_and_b32_e32 v8, s27, v8
	v_cmp_eq_u32_e32 vcc, s80, v8
	s_and_b64 exec, exec, vcc
	s_cbranch_execz .LBB109_138
; %bb.143:                              ;   in Loop: Header=BB109_139 Depth=2
	v_perm_b32 v7, v7, 1, v31
	ds_write_b32 v11, v7 offset:3072
	s_branch .LBB109_138
.LBB109_144:                            ;   in Loop: Header=BB109_16 Depth=1
                                        ; implicit-def: $sgpr20_sgpr21
                                        ; implicit-def: $sgpr22_sgpr23
                                        ; implicit-def: $sgpr18_sgpr19
	s_branch .LBB109_166
.LBB109_145:                            ;   in Loop: Header=BB109_16 Depth=1
                                        ; implicit-def: $vgpr2_vgpr3
	s_branch .LBB109_90
.LBB109_146:                            ;   in Loop: Header=BB109_16 Depth=1
	s_or_b64 exec, exec, s[8:9]
	s_waitcnt lgkmcnt(0)
	s_barrier
	s_mov_b64 s[6:7], exec
	v_readlane_b32 s8, v42, 8
	v_readlane_b32 s9, v42, 9
	s_and_b64 s[8:9], s[6:7], s[8:9]
	s_mov_b64 exec, s[8:9]
	s_cbranch_execz .LBB109_148
; %bb.147:                              ;   in Loop: Header=BB109_16 Depth=1
	ds_read_b32 v2, v11 offset:5144
	s_waitcnt lgkmcnt(0)
	v_ashrrev_i32_e32 v3, 31, v2
	ds_write_b64 v11, v[2:3] offset:5120
.LBB109_148:                            ;   in Loop: Header=BB109_16 Depth=1
	s_or_b64 exec, exec, s[6:7]
	s_waitcnt lgkmcnt(0)
	s_barrier
	s_mov_b64 s[6:7], -1
	s_and_b64 vcc, exec, s[64:65]
	s_cbranch_vccnz .LBB109_31
	s_branch .LBB109_41
.LBB109_149:                            ;   in Loop: Header=BB109_16 Depth=1
                                        ; implicit-def: $vgpr2_vgpr3
	s_branch .LBB109_105
.LBB109_150:                            ;   in Loop: Header=BB109_16 Depth=1
	s_mov_b64 s[20:21], -1
	s_mov_b64 s[6:7], 0
                                        ; implicit-def: $sgpr18_sgpr19
                                        ; implicit-def: $vgpr32
	s_mov_b64 s[22:23], s[20:21]
	s_cbranch_execnz .LBB109_153
	s_branch .LBB109_166
.LBB109_151:                            ;   in Loop: Header=BB109_16 Depth=1
	s_or_b64 exec, exec, s[20:21]
	v_lshrrev_b32_e32 v32, 16, v7
	s_and_b64 s[6:7], s[22:23], exec
.LBB109_152:                            ;   in Loop: Header=BB109_16 Depth=1
	s_or_b64 exec, exec, s[18:19]
	s_mov_b64 s[18:19], -1
	s_mov_b64 s[20:21], 0
	s_mov_b64 s[22:23], s[20:21]
	s_branch .LBB109_166
.LBB109_153:                            ;   in Loop: Header=BB109_16 Depth=1
	s_mov_b32 s86, s79
	s_cmp_lg_u64 s[86:87], 0
	s_cbranch_scc0 .LBB109_196
; %bb.154:                              ;   in Loop: Header=BB109_16 Depth=1
	v_cvt_f32_u32_e32 v2, s55
	s_sub_u32 s6, 0, s55
	s_subb_u32 s7, 0, 0
	v_mac_f32_e32 v2, 0, v30
	v_rcp_f32_e32 v2, v2
	v_mul_f32_e32 v2, 0x5f7ffffc, v2
	v_mul_f32_e32 v3, 0x2f800000, v2
	v_trunc_f32_e32 v3, v3
	v_mac_f32_e32 v2, 0xcf800000, v3
	v_cvt_u32_f32_e32 v3, v3
	v_cvt_u32_f32_e32 v2, v2
	v_readfirstlane_b32 s8, v3
	v_readfirstlane_b32 s9, v2
	s_mul_i32 s18, s6, s8
	s_mul_hi_u32 s20, s6, s9
	s_mul_i32 s19, s7, s9
	s_add_i32 s18, s20, s18
	s_mul_i32 s21, s6, s9
	s_add_i32 s18, s18, s19
	s_mul_hi_u32 s20, s9, s21
	s_mul_hi_u32 s19, s9, s18
	s_mul_i32 s9, s9, s18
	s_add_u32 s9, s20, s9
	s_addc_u32 s19, 0, s19
	s_mul_hi_u32 s22, s8, s21
	s_mul_i32 s21, s8, s21
	s_add_u32 s9, s9, s21
	s_mul_hi_u32 s20, s8, s18
	s_addc_u32 s9, s19, s22
	s_addc_u32 s19, s20, 0
	s_mul_i32 s18, s8, s18
	s_add_u32 s9, s9, s18
	s_addc_u32 s18, 0, s19
	v_add_co_u32_e32 v2, vcc, s9, v2
	s_cmp_lg_u64 vcc, 0
	s_addc_u32 s8, s8, s18
	v_readfirstlane_b32 s18, v2
	s_mul_i32 s9, s6, s8
	s_mul_hi_u32 s19, s6, s18
	s_add_i32 s9, s19, s9
	s_mul_i32 s7, s7, s18
	s_add_i32 s9, s9, s7
	s_mul_i32 s6, s6, s18
	s_mul_hi_u32 s19, s8, s6
	s_mul_i32 s20, s8, s6
	s_mul_i32 s22, s18, s9
	s_mul_hi_u32 s6, s18, s6
	s_mul_hi_u32 s21, s18, s9
	s_add_u32 s6, s6, s22
	s_addc_u32 s18, 0, s21
	s_add_u32 s6, s6, s20
	s_mul_hi_u32 s7, s8, s9
	s_addc_u32 s6, s18, s19
	s_addc_u32 s7, s7, 0
	s_mul_i32 s9, s8, s9
	s_add_u32 s6, s6, s9
	s_addc_u32 s7, 0, s7
	v_add_co_u32_e32 v2, vcc, s6, v2
	s_cmp_lg_u64 vcc, 0
	s_addc_u32 s6, s8, s7
	v_readfirstlane_b32 s9, v2
	s_mul_i32 s8, s1, s6
	s_mul_hi_u32 s18, s1, s9
	s_mul_hi_u32 s7, s1, s6
	s_add_u32 s8, s18, s8
	s_addc_u32 s7, 0, s7
	s_mul_hi_u32 s19, s87, s9
	s_mul_i32 s9, s87, s9
	s_add_u32 s8, s8, s9
	s_mul_hi_u32 s18, s87, s6
	s_addc_u32 s7, s7, s19
	s_addc_u32 s8, s18, 0
	s_mul_i32 s6, s87, s6
	s_add_u32 s6, s7, s6
	s_addc_u32 s7, 0, s8
	s_mul_hi_u32 s8, s55, s6
	s_mul_i32 s6, s55, s6
	s_mul_i32 s7, s55, s7
	v_mov_b32_e32 v2, s6
	s_add_i32 s8, s8, s7
	v_sub_co_u32_e32 v2, vcc, s1, v2
	s_cmp_lg_u64 vcc, 0
	s_subb_u32 s6, s87, s8
	v_subrev_co_u32_e32 v3, vcc, s55, v2
	s_cmp_lg_u64 vcc, 0
	s_subb_u32 s7, s6, 0
	v_subrev_co_u32_e32 v4, vcc, s55, v3
	s_cmp_lg_u64 vcc, 0
	s_subb_u32 s8, s7, 0
	v_cmp_le_u32_e32 vcc, s55, v3
	s_cmp_eq_u32 s7, 0
	v_cndmask_b32_e64 v5, 0, -1, vcc
	s_cselect_b64 vcc, -1, 0
	v_cndmask_b32_e32 v5, -1, v5, vcc
	v_mov_b32_e32 v6, s7
	v_mov_b32_e32 v7, s8
	v_cmp_ne_u32_e32 vcc, 0, v5
	v_cndmask_b32_e32 v5, v6, v7, vcc
	v_cndmask_b32_e32 v4, v3, v4, vcc
	v_cmp_le_u32_e32 vcc, s55, v2
	s_cmp_eq_u32 s6, 0
	v_cndmask_b32_e64 v3, 0, -1, vcc
	s_cselect_b64 vcc, -1, 0
	v_cndmask_b32_e32 v3, -1, v3, vcc
	v_mov_b32_e32 v6, s6
	v_cmp_ne_u32_e32 vcc, 0, v3
	v_cndmask_b32_e32 v3, v6, v5, vcc
	v_cndmask_b32_e32 v2, v2, v4, vcc
	s_cbranch_execnz .LBB109_156
.LBB109_155:                            ;   in Loop: Header=BB109_16 Depth=1
	v_cvt_f32_u32_e32 v2, s55
	s_sub_i32 s6, 0, s55
	v_rcp_iflag_f32_e32 v2, v2
	v_mul_f32_e32 v2, 0x4f7ffffe, v2
	v_cvt_u32_f32_e32 v2, v2
	v_mul_lo_u32 v3, s6, v2
	v_mul_hi_u32 v3, v2, v3
	v_add_u32_e32 v2, v2, v3
	v_mul_hi_u32 v2, s1, v2
	v_mul_lo_u32 v2, v2, s55
	v_sub_u32_e32 v2, s1, v2
	v_subrev_u32_e32 v3, s55, v2
	v_cmp_le_u32_e32 vcc, s55, v2
	v_cndmask_b32_e32 v2, v2, v3, vcc
	v_subrev_u32_e32 v3, s55, v2
	v_cmp_le_u32_e32 vcc, s55, v2
	v_cndmask_b32_e32 v10, v2, v3, vcc
	v_pk_mov_b32 v[2:3], v[10:11], v[10:11] op_sel:[0,1]
.LBB109_156:                            ;   in Loop: Header=BB109_16 Depth=1
	v_mov_b32_e32 v4, s87
	v_sub_co_u32_e32 v2, vcc, s1, v2
	v_subb_co_u32_e32 v3, vcc, v4, v3, vcc
	v_cmp_gt_u64_e32 vcc, v[2:3], v[0:1]
	s_mov_b64 s[6:7], 0
                                        ; implicit-def: $vgpr32
	s_and_saveexec_b64 s[8:9], vcc
	s_cbranch_execz .LBB109_165
; %bb.157:                              ;   in Loop: Header=BB109_16 Depth=1
	s_mov_b64 s[18:19], 0
	v_pk_mov_b32 v[4:5], v[0:1], v[0:1] op_sel:[0,1]
                                        ; implicit-def: $sgpr20_sgpr21
	s_branch .LBB109_159
.LBB109_158:                            ;   in Loop: Header=BB109_159 Depth=2
	s_or_b64 exec, exec, s[6:7]
	s_waitcnt lgkmcnt(0)
	s_barrier
	s_waitcnt vmcnt(0)
	ds_read_b32 v6, v11 offset:3072
	v_mov_b32_e32 v7, s54
	v_add_co_u32_e64 v4, s[6:7], s55, v4
	v_addc_co_u32_e64 v5, s[6:7], v5, v7, s[6:7]
	s_waitcnt lgkmcnt(0)
	v_cmp_ne_u16_e32 vcc, 0, v6
	v_cmp_ge_u64_e64 s[6:7], v[4:5], v[2:3]
	s_or_b64 s[6:7], s[6:7], vcc
	s_and_b64 s[6:7], exec, s[6:7]
	s_or_b64 s[18:19], s[6:7], s[18:19]
	s_andn2_b64 s[6:7], s[20:21], exec
	s_and_b64 s[20:21], vcc, exec
	s_or_b64 s[20:21], s[6:7], s[20:21]
	s_barrier
	s_andn2_b64 exec, exec, s[18:19]
	s_cbranch_execz .LBB109_164
.LBB109_159:                            ;   Parent Loop BB109_16 Depth=1
                                        ; =>  This Inner Loop Header: Depth=2
	v_cmp_gt_u64_e32 vcc, s[52:53], v[4:5]
	v_mov_b32_e32 v6, 0
	s_and_saveexec_b64 s[22:23], vcc
	s_cbranch_execz .LBB109_161
; %bb.160:                              ;   in Loop: Header=BB109_159 Depth=2
	v_mul_lo_u32 v8, v5, s68
	v_mul_lo_u32 v9, v4, s69
	v_mad_u64_u32 v[6:7], s[6:7], v4, s68, 0
	v_add3_u32 v7, v7, v9, v8
	v_lshlrev_b64 v[6:7], 1, v[6:7]
	v_mov_b32_e32 v8, s84
	v_add_co_u32_e64 v6, s[6:7], s33, v6
	v_addc_co_u32_e64 v7, s[6:7], v8, v7, s[6:7]
	global_load_ushort v6, v[6:7], off
.LBB109_161:                            ;   in Loop: Header=BB109_159 Depth=2
	s_or_b64 exec, exec, s[22:23]
	s_and_saveexec_b64 s[6:7], vcc
	s_cbranch_execz .LBB109_158
; %bb.162:                              ;   in Loop: Header=BB109_159 Depth=2
	s_waitcnt vmcnt(0)
	v_add_u32_sdwa v7, sext(v6), s2 dst_sel:DWORD dst_unused:UNUSED_PAD src0_sel:WORD_0 src1_sel:DWORD
	v_and_b32_e32 v7, s27, v7
	v_cmp_eq_u32_e32 vcc, s80, v7
	s_and_b64 exec, exec, vcc
	s_cbranch_execz .LBB109_158
; %bb.163:                              ;   in Loop: Header=BB109_159 Depth=2
	v_perm_b32 v6, v6, 1, v31
	ds_write_b32 v11, v6 offset:3072
	s_branch .LBB109_158
.LBB109_164:                            ;   in Loop: Header=BB109_16 Depth=1
	s_or_b64 exec, exec, s[18:19]
	v_lshrrev_b32_e32 v32, 16, v6
	s_and_b64 s[6:7], s[20:21], exec
.LBB109_165:                            ;   in Loop: Header=BB109_16 Depth=1
	s_or_b64 exec, exec, s[8:9]
	s_mov_b64 s[22:23], -1
	s_mov_b64 s[20:21], 0
	s_mov_b64 s[18:19], 0
.LBB109_166:                            ;   in Loop: Header=BB109_16 Depth=1
	s_mov_b64 s[8:9], 0
                                        ; implicit-def: $sgpr49
	s_and_saveexec_b64 s[24:25], s[6:7]
	s_cbranch_execz .LBB109_277
; %bb.167:                              ;   in Loop: Header=BB109_16 Depth=1
	s_xor_b64 s[6:7], s[30:31], -1
	s_andn2_b64 vcc, exec, s[6:7]
	s_mov_b32 s49, 1
	s_cbranch_vccnz .LBB109_178
; %bb.168:                              ;   in Loop: Header=BB109_16 Depth=1
	v_pk_mov_b32 v[2:3], s[28:29], s[28:29] op_sel:[0,1]
	v_cmp_gt_u64_e32 vcc, s[82:83], v[2:3]
	s_mov_b64 s[6:7], -1
                                        ; implicit-def: $sgpr49
                                        ; implicit-def: $sgpr8
                                        ; implicit-def: $sgpr9
	s_cbranch_vccnz .LBB109_174
; %bb.169:                              ;   in Loop: Header=BB109_16 Depth=1
	ds_read_b64 v[2:3], v11 offset:5120
	s_waitcnt lgkmcnt(0)
	v_cmp_ne_u64_e32 vcc, 0, v[2:3]
	s_cbranch_vccnz .LBB109_173
; %bb.170:                              ;   in Loop: Header=BB109_16 Depth=1
	s_mov_b64 s[6:7], exec
	v_readlane_b32 s8, v42, 8
	v_readlane_b32 s9, v42, 9
	s_and_b64 s[8:9], s[6:7], s[8:9]
	s_mov_b64 exec, s[8:9]
	s_cbranch_execz .LBB109_172
; %bb.171:                              ;   in Loop: Header=BB109_16 Depth=1
	v_pk_mov_b32 v[2:3], s[28:29], s[28:29] op_sel:[0,1]
	ds_write_b64 v11, v[2:3] offset:5128
.LBB109_172:                            ;   in Loop: Header=BB109_16 Depth=1
	s_or_b64 exec, exec, s[6:7]
	s_waitcnt lgkmcnt(0)
	s_barrier
.LBB109_173:                            ;   in Loop: Header=BB109_16 Depth=1
	s_lshl_b32 s6, 1, s40
	s_and_b32 s7, s80, s41
	s_or_b32 s8, s7, s6
	s_or_b32 s9, s27, s48
	s_mov_b64 s[6:7], 0
	s_mov_b32 s49, 8
.LBB109_174:                            ;   in Loop: Header=BB109_16 Depth=1
	s_andn2_b64 vcc, exec, s[6:7]
	s_cbranch_vccnz .LBB109_176
; %bb.175:                              ;   in Loop: Header=BB109_16 Depth=1
	s_sub_u32 s82, s82, s28
	s_subb_u32 s83, s83, s29
	s_mov_b64 s[6:7], -1
	s_mov_b32 s49, 0
	s_mov_b32 s8, s80
	;; [unrolled: 1-line block ×3, first 2 shown]
.LBB109_176:                            ;   in Loop: Header=BB109_16 Depth=1
	s_mov_b32 s27, s9
	s_mov_b32 s80, s8
	s_andn2_b64 vcc, exec, s[6:7]
	s_mov_b64 s[8:9], -1
	s_cbranch_vccz .LBB109_179
.LBB109_177:                            ;   in Loop: Header=BB109_16 Depth=1
                                        ; implicit-def: $sgpr30_sgpr31
                                        ; implicit-def: $sgpr34_sgpr35
                                        ; implicit-def: $sgpr28_sgpr29
	s_branch .LBB109_276
.LBB109_178:                            ;   in Loop: Header=BB109_16 Depth=1
	s_mov_b64 s[82:83], 1
	s_mov_b64 s[8:9], -1
	s_cbranch_execnz .LBB109_177
.LBB109_179:                            ;   in Loop: Header=BB109_16 Depth=1
	s_cmp_eq_u64 s[16:17], 1
	s_cselect_b64 s[6:7], -1, 0
	s_cmp_eq_u64 s[82:83], 1
	s_cselect_b64 s[8:9], -1, 0
	s_and_b64 s[38:39], s[6:7], s[8:9]
	s_mov_b64 s[6:7], -1
	s_and_b64 vcc, exec, s[38:39]
	s_cbranch_vccz .LBB109_194
; %bb.180:                              ;   in Loop: Header=BB109_16 Depth=1
	ds_read_b64 v[2:3], v11 offset:5120
	s_waitcnt lgkmcnt(0)
	s_barrier
	v_readfirstlane_b32 s8, v2
	v_readfirstlane_b32 s9, v3
	s_mov_b64 s[6:7], exec
	v_readlane_b32 s28, v42, 26
	v_readlane_b32 s29, v42, 27
	s_and_b64 s[28:29], s[6:7], s[28:29]
	s_mov_b64 exec, s[28:29]
	s_cbranch_execz .LBB109_182
; %bb.181:                              ;   in Loop: Header=BB109_16 Depth=1
	ds_write_b16 v24, v1
.LBB109_182:                            ;   in Loop: Header=BB109_16 Depth=1
	s_or_b64 exec, exec, s[6:7]
	s_lshl_b32 s6, 2, s40
	s_and_b32 s7, s80, s41
	s_or_b32 s80, s7, s6
	s_or_b32 s27, s27, s48
	s_cmp_eq_u64 s[8:9], 0
	s_waitcnt lgkmcnt(0)
	s_barrier
	s_cbranch_scc1 .LBB109_197
; %bb.183:                              ;   in Loop: Header=BB109_16 Depth=1
	v_readlane_b32 s6, v42, 32
	s_add_u32 s30, s6, s8
	v_readlane_b32 s6, v42, 33
	s_addc_u32 s7, s6, s9
	s_mov_b32 s6, s79
	s_cmp_lg_u64 s[6:7], 0
	s_cbranch_scc0 .LBB109_242
; %bb.184:                              ;   in Loop: Header=BB109_16 Depth=1
	v_cvt_f32_u32_e32 v2, s55
	s_sub_u32 s6, 0, s55
	s_subb_u32 s28, 0, 0
	v_mac_f32_e32 v2, 0, v30
	v_rcp_f32_e32 v2, v2
	v_mul_f32_e32 v2, 0x5f7ffffc, v2
	v_mul_f32_e32 v3, 0x2f800000, v2
	v_trunc_f32_e32 v3, v3
	v_mac_f32_e32 v2, 0xcf800000, v3
	v_cvt_u32_f32_e32 v3, v3
	v_cvt_u32_f32_e32 v2, v2
	v_readfirstlane_b32 s29, v3
	v_readfirstlane_b32 s31, v2
	s_mul_i32 s34, s6, s29
	s_mul_hi_u32 s36, s6, s31
	s_mul_i32 s35, s28, s31
	s_add_i32 s34, s36, s34
	s_mul_i32 s37, s6, s31
	s_add_i32 s34, s34, s35
	s_mul_hi_u32 s36, s31, s37
	s_mul_hi_u32 s35, s31, s34
	s_mul_i32 s31, s31, s34
	s_add_u32 s31, s36, s31
	s_addc_u32 s35, 0, s35
	s_mul_hi_u32 s42, s29, s37
	s_mul_i32 s37, s29, s37
	s_add_u32 s31, s31, s37
	s_mul_hi_u32 s36, s29, s34
	s_addc_u32 s31, s35, s42
	s_addc_u32 s35, s36, 0
	s_mul_i32 s34, s29, s34
	s_add_u32 s31, s31, s34
	s_addc_u32 s34, 0, s35
	v_add_co_u32_e32 v2, vcc, s31, v2
	s_cmp_lg_u64 vcc, 0
	s_addc_u32 s29, s29, s34
	v_readfirstlane_b32 s34, v2
	s_mul_i32 s31, s6, s29
	s_mul_hi_u32 s35, s6, s34
	s_add_i32 s31, s35, s31
	s_mul_i32 s28, s28, s34
	s_add_i32 s31, s31, s28
	s_mul_i32 s6, s6, s34
	s_mul_hi_u32 s35, s29, s6
	s_mul_i32 s36, s29, s6
	s_mul_i32 s42, s34, s31
	s_mul_hi_u32 s6, s34, s6
	s_mul_hi_u32 s37, s34, s31
	s_add_u32 s6, s6, s42
	s_addc_u32 s34, 0, s37
	s_add_u32 s6, s6, s36
	s_mul_hi_u32 s28, s29, s31
	s_addc_u32 s6, s34, s35
	s_addc_u32 s28, s28, 0
	s_mul_i32 s31, s29, s31
	s_add_u32 s6, s6, s31
	s_addc_u32 s28, 0, s28
	v_add_co_u32_e32 v2, vcc, s6, v2
	s_cmp_lg_u64 vcc, 0
	s_addc_u32 s6, s29, s28
	v_readfirstlane_b32 s31, v2
	s_mul_i32 s29, s30, s6
	s_mul_hi_u32 s34, s30, s31
	s_mul_hi_u32 s28, s30, s6
	s_add_u32 s29, s34, s29
	s_addc_u32 s28, 0, s28
	s_mul_hi_u32 s35, s7, s31
	s_mul_i32 s31, s7, s31
	s_add_u32 s29, s29, s31
	s_mul_hi_u32 s34, s7, s6
	s_addc_u32 s28, s28, s35
	s_addc_u32 s29, s34, 0
	s_mul_i32 s6, s7, s6
	s_add_u32 s6, s28, s6
	s_addc_u32 s28, 0, s29
	s_mul_hi_u32 s29, s55, s6
	s_mul_i32 s6, s55, s6
	s_mul_i32 s28, s55, s28
	v_mov_b32_e32 v2, s6
	s_add_i32 s29, s29, s28
	v_sub_co_u32_e32 v2, vcc, s30, v2
	s_cmp_lg_u64 vcc, 0
	s_subb_u32 s6, s7, s29
	v_subrev_co_u32_e32 v3, vcc, s55, v2
	s_cmp_lg_u64 vcc, 0
	s_subb_u32 s28, s6, 0
	v_subrev_co_u32_e32 v4, vcc, s55, v3
	s_cmp_lg_u64 vcc, 0
	s_subb_u32 s29, s28, 0
	v_cmp_le_u32_e32 vcc, s55, v3
	s_cmp_eq_u32 s28, 0
	v_cndmask_b32_e64 v5, 0, -1, vcc
	s_cselect_b64 vcc, -1, 0
	v_cndmask_b32_e32 v5, -1, v5, vcc
	v_mov_b32_e32 v6, s28
	v_mov_b32_e32 v7, s29
	v_cmp_ne_u32_e32 vcc, 0, v5
	v_cndmask_b32_e32 v5, v6, v7, vcc
	v_cndmask_b32_e32 v4, v3, v4, vcc
	v_cmp_le_u32_e32 vcc, s55, v2
	s_cmp_eq_u32 s6, 0
	v_cndmask_b32_e64 v3, 0, -1, vcc
	s_cselect_b64 vcc, -1, 0
	v_cndmask_b32_e32 v3, -1, v3, vcc
	v_mov_b32_e32 v6, s6
	v_cmp_ne_u32_e32 vcc, 0, v3
	v_cndmask_b32_e32 v3, v6, v5, vcc
	v_cndmask_b32_e32 v2, v2, v4, vcc
	s_cbranch_execnz .LBB109_186
.LBB109_185:                            ;   in Loop: Header=BB109_16 Depth=1
	v_cvt_f32_u32_e32 v2, s55
	s_sub_i32 s6, 0, s55
	v_rcp_iflag_f32_e32 v2, v2
	v_mul_f32_e32 v2, 0x4f7ffffe, v2
	v_cvt_u32_f32_e32 v2, v2
	v_mul_lo_u32 v3, s6, v2
	v_mul_hi_u32 v3, v2, v3
	v_add_u32_e32 v2, v2, v3
	v_mul_hi_u32 v2, s30, v2
	v_mul_lo_u32 v2, v2, s55
	v_sub_u32_e32 v2, s30, v2
	v_subrev_u32_e32 v3, s55, v2
	v_cmp_le_u32_e32 vcc, s55, v2
	v_cndmask_b32_e32 v2, v2, v3, vcc
	v_subrev_u32_e32 v3, s55, v2
	v_cmp_le_u32_e32 vcc, s55, v2
	v_cndmask_b32_e32 v10, v2, v3, vcc
	v_pk_mov_b32 v[2:3], v[10:11], v[10:11] op_sel:[0,1]
.LBB109_186:                            ;   in Loop: Header=BB109_16 Depth=1
	v_mov_b32_e32 v4, s7
	v_sub_co_u32_e32 v2, vcc, s30, v2
	v_subb_co_u32_e32 v3, vcc, v4, v3, vcc
	v_cmp_gt_u64_e32 vcc, v[2:3], v[0:1]
	s_mov_b64 s[6:7], 0
                                        ; implicit-def: $vgpr32
	s_and_saveexec_b64 s[28:29], vcc
	s_cbranch_execz .LBB109_199
; %bb.187:                              ;   in Loop: Header=BB109_16 Depth=1
	s_mov_b64 s[30:31], 0
	v_mov_b32_e32 v6, v23
	v_pk_mov_b32 v[4:5], v[0:1], v[0:1] op_sel:[0,1]
                                        ; implicit-def: $sgpr34_sgpr35
	s_branch .LBB109_189
.LBB109_188:                            ;   in Loop: Header=BB109_189 Depth=2
	s_or_b64 exec, exec, s[6:7]
	s_waitcnt lgkmcnt(0)
	s_barrier
	ds_read_b32 v7, v11 offset:3072
	v_mov_b32_e32 v8, s54
	v_add_co_u32_e64 v4, s[6:7], s55, v4
	v_addc_co_u32_e64 v5, s[6:7], v5, v8, s[6:7]
	s_waitcnt lgkmcnt(0)
	v_cmp_ne_u16_e32 vcc, 0, v7
	v_cmp_ge_u64_e64 s[6:7], v[4:5], v[2:3]
	s_or_b64 s[6:7], s[6:7], vcc
	s_and_b64 s[6:7], exec, s[6:7]
	s_or_b64 s[30:31], s[6:7], s[30:31]
	s_andn2_b64 s[6:7], s[34:35], exec
	s_and_b64 s[34:35], vcc, exec
	v_add_u32_e32 v6, s0, v6
	s_or_b64 s[34:35], s[6:7], s[34:35]
	s_barrier
	s_andn2_b64 exec, exec, s[30:31]
	s_cbranch_execz .LBB109_198
.LBB109_189:                            ;   Parent Loop BB109_16 Depth=1
                                        ; =>  This Inner Loop Header: Depth=2
	v_cmp_gt_u64_e32 vcc, s[8:9], v[4:5]
	v_mov_b32_e32 v7, 0
	s_and_saveexec_b64 s[6:7], vcc
	s_cbranch_execz .LBB109_191
; %bb.190:                              ;   in Loop: Header=BB109_189 Depth=2
	ds_read_u16 v7, v6
.LBB109_191:                            ;   in Loop: Header=BB109_189 Depth=2
	s_or_b64 exec, exec, s[6:7]
	s_and_saveexec_b64 s[6:7], vcc
	s_cbranch_execz .LBB109_188
; %bb.192:                              ;   in Loop: Header=BB109_189 Depth=2
	s_waitcnt lgkmcnt(0)
	v_add_u32_sdwa v8, sext(v7), s2 dst_sel:DWORD dst_unused:UNUSED_PAD src0_sel:WORD_0 src1_sel:DWORD
	v_and_b32_e32 v8, s27, v8
	v_cmp_eq_u32_e32 vcc, s80, v8
	s_and_b64 exec, exec, vcc
	s_cbranch_execz .LBB109_188
; %bb.193:                              ;   in Loop: Header=BB109_189 Depth=2
	v_perm_b32 v7, v7, 1, v31
	ds_write_b32 v11, v7 offset:3072
	s_branch .LBB109_188
.LBB109_194:                            ;   in Loop: Header=BB109_16 Depth=1
                                        ; implicit-def: $sgpr28_sgpr29
                                        ; implicit-def: $sgpr34_sgpr35
                                        ; implicit-def: $sgpr30_sgpr31
	s_branch .LBB109_213
.LBB109_195:                            ;   in Loop: Header=BB109_16 Depth=1
                                        ; implicit-def: $vgpr2_vgpr3
	s_branch .LBB109_135
.LBB109_196:                            ;   in Loop: Header=BB109_16 Depth=1
                                        ; implicit-def: $vgpr2_vgpr3
	s_branch .LBB109_155
.LBB109_197:                            ;   in Loop: Header=BB109_16 Depth=1
	s_mov_b64 s[28:29], -1
	s_mov_b64 s[6:7], 0
                                        ; implicit-def: $sgpr30_sgpr31
                                        ; implicit-def: $vgpr32
	s_mov_b64 s[34:35], s[28:29]
	s_cbranch_execnz .LBB109_200
	s_branch .LBB109_213
.LBB109_198:                            ;   in Loop: Header=BB109_16 Depth=1
	s_or_b64 exec, exec, s[30:31]
	v_lshrrev_b32_e32 v32, 16, v7
	s_and_b64 s[6:7], s[34:35], exec
.LBB109_199:                            ;   in Loop: Header=BB109_16 Depth=1
	s_or_b64 exec, exec, s[28:29]
	s_mov_b64 s[30:31], -1
	s_mov_b64 s[28:29], 0
	s_mov_b64 s[34:35], s[28:29]
	s_branch .LBB109_213
.LBB109_200:                            ;   in Loop: Header=BB109_16 Depth=1
	s_mov_b32 s86, s79
	s_cmp_lg_u64 s[86:87], 0
	s_cbranch_scc0 .LBB109_243
; %bb.201:                              ;   in Loop: Header=BB109_16 Depth=1
	v_cvt_f32_u32_e32 v2, s55
	s_sub_u32 s6, 0, s55
	s_subb_u32 s7, 0, 0
	v_mac_f32_e32 v2, 0, v30
	v_rcp_f32_e32 v2, v2
	v_mul_f32_e32 v2, 0x5f7ffffc, v2
	v_mul_f32_e32 v3, 0x2f800000, v2
	v_trunc_f32_e32 v3, v3
	v_mac_f32_e32 v2, 0xcf800000, v3
	v_cvt_u32_f32_e32 v3, v3
	v_cvt_u32_f32_e32 v2, v2
	v_readfirstlane_b32 s8, v3
	v_readfirstlane_b32 s9, v2
	s_mul_i32 s28, s6, s8
	s_mul_hi_u32 s30, s6, s9
	s_mul_i32 s29, s7, s9
	s_add_i32 s28, s30, s28
	s_mul_i32 s31, s6, s9
	s_add_i32 s28, s28, s29
	s_mul_hi_u32 s30, s9, s31
	s_mul_hi_u32 s29, s9, s28
	s_mul_i32 s9, s9, s28
	s_add_u32 s9, s30, s9
	s_addc_u32 s29, 0, s29
	s_mul_hi_u32 s34, s8, s31
	s_mul_i32 s31, s8, s31
	s_add_u32 s9, s9, s31
	s_mul_hi_u32 s30, s8, s28
	s_addc_u32 s9, s29, s34
	s_addc_u32 s29, s30, 0
	s_mul_i32 s28, s8, s28
	s_add_u32 s9, s9, s28
	s_addc_u32 s28, 0, s29
	v_add_co_u32_e32 v2, vcc, s9, v2
	s_cmp_lg_u64 vcc, 0
	s_addc_u32 s8, s8, s28
	v_readfirstlane_b32 s28, v2
	s_mul_i32 s9, s6, s8
	s_mul_hi_u32 s29, s6, s28
	s_add_i32 s9, s29, s9
	s_mul_i32 s7, s7, s28
	s_add_i32 s9, s9, s7
	s_mul_i32 s6, s6, s28
	s_mul_hi_u32 s29, s8, s6
	s_mul_i32 s30, s8, s6
	s_mul_i32 s34, s28, s9
	s_mul_hi_u32 s6, s28, s6
	s_mul_hi_u32 s31, s28, s9
	s_add_u32 s6, s6, s34
	s_addc_u32 s28, 0, s31
	s_add_u32 s6, s6, s30
	s_mul_hi_u32 s7, s8, s9
	s_addc_u32 s6, s28, s29
	s_addc_u32 s7, s7, 0
	s_mul_i32 s9, s8, s9
	s_add_u32 s6, s6, s9
	s_addc_u32 s7, 0, s7
	v_add_co_u32_e32 v2, vcc, s6, v2
	s_cmp_lg_u64 vcc, 0
	s_addc_u32 s6, s8, s7
	v_readfirstlane_b32 s9, v2
	s_mul_i32 s8, s1, s6
	s_mul_hi_u32 s28, s1, s9
	s_mul_hi_u32 s7, s1, s6
	s_add_u32 s8, s28, s8
	s_addc_u32 s7, 0, s7
	s_mul_hi_u32 s29, s87, s9
	s_mul_i32 s9, s87, s9
	s_add_u32 s8, s8, s9
	s_mul_hi_u32 s28, s87, s6
	s_addc_u32 s7, s7, s29
	s_addc_u32 s8, s28, 0
	s_mul_i32 s6, s87, s6
	s_add_u32 s6, s7, s6
	s_addc_u32 s7, 0, s8
	s_mul_hi_u32 s8, s55, s6
	s_mul_i32 s6, s55, s6
	s_mul_i32 s7, s55, s7
	v_mov_b32_e32 v2, s6
	s_add_i32 s8, s8, s7
	v_sub_co_u32_e32 v2, vcc, s1, v2
	s_cmp_lg_u64 vcc, 0
	s_subb_u32 s6, s87, s8
	v_subrev_co_u32_e32 v3, vcc, s55, v2
	s_cmp_lg_u64 vcc, 0
	s_subb_u32 s7, s6, 0
	v_subrev_co_u32_e32 v4, vcc, s55, v3
	s_cmp_lg_u64 vcc, 0
	s_subb_u32 s8, s7, 0
	v_cmp_le_u32_e32 vcc, s55, v3
	s_cmp_eq_u32 s7, 0
	v_cndmask_b32_e64 v5, 0, -1, vcc
	s_cselect_b64 vcc, -1, 0
	v_cndmask_b32_e32 v5, -1, v5, vcc
	v_mov_b32_e32 v6, s7
	v_mov_b32_e32 v7, s8
	v_cmp_ne_u32_e32 vcc, 0, v5
	v_cndmask_b32_e32 v5, v6, v7, vcc
	v_cndmask_b32_e32 v4, v3, v4, vcc
	v_cmp_le_u32_e32 vcc, s55, v2
	s_cmp_eq_u32 s6, 0
	v_cndmask_b32_e64 v3, 0, -1, vcc
	s_cselect_b64 vcc, -1, 0
	v_cndmask_b32_e32 v3, -1, v3, vcc
	v_mov_b32_e32 v6, s6
	v_cmp_ne_u32_e32 vcc, 0, v3
	v_cndmask_b32_e32 v3, v6, v5, vcc
	v_cndmask_b32_e32 v2, v2, v4, vcc
	s_cbranch_execnz .LBB109_203
.LBB109_202:                            ;   in Loop: Header=BB109_16 Depth=1
	v_cvt_f32_u32_e32 v2, s55
	s_sub_i32 s6, 0, s55
	v_rcp_iflag_f32_e32 v2, v2
	v_mul_f32_e32 v2, 0x4f7ffffe, v2
	v_cvt_u32_f32_e32 v2, v2
	v_mul_lo_u32 v3, s6, v2
	v_mul_hi_u32 v3, v2, v3
	v_add_u32_e32 v2, v2, v3
	v_mul_hi_u32 v2, s1, v2
	v_mul_lo_u32 v2, v2, s55
	v_sub_u32_e32 v2, s1, v2
	v_subrev_u32_e32 v3, s55, v2
	v_cmp_le_u32_e32 vcc, s55, v2
	v_cndmask_b32_e32 v2, v2, v3, vcc
	v_subrev_u32_e32 v3, s55, v2
	v_cmp_le_u32_e32 vcc, s55, v2
	v_cndmask_b32_e32 v10, v2, v3, vcc
	v_pk_mov_b32 v[2:3], v[10:11], v[10:11] op_sel:[0,1]
.LBB109_203:                            ;   in Loop: Header=BB109_16 Depth=1
	v_mov_b32_e32 v4, s87
	v_sub_co_u32_e32 v2, vcc, s1, v2
	v_subb_co_u32_e32 v3, vcc, v4, v3, vcc
	v_cmp_gt_u64_e32 vcc, v[2:3], v[0:1]
	s_mov_b64 s[6:7], 0
                                        ; implicit-def: $vgpr32
	s_and_saveexec_b64 s[8:9], vcc
	s_cbranch_execz .LBB109_212
; %bb.204:                              ;   in Loop: Header=BB109_16 Depth=1
	s_mov_b64 s[28:29], 0
	v_pk_mov_b32 v[4:5], v[0:1], v[0:1] op_sel:[0,1]
                                        ; implicit-def: $sgpr30_sgpr31
	s_branch .LBB109_206
.LBB109_205:                            ;   in Loop: Header=BB109_206 Depth=2
	s_or_b64 exec, exec, s[6:7]
	s_waitcnt lgkmcnt(0)
	s_barrier
	s_waitcnt vmcnt(0)
	ds_read_b32 v6, v11 offset:3072
	v_mov_b32_e32 v7, s54
	v_add_co_u32_e64 v4, s[6:7], s55, v4
	v_addc_co_u32_e64 v5, s[6:7], v5, v7, s[6:7]
	s_waitcnt lgkmcnt(0)
	v_cmp_ne_u16_e32 vcc, 0, v6
	v_cmp_ge_u64_e64 s[6:7], v[4:5], v[2:3]
	s_or_b64 s[6:7], s[6:7], vcc
	s_and_b64 s[6:7], exec, s[6:7]
	s_or_b64 s[28:29], s[6:7], s[28:29]
	s_andn2_b64 s[6:7], s[30:31], exec
	s_and_b64 s[30:31], vcc, exec
	s_or_b64 s[30:31], s[6:7], s[30:31]
	s_barrier
	s_andn2_b64 exec, exec, s[28:29]
	s_cbranch_execz .LBB109_211
.LBB109_206:                            ;   Parent Loop BB109_16 Depth=1
                                        ; =>  This Inner Loop Header: Depth=2
	v_cmp_gt_u64_e32 vcc, s[52:53], v[4:5]
	v_mov_b32_e32 v6, 0
	s_and_saveexec_b64 s[34:35], vcc
	s_cbranch_execz .LBB109_208
; %bb.207:                              ;   in Loop: Header=BB109_206 Depth=2
	v_mul_lo_u32 v8, v5, s68
	v_mul_lo_u32 v9, v4, s69
	v_mad_u64_u32 v[6:7], s[6:7], v4, s68, 0
	v_add3_u32 v7, v7, v9, v8
	v_lshlrev_b64 v[6:7], 1, v[6:7]
	v_mov_b32_e32 v8, s84
	v_add_co_u32_e64 v6, s[6:7], s33, v6
	v_addc_co_u32_e64 v7, s[6:7], v8, v7, s[6:7]
	global_load_ushort v6, v[6:7], off
.LBB109_208:                            ;   in Loop: Header=BB109_206 Depth=2
	s_or_b64 exec, exec, s[34:35]
	s_and_saveexec_b64 s[6:7], vcc
	s_cbranch_execz .LBB109_205
; %bb.209:                              ;   in Loop: Header=BB109_206 Depth=2
	s_waitcnt vmcnt(0)
	v_add_u32_sdwa v7, sext(v6), s2 dst_sel:DWORD dst_unused:UNUSED_PAD src0_sel:WORD_0 src1_sel:DWORD
	v_and_b32_e32 v7, s27, v7
	v_cmp_eq_u32_e32 vcc, s80, v7
	s_and_b64 exec, exec, vcc
	s_cbranch_execz .LBB109_205
; %bb.210:                              ;   in Loop: Header=BB109_206 Depth=2
	v_perm_b32 v6, v6, 1, v31
	ds_write_b32 v11, v6 offset:3072
	s_branch .LBB109_205
.LBB109_211:                            ;   in Loop: Header=BB109_16 Depth=1
	s_or_b64 exec, exec, s[28:29]
	v_lshrrev_b32_e32 v32, 16, v6
	s_and_b64 s[6:7], s[30:31], exec
.LBB109_212:                            ;   in Loop: Header=BB109_16 Depth=1
	s_or_b64 exec, exec, s[8:9]
	s_mov_b64 s[34:35], -1
	s_mov_b64 s[28:29], 0
	s_mov_b64 s[30:31], 0
.LBB109_213:                            ;   in Loop: Header=BB109_16 Depth=1
	s_mov_b64 s[8:9], 0
                                        ; implicit-def: $sgpr49
	s_and_saveexec_b64 s[36:37], s[6:7]
	s_cbranch_execz .LBB109_275
; %bb.214:                              ;   in Loop: Header=BB109_16 Depth=1
	s_xor_b64 s[6:7], s[38:39], -1
	s_andn2_b64 vcc, exec, s[6:7]
	s_mov_b32 s49, 1
	s_cbranch_vccnz .LBB109_225
; %bb.215:                              ;   in Loop: Header=BB109_16 Depth=1
	v_pk_mov_b32 v[2:3], s[16:17], s[16:17] op_sel:[0,1]
	v_cmp_gt_u64_e32 vcc, s[82:83], v[2:3]
	s_mov_b64 s[6:7], -1
                                        ; implicit-def: $sgpr49
                                        ; implicit-def: $sgpr8
                                        ; implicit-def: $sgpr9
	s_cbranch_vccnz .LBB109_221
; %bb.216:                              ;   in Loop: Header=BB109_16 Depth=1
	ds_read_b64 v[2:3], v11 offset:5120
	s_waitcnt lgkmcnt(0)
	v_cmp_ne_u64_e32 vcc, 0, v[2:3]
	s_cbranch_vccnz .LBB109_220
; %bb.217:                              ;   in Loop: Header=BB109_16 Depth=1
	s_mov_b64 s[6:7], exec
	v_readlane_b32 s8, v42, 8
	v_readlane_b32 s9, v42, 9
	s_and_b64 s[8:9], s[6:7], s[8:9]
	s_mov_b64 exec, s[8:9]
	s_cbranch_execz .LBB109_219
; %bb.218:                              ;   in Loop: Header=BB109_16 Depth=1
	v_pk_mov_b32 v[2:3], s[16:17], s[16:17] op_sel:[0,1]
	ds_write_b64 v11, v[2:3] offset:5128
.LBB109_219:                            ;   in Loop: Header=BB109_16 Depth=1
	s_or_b64 exec, exec, s[6:7]
	s_waitcnt lgkmcnt(0)
	s_barrier
.LBB109_220:                            ;   in Loop: Header=BB109_16 Depth=1
	s_lshl_b32 s6, 2, s40
	s_and_b32 s7, s80, s41
	s_or_b32 s8, s7, s6
	s_or_b32 s9, s27, s48
	s_mov_b64 s[6:7], 0
	s_mov_b32 s49, 8
.LBB109_221:                            ;   in Loop: Header=BB109_16 Depth=1
	s_andn2_b64 vcc, exec, s[6:7]
	s_cbranch_vccnz .LBB109_223
; %bb.222:                              ;   in Loop: Header=BB109_16 Depth=1
	s_sub_u32 s82, s82, s16
	s_subb_u32 s83, s83, s17
	s_mov_b64 s[6:7], -1
	s_mov_b32 s49, 0
	s_mov_b32 s8, s80
	;; [unrolled: 1-line block ×3, first 2 shown]
.LBB109_223:                            ;   in Loop: Header=BB109_16 Depth=1
	s_mov_b32 s27, s9
	s_mov_b32 s80, s8
	s_andn2_b64 vcc, exec, s[6:7]
	s_mov_b64 s[44:45], -1
	s_cbranch_vccz .LBB109_226
.LBB109_224:                            ;   in Loop: Header=BB109_16 Depth=1
                                        ; implicit-def: $sgpr6_sgpr7
                                        ; implicit-def: $sgpr38_sgpr39
                                        ; implicit-def: $sgpr8_sgpr9
	s_branch .LBB109_274
.LBB109_225:                            ;   in Loop: Header=BB109_16 Depth=1
	s_mov_b64 s[82:83], 1
	s_mov_b64 s[44:45], -1
	s_cbranch_execnz .LBB109_224
.LBB109_226:                            ;   in Loop: Header=BB109_16 Depth=1
	s_cmp_eq_u64 s[10:11], 1
	s_cselect_b64 s[6:7], -1, 0
	s_cmp_eq_u64 s[82:83], 1
	s_cselect_b64 s[8:9], -1, 0
	s_and_b64 s[16:17], s[6:7], s[8:9]
	s_mov_b64 s[40:41], -1
	s_and_b64 vcc, exec, s[16:17]
	s_cbranch_vccz .LBB109_241
; %bb.227:                              ;   in Loop: Header=BB109_16 Depth=1
	ds_read_b64 v[2:3], v11 offset:5120
	s_waitcnt lgkmcnt(0)
	s_barrier
	v_readfirstlane_b32 s8, v2
	v_readfirstlane_b32 s9, v3
	s_mov_b64 s[6:7], exec
	v_readlane_b32 s38, v42, 26
	v_readlane_b32 s39, v42, 27
	s_and_b64 s[38:39], s[6:7], s[38:39]
	s_mov_b64 exec, s[38:39]
	s_cbranch_execz .LBB109_229
; %bb.228:                              ;   in Loop: Header=BB109_16 Depth=1
	ds_write_b16 v24, v1
.LBB109_229:                            ;   in Loop: Header=BB109_16 Depth=1
	s_or_b64 exec, exec, s[6:7]
	s_or_b32 s80, s80, s48
	s_or_b32 s27, s27, s48
	s_cmp_eq_u64 s[8:9], 0
	s_waitcnt lgkmcnt(0)
	s_barrier
	s_cbranch_scc1 .LBB109_244
; %bb.230:                              ;   in Loop: Header=BB109_16 Depth=1
	v_readlane_b32 s6, v42, 32
	s_add_u32 s40, s6, s8
	v_readlane_b32 s6, v42, 33
	s_addc_u32 s7, s6, s9
	s_mov_b32 s6, s79
	s_cmp_lg_u64 s[6:7], 0
	s_cbranch_scc0 .LBB109_280
; %bb.231:                              ;   in Loop: Header=BB109_16 Depth=1
	v_cvt_f32_u32_e32 v2, s55
	s_sub_u32 s6, 0, s55
	s_subb_u32 s38, 0, 0
	v_mac_f32_e32 v2, 0, v30
	v_rcp_f32_e32 v2, v2
	v_mul_f32_e32 v2, 0x5f7ffffc, v2
	v_mul_f32_e32 v3, 0x2f800000, v2
	v_trunc_f32_e32 v3, v3
	v_mac_f32_e32 v2, 0xcf800000, v3
	v_cvt_u32_f32_e32 v3, v3
	v_cvt_u32_f32_e32 v2, v2
	v_readfirstlane_b32 s39, v3
	v_readfirstlane_b32 s41, v2
	s_mul_i32 s42, s6, s39
	s_mul_hi_u32 s44, s6, s41
	s_mul_i32 s43, s38, s41
	s_add_i32 s42, s44, s42
	s_mul_i32 s45, s6, s41
	s_add_i32 s42, s42, s43
	s_mul_hi_u32 s44, s41, s45
	s_mul_hi_u32 s43, s41, s42
	s_mul_i32 s41, s41, s42
	s_add_u32 s41, s44, s41
	s_addc_u32 s43, 0, s43
	s_mul_hi_u32 s46, s39, s45
	s_mul_i32 s45, s39, s45
	s_add_u32 s41, s41, s45
	s_mul_hi_u32 s44, s39, s42
	s_addc_u32 s41, s43, s46
	s_addc_u32 s43, s44, 0
	s_mul_i32 s42, s39, s42
	s_add_u32 s41, s41, s42
	s_addc_u32 s42, 0, s43
	v_add_co_u32_e32 v2, vcc, s41, v2
	s_cmp_lg_u64 vcc, 0
	s_addc_u32 s39, s39, s42
	v_readfirstlane_b32 s42, v2
	s_mul_i32 s41, s6, s39
	s_mul_hi_u32 s43, s6, s42
	s_add_i32 s41, s43, s41
	s_mul_i32 s38, s38, s42
	s_add_i32 s41, s41, s38
	s_mul_i32 s6, s6, s42
	s_mul_hi_u32 s43, s39, s6
	s_mul_i32 s44, s39, s6
	s_mul_i32 s46, s42, s41
	s_mul_hi_u32 s6, s42, s6
	s_mul_hi_u32 s45, s42, s41
	s_add_u32 s6, s6, s46
	s_addc_u32 s42, 0, s45
	s_add_u32 s6, s6, s44
	s_mul_hi_u32 s38, s39, s41
	s_addc_u32 s6, s42, s43
	s_addc_u32 s38, s38, 0
	s_mul_i32 s41, s39, s41
	s_add_u32 s6, s6, s41
	s_addc_u32 s38, 0, s38
	v_add_co_u32_e32 v2, vcc, s6, v2
	s_cmp_lg_u64 vcc, 0
	s_addc_u32 s6, s39, s38
	v_readfirstlane_b32 s41, v2
	s_mul_i32 s39, s40, s6
	s_mul_hi_u32 s42, s40, s41
	s_mul_hi_u32 s38, s40, s6
	s_add_u32 s39, s42, s39
	s_addc_u32 s38, 0, s38
	s_mul_hi_u32 s43, s7, s41
	s_mul_i32 s41, s7, s41
	s_add_u32 s39, s39, s41
	s_mul_hi_u32 s42, s7, s6
	s_addc_u32 s38, s38, s43
	s_addc_u32 s39, s42, 0
	s_mul_i32 s6, s7, s6
	s_add_u32 s6, s38, s6
	s_addc_u32 s38, 0, s39
	s_mul_hi_u32 s39, s55, s6
	s_mul_i32 s6, s55, s6
	s_mul_i32 s38, s55, s38
	v_mov_b32_e32 v2, s6
	s_add_i32 s39, s39, s38
	v_sub_co_u32_e32 v2, vcc, s40, v2
	s_cmp_lg_u64 vcc, 0
	s_subb_u32 s6, s7, s39
	v_subrev_co_u32_e32 v3, vcc, s55, v2
	s_cmp_lg_u64 vcc, 0
	s_subb_u32 s38, s6, 0
	v_subrev_co_u32_e32 v4, vcc, s55, v3
	s_cmp_lg_u64 vcc, 0
	s_subb_u32 s39, s38, 0
	v_cmp_le_u32_e32 vcc, s55, v3
	s_cmp_eq_u32 s38, 0
	v_cndmask_b32_e64 v5, 0, -1, vcc
	s_cselect_b64 vcc, -1, 0
	v_cndmask_b32_e32 v5, -1, v5, vcc
	v_mov_b32_e32 v6, s38
	v_mov_b32_e32 v7, s39
	v_cmp_ne_u32_e32 vcc, 0, v5
	v_cndmask_b32_e32 v5, v6, v7, vcc
	v_cndmask_b32_e32 v4, v3, v4, vcc
	v_cmp_le_u32_e32 vcc, s55, v2
	s_cmp_eq_u32 s6, 0
	v_cndmask_b32_e64 v3, 0, -1, vcc
	s_cselect_b64 vcc, -1, 0
	v_cndmask_b32_e32 v3, -1, v3, vcc
	v_mov_b32_e32 v6, s6
	v_cmp_ne_u32_e32 vcc, 0, v3
	v_cndmask_b32_e32 v3, v6, v5, vcc
	v_cndmask_b32_e32 v2, v2, v4, vcc
	s_cbranch_execnz .LBB109_233
.LBB109_232:                            ;   in Loop: Header=BB109_16 Depth=1
	v_cvt_f32_u32_e32 v2, s55
	s_sub_i32 s6, 0, s55
	v_rcp_iflag_f32_e32 v2, v2
	v_mul_f32_e32 v2, 0x4f7ffffe, v2
	v_cvt_u32_f32_e32 v2, v2
	v_mul_lo_u32 v3, s6, v2
	v_mul_hi_u32 v3, v2, v3
	v_add_u32_e32 v2, v2, v3
	v_mul_hi_u32 v2, s40, v2
	v_mul_lo_u32 v2, v2, s55
	v_sub_u32_e32 v2, s40, v2
	v_subrev_u32_e32 v3, s55, v2
	v_cmp_le_u32_e32 vcc, s55, v2
	v_cndmask_b32_e32 v2, v2, v3, vcc
	v_subrev_u32_e32 v3, s55, v2
	v_cmp_le_u32_e32 vcc, s55, v2
	v_cndmask_b32_e32 v10, v2, v3, vcc
	v_pk_mov_b32 v[2:3], v[10:11], v[10:11] op_sel:[0,1]
.LBB109_233:                            ;   in Loop: Header=BB109_16 Depth=1
	v_mov_b32_e32 v4, s7
	v_sub_co_u32_e32 v2, vcc, s40, v2
	v_subb_co_u32_e32 v3, vcc, v4, v3, vcc
	v_cmp_gt_u64_e32 vcc, v[2:3], v[0:1]
	s_mov_b64 s[40:41], 0
                                        ; implicit-def: $vgpr32
	s_and_saveexec_b64 s[38:39], vcc
	s_cbranch_execz .LBB109_246
; %bb.234:                              ;   in Loop: Header=BB109_16 Depth=1
	v_mov_b32_e32 v6, v23
	v_pk_mov_b32 v[4:5], v[0:1], v[0:1] op_sel:[0,1]
                                        ; implicit-def: $sgpr42_sgpr43
	s_branch .LBB109_236
.LBB109_235:                            ;   in Loop: Header=BB109_236 Depth=2
	s_or_b64 exec, exec, s[6:7]
	s_waitcnt lgkmcnt(0)
	s_barrier
	ds_read_b32 v7, v11 offset:3072
	v_mov_b32_e32 v8, s54
	v_add_co_u32_e64 v4, s[6:7], s55, v4
	v_addc_co_u32_e64 v5, s[6:7], v5, v8, s[6:7]
	s_waitcnt lgkmcnt(0)
	v_cmp_ne_u16_e32 vcc, 0, v7
	v_cmp_ge_u64_e64 s[6:7], v[4:5], v[2:3]
	s_or_b64 s[6:7], s[6:7], vcc
	s_and_b64 s[6:7], exec, s[6:7]
	s_or_b64 s[40:41], s[6:7], s[40:41]
	s_andn2_b64 s[6:7], s[42:43], exec
	s_and_b64 s[42:43], vcc, exec
	v_add_u32_e32 v6, s0, v6
	s_or_b64 s[42:43], s[6:7], s[42:43]
	s_barrier
	s_andn2_b64 exec, exec, s[40:41]
	s_cbranch_execz .LBB109_245
.LBB109_236:                            ;   Parent Loop BB109_16 Depth=1
                                        ; =>  This Inner Loop Header: Depth=2
	v_cmp_gt_u64_e32 vcc, s[8:9], v[4:5]
	v_mov_b32_e32 v7, 0
	s_and_saveexec_b64 s[6:7], vcc
	s_cbranch_execz .LBB109_238
; %bb.237:                              ;   in Loop: Header=BB109_236 Depth=2
	ds_read_u16 v7, v6
.LBB109_238:                            ;   in Loop: Header=BB109_236 Depth=2
	s_or_b64 exec, exec, s[6:7]
	s_and_saveexec_b64 s[6:7], vcc
	s_cbranch_execz .LBB109_235
; %bb.239:                              ;   in Loop: Header=BB109_236 Depth=2
	s_waitcnt lgkmcnt(0)
	v_add_u32_sdwa v8, sext(v7), s2 dst_sel:DWORD dst_unused:UNUSED_PAD src0_sel:WORD_0 src1_sel:DWORD
	v_and_b32_e32 v8, s27, v8
	v_cmp_eq_u32_e32 vcc, s80, v8
	s_and_b64 exec, exec, vcc
	s_cbranch_execz .LBB109_235
; %bb.240:                              ;   in Loop: Header=BB109_236 Depth=2
	v_perm_b32 v7, v7, 1, v31
	ds_write_b32 v11, v7 offset:3072
	s_branch .LBB109_235
.LBB109_241:                            ;   in Loop: Header=BB109_16 Depth=1
                                        ; implicit-def: $sgpr6_sgpr7
                                        ; implicit-def: $sgpr38_sgpr39
                                        ; implicit-def: $sgpr8_sgpr9
	s_branch .LBB109_260
.LBB109_242:                            ;   in Loop: Header=BB109_16 Depth=1
                                        ; implicit-def: $vgpr2_vgpr3
	s_branch .LBB109_185
.LBB109_243:                            ;   in Loop: Header=BB109_16 Depth=1
                                        ; implicit-def: $vgpr2_vgpr3
	s_branch .LBB109_202
.LBB109_244:                            ;   in Loop: Header=BB109_16 Depth=1
	s_mov_b64 s[6:7], -1
	s_mov_b64 s[40:41], 0
                                        ; implicit-def: $sgpr8_sgpr9
                                        ; implicit-def: $vgpr32
	s_mov_b64 s[38:39], s[6:7]
	s_cbranch_execnz .LBB109_247
	s_branch .LBB109_260
.LBB109_245:                            ;   in Loop: Header=BB109_16 Depth=1
	s_or_b64 exec, exec, s[40:41]
	v_lshrrev_b32_e32 v32, 16, v7
	s_and_b64 s[40:41], s[42:43], exec
.LBB109_246:                            ;   in Loop: Header=BB109_16 Depth=1
	s_or_b64 exec, exec, s[38:39]
	s_mov_b64 s[8:9], -1
	s_mov_b64 s[6:7], 0
	s_mov_b64 s[38:39], s[6:7]
	s_branch .LBB109_260
.LBB109_247:                            ;   in Loop: Header=BB109_16 Depth=1
	s_mov_b32 s86, s79
	s_cmp_lg_u64 s[86:87], 0
	s_cbranch_scc0 .LBB109_281
; %bb.248:                              ;   in Loop: Header=BB109_16 Depth=1
	v_cvt_f32_u32_e32 v2, s55
	s_sub_u32 s6, 0, s55
	s_subb_u32 s7, 0, 0
	v_mac_f32_e32 v2, 0, v30
	v_rcp_f32_e32 v2, v2
	v_mul_f32_e32 v2, 0x5f7ffffc, v2
	v_mul_f32_e32 v3, 0x2f800000, v2
	v_trunc_f32_e32 v3, v3
	v_mac_f32_e32 v2, 0xcf800000, v3
	v_cvt_u32_f32_e32 v3, v3
	v_cvt_u32_f32_e32 v2, v2
	v_readfirstlane_b32 s8, v3
	v_readfirstlane_b32 s9, v2
	s_mul_i32 s38, s6, s8
	s_mul_hi_u32 s40, s6, s9
	s_mul_i32 s39, s7, s9
	s_add_i32 s38, s40, s38
	s_mul_i32 s41, s6, s9
	s_add_i32 s38, s38, s39
	s_mul_hi_u32 s40, s9, s41
	s_mul_hi_u32 s39, s9, s38
	s_mul_i32 s9, s9, s38
	s_add_u32 s9, s40, s9
	s_addc_u32 s39, 0, s39
	s_mul_hi_u32 s42, s8, s41
	s_mul_i32 s41, s8, s41
	s_add_u32 s9, s9, s41
	s_mul_hi_u32 s40, s8, s38
	s_addc_u32 s9, s39, s42
	s_addc_u32 s39, s40, 0
	s_mul_i32 s38, s8, s38
	s_add_u32 s9, s9, s38
	s_addc_u32 s38, 0, s39
	v_add_co_u32_e32 v2, vcc, s9, v2
	s_cmp_lg_u64 vcc, 0
	s_addc_u32 s8, s8, s38
	v_readfirstlane_b32 s38, v2
	s_mul_i32 s9, s6, s8
	s_mul_hi_u32 s39, s6, s38
	s_add_i32 s9, s39, s9
	s_mul_i32 s7, s7, s38
	s_add_i32 s9, s9, s7
	s_mul_i32 s6, s6, s38
	s_mul_hi_u32 s39, s8, s6
	s_mul_i32 s40, s8, s6
	s_mul_i32 s42, s38, s9
	s_mul_hi_u32 s6, s38, s6
	s_mul_hi_u32 s41, s38, s9
	s_add_u32 s6, s6, s42
	s_addc_u32 s38, 0, s41
	s_add_u32 s6, s6, s40
	s_mul_hi_u32 s7, s8, s9
	s_addc_u32 s6, s38, s39
	s_addc_u32 s7, s7, 0
	s_mul_i32 s9, s8, s9
	s_add_u32 s6, s6, s9
	s_addc_u32 s7, 0, s7
	v_add_co_u32_e32 v2, vcc, s6, v2
	s_cmp_lg_u64 vcc, 0
	s_addc_u32 s6, s8, s7
	v_readfirstlane_b32 s9, v2
	s_mul_i32 s8, s1, s6
	s_mul_hi_u32 s38, s1, s9
	s_mul_hi_u32 s7, s1, s6
	s_add_u32 s8, s38, s8
	s_addc_u32 s7, 0, s7
	s_mul_hi_u32 s39, s87, s9
	s_mul_i32 s9, s87, s9
	s_add_u32 s8, s8, s9
	s_mul_hi_u32 s38, s87, s6
	s_addc_u32 s7, s7, s39
	s_addc_u32 s8, s38, 0
	s_mul_i32 s6, s87, s6
	s_add_u32 s6, s7, s6
	s_addc_u32 s7, 0, s8
	s_mul_hi_u32 s8, s55, s6
	s_mul_i32 s6, s55, s6
	s_mul_i32 s7, s55, s7
	v_mov_b32_e32 v2, s6
	s_add_i32 s8, s8, s7
	v_sub_co_u32_e32 v2, vcc, s1, v2
	s_cmp_lg_u64 vcc, 0
	s_subb_u32 s6, s87, s8
	v_subrev_co_u32_e32 v3, vcc, s55, v2
	s_cmp_lg_u64 vcc, 0
	s_subb_u32 s7, s6, 0
	v_subrev_co_u32_e32 v4, vcc, s55, v3
	s_cmp_lg_u64 vcc, 0
	s_subb_u32 s8, s7, 0
	v_cmp_le_u32_e32 vcc, s55, v3
	s_cmp_eq_u32 s7, 0
	v_cndmask_b32_e64 v5, 0, -1, vcc
	s_cselect_b64 vcc, -1, 0
	v_cndmask_b32_e32 v5, -1, v5, vcc
	v_mov_b32_e32 v6, s7
	v_mov_b32_e32 v7, s8
	v_cmp_ne_u32_e32 vcc, 0, v5
	v_cndmask_b32_e32 v5, v6, v7, vcc
	v_cndmask_b32_e32 v4, v3, v4, vcc
	v_cmp_le_u32_e32 vcc, s55, v2
	s_cmp_eq_u32 s6, 0
	v_cndmask_b32_e64 v3, 0, -1, vcc
	s_cselect_b64 vcc, -1, 0
	v_cndmask_b32_e32 v3, -1, v3, vcc
	v_mov_b32_e32 v6, s6
	v_cmp_ne_u32_e32 vcc, 0, v3
	v_cndmask_b32_e32 v3, v6, v5, vcc
	v_cndmask_b32_e32 v2, v2, v4, vcc
	s_cbranch_execnz .LBB109_250
.LBB109_249:                            ;   in Loop: Header=BB109_16 Depth=1
	v_cvt_f32_u32_e32 v2, s55
	s_sub_i32 s6, 0, s55
	v_rcp_iflag_f32_e32 v2, v2
	v_mul_f32_e32 v2, 0x4f7ffffe, v2
	v_cvt_u32_f32_e32 v2, v2
	v_mul_lo_u32 v3, s6, v2
	v_mul_hi_u32 v3, v2, v3
	v_add_u32_e32 v2, v2, v3
	v_mul_hi_u32 v2, s1, v2
	v_mul_lo_u32 v2, v2, s55
	v_sub_u32_e32 v2, s1, v2
	v_subrev_u32_e32 v3, s55, v2
	v_cmp_le_u32_e32 vcc, s55, v2
	v_cndmask_b32_e32 v2, v2, v3, vcc
	v_subrev_u32_e32 v3, s55, v2
	v_cmp_le_u32_e32 vcc, s55, v2
	v_cndmask_b32_e32 v10, v2, v3, vcc
	v_pk_mov_b32 v[2:3], v[10:11], v[10:11] op_sel:[0,1]
.LBB109_250:                            ;   in Loop: Header=BB109_16 Depth=1
	v_mov_b32_e32 v4, s87
	v_sub_co_u32_e32 v2, vcc, s1, v2
	v_subb_co_u32_e32 v3, vcc, v4, v3, vcc
	v_cmp_gt_u64_e32 vcc, v[2:3], v[0:1]
	s_mov_b64 s[40:41], 0
                                        ; implicit-def: $vgpr32
	s_and_saveexec_b64 s[8:9], vcc
	s_cbranch_execz .LBB109_259
; %bb.251:                              ;   in Loop: Header=BB109_16 Depth=1
	s_mov_b64 s[38:39], 0
	v_pk_mov_b32 v[4:5], v[0:1], v[0:1] op_sel:[0,1]
                                        ; implicit-def: $sgpr40_sgpr41
	s_branch .LBB109_253
.LBB109_252:                            ;   in Loop: Header=BB109_253 Depth=2
	s_or_b64 exec, exec, s[6:7]
	s_waitcnt lgkmcnt(0)
	s_barrier
	s_waitcnt vmcnt(0)
	ds_read_b32 v6, v11 offset:3072
	v_mov_b32_e32 v7, s54
	v_add_co_u32_e64 v4, s[6:7], s55, v4
	v_addc_co_u32_e64 v5, s[6:7], v5, v7, s[6:7]
	s_waitcnt lgkmcnt(0)
	v_cmp_ne_u16_e32 vcc, 0, v6
	v_cmp_ge_u64_e64 s[6:7], v[4:5], v[2:3]
	s_or_b64 s[6:7], s[6:7], vcc
	s_and_b64 s[6:7], exec, s[6:7]
	s_or_b64 s[38:39], s[6:7], s[38:39]
	s_andn2_b64 s[6:7], s[40:41], exec
	s_and_b64 s[40:41], vcc, exec
	s_or_b64 s[40:41], s[6:7], s[40:41]
	s_barrier
	s_andn2_b64 exec, exec, s[38:39]
	s_cbranch_execz .LBB109_258
.LBB109_253:                            ;   Parent Loop BB109_16 Depth=1
                                        ; =>  This Inner Loop Header: Depth=2
	v_cmp_gt_u64_e32 vcc, s[52:53], v[4:5]
	v_mov_b32_e32 v6, 0
	s_and_saveexec_b64 s[42:43], vcc
	s_cbranch_execz .LBB109_255
; %bb.254:                              ;   in Loop: Header=BB109_253 Depth=2
	v_mul_lo_u32 v8, v5, s68
	v_mul_lo_u32 v9, v4, s69
	v_mad_u64_u32 v[6:7], s[6:7], v4, s68, 0
	v_add3_u32 v7, v7, v9, v8
	v_lshlrev_b64 v[6:7], 1, v[6:7]
	v_mov_b32_e32 v8, s84
	v_add_co_u32_e64 v6, s[6:7], s33, v6
	v_addc_co_u32_e64 v7, s[6:7], v8, v7, s[6:7]
	global_load_ushort v6, v[6:7], off
.LBB109_255:                            ;   in Loop: Header=BB109_253 Depth=2
	s_or_b64 exec, exec, s[42:43]
	s_and_saveexec_b64 s[6:7], vcc
	s_cbranch_execz .LBB109_252
; %bb.256:                              ;   in Loop: Header=BB109_253 Depth=2
	s_waitcnt vmcnt(0)
	v_add_u32_sdwa v7, sext(v6), s2 dst_sel:DWORD dst_unused:UNUSED_PAD src0_sel:WORD_0 src1_sel:DWORD
	v_and_b32_e32 v7, s27, v7
	v_cmp_eq_u32_e32 vcc, s80, v7
	s_and_b64 exec, exec, vcc
	s_cbranch_execz .LBB109_252
; %bb.257:                              ;   in Loop: Header=BB109_253 Depth=2
	v_perm_b32 v6, v6, 1, v31
	ds_write_b32 v11, v6 offset:3072
	s_branch .LBB109_252
.LBB109_258:                            ;   in Loop: Header=BB109_16 Depth=1
	s_or_b64 exec, exec, s[38:39]
	v_lshrrev_b32_e32 v32, 16, v6
	s_and_b64 s[40:41], s[40:41], exec
.LBB109_259:                            ;   in Loop: Header=BB109_16 Depth=1
	s_or_b64 exec, exec, s[8:9]
	s_mov_b64 s[38:39], -1
	s_mov_b64 s[6:7], 0
	s_mov_b64 s[8:9], 0
.LBB109_260:                            ;   in Loop: Header=BB109_16 Depth=1
	s_mov_b64 s[44:45], 0
                                        ; implicit-def: $sgpr49
                                        ; implicit-def: $sgpr46_sgpr47
	s_and_saveexec_b64 s[42:43], s[40:41]
	s_cbranch_execz .LBB109_273
; %bb.261:                              ;   in Loop: Header=BB109_16 Depth=1
	s_xor_b64 s[16:17], s[16:17], -1
	s_mov_b64 s[46:47], 1
	s_andn2_b64 vcc, exec, s[16:17]
	s_mov_b32 s49, 1
	s_cbranch_vccnz .LBB109_272
; %bb.262:                              ;   in Loop: Header=BB109_16 Depth=1
	v_pk_mov_b32 v[2:3], s[10:11], s[10:11] op_sel:[0,1]
	v_cmp_gt_u64_e32 vcc, s[82:83], v[2:3]
	s_cbranch_vccnz .LBB109_268
; %bb.263:                              ;   in Loop: Header=BB109_16 Depth=1
	ds_read_b64 v[2:3], v11 offset:5120
	s_waitcnt lgkmcnt(0)
	v_cmp_ne_u64_e32 vcc, 0, v[2:3]
	s_cbranch_vccnz .LBB109_267
; %bb.264:                              ;   in Loop: Header=BB109_16 Depth=1
	s_mov_b64 s[16:17], exec
	v_readlane_b32 s40, v42, 8
	v_readlane_b32 s41, v42, 9
	s_and_b64 s[40:41], s[16:17], s[40:41]
	s_mov_b64 exec, s[40:41]
	s_cbranch_execz .LBB109_266
; %bb.265:                              ;   in Loop: Header=BB109_16 Depth=1
	v_pk_mov_b32 v[2:3], s[10:11], s[10:11] op_sel:[0,1]
	ds_write_b64 v11, v[2:3] offset:5128
.LBB109_266:                            ;   in Loop: Header=BB109_16 Depth=1
	s_or_b64 exec, exec, s[16:17]
	s_waitcnt lgkmcnt(0)
	s_barrier
.LBB109_267:                            ;   in Loop: Header=BB109_16 Depth=1
	s_or_b32 s40, s80, s48
	s_or_b32 s41, s27, s48
	s_mov_b64 s[16:17], 0
	s_mov_b32 s49, 8
	s_branch .LBB109_269
.LBB109_268:                            ;   in Loop: Header=BB109_16 Depth=1
	s_mov_b64 s[16:17], -1
                                        ; implicit-def: $sgpr49
                                        ; implicit-def: $sgpr40
                                        ; implicit-def: $sgpr41
.LBB109_269:                            ;   in Loop: Header=BB109_16 Depth=1
	s_andn2_b64 vcc, exec, s[16:17]
	s_cbranch_vccnz .LBB109_271
; %bb.270:                              ;   in Loop: Header=BB109_16 Depth=1
	s_sub_u32 s82, s82, s10
	s_subb_u32 s83, s83, s11
	s_mov_b32 s49, 8
	s_mov_b32 s40, s80
	;; [unrolled: 1-line block ×3, first 2 shown]
.LBB109_271:                            ;   in Loop: Header=BB109_16 Depth=1
	s_mov_b64 s[46:47], s[82:83]
	s_mov_b32 s80, s40
	s_mov_b32 s27, s41
.LBB109_272:                            ;   in Loop: Header=BB109_16 Depth=1
	s_mov_b64 s[44:45], exec
.LBB109_273:                            ;   in Loop: Header=BB109_16 Depth=1
	s_or_b64 exec, exec, s[42:43]
	s_mov_b64 s[82:83], s[46:47]
.LBB109_274:                            ;   in Loop: Header=BB109_16 Depth=1
	s_andn2_b64 s[10:11], s[28:29], exec
	s_and_b64 s[6:7], s[6:7], exec
	s_or_b64 s[28:29], s[10:11], s[6:7]
	s_andn2_b64 s[6:7], s[34:35], exec
	s_and_b64 s[10:11], s[38:39], exec
	s_or_b64 s[34:35], s[6:7], s[10:11]
	;; [unrolled: 3-line block ×3, first 2 shown]
	s_and_b64 s[8:9], s[44:45], exec
.LBB109_275:                            ;   in Loop: Header=BB109_16 Depth=1
	s_or_b64 exec, exec, s[36:37]
.LBB109_276:                            ;   in Loop: Header=BB109_16 Depth=1
	s_andn2_b64 s[6:7], s[20:21], exec
	s_and_b64 s[10:11], s[28:29], exec
	s_or_b64 s[20:21], s[6:7], s[10:11]
	s_andn2_b64 s[6:7], s[22:23], exec
	s_and_b64 s[10:11], s[34:35], exec
	s_or_b64 s[22:23], s[6:7], s[10:11]
	;; [unrolled: 3-line block ×3, first 2 shown]
	s_and_b64 s[8:9], s[8:9], exec
.LBB109_277:                            ;   in Loop: Header=BB109_16 Depth=1
	s_or_b64 exec, exec, s[24:25]
	s_and_saveexec_b64 s[6:7], s[8:9]
	s_xor_b64 s[6:7], exec, s[6:7]
	s_cbranch_execz .LBB109_14
.LBB109_278:                            ;   in Loop: Header=BB109_16 Depth=1
	s_and_b32 s8, s49, -9
	s_cmp_eq_u32 s8, 0
	s_cbranch_scc1 .LBB109_12
; %bb.279:                              ;   in Loop: Header=BB109_16 Depth=1
	s_mov_b64 s[8:9], -1
                                        ; implicit-def: $sgpr27
                                        ; implicit-def: $sgpr82_sgpr83
                                        ; implicit-def: $sgpr3
                                        ; implicit-def: $sgpr26
	s_mov_b64 s[10:11], -1
	s_branch .LBB109_13
.LBB109_280:                            ;   in Loop: Header=BB109_16 Depth=1
                                        ; implicit-def: $vgpr2_vgpr3
	s_branch .LBB109_232
.LBB109_281:                            ;   in Loop: Header=BB109_16 Depth=1
                                        ; implicit-def: $vgpr2_vgpr3
	s_branch .LBB109_249
.LBB109_282:
	s_or_b64 exec, exec, s[94:95]
	s_xor_b64 s[8:9], s[76:77], -1
	s_xor_b64 s[0:1], s[56:57], -1
	;; [unrolled: 1-line block ×3, first 2 shown]
	s_mov_b64 s[4:5], 0
	s_and_saveexec_b64 s[2:3], s[0:1]
	s_xor_b64 s[0:1], exec, s[2:3]
	s_cbranch_execnz .LBB109_287
; %bb.283:
	s_andn2_saveexec_b64 s[0:1], s[0:1]
	s_cbranch_execnz .LBB109_300
.LBB109_284:
	s_or_b64 exec, exec, s[0:1]
	s_and_saveexec_b64 s[0:1], s[4:5]
.LBB109_285:
	; divergent unreachable
.LBB109_286:
	s_endpgm
.LBB109_287:
	s_and_saveexec_b64 s[2:3], s[8:9]
	s_xor_b64 s[4:5], exec, s[2:3]
	s_cbranch_execz .LBB109_298
; %bb.288:
	s_and_saveexec_b64 s[2:3], s[6:7]
	s_xor_b64 s[6:7], exec, s[2:3]
; %bb.289:
	v_xor_b32_e32 v32, 0xffff8000, v2
; %bb.290:
	s_or_b64 exec, exec, s[6:7]
	v_readlane_b32 s6, v42, 2
	v_readlane_b32 s2, v42, 0
	v_readlane_b32 s7, v42, 3
	v_readlane_b32 s3, v42, 1
	s_mov_b32 s8, s2
	s_mul_i32 s2, s2, s7
	s_mul_hi_u32 s3, s8, s6
	s_add_i32 s3, s3, s2
	s_mul_i32 s2, s8, s6
	v_readlane_b32 s18, v42, 22
	v_readlane_b32 s12, v42, 18
	s_sub_u32 s2, s18, s2
	v_readlane_b32 s14, v42, 20
	v_readlane_b32 s15, v42, 21
	s_subb_u32 s3, 0, s3
	s_mul_i32 s6, s2, s15
	s_mul_hi_u32 s7, s2, s14
	v_readlane_b32 s13, v42, 19
	s_add_i32 s6, s7, s6
	s_mul_i32 s3, s3, s14
	s_add_i32 s3, s6, s3
	s_mul_i32 s6, s8, s13
	s_mul_hi_u32 s7, s8, s12
	s_add_i32 s7, s7, s6
	s_mul_i32 s6, s8, s12
	s_lshl_b64 s[6:7], s[6:7], 1
	v_readlane_b32 s8, v42, 12
	s_mul_i32 s2, s2, s14
	v_readlane_b32 s9, v42, 13
	s_add_u32 s6, s8, s6
	s_addc_u32 s7, s9, s7
	s_lshl_b64 s[2:3], s[2:3], 1
	s_add_u32 s2, s6, s2
	s_addc_u32 s3, s7, s3
	v_mov_b32_e32 v2, 0
	v_readlane_b32 s19, v42, 23
	global_store_short v2, v32, s[2:3]
	s_mov_b64 s[6:7], exec
	v_readlane_b32 s2, v42, 24
	v_readlane_b32 s3, v42, 25
	s_and_b64 s[2:3], s[6:7], s[2:3]
	s_mov_b64 exec, s[2:3]
	s_cbranch_execz .LBB109_297
; %bb.291:
	s_mov_b64 s[2:3], 0
	v_mov_b32_e32 v4, s84
                                        ; implicit-def: $sgpr8_sgpr9
                                        ; implicit-def: $sgpr12_sgpr13
                                        ; implicit-def: $sgpr10_sgpr11
	s_branch .LBB109_293
.LBB109_292:                            ;   in Loop: Header=BB109_293 Depth=1
	s_or_b64 exec, exec, s[14:15]
	s_and_b64 s[14:15], exec, s[12:13]
	s_or_b64 s[2:3], s[14:15], s[2:3]
	s_andn2_b64 s[8:9], s[8:9], exec
	s_and_b64 s[14:15], s[10:11], exec
	s_or_b64 s[8:9], s[8:9], s[14:15]
	s_andn2_b64 exec, exec, s[2:3]
	s_cbranch_execz .LBB109_295
.LBB109_293:                            ; =>This Inner Loop Header: Depth=1
	v_pk_mov_b32 v[2:3], v[0:1], v[0:1] op_sel:[0,1]
	v_mul_lo_u32 v5, v3, s68
	v_mul_lo_u32 v6, v2, s69
	v_mad_u64_u32 v[0:1], s[14:15], v2, s68, 0
	v_add3_u32 v1, v1, v6, v5
	v_lshlrev_b64 v[0:1], 1, v[0:1]
	v_add_co_u32_e32 v0, vcc, s33, v0
	v_addc_co_u32_e32 v1, vcc, v4, v1, vcc
	global_load_ushort v0, v[0:1], off
	s_or_b64 s[10:11], s[10:11], exec
	s_or_b64 s[12:13], s[12:13], exec
	s_waitcnt vmcnt(0)
	v_cmp_ne_u16_e32 vcc, v0, v32
                                        ; implicit-def: $vgpr0_vgpr1
	s_and_saveexec_b64 s[14:15], vcc
	s_cbranch_execz .LBB109_292
; %bb.294:                              ;   in Loop: Header=BB109_293 Depth=1
	v_mov_b32_e32 v1, s54
	v_add_co_u32_e32 v0, vcc, s55, v2
	v_addc_co_u32_e32 v1, vcc, v3, v1, vcc
	v_cmp_le_u64_e32 vcc, s[52:53], v[0:1]
	s_andn2_b64 s[12:13], s[12:13], exec
	s_and_b64 s[16:17], vcc, exec
	s_andn2_b64 s[10:11], s[10:11], exec
	s_or_b64 s[12:13], s[12:13], s[16:17]
	s_branch .LBB109_292
.LBB109_295:
	s_or_b64 exec, exec, s[2:3]
	s_and_saveexec_b64 s[2:3], s[8:9]
	s_xor_b64 s[2:3], exec, s[2:3]
	s_cbranch_execz .LBB109_297
; %bb.296:
	v_readlane_b32 s8, v42, 6
	v_readlane_b32 s2, v42, 4
	;; [unrolled: 1-line block ×4, first 2 shown]
	s_mov_b32 s10, s2
	s_mul_i32 s2, s2, s9
	s_mul_hi_u32 s3, s10, s8
	s_add_i32 s3, s3, s2
	s_mul_i32 s2, s10, s8
	v_readlane_b32 s12, v42, 14
	s_sub_u32 s2, s18, s2
	v_readlane_b32 s14, v42, 16
	v_readlane_b32 s15, v42, 17
	s_subb_u32 s3, 0, s3
	s_mul_i32 s8, s2, s15
	s_mul_hi_u32 s9, s2, s14
	v_readlane_b32 s13, v42, 15
	s_add_i32 s8, s9, s8
	s_mul_i32 s3, s3, s14
	s_add_i32 s3, s8, s3
	s_mul_i32 s8, s10, s13
	s_mul_hi_u32 s9, s10, s12
	s_add_i32 s9, s9, s8
	s_mul_i32 s8, s10, s12
	s_lshl_b64 s[8:9], s[8:9], 3
	v_readlane_b32 s10, v42, 10
	s_mul_i32 s2, s2, s14
	v_readlane_b32 s11, v42, 11
	s_add_u32 s8, s10, s8
	s_addc_u32 s9, s11, s9
	s_lshl_b64 s[2:3], s[2:3], 3
	s_add_u32 s2, s8, s2
	s_addc_u32 s3, s9, s3
	v_mov_b32_e32 v0, 0
	global_store_dwordx2 v0, v[2:3], s[2:3]
.LBB109_297:
	s_or_b64 exec, exec, s[6:7]
.LBB109_298:
	s_or_saveexec_b64 s[2:3], s[4:5]
	s_mov_b64 s[4:5], 0
	s_xor_b64 exec, exec, s[2:3]
	s_cbranch_execnz .LBB109_301
.LBB109_299:
	s_or_b64 exec, exec, s[2:3]
	s_and_b64 s[4:5], s[4:5], exec
	s_andn2_saveexec_b64 s[0:1], s[0:1]
	s_cbranch_execz .LBB109_284
.LBB109_300:
	s_or_b64 s[4:5], s[4:5], exec
	s_trap 2
	s_or_b64 exec, exec, s[0:1]
	s_and_saveexec_b64 s[0:1], s[4:5]
	s_cbranch_execnz .LBB109_285
	s_branch .LBB109_286
.LBB109_301:
	s_mov_b64 s[4:5], exec
	s_trap 2
	s_branch .LBB109_299
	.section	.rodata,"a",@progbits
	.p2align	6, 0x0
	.amdhsa_kernel _ZN2at6native12_GLOBAL__N_112gatherMedianIsmLi2EEEvNS_4cuda6detail10TensorInfoIT_T0_EENS5_IlS7_EENS5_IKS6_S7_EES7_S7_S7_b
		.amdhsa_group_segment_fixed_size 5152
		.amdhsa_private_segment_fixed_size 0
		.amdhsa_kernarg_size 1536
		.amdhsa_user_sgpr_count 6
		.amdhsa_user_sgpr_private_segment_buffer 1
		.amdhsa_user_sgpr_dispatch_ptr 0
		.amdhsa_user_sgpr_queue_ptr 0
		.amdhsa_user_sgpr_kernarg_segment_ptr 1
		.amdhsa_user_sgpr_dispatch_id 0
		.amdhsa_user_sgpr_flat_scratch_init 0
		.amdhsa_user_sgpr_kernarg_preload_length 0
		.amdhsa_user_sgpr_kernarg_preload_offset 0
		.amdhsa_user_sgpr_private_segment_size 0
		.amdhsa_uses_dynamic_stack 0
		.amdhsa_system_sgpr_private_segment_wavefront_offset 0
		.amdhsa_system_sgpr_workgroup_id_x 1
		.amdhsa_system_sgpr_workgroup_id_y 1
		.amdhsa_system_sgpr_workgroup_id_z 1
		.amdhsa_system_sgpr_workgroup_info 0
		.amdhsa_system_vgpr_workitem_id 0
		.amdhsa_next_free_vgpr 43
		.amdhsa_next_free_sgpr 96
		.amdhsa_accum_offset 44
		.amdhsa_reserve_vcc 1
		.amdhsa_reserve_flat_scratch 0
		.amdhsa_float_round_mode_32 0
		.amdhsa_float_round_mode_16_64 0
		.amdhsa_float_denorm_mode_32 3
		.amdhsa_float_denorm_mode_16_64 3
		.amdhsa_dx10_clamp 1
		.amdhsa_ieee_mode 1
		.amdhsa_fp16_overflow 0
		.amdhsa_tg_split 0
		.amdhsa_exception_fp_ieee_invalid_op 0
		.amdhsa_exception_fp_denorm_src 0
		.amdhsa_exception_fp_ieee_div_zero 0
		.amdhsa_exception_fp_ieee_overflow 0
		.amdhsa_exception_fp_ieee_underflow 0
		.amdhsa_exception_fp_ieee_inexact 0
		.amdhsa_exception_int_div_zero 0
	.end_amdhsa_kernel
	.section	.text._ZN2at6native12_GLOBAL__N_112gatherMedianIsmLi2EEEvNS_4cuda6detail10TensorInfoIT_T0_EENS5_IlS7_EENS5_IKS6_S7_EES7_S7_S7_b,"axG",@progbits,_ZN2at6native12_GLOBAL__N_112gatherMedianIsmLi2EEEvNS_4cuda6detail10TensorInfoIT_T0_EENS5_IlS7_EENS5_IKS6_S7_EES7_S7_S7_b,comdat
.Lfunc_end109:
	.size	_ZN2at6native12_GLOBAL__N_112gatherMedianIsmLi2EEEvNS_4cuda6detail10TensorInfoIT_T0_EENS5_IlS7_EENS5_IKS6_S7_EES7_S7_S7_b, .Lfunc_end109-_ZN2at6native12_GLOBAL__N_112gatherMedianIsmLi2EEEvNS_4cuda6detail10TensorInfoIT_T0_EENS5_IlS7_EENS5_IKS6_S7_EES7_S7_S7_b
                                        ; -- End function
	.section	.AMDGPU.csdata,"",@progbits
; Kernel info:
; codeLenInByte = 15912
; NumSgprs: 100
; NumVgprs: 43
; NumAgprs: 0
; TotalNumVgprs: 43
; ScratchSize: 0
; MemoryBound: 0
; FloatMode: 240
; IeeeMode: 1
; LDSByteSize: 5152 bytes/workgroup (compile time only)
; SGPRBlocks: 12
; VGPRBlocks: 5
; NumSGPRsForWavesPerEU: 100
; NumVGPRsForWavesPerEU: 43
; AccumOffset: 44
; Occupancy: 8
; WaveLimiterHint : 1
; COMPUTE_PGM_RSRC2:SCRATCH_EN: 0
; COMPUTE_PGM_RSRC2:USER_SGPR: 6
; COMPUTE_PGM_RSRC2:TRAP_HANDLER: 0
; COMPUTE_PGM_RSRC2:TGID_X_EN: 1
; COMPUTE_PGM_RSRC2:TGID_Y_EN: 1
; COMPUTE_PGM_RSRC2:TGID_Z_EN: 1
; COMPUTE_PGM_RSRC2:TIDIG_COMP_CNT: 0
; COMPUTE_PGM_RSRC3_GFX90A:ACCUM_OFFSET: 10
; COMPUTE_PGM_RSRC3_GFX90A:TG_SPLIT: 0
	.section	.text._ZN2at6native12_GLOBAL__N_112gatherMedianIsmLi3EEEvNS_4cuda6detail10TensorInfoIT_T0_EENS5_IlS7_EENS5_IKS6_S7_EES7_S7_S7_b,"axG",@progbits,_ZN2at6native12_GLOBAL__N_112gatherMedianIsmLi3EEEvNS_4cuda6detail10TensorInfoIT_T0_EENS5_IlS7_EENS5_IKS6_S7_EES7_S7_S7_b,comdat
	.globl	_ZN2at6native12_GLOBAL__N_112gatherMedianIsmLi3EEEvNS_4cuda6detail10TensorInfoIT_T0_EENS5_IlS7_EENS5_IKS6_S7_EES7_S7_S7_b ; -- Begin function _ZN2at6native12_GLOBAL__N_112gatherMedianIsmLi3EEEvNS_4cuda6detail10TensorInfoIT_T0_EENS5_IlS7_EENS5_IKS6_S7_EES7_S7_S7_b
	.p2align	8
	.type	_ZN2at6native12_GLOBAL__N_112gatherMedianIsmLi3EEEvNS_4cuda6detail10TensorInfoIT_T0_EENS5_IlS7_EENS5_IKS6_S7_EES7_S7_S7_b,@function
_ZN2at6native12_GLOBAL__N_112gatherMedianIsmLi3EEEvNS_4cuda6detail10TensorInfoIT_T0_EENS5_IlS7_EENS5_IKS6_S7_EES7_S7_S7_b: ; @_ZN2at6native12_GLOBAL__N_112gatherMedianIsmLi3EEEvNS_4cuda6detail10TensorInfoIT_T0_EENS5_IlS7_EENS5_IKS6_S7_EES7_S7_S7_b
; %bb.0:
	s_load_dwordx4 s[52:55], s[4:5], 0x4e0
	s_load_dwordx2 s[16:17], s[4:5], 0x500
	s_add_u32 s18, s4, 0x500
	s_addc_u32 s19, s5, 0
	s_mov_b32 s31, 0
	s_waitcnt lgkmcnt(0)
	v_mov_b32_e32 v2, s54
	s_mul_i32 s0, s17, s8
	s_add_i32 s0, s0, s7
	s_mul_i32 s0, s0, s16
	v_mov_b32_e32 v3, s55
	s_add_i32 s30, s0, s6
	v_cmp_ge_u64_e32 vcc, s[30:31], v[2:3]
	s_cbranch_vccnz .LBB110_292
; %bb.1:
	s_load_dwordx4 s[8:11], s[4:5], 0x10
	s_mov_b64 s[0:1], 0
                                        ; implicit-def: $vgpr42 : SGPR spill to VGPR lane
	v_writelane_b32 v42, s0, 0
	v_writelane_b32 v42, s1, 1
	s_waitcnt lgkmcnt(0)
	v_pk_mov_b32 v[2:3], s[10:11], s[10:11] op_sel:[0,1]
	v_cmp_lt_u64_e32 vcc, s[30:31], v[2:3]
	s_mov_b64 s[0:1], 0
	s_cbranch_vccnz .LBB110_3
; %bb.2:
	v_cvt_f32_u32_e32 v1, s10
	s_sub_i32 s0, 0, s10
	s_mov_b32 s13, 0
	v_rcp_iflag_f32_e32 v1, v1
	v_mul_f32_e32 v1, 0x4f7ffffe, v1
	v_cvt_u32_f32_e32 v1, v1
	v_readfirstlane_b32 s1, v1
	s_mul_i32 s0, s0, s1
	s_mul_hi_u32 s0, s1, s0
	s_add_i32 s1, s1, s0
	s_mul_hi_u32 s0, s30, s1
	s_mul_i32 s2, s0, s10
	s_sub_i32 s2, s30, s2
	s_add_i32 s1, s0, 1
	s_sub_i32 s3, s2, s10
	s_cmp_ge_u32 s2, s10
	s_cselect_b32 s0, s1, s0
	s_cselect_b32 s2, s3, s2
	s_add_i32 s1, s0, 1
	s_cmp_ge_u32 s2, s10
	s_cselect_b32 s12, s1, s0
	s_mov_b64 s[0:1], s[12:13]
.LBB110_3:
	s_mov_b64 s[12:13], s[0:1]
	s_load_dwordx4 s[0:3], s[4:5], 0x1b0
	v_writelane_b32 v42, s12, 2
	v_writelane_b32 v42, s13, 3
	v_pk_mov_b32 v[2:3], s[8:9], s[8:9] op_sel:[0,1]
	v_cmp_lt_u64_e32 vcc, s[12:13], v[2:3]
	s_waitcnt lgkmcnt(0)
	v_writelane_b32 v42, s0, 4
	v_writelane_b32 v42, s1, 5
	;; [unrolled: 1-line block ×4, first 2 shown]
	s_cbranch_vccnz .LBB110_5
; %bb.4:
	v_cvt_f32_u32_e32 v1, s8
	s_sub_i32 s0, 0, s8
	v_readlane_b32 s12, v42, 2
	v_readlane_b32 s13, v42, 3
	v_rcp_iflag_f32_e32 v1, v1
	v_mul_f32_e32 v1, 0x4f7ffffe, v1
	v_cvt_u32_f32_e32 v1, v1
	v_readfirstlane_b32 s1, v1
	s_mul_i32 s0, s0, s1
	s_mul_hi_u32 s0, s1, s0
	s_add_i32 s1, s1, s0
	s_mul_hi_u32 s0, s12, s1
	s_mul_i32 s2, s0, s8
	s_sub_i32 s2, s12, s2
	s_add_i32 s1, s0, 1
	s_sub_i32 s3, s2, s8
	s_cmp_ge_u32 s2, s8
	s_cselect_b32 s0, s1, s0
	s_cselect_b32 s2, s3, s2
	s_add_i32 s1, s0, 1
	s_cmp_ge_u32 s2, s8
	s_cselect_b32 s0, s1, s0
	v_writelane_b32 v42, s0, 0
	v_writelane_b32 v42, s1, 1
	s_load_dwordx4 s[0:3], s[4:5], 0x1b0
.LBB110_5:
	v_writelane_b32 v42, s8, 8
	s_waitcnt lgkmcnt(0)
	v_pk_mov_b32 v[2:3], s[2:3], s[2:3] op_sel:[0,1]
	v_writelane_b32 v42, s9, 9
	v_cmp_lt_u64_e32 vcc, s[30:31], v[2:3]
	v_writelane_b32 v42, s10, 10
	s_mov_b64 s[14:15], 0
	s_mov_b64 s[12:13], 0
	v_writelane_b32 v42, s11, 11
	s_cbranch_vccnz .LBB110_7
; %bb.6:
	v_cvt_f32_u32_e32 v1, s2
	s_load_dwordx4 s[0:3], s[4:5], 0x1b0
	s_load_dwordx4 s[8:11], s[4:5], 0x1b0
	s_mov_b32 s13, 0
	v_rcp_iflag_f32_e32 v1, v1
	s_waitcnt lgkmcnt(0)
	s_sub_i32 s0, 0, s2
	v_mul_f32_e32 v1, 0x4f7ffffe, v1
	v_cvt_u32_f32_e32 v1, v1
	v_readfirstlane_b32 s1, v1
	s_mul_i32 s0, s0, s1
	s_mul_hi_u32 s0, s1, s0
	s_add_i32 s1, s1, s0
	s_mul_hi_u32 s0, s30, s1
	s_mul_i32 s2, s0, s10
	s_load_dwordx4 s[8:11], s[4:5], 0x1b0
	s_sub_i32 s2, s30, s2
	s_add_i32 s1, s0, 1
	s_waitcnt lgkmcnt(0)
	s_sub_i32 s3, s2, s10
	s_load_dwordx4 s[8:11], s[4:5], 0x1b0
	s_waitcnt lgkmcnt(0)
	s_cmp_ge_u32 s2, s10
	s_load_dwordx4 s[8:11], s[4:5], 0x1b0
	s_cselect_b32 s0, s1, s0
	s_cselect_b32 s2, s3, s2
	s_add_i32 s1, s0, 1
	s_waitcnt lgkmcnt(0)
	s_cmp_ge_u32 s2, s10
	s_cselect_b32 s12, s1, s0
	s_load_dwordx4 s[0:3], s[4:5], 0x1b0
.LBB110_7:
	s_load_dwordx4 s[8:11], s[4:5], 0x350
	s_waitcnt lgkmcnt(0)
	v_pk_mov_b32 v[2:3], s[0:1], s[0:1] op_sel:[0,1]
	v_writelane_b32 v42, s12, 12
	v_cmp_lt_u64_e32 vcc, s[12:13], v[2:3]
	v_writelane_b32 v42, s13, 13
	s_cbranch_vccnz .LBB110_9
; %bb.8:
	s_load_dwordx4 s[12:15], s[4:5], 0x1b0
	s_waitcnt lgkmcnt(0)
	v_readlane_b32 s14, v42, 12
	v_readlane_b32 s15, v42, 13
	v_cvt_f32_u32_e32 v1, s12
	s_sub_i32 s0, 0, s12
	v_rcp_iflag_f32_e32 v1, v1
	v_mul_f32_e32 v1, 0x4f7ffffe, v1
	v_cvt_u32_f32_e32 v1, v1
	v_readfirstlane_b32 s1, v1
	s_mul_i32 s0, s0, s1
	s_mul_hi_u32 s0, s1, s0
	s_add_i32 s1, s1, s0
	s_mul_hi_u32 s0, s14, s1
	s_mul_i32 s2, s0, s12
	s_sub_i32 s2, s14, s2
	s_add_i32 s1, s0, 1
	s_sub_i32 s3, s2, s12
	s_cmp_ge_u32 s2, s12
	s_cselect_b32 s0, s1, s0
	s_cselect_b32 s2, s3, s2
	s_add_i32 s1, s0, 1
	s_cmp_ge_u32 s2, s12
	s_cselect_b32 s14, s1, s0
.LBB110_9:
	s_load_dwordx2 s[80:81], s[4:5], 0x4f0
	v_pk_mov_b32 v[2:3], s[10:11], s[10:11] op_sel:[0,1]
	v_cmp_lt_u64_e32 vcc, s[30:31], v[2:3]
	v_writelane_b32 v42, s14, 14
	s_mov_b64 s[2:3], 0
	s_mov_b64 s[20:21], 0
	v_writelane_b32 v42, s15, 15
	s_cbranch_vccnz .LBB110_11
; %bb.10:
	v_cvt_f32_u32_e32 v1, s10
	s_sub_i32 s0, 0, s10
	s_mov_b32 s21, 0
	v_rcp_iflag_f32_e32 v1, v1
	v_mul_f32_e32 v1, 0x4f7ffffe, v1
	v_cvt_u32_f32_e32 v1, v1
	v_readfirstlane_b32 s1, v1
	s_mul_i32 s0, s0, s1
	s_mul_hi_u32 s0, s1, s0
	s_add_i32 s1, s1, s0
	s_mul_hi_u32 s0, s30, s1
	s_mul_i32 s3, s0, s10
	s_sub_i32 s3, s30, s3
	s_add_i32 s1, s0, 1
	s_sub_i32 s7, s3, s10
	s_cmp_ge_u32 s3, s10
	s_cselect_b32 s0, s1, s0
	s_cselect_b32 s3, s7, s3
	s_add_i32 s1, s0, 1
	s_cmp_ge_u32 s3, s10
	s_cselect_b32 s20, s1, s0
.LBB110_11:
	s_load_dwordx2 s[22:23], s[4:5], 0x420
	s_load_dwordx4 s[12:15], s[4:5], 0x410
	v_pk_mov_b32 v[2:3], s[8:9], s[8:9] op_sel:[0,1]
	v_cmp_lt_u64_e32 vcc, s[20:21], v[2:3]
	s_cbranch_vccnz .LBB110_13
; %bb.12:
	v_cvt_f32_u32_e32 v1, s8
	s_sub_i32 s0, 0, s8
	v_rcp_iflag_f32_e32 v1, v1
	v_mul_f32_e32 v1, 0x4f7ffffe, v1
	v_cvt_u32_f32_e32 v1, v1
	v_readfirstlane_b32 s1, v1
	s_mul_i32 s0, s0, s1
	s_mul_hi_u32 s0, s1, s0
	s_add_i32 s1, s1, s0
	s_mul_hi_u32 s0, s20, s1
	s_mul_i32 s2, s0, s8
	s_sub_i32 s2, s20, s2
	s_add_i32 s1, s0, 1
	s_sub_i32 s3, s2, s8
	s_cmp_ge_u32 s2, s8
	s_cselect_b32 s0, s1, s0
	s_cselect_b32 s2, s3, s2
	s_add_i32 s1, s0, 1
	s_cmp_ge_u32 s2, s8
	s_cselect_b32 s2, s1, s0
.LBB110_13:
	s_load_dwordx2 s[0:1], s[4:5], 0x280
	s_load_dwordx4 s[24:27], s[4:5], 0x270
	s_waitcnt lgkmcnt(0)
	v_writelane_b32 v42, s0, 16
	v_writelane_b32 v42, s1, 17
	;; [unrolled: 1-line block ×4, first 2 shown]
	s_load_dwordx2 s[0:1], s[4:5], 0xe0
	v_writelane_b32 v42, s26, 20
	v_writelane_b32 v42, s27, 21
	s_load_dwordx4 s[24:27], s[4:5], 0xd0
	s_waitcnt lgkmcnt(0)
	v_writelane_b32 v42, s0, 22
	v_writelane_b32 v42, s1, 23
	v_cmp_eq_u32_e64 s[0:1], 0, v0
	v_writelane_b32 v42, s24, 24
	v_writelane_b32 v42, s25, 25
	;; [unrolled: 1-line block ×4, first 2 shown]
	s_load_dwordx2 s[24:25], s[4:5], 0x340
	s_mov_b64 s[26:27], exec
	v_writelane_b32 v42, s0, 28
	v_writelane_b32 v42, s1, 29
	s_and_b64 s[0:1], s[26:27], s[0:1]
	s_mov_b64 exec, s[0:1]
	s_cbranch_execz .LBB110_15
; %bb.14:
	v_mov_b32_e32 v2, 0
	v_mov_b32_e32 v3, v2
	ds_write_b64 v2, v[2:3] offset:5136
.LBB110_15:
	s_or_b64 exec, exec, s[26:27]
	s_load_dwordx2 s[0:1], s[4:5], 0x1a0
	v_mov_b32_e32 v11, 0
	s_waitcnt lgkmcnt(0)
	s_barrier
	v_writelane_b32 v42, s0, 30
	s_barrier
	ds_read_b64 v[2:3], v11 offset:5136
	v_writelane_b32 v42, s1, 31
	s_load_dwordx2 s[0:1], s[4:5], 0x0
	s_waitcnt lgkmcnt(0)
	v_readfirstlane_b32 s26, v2
	v_readfirstlane_b32 s27, v3
	v_writelane_b32 v42, s0, 32
	v_writelane_b32 v42, s1, 33
	s_mov_b64 s[28:29], exec
	v_readlane_b32 s0, v42, 28
	v_readlane_b32 s1, v42, 29
	s_and_b64 s[0:1], s[28:29], s[0:1]
	s_mov_b64 exec, s[0:1]
	s_cbranch_execz .LBB110_17
; %bb.16:
	v_mov_b32_e32 v2, 0
	v_mov_b32_e32 v4, s52
	v_mov_b32_e32 v5, s53
	v_mov_b32_e32 v3, v2
	ds_write_b32 v2, v2 offset:5144
	ds_write_b128 v2, v[2:5] offset:5120
.LBB110_17:
	s_or_b64 exec, exec, s[28:29]
	s_load_dword s3, s[4:5], 0x4f8
	v_cmp_lt_i64_e64 s[0:1], s[26:27], 1
	s_mul_i32 s7, s20, s11
	v_mov_b32_e32 v1, 0
	v_mbcnt_lo_u32_b32 v2, -1, 0
	s_waitcnt lgkmcnt(0)
	s_bitcmp1_b32 s3, 0
	s_cselect_b64 s[4:5], -1, 0
	s_not_b64 s[26:27], s[26:27]
	s_or_b64 s[0:1], s[4:5], s[0:1]
	s_add_u32 s4, s26, s52
	s_addc_u32 s5, s27, s53
	s_lshr_b64 s[4:5], s[4:5], 1
	s_add_u32 s3, s4, 1
	s_addc_u32 s4, s5, 0
	s_and_b64 s[0:1], s[0:1], exec
	s_mul_hi_u32 s0, s20, s10
	s_cselect_b32 s93, s4, s53
	s_cselect_b32 s92, s3, s52
	s_add_i32 s0, s0, s7
	s_mul_i32 s1, s20, s10
	s_mov_b32 s4, s30
	v_writelane_b32 v42, s4, 34
	s_sub_u32 s3, s30, s1
	v_writelane_b32 v42, s5, 35
	s_subb_u32 s0, 0, s0
	s_mul_i32 s1, s3, s23
	s_mul_hi_u32 s4, s3, s22
	s_add_i32 s1, s4, s1
	s_mul_i32 s0, s0, s22
	s_add_i32 s1, s1, s0
	s_mul_i32 s0, s3, s22
	s_mul_i32 s3, s2, s9
	s_mul_hi_u32 s4, s2, s8
	s_add_i32 s4, s4, s3
	s_mul_i32 s3, s2, s8
	s_sub_u32 s3, s20, s3
	s_subb_u32 s4, s21, s4
	s_mul_i32 s5, s3, s15
	s_mul_hi_u32 s7, s3, s14
	s_add_i32 s5, s7, s5
	s_mul_i32 s4, s4, s14
	s_add_i32 s5, s5, s4
	s_mul_i32 s4, s3, s14
	s_mul_i32 s3, s2, s13
	s_mul_hi_u32 s7, s2, s12
	s_add_i32 s3, s7, s3
	s_mul_i32 s2, s2, s12
	s_lshl_b64 s[2:3], s[2:3], 1
	s_add_u32 s7, s24, s2
	s_addc_u32 s8, s25, s3
	s_lshl_b64 s[2:3], s[4:5], 1
	s_add_u32 s2, s7, s2
	s_addc_u32 s3, s8, s3
	;; [unrolled: 3-line block ×3, first 2 shown]
	v_cmp_gt_u64_e64 s[0:1], s[52:53], v[0:1]
	v_writelane_b32 v42, s0, 36
	v_writelane_b32 v42, s1, 37
	v_mbcnt_hi_u32_b32 v22, -1, v2
	v_cmp_gt_u32_e64 s[0:1], 2, v0
	v_mov_b32_e32 v2, 0x600
	v_writelane_b32 v42, s0, 38
	v_mov_b32_e32 v3, 0
	v_writelane_b32 v42, s1, 39
	v_cmp_gt_u64_e64 s[0:1], s[52:53], v[2:3]
	v_writelane_b32 v42, s0, 40
	v_writelane_b32 v42, s1, 41
	v_mad_u64_u32 v[2:3], s[0:1], v0, s80, 0
	v_mov_b32_e32 v4, v3
	v_mad_u64_u32 v[4:5], s[0:1], v0, s81, v[4:5]
	s_barrier
	s_load_dword s0, s[18:19], 0xc
	v_cmp_gt_u32_e32 vcc, 64, v0
	v_cmp_gt_i32_e64 s[8:9], 4, v22
	s_and_b64 s[66:67], vcc, s[8:9]
	v_mov_b32_e32 v3, v4
	s_waitcnt lgkmcnt(0)
	s_and_b32 s55, s0, 0xffff
	s_bfe_u32 s2, s0, 0xa0006
	v_cmp_gt_u16_e64 s[0:1], s0, 63
	v_writelane_b32 v42, s0, 42
	s_add_u32 s95, s55, -1
	v_writelane_b32 v42, s1, 43
	s_addc_u32 s0, 0, -1
	s_add_u32 s1, s95, s52
	s_addc_u32 s83, s0, s53
	s_cmp_lt_u32 s6, s16
	v_writelane_b32 v42, s0, 44
	s_cselect_b32 s0, 12, 18
	s_add_u32 s64, s18, s0
	s_addc_u32 s65, s19, 0
	s_add_i32 s0, s2, -1
	s_bfe_u32 s3, s55, 0x30006
	s_cmp_gt_u32 s0, 6
	s_cselect_b64 s[6:7], -1, 0
	v_lshlrev_b64 v[2:3], 1, v[2:3]
	v_writelane_b32 v42, s6, 45
	s_and_b32 s85, s2, 0x3f8
	v_add_co_u32_e32 v12, vcc, s33, v2
	v_lshrrev_b32_e32 v2, 4, v0
	v_writelane_b32 v42, s7, 46
	s_cmp_lg_u32 s3, 0
	v_mov_b32_e32 v25, s84
	v_and_b32_e32 v26, 60, v2
	v_lshlrev_b32_e32 v2, 2, v22
	v_writelane_b32 v42, s3, 47
	s_cselect_b64 s[2:3], -1, 0
	v_addc_co_u32_e32 v13, vcc, v25, v3, vcc
	v_and_b32_e32 v27, 0x100, v2
	v_lshlrev_b64 v[2:3], v22, -1
	v_writelane_b32 v42, s2, 48
	s_mov_b32 s91, 0
	v_lshlrev_b32_e32 v23, 1, v0
	v_not_b32_e32 v16, v2
	v_writelane_b32 v42, s3, 49
	v_mov_b32_e32 v2, 0xc00
	v_cmp_eq_u32_e64 s[4:5], 0, v22
	v_add_u32_e32 v24, 0xc00, v23
	v_lshlrev_b32_e32 v14, 2, v0
	v_mov_b32_e32 v15, v1
	v_not_b32_e32 v17, v3
	s_mov_b32 s54, s91
	v_lshlrev_b32_e32 v28, 3, v0
	v_lshl_or_b32 v29, v22, 3, v2
	s_lshl_b32 s0, s55, 1
	s_mov_b32 s3, 14
	s_mov_b64 s[86:87], 0
	s_mov_b32 s2, 0x8000
	v_mov_b32_e32 v30, 0x4f800000
	v_mov_b32_e32 v31, 0x5040100
	;; [unrolled: 1-line block ×3, first 2 shown]
	s_mov_b32 s26, 0
	s_mov_b32 s94, 0
	;; [unrolled: 1-line block ×3, first 2 shown]
	v_writelane_b32 v42, s66, 50
                                        ; implicit-def: $sgpr70_sgpr71
                                        ; implicit-def: $sgpr78_sgpr79
                                        ; implicit-def: $sgpr74_sgpr75
                                        ; implicit-def: $sgpr68_sgpr69
                                        ; implicit-def: $sgpr56_sgpr57
                                        ; implicit-def: $sgpr58_sgpr59
	v_writelane_b32 v42, s67, 51
	s_branch .LBB110_22
.LBB110_18:                             ;   in Loop: Header=BB110_22 Depth=1
	s_xor_b32 s26, s26, 1
	s_add_i32 s14, s3, -2
	s_cmp_eq_u32 s3, 0
	s_mov_b64 s[8:9], 0
	s_cselect_b64 s[10:11], -1, 0
	s_mov_b32 s3, s14
.LBB110_19:                             ;   in Loop: Header=BB110_22 Depth=1
	s_andn2_b64 s[14:15], s[20:21], exec
	s_and_b64 s[8:9], s[8:9], exec
	s_or_b64 s[20:21], s[14:15], s[8:9]
	s_andn2_b64 s[22:23], s[22:23], exec
	s_andn2_b64 s[18:19], s[18:19], exec
	s_orn2_b64 s[14:15], s[10:11], exec
.LBB110_20:                             ;   in Loop: Header=BB110_22 Depth=1
	s_or_b64 exec, exec, s[6:7]
	s_andn2_b64 s[6:7], s[58:59], exec
	s_and_b64 s[8:9], s[20:21], exec
	s_or_b64 s[58:59], s[6:7], s[8:9]
	s_andn2_b64 s[6:7], s[56:57], exec
	s_and_b64 s[8:9], s[22:23], exec
	s_or_b64 s[56:57], s[6:7], s[8:9]
	s_andn2_b64 s[6:7], s[68:69], exec
	s_and_b64 s[8:9], s[18:19], exec
	s_or_b64 s[68:69], s[6:7], s[8:9]
	s_orn2_b64 s[18:19], s[14:15], exec
.LBB110_21:                             ;   in Loop: Header=BB110_22 Depth=1
	s_or_b64 exec, exec, s[12:13]
	s_and_b64 s[6:7], exec, s[18:19]
	s_or_b64 s[86:87], s[6:7], s[86:87]
	s_andn2_b64 s[6:7], s[74:75], exec
	s_and_b64 s[8:9], s[58:59], exec
	s_or_b64 s[74:75], s[6:7], s[8:9]
	s_andn2_b64 s[6:7], s[78:79], exec
	s_and_b64 s[8:9], s[56:57], exec
	;; [unrolled: 3-line block ×3, first 2 shown]
	v_mov_b32_e32 v2, s94
	s_or_b64 s[70:71], s[6:7], s[8:9]
	s_andn2_b64 exec, exec, s[86:87]
	s_cbranch_execz .LBB110_288
.LBB110_22:                             ; =>This Loop Header: Depth=1
                                        ;     Child Loop BB110_27 Depth 2
                                        ;     Child Loop BB110_42 Depth 2
	;; [unrolled: 1-line block ×16, first 2 shown]
	ds_read_b128 v[2:5], v11 offset:5120
	s_waitcnt lgkmcnt(0)
	v_readfirstlane_b32 s73, v3
	v_readfirstlane_b32 s72, v2
	s_cmp_lg_u64 s[72:73], 0
	s_cbranch_scc1 .LBB110_49
; %bb.23:                               ;   in Loop: Header=BB110_22 Depth=1
	v_readlane_b32 s6, v42, 40
	v_readlane_b32 s7, v42, 41
	s_and_b64 vcc, exec, s[6:7]
	s_cbranch_vccz .LBB110_35
; %bb.24:                               ;   in Loop: Header=BB110_22 Depth=1
	s_mov_b64 s[6:7], 0x601
	v_cmp_gt_u64_e32 vcc, s[6:7], v[4:5]
	s_mov_b64 s[72:73], 0
	s_mov_b64 s[6:7], 0
	s_cbranch_vccz .LBB110_36
; %bb.25:                               ;   in Loop: Header=BB110_22 Depth=1
	global_load_ushort v5, v[12:13], off
	global_load_ushort v4, v11, s[64:65]
	s_mov_b64 s[8:9], 0
	v_pk_mov_b32 v[2:3], v[0:1], v[0:1] op_sel:[0,1]
	s_branch .LBB110_27
.LBB110_26:                             ;   in Loop: Header=BB110_27 Depth=2
	s_or_b64 exec, exec, s[6:7]
	s_waitcnt vmcnt(0)
	v_mov_b32_e32 v5, v6
	s_andn2_b64 exec, exec, s[8:9]
	s_cbranch_execz .LBB110_152
.LBB110_27:                             ;   Parent Loop BB110_22 Depth=1
                                        ; =>  This Inner Loop Header: Depth=2
	s_waitcnt vmcnt(0)
	v_add_co_u32_sdwa v2, vcc, v2, v4 dst_sel:DWORD dst_unused:UNUSED_PAD src0_sel:DWORD src1_sel:WORD_0
	v_addc_co_u32_e32 v3, vcc, 0, v3, vcc
	v_cmp_gt_u64_e64 s[6:7], s[52:53], v[2:3]
	v_cmp_le_u64_e32 vcc, s[52:53], v[2:3]
	s_waitcnt lgkmcnt(0)
	v_mov_b32_e32 v7, 0
	v_mov_b32_e32 v6, 0
	s_and_saveexec_b64 s[10:11], s[6:7]
	s_cbranch_execz .LBB110_29
; %bb.28:                               ;   in Loop: Header=BB110_27 Depth=2
	v_mul_lo_u32 v6, v3, s80
	v_mul_lo_u32 v10, v2, s81
	v_mad_u64_u32 v[8:9], s[6:7], v2, s80, 0
	v_add3_u32 v9, v9, v10, v6
	v_lshlrev_b64 v[8:9], 1, v[8:9]
	v_add_co_u32_e64 v8, s[6:7], s33, v8
	v_addc_co_u32_e64 v9, s[6:7], v25, v9, s[6:7]
	global_load_ushort v6, v[8:9], off
.LBB110_29:                             ;   in Loop: Header=BB110_27 Depth=2
	s_or_b64 exec, exec, s[10:11]
	v_add_u32_sdwa v8, sext(v5), s2 dst_sel:DWORD dst_unused:UNUSED_PAD src0_sel:WORD_0 src1_sel:DWORD
	v_and_b32_e32 v8, s27, v8
	v_cmp_eq_u32_e64 s[10:11], s94, v8
	s_cmp_lg_u64 s[10:11], 0
	s_cselect_b64 s[6:7], -1, 0
	s_and_b64 s[6:7], s[4:5], s[6:7]
	s_and_saveexec_b64 s[12:13], s[6:7]
	s_cbranch_execz .LBB110_33
; %bb.30:                               ;   in Loop: Header=BB110_27 Depth=2
	s_mov_b64 s[16:17], exec
	v_mbcnt_lo_u32_b32 v7, s16, 0
	v_mbcnt_hi_u32_b32 v7, s17, v7
	s_bcnt1_i32_b64 s18, s[10:11]
	v_cmp_eq_u32_e64 s[6:7], 0, v7
                                        ; implicit-def: $vgpr8
	s_and_saveexec_b64 s[14:15], s[6:7]
	s_cbranch_execz .LBB110_32
; %bb.31:                               ;   in Loop: Header=BB110_27 Depth=2
	s_bcnt1_i32_b64 s6, s[16:17]
	s_mul_i32 s6, s18, s6
	v_mov_b32_e32 v8, s6
	ds_add_rtn_u32 v8, v11, v8 offset:5144
.LBB110_32:                             ;   in Loop: Header=BB110_27 Depth=2
	s_or_b64 exec, exec, s[14:15]
	s_waitcnt lgkmcnt(0)
	v_readfirstlane_b32 s6, v8
	v_mov_b32_e32 v8, s6
	v_mad_u32_u24 v7, s18, v7, v8
.LBB110_33:                             ;   in Loop: Header=BB110_27 Depth=2
	s_or_b64 exec, exec, s[12:13]
	ds_bpermute_b32 v7, v27, v7
	s_and_b64 s[6:7], exec, vcc
	s_or_b64 s[8:9], s[6:7], s[8:9]
	s_and_saveexec_b64 s[6:7], s[10:11]
	s_cbranch_execz .LBB110_26
; %bb.34:                               ;   in Loop: Header=BB110_27 Depth=2
	v_and_b32_e32 v9, s10, v16
	v_and_b32_e32 v8, s11, v17
	v_bcnt_u32_b32 v9, v9, 0
	v_bcnt_u32_b32 v8, v8, v9
	v_lshlrev_b32_e32 v8, 1, v8
	s_waitcnt lgkmcnt(0)
	v_lshl_add_u32 v7, v7, 1, v8
	ds_write_b16 v7, v5
	s_branch .LBB110_26
.LBB110_35:                             ;   in Loop: Header=BB110_22 Depth=1
	s_mov_b64 s[72:73], -1
	s_mov_b64 s[6:7], 0
.LBB110_36:                             ;   in Loop: Header=BB110_22 Depth=1
	s_and_b64 vcc, exec, s[72:73]
	s_cbranch_vccz .LBB110_47
.LBB110_37:                             ;   in Loop: Header=BB110_22 Depth=1
	v_mov_b32_e32 v4, 0
	s_mov_b64 s[6:7], exec
	v_readlane_b32 s8, v42, 36
	v_readlane_b32 s9, v42, 37
	s_and_b64 s[8:9], s[6:7], s[8:9]
	s_mov_b64 exec, s[8:9]
	s_cbranch_execz .LBB110_39
; %bb.38:                               ;   in Loop: Header=BB110_22 Depth=1
	global_load_ushort v4, v[12:13], off
.LBB110_39:                             ;   in Loop: Header=BB110_22 Depth=1
	s_or_b64 exec, exec, s[6:7]
	s_mov_b64 s[8:9], exec
	v_readlane_b32 s6, v42, 36
	v_readlane_b32 s7, v42, 37
	s_and_b64 s[6:7], s[8:9], s[6:7]
	s_mov_b64 exec, s[6:7]
	s_cbranch_execz .LBB110_44
; %bb.40:                               ;   in Loop: Header=BB110_22 Depth=1
	global_load_ushort v2, v11, s[64:65]
	s_mov_b64 s[10:11], 0
	v_mov_b32_e32 v5, v23
	s_waitcnt vmcnt(0)
	v_and_b32_e32 v6, 0xffff, v2
	v_lshlrev_b32_e32 v7, 1, v6
	v_pk_mov_b32 v[2:3], v[0:1], v[0:1] op_sel:[0,1]
	s_branch .LBB110_42
.LBB110_41:                             ;   in Loop: Header=BB110_42 Depth=2
	s_or_b64 exec, exec, s[12:13]
	s_and_b64 s[6:7], exec, vcc
	s_or_b64 s[10:11], s[6:7], s[10:11]
	ds_write_b16 v5, v4
	v_add_u32_e32 v5, v5, v7
	s_waitcnt vmcnt(0)
	v_mov_b32_e32 v4, v8
	s_andn2_b64 exec, exec, s[10:11]
	s_cbranch_execz .LBB110_44
.LBB110_42:                             ;   Parent Loop BB110_22 Depth=1
                                        ; =>  This Inner Loop Header: Depth=2
	v_add_co_u32_e32 v2, vcc, v2, v6
	v_addc_co_u32_e32 v3, vcc, 0, v3, vcc
	v_cmp_gt_u64_e64 s[6:7], s[52:53], v[2:3]
	v_cmp_le_u64_e32 vcc, s[52:53], v[2:3]
	v_mov_b32_e32 v8, 0
	s_and_saveexec_b64 s[12:13], s[6:7]
	s_cbranch_execz .LBB110_41
; %bb.43:                               ;   in Loop: Header=BB110_42 Depth=2
	v_mul_lo_u32 v10, v3, s80
	v_mul_lo_u32 v18, v2, s81
	v_mad_u64_u32 v[8:9], s[6:7], v2, s80, 0
	v_add3_u32 v9, v9, v18, v10
	v_lshlrev_b64 v[8:9], 1, v[8:9]
	v_mov_b32_e32 v10, s84
	v_add_co_u32_e64 v8, s[6:7], s33, v8
	v_addc_co_u32_e64 v9, s[6:7], v10, v9, s[6:7]
	global_load_ushort v8, v[8:9], off
	s_branch .LBB110_41
.LBB110_44:                             ;   in Loop: Header=BB110_22 Depth=1
	s_or_b64 exec, exec, s[8:9]
	s_waitcnt lgkmcnt(0)
	s_barrier
	s_mov_b64 s[6:7], exec
	v_readlane_b32 s8, v42, 28
	v_readlane_b32 s9, v42, 29
	s_and_b64 s[8:9], s[6:7], s[8:9]
	s_mov_b64 exec, s[8:9]
	s_cbranch_execz .LBB110_46
; %bb.45:                               ;   in Loop: Header=BB110_22 Depth=1
	v_pk_mov_b32 v[2:3], s[52:53], s[52:53] op_sel:[0,1]
	ds_write_b64 v11, v[2:3] offset:5120
.LBB110_46:                             ;   in Loop: Header=BB110_22 Depth=1
	s_or_b64 exec, exec, s[6:7]
	s_mov_b64 s[6:7], -1
	s_waitcnt lgkmcnt(0)
	s_barrier
                                        ; implicit-def: $sgpr72_sgpr73
.LBB110_47:                             ;   in Loop: Header=BB110_22 Depth=1
	s_and_b64 vcc, exec, s[6:7]
	s_cbranch_vccz .LBB110_49
; %bb.48:                               ;   in Loop: Header=BB110_22 Depth=1
	ds_read_b64 v[2:3], v11 offset:5120
	s_waitcnt lgkmcnt(0)
	v_readfirstlane_b32 s72, v2
.LBB110_49:                             ;   in Loop: Header=BB110_22 Depth=1
	s_cmp_lt_i32 s72, 1
	s_cbranch_scc0 .LBB110_64
; %bb.50:                               ;   in Loop: Header=BB110_22 Depth=1
	global_load_ushort v33, v11, s[64:65]
	s_mov_b32 s6, s91
	s_waitcnt vmcnt(0)
	v_readfirstlane_b32 s7, v33
	s_and_b32 s7, 0xffff, s7
	s_lshl_b32 s73, s7, 2
	s_mov_b32 s7, s53
	s_cmp_lg_u64 s[6:7], 0
	s_cbranch_scc0 .LBB110_84
; %bb.51:                               ;   in Loop: Header=BB110_22 Depth=1
	v_cvt_f32_u32_e32 v2, s73
	s_sub_u32 s6, 0, s73
	s_subb_u32 s7, 0, 0
	v_mac_f32_e32 v2, 0, v30
	v_rcp_f32_e32 v2, v2
	v_mul_f32_e32 v2, 0x5f7ffffc, v2
	v_mul_f32_e32 v3, 0x2f800000, v2
	v_trunc_f32_e32 v3, v3
	v_mac_f32_e32 v2, 0xcf800000, v3
	v_cvt_u32_f32_e32 v3, v3
	v_cvt_u32_f32_e32 v2, v2
	v_readfirstlane_b32 s8, v3
	v_readfirstlane_b32 s9, v2
	s_mul_i32 s10, s6, s8
	s_mul_hi_u32 s12, s6, s9
	s_mul_i32 s11, s7, s9
	s_add_i32 s10, s12, s10
	s_mul_i32 s13, s6, s9
	s_add_i32 s10, s10, s11
	s_mul_hi_u32 s12, s9, s13
	s_mul_hi_u32 s11, s9, s10
	s_mul_i32 s9, s9, s10
	s_add_u32 s9, s12, s9
	s_addc_u32 s11, 0, s11
	s_mul_hi_u32 s14, s8, s13
	s_mul_i32 s13, s8, s13
	s_add_u32 s9, s9, s13
	s_mul_hi_u32 s12, s8, s10
	s_addc_u32 s9, s11, s14
	s_addc_u32 s11, s12, 0
	s_mul_i32 s10, s8, s10
	s_add_u32 s9, s9, s10
	s_addc_u32 s10, 0, s11
	v_add_co_u32_e32 v2, vcc, s9, v2
	s_cmp_lg_u64 vcc, 0
	s_addc_u32 s8, s8, s10
	v_readfirstlane_b32 s10, v2
	s_mul_i32 s9, s6, s8
	s_mul_hi_u32 s11, s6, s10
	s_add_i32 s9, s11, s9
	s_mul_i32 s7, s7, s10
	s_add_i32 s9, s9, s7
	s_mul_i32 s6, s6, s10
	s_mul_hi_u32 s11, s8, s6
	s_mul_i32 s12, s8, s6
	s_mul_i32 s14, s10, s9
	s_mul_hi_u32 s6, s10, s6
	s_mul_hi_u32 s13, s10, s9
	s_add_u32 s6, s6, s14
	s_addc_u32 s10, 0, s13
	s_add_u32 s6, s6, s12
	s_mul_hi_u32 s7, s8, s9
	s_addc_u32 s6, s10, s11
	s_addc_u32 s7, s7, 0
	s_mul_i32 s9, s8, s9
	s_add_u32 s6, s6, s9
	s_addc_u32 s7, 0, s7
	v_add_co_u32_e32 v2, vcc, s6, v2
	s_cmp_lg_u64 vcc, 0
	s_addc_u32 s6, s8, s7
	v_readfirstlane_b32 s9, v2
	s_mul_i32 s8, s52, s6
	s_mul_hi_u32 s10, s52, s9
	s_mul_hi_u32 s7, s52, s6
	s_add_u32 s8, s10, s8
	s_addc_u32 s7, 0, s7
	s_mul_hi_u32 s11, s53, s9
	s_mul_i32 s9, s53, s9
	s_add_u32 s8, s8, s9
	s_mul_hi_u32 s10, s53, s6
	s_addc_u32 s7, s7, s11
	s_addc_u32 s8, s10, 0
	s_mul_i32 s6, s53, s6
	s_add_u32 s6, s7, s6
	s_addc_u32 s7, 0, s8
	s_mul_hi_u32 s8, s73, s6
	s_mul_i32 s6, s73, s6
	s_mul_i32 s7, s73, s7
	v_mov_b32_e32 v2, s6
	s_add_i32 s8, s8, s7
	v_sub_co_u32_e32 v2, vcc, s52, v2
	s_cmp_lg_u64 vcc, 0
	s_subb_u32 s6, s53, s8
	v_subrev_co_u32_e32 v3, vcc, s73, v2
	s_cmp_lg_u64 vcc, 0
	s_subb_u32 s7, s6, 0
	v_subrev_co_u32_e32 v4, vcc, s73, v3
	s_cmp_lg_u64 vcc, 0
	s_subb_u32 s8, s7, 0
	v_cmp_le_u32_e32 vcc, s73, v3
	s_cmp_eq_u32 s7, 0
	v_cndmask_b32_e64 v5, 0, -1, vcc
	s_cselect_b64 vcc, -1, 0
	v_cndmask_b32_e32 v5, -1, v5, vcc
	v_mov_b32_e32 v6, s7
	v_mov_b32_e32 v7, s8
	v_cmp_ne_u32_e32 vcc, 0, v5
	v_cndmask_b32_e32 v5, v6, v7, vcc
	v_cndmask_b32_e32 v4, v3, v4, vcc
	v_cmp_le_u32_e32 vcc, s73, v2
	s_cmp_eq_u32 s6, 0
	v_cndmask_b32_e64 v3, 0, -1, vcc
	s_cselect_b64 vcc, -1, 0
	v_cndmask_b32_e32 v3, -1, v3, vcc
	v_mov_b32_e32 v6, s6
	v_cmp_ne_u32_e32 vcc, 0, v3
	v_cndmask_b32_e32 v3, v6, v5, vcc
	v_cndmask_b32_e32 v2, v2, v4, vcc
	s_cbranch_execnz .LBB110_53
.LBB110_52:                             ;   in Loop: Header=BB110_22 Depth=1
	v_cvt_f32_u32_e32 v2, s73
	s_sub_i32 s6, 0, s73
	v_rcp_iflag_f32_e32 v2, v2
	v_mul_f32_e32 v2, 0x4f7ffffe, v2
	v_cvt_u32_f32_e32 v2, v2
	v_mul_lo_u32 v3, s6, v2
	v_mul_hi_u32 v3, v2, v3
	v_add_u32_e32 v2, v2, v3
	v_mul_hi_u32 v2, s52, v2
	v_mul_lo_u32 v2, v2, s73
	v_sub_u32_e32 v2, s52, v2
	v_subrev_u32_e32 v3, s73, v2
	v_cmp_le_u32_e32 vcc, s73, v2
	v_cndmask_b32_e32 v2, v2, v3, vcc
	v_subrev_u32_e32 v3, s73, v2
	v_cmp_le_u32_e32 vcc, s73, v2
	v_cndmask_b32_e32 v10, v2, v3, vcc
	v_pk_mov_b32 v[2:3], v[10:11], v[10:11] op_sel:[0,1]
.LBB110_53:                             ;   in Loop: Header=BB110_22 Depth=1
	v_mov_b32_e32 v4, s53
	v_sub_co_u32_e32 v18, vcc, s52, v2
	v_subb_co_u32_e32 v19, vcc, v4, v3, vcc
	v_pk_mov_b32 v[2:3], 0, 0
	v_cmp_gt_u64_e32 vcc, v[18:19], v[14:15]
	s_mov_b64 s[60:61], 0
	v_pk_mov_b32 v[4:5], v[2:3], v[2:3] op_sel:[0,1]
	v_pk_mov_b32 v[6:7], v[2:3], v[2:3] op_sel:[0,1]
	v_pk_mov_b32 v[8:9], v[2:3], v[2:3] op_sel:[0,1]
	s_and_saveexec_b64 s[50:51], vcc
	s_cbranch_execz .LBB110_57
; %bb.54:                               ;   in Loop: Header=BB110_22 Depth=1
	s_and_b32 s82, s3, 0xfe
	s_mov_b64 s[62:63], 0
	s_mov_b64 s[76:77], 0
	;; [unrolled: 1-line block ×4, first 2 shown]
	v_pk_mov_b32 v[20:21], v[14:15], v[14:15] op_sel:[0,1]
.LBB110_55:                             ;   Parent Loop BB110_22 Depth=1
                                        ; =>  This Inner Loop Header: Depth=2
	v_mul_lo_u32 v4, v21, s80
	v_mul_lo_u32 v5, v20, s81
	v_mad_u64_u32 v[2:3], s[6:7], v20, s80, 0
	v_add3_u32 v3, v3, v5, v4
	v_lshlrev_b64 v[2:3], 1, v[2:3]
	v_mov_b32_e32 v6, s84
	v_add_co_u32_e64 v2, s[6:7], s33, v2
	s_lshl_b64 s[8:9], s[80:81], 1
	v_addc_co_u32_e64 v3, s[6:7], v6, v3, s[6:7]
	v_mov_b32_e32 v7, s9
	v_add_co_u32_e64 v4, s[6:7], s8, v2
	v_addc_co_u32_e64 v5, s[6:7], v3, v7, s[6:7]
	global_load_sshort v6, v[2:3], off
	global_load_sshort v8, v[4:5], off
	v_add_co_u32_e64 v2, s[6:7], s8, v4
	v_addc_co_u32_e64 v3, s[6:7], v5, v7, s[6:7]
	global_load_sshort v4, v[2:3], off
	v_add_co_u32_e64 v2, s[6:7], s8, v2
	v_addc_co_u32_e64 v3, s[6:7], v3, v7, s[6:7]
	global_load_sshort v2, v[2:3], off
	v_add_co_u32_e32 v20, vcc, s73, v20
	v_addc_co_u32_e32 v21, vcc, 0, v21, vcc
	v_cmp_ge_u64_e32 vcc, v[20:21], v[18:19]
	s_waitcnt vmcnt(3)
	v_add_u32_e32 v3, 0x8000, v6
	v_and_b32_e32 v6, s27, v3
	v_bfe_u32 v3, v3, s82, 2
	s_waitcnt vmcnt(2)
	v_add_u32_e32 v5, 0x8000, v8
	v_cmp_eq_u32_e64 s[10:11], s94, v6
	v_cmp_eq_u32_e64 s[6:7], 0, v3
	s_waitcnt vmcnt(1)
	v_add_u32_e32 v4, 0x8000, v4
	v_and_b32_e32 v6, s27, v5
	v_bfe_u32 v5, v5, s82, 2
	v_cmp_eq_u32_e64 s[28:29], 1, v3
	v_cmp_eq_u32_e64 s[30:31], 2, v3
	;; [unrolled: 1-line block ×3, first 2 shown]
	s_waitcnt vmcnt(0)
	v_add_u32_e32 v2, 0x8000, v2
	v_and_b32_e32 v3, s27, v4
	v_bfe_u32 v4, v4, s82, 2
	s_and_b64 s[6:7], s[10:11], s[6:7]
	v_cmp_eq_u32_e64 s[12:13], s94, v6
	v_cmp_eq_u32_e64 s[22:23], 0, v5
	;; [unrolled: 1-line block ×5, first 2 shown]
	v_cndmask_b32_e64 v5, 0, 1, s[6:7]
	v_cmp_eq_u32_e64 s[18:19], s94, v3
	v_and_b32_e32 v3, s27, v2
	v_bfe_u32 v2, v2, s82, 2
	v_cmp_eq_u32_e64 s[6:7], 0, v4
	s_and_b64 s[8:9], s[12:13], s[22:23]
	v_cmp_eq_u32_e64 s[22:23], s94, v3
	v_cmp_eq_u32_e64 s[44:45], 0, v2
	s_and_b64 s[6:7], s[18:19], s[6:7]
	v_cmp_eq_u32_e64 s[38:39], 1, v4
	v_cmp_eq_u32_e64 s[40:41], 2, v4
	v_cmp_eq_u32_e64 s[20:21], 3, v4
	v_cndmask_b32_e64 v4, 0, 1, s[8:9]
	v_cmp_eq_u32_e64 s[46:47], 1, v2
	v_cmp_eq_u32_e64 s[48:49], 2, v2
	;; [unrolled: 1-line block ×3, first 2 shown]
	v_cndmask_b32_e64 v2, 0, 1, s[6:7]
	s_and_b64 s[8:9], s[22:23], s[44:45]
	v_cmp_ne_u32_e64 s[42:43], 0, v5
	v_cmp_ne_u32_e64 s[6:7], 0, v2
	v_cndmask_b32_e64 v2, 0, 1, s[8:9]
	s_bcnt1_i32_b64 s90, s[42:43]
	v_cmp_ne_u32_e64 s[42:43], 0, v4
	s_bcnt1_i32_b64 s8, s[6:7]
	v_cmp_ne_u32_e64 s[6:7], 0, v2
	s_bcnt1_i32_b64 s42, s[42:43]
	s_bcnt1_i32_b64 s6, s[6:7]
	s_add_u32 s7, s90, s88
	s_addc_u32 s9, 0, s89
	s_add_u32 s7, s7, s42
	s_addc_u32 s9, s9, 0
	s_add_u32 s7, s7, s8
	s_addc_u32 s8, s9, 0
	s_add_u32 s88, s7, s6
	s_addc_u32 s89, s8, 0
	s_and_b64 s[6:7], s[10:11], s[28:29]
	v_cndmask_b32_e64 v4, 0, 1, s[6:7]
	s_and_b64 s[6:7], s[12:13], s[34:35]
	v_cndmask_b32_e64 v5, 0, 1, s[6:7]
	s_and_b64 s[6:7], s[18:19], s[38:39]
	v_cndmask_b32_e64 v6, 0, 1, s[6:7]
	s_and_b64 s[6:7], s[22:23], s[46:47]
	v_cndmask_b32_e64 v7, 0, 1, s[6:7]
	v_cmp_ne_u32_e64 s[6:7], 0, v4
	v_cmp_ne_u32_e64 s[28:29], 0, v5
	v_cmp_ne_u32_e64 s[34:35], 0, v6
	v_cmp_ne_u32_e64 s[38:39], 0, v7
	s_bcnt1_i32_b64 s6, s[6:7]
	s_bcnt1_i32_b64 s7, s[28:29]
	s_bcnt1_i32_b64 s8, s[34:35]
	s_bcnt1_i32_b64 s9, s[38:39]
	s_add_u32 s6, s6, s66
	s_addc_u32 s28, 0, s67
	s_add_u32 s6, s6, s7
	s_addc_u32 s7, s28, 0
	s_add_u32 s6, s6, s8
	s_addc_u32 s7, s7, 0
	s_add_u32 s66, s6, s9
	s_addc_u32 s67, s7, 0
	s_and_b64 s[6:7], s[10:11], s[30:31]
	v_cndmask_b32_e64 v6, 0, 1, s[6:7]
	s_and_b64 s[6:7], s[12:13], s[36:37]
	v_cndmask_b32_e64 v7, 0, 1, s[6:7]
	s_and_b64 s[6:7], s[18:19], s[40:41]
	v_cndmask_b32_e64 v8, 0, 1, s[6:7]
	s_and_b64 s[6:7], s[22:23], s[48:49]
	v_cndmask_b32_e64 v9, 0, 1, s[6:7]
	v_cmp_ne_u32_e64 s[6:7], 0, v6
	v_cmp_ne_u32_e64 s[28:29], 0, v7
	v_cmp_ne_u32_e64 s[30:31], 0, v8
	v_cmp_ne_u32_e64 s[34:35], 0, v9
	s_bcnt1_i32_b64 s6, s[6:7]
	s_bcnt1_i32_b64 s7, s[28:29]
	;; [unrolled: 24-line block ×3, first 2 shown]
	s_bcnt1_i32_b64 s8, s[12:13]
	s_bcnt1_i32_b64 s9, s[14:15]
	s_add_u32 s6, s6, s62
	s_addc_u32 s10, 0, s63
	s_add_u32 s6, s6, s7
	s_addc_u32 s7, s10, 0
	;; [unrolled: 2-line block ×4, first 2 shown]
	v_pk_mov_b32 v[2:3], s[88:89], s[88:89] op_sel:[0,1]
	v_pk_mov_b32 v[4:5], s[66:67], s[66:67] op_sel:[0,1]
	;; [unrolled: 1-line block ×3, first 2 shown]
	s_or_b64 s[60:61], vcc, s[60:61]
	v_pk_mov_b32 v[8:9], s[62:63], s[62:63] op_sel:[0,1]
	s_andn2_b64 exec, exec, s[60:61]
	s_cbranch_execnz .LBB110_55
; %bb.56:                               ;   in Loop: Header=BB110_22 Depth=1
	s_or_b64 exec, exec, s[60:61]
	v_readlane_b32 s66, v42, 50
	v_readlane_b32 s67, v42, 51
.LBB110_57:                             ;   in Loop: Header=BB110_22 Depth=1
	s_or_b64 exec, exec, s[50:51]
	v_add_co_u32_e32 v18, vcc, v18, v0
	v_addc_co_u32_e32 v19, vcc, 0, v19, vcc
	v_cmp_gt_u64_e32 vcc, s[52:53], v[18:19]
	v_mov_b32_e32 v10, 0
	s_and_saveexec_b64 s[8:9], vcc
	s_cbranch_execz .LBB110_59
; %bb.58:                               ;   in Loop: Header=BB110_22 Depth=1
	v_mul_lo_u32 v10, v19, s80
	v_mul_lo_u32 v34, v18, s81
	v_mad_u64_u32 v[20:21], s[6:7], v18, s80, 0
	v_add3_u32 v21, v21, v34, v10
	v_lshlrev_b64 v[20:21], 1, v[20:21]
	v_mov_b32_e32 v10, s84
	v_add_co_u32_e64 v20, s[6:7], s33, v20
	v_addc_co_u32_e64 v21, s[6:7], v10, v21, s[6:7]
	global_load_ushort v10, v[20:21], off
.LBB110_59:                             ;   in Loop: Header=BB110_22 Depth=1
	s_or_b64 exec, exec, s[8:9]
	s_and_saveexec_b64 s[8:9], vcc
	s_cbranch_execz .LBB110_66
; %bb.60:                               ;   in Loop: Header=BB110_22 Depth=1
	s_and_b32 s14, s3, 0xfe
	s_mov_b64 s[10:11], 0
	s_branch .LBB110_62
.LBB110_61:                             ;   in Loop: Header=BB110_62 Depth=2
	s_or_b64 exec, exec, s[12:13]
	s_waitcnt vmcnt(0)
	v_add_u32_sdwa v10, sext(v10), s2 dst_sel:DWORD dst_unused:UNUSED_PAD src0_sel:WORD_0 src1_sel:DWORD
	s_and_b64 s[6:7], exec, vcc
	v_and_b32_e32 v21, s27, v10
	v_bfe_u32 v10, v10, s14, 2
	s_or_b64 s[10:11], s[6:7], s[10:11]
	v_cmp_eq_u32_e32 vcc, s94, v21
	v_cmp_eq_u32_e64 s[6:7], 0, v10
	s_and_b64 s[6:7], vcc, s[6:7]
	v_cndmask_b32_e64 v21, 0, 1, s[6:7]
	v_cmp_ne_u32_e64 s[6:7], 0, v21
	s_bcnt1_i32_b64 s6, s[6:7]
	v_add_co_u32_e64 v2, s[6:7], s6, v2
	v_addc_co_u32_e64 v3, s[6:7], 0, v3, s[6:7]
	v_cmp_eq_u32_e64 s[6:7], 1, v10
	s_and_b64 s[6:7], vcc, s[6:7]
	v_cndmask_b32_e64 v21, 0, 1, s[6:7]
	v_cmp_ne_u32_e64 s[6:7], 0, v21
	s_bcnt1_i32_b64 s6, s[6:7]
	v_add_co_u32_e64 v4, s[6:7], s6, v4
	v_addc_co_u32_e64 v5, s[6:7], 0, v5, s[6:7]
	;; [unrolled: 7-line block ×3, first 2 shown]
	v_cmp_eq_u32_e64 s[6:7], 3, v10
	s_and_b64 s[6:7], vcc, s[6:7]
	v_cndmask_b32_e64 v10, 0, 1, s[6:7]
	v_cmp_ne_u32_e32 vcc, 0, v10
	s_bcnt1_i32_b64 s6, vcc
	v_add_co_u32_e32 v8, vcc, s6, v8
	v_addc_co_u32_e32 v9, vcc, 0, v9, vcc
	v_mov_b32_e32 v10, v20
	s_andn2_b64 exec, exec, s[10:11]
	s_cbranch_execz .LBB110_65
.LBB110_62:                             ;   Parent Loop BB110_22 Depth=1
                                        ; =>  This Inner Loop Header: Depth=2
	v_add_co_u32_sdwa v18, vcc, v18, v33 dst_sel:DWORD dst_unused:UNUSED_PAD src0_sel:DWORD src1_sel:WORD_0
	v_addc_co_u32_e32 v19, vcc, 0, v19, vcc
	v_cmp_gt_u64_e64 s[6:7], s[52:53], v[18:19]
	v_cmp_le_u64_e32 vcc, s[52:53], v[18:19]
	v_mov_b32_e32 v20, 0
	s_and_saveexec_b64 s[12:13], s[6:7]
	s_cbranch_execz .LBB110_61
; %bb.63:                               ;   in Loop: Header=BB110_62 Depth=2
	v_mul_lo_u32 v34, v19, s80
	v_mul_lo_u32 v35, v18, s81
	v_mad_u64_u32 v[20:21], s[6:7], v18, s80, 0
	v_add3_u32 v21, v21, v35, v34
	v_lshlrev_b64 v[20:21], 1, v[20:21]
	v_mov_b32_e32 v34, s84
	v_add_co_u32_e64 v20, s[6:7], s33, v20
	v_addc_co_u32_e64 v21, s[6:7], v34, v21, s[6:7]
	global_load_ushort v20, v[20:21], off
	s_branch .LBB110_61
.LBB110_64:                             ;   in Loop: Header=BB110_22 Depth=1
                                        ; implicit-def: $vgpr8_vgpr9
                                        ; implicit-def: $vgpr4_vgpr5
	s_cbranch_execnz .LBB110_67
	s_branch .LBB110_76
.LBB110_65:                             ;   in Loop: Header=BB110_22 Depth=1
	s_or_b64 exec, exec, s[10:11]
.LBB110_66:                             ;   in Loop: Header=BB110_22 Depth=1
	s_or_b64 exec, exec, s[8:9]
	s_branch .LBB110_76
.LBB110_67:                             ;   in Loop: Header=BB110_22 Depth=1
	global_load_ushort v8, v11, s[64:65]
	s_mov_b64 s[60:61], 0
	s_waitcnt vmcnt(0)
	v_readfirstlane_b32 s6, v8
	s_and_b32 s6, 0xffff, s6
	s_lshl_b32 s73, s6, 2
	v_cvt_f32_u32_e32 v2, s73
	s_sub_i32 s6, 0, s73
	v_and_b32_e32 v20, 0xffff, v8
	v_rcp_iflag_f32_e32 v6, v2
	v_pk_mov_b32 v[2:3], 0, 0
	v_pk_mov_b32 v[4:5], v[2:3], v[2:3] op_sel:[0,1]
	v_mul_f32_e32 v6, 0x4f7ffffe, v6
	v_cvt_u32_f32_e32 v9, v6
	v_pk_mov_b32 v[6:7], v[2:3], v[2:3] op_sel:[0,1]
	v_readfirstlane_b32 s7, v9
	s_mul_i32 s6, s6, s7
	s_mul_hi_u32 s6, s7, s6
	s_add_i32 s7, s7, s6
	s_mul_hi_u32 s6, s72, s7
	s_mul_i32 s6, s6, s73
	s_sub_i32 s6, s72, s6
	s_sub_i32 s7, s6, s73
	s_cmp_ge_u32 s6, s73
	s_cselect_b32 s6, s7, s6
	s_sub_i32 s7, s6, s73
	s_cmp_ge_u32 s6, s73
	s_cselect_b32 s6, s7, s6
	s_sub_i32 s90, s72, s6
	v_cmp_gt_u32_e32 vcc, s90, v14
	v_pk_mov_b32 v[8:9], v[2:3], v[2:3] op_sel:[0,1]
	s_and_saveexec_b64 s[62:63], vcc
	s_cbranch_execz .LBB110_71
; %bb.68:                               ;   in Loop: Header=BB110_22 Depth=1
	s_and_b32 s82, s3, 0xfe
	v_lshlrev_b32_e32 v10, 3, v20
	v_mov_b32_e32 v21, v28
	s_mov_b64 s[66:67], 0
	s_mov_b64 s[76:77], 0
	;; [unrolled: 1-line block ×4, first 2 shown]
	v_pk_mov_b32 v[18:19], v[14:15], v[14:15] op_sel:[0,1]
.LBB110_69:                             ;   Parent Loop BB110_22 Depth=1
                                        ; =>  This Inner Loop Header: Depth=2
	ds_read_b64 v[2:3], v21
	v_add_co_u32_e32 v18, vcc, s73, v18
	v_addc_co_u32_e32 v19, vcc, 0, v19, vcc
	s_waitcnt lgkmcnt(0)
	v_add_u32_sdwa v4, sext(v2), s2 dst_sel:DWORD dst_unused:UNUSED_PAD src0_sel:WORD_0 src1_sel:DWORD
	v_add_u32_sdwa v2, sext(v2), s2 dst_sel:DWORD dst_unused:UNUSED_PAD src0_sel:WORD_1 src1_sel:DWORD
	v_and_b32_e32 v6, s27, v4
	v_bfe_u32 v4, v4, s82, 2
	v_add_u32_sdwa v5, sext(v3), s2 dst_sel:DWORD dst_unused:UNUSED_PAD src0_sel:WORD_0 src1_sel:DWORD
	v_and_b32_e32 v7, s27, v2
	v_bfe_u32 v2, v2, s82, 2
	v_cmp_eq_u32_e64 s[16:17], s94, v6
	v_cmp_eq_u32_e64 s[6:7], 0, v4
	v_add_u32_sdwa v3, sext(v3), s2 dst_sel:DWORD dst_unused:UNUSED_PAD src0_sel:WORD_1 src1_sel:DWORD
	v_and_b32_e32 v8, s27, v5
	v_bfe_u32 v5, v5, s82, 2
	v_cmp_eq_u32_e64 s[14:15], s94, v7
	v_cmp_eq_u32_e64 s[28:29], 0, v2
	s_and_b64 s[6:7], s[16:17], s[6:7]
	v_and_b32_e32 v9, s27, v3
	v_bfe_u32 v3, v3, s82, 2
	v_cmp_eq_u32_e64 s[12:13], s94, v8
	v_cmp_eq_u32_e64 s[30:31], 0, v5
	v_cmp_eq_u32_e64 s[38:39], 1, v2
	v_cmp_eq_u32_e64 s[46:47], 2, v2
	v_cmp_eq_u32_e64 s[22:23], 3, v2
	v_cndmask_b32_e64 v2, 0, 1, s[6:7]
	s_and_b64 s[6:7], s[14:15], s[28:29]
	v_cmp_eq_u32_e64 s[10:11], s94, v9
	v_cmp_eq_u32_e64 s[34:35], 0, v3
	;; [unrolled: 1-line block ×5, first 2 shown]
	v_cndmask_b32_e64 v3, 0, 1, s[6:7]
	s_and_b64 s[6:7], s[12:13], s[30:31]
	v_cmp_eq_u32_e64 s[36:37], 1, v4
	v_cmp_eq_u32_e64 s[44:45], 2, v4
	;; [unrolled: 1-line block ×3, first 2 shown]
	v_cndmask_b32_e64 v4, 0, 1, s[6:7]
	s_and_b64 s[6:7], s[10:11], s[34:35]
	v_cmp_eq_u32_e64 s[40:41], 1, v5
	v_cmp_eq_u32_e64 s[48:49], 2, v5
	;; [unrolled: 1-line block ×3, first 2 shown]
	v_cndmask_b32_e64 v5, 0, 1, s[6:7]
	v_cmp_ne_u32_e64 s[6:7], 0, v2
	v_cmp_ne_u32_e64 s[28:29], 0, v3
	v_cmp_ne_u32_e64 s[30:31], 0, v4
	v_cmp_ne_u32_e64 s[34:35], 0, v5
	s_bcnt1_i32_b64 s6, s[6:7]
	s_bcnt1_i32_b64 s7, s[28:29]
	s_bcnt1_i32_b64 s28, s[30:31]
	s_bcnt1_i32_b64 s29, s[34:35]
	s_add_u32 s6, s6, s8
	s_addc_u32 s8, 0, s9
	s_add_u32 s6, s6, s7
	s_addc_u32 s7, s8, 0
	s_add_u32 s6, s6, s28
	s_addc_u32 s7, s7, 0
	s_add_u32 s8, s6, s29
	s_addc_u32 s9, s7, 0
	s_and_b64 s[6:7], s[16:17], s[36:37]
	v_cndmask_b32_e64 v4, 0, 1, s[6:7]
	s_and_b64 s[6:7], s[14:15], s[38:39]
	v_cndmask_b32_e64 v5, 0, 1, s[6:7]
	s_and_b64 s[6:7], s[12:13], s[40:41]
	v_cndmask_b32_e64 v6, 0, 1, s[6:7]
	s_and_b64 s[6:7], s[10:11], s[42:43]
	v_cndmask_b32_e64 v7, 0, 1, s[6:7]
	v_cmp_ne_u32_e64 s[6:7], 0, v4
	v_cmp_ne_u32_e64 s[28:29], 0, v5
	v_cmp_ne_u32_e64 s[30:31], 0, v6
	v_cmp_ne_u32_e64 s[34:35], 0, v7
	s_bcnt1_i32_b64 s6, s[6:7]
	s_bcnt1_i32_b64 s7, s[28:29]
	s_bcnt1_i32_b64 s28, s[30:31]
	s_bcnt1_i32_b64 s29, s[34:35]
	s_add_u32 s6, s6, s88
	s_addc_u32 s30, 0, s89
	s_add_u32 s6, s6, s7
	s_addc_u32 s7, s30, 0
	s_add_u32 s6, s6, s28
	s_addc_u32 s7, s7, 0
	s_add_u32 s88, s6, s29
	s_addc_u32 s89, s7, 0
	s_and_b64 s[6:7], s[16:17], s[44:45]
	v_cndmask_b32_e64 v6, 0, 1, s[6:7]
	s_and_b64 s[6:7], s[14:15], s[46:47]
	v_cndmask_b32_e64 v7, 0, 1, s[6:7]
	s_and_b64 s[6:7], s[12:13], s[48:49]
	v_cndmask_b32_e64 v8, 0, 1, s[6:7]
	s_and_b64 s[6:7], s[10:11], s[50:51]
	;; [unrolled: 24-line block ×3, first 2 shown]
	v_cndmask_b32_e64 v34, 0, 1, s[6:7]
	v_cmp_ne_u32_e64 s[6:7], 0, v8
	v_cmp_ne_u32_e64 s[10:11], 0, v9
	;; [unrolled: 1-line block ×4, first 2 shown]
	s_bcnt1_i32_b64 s6, s[6:7]
	s_bcnt1_i32_b64 s7, s[10:11]
	;; [unrolled: 1-line block ×4, first 2 shown]
	s_add_u32 s6, s6, s66
	s_addc_u32 s12, 0, s67
	s_add_u32 s6, s6, s7
	s_addc_u32 s7, s12, 0
	;; [unrolled: 2-line block ×3, first 2 shown]
	s_add_u32 s66, s6, s11
	v_cmp_le_u64_e32 vcc, s[90:91], v[18:19]
	s_addc_u32 s67, s7, 0
	v_add_u32_e32 v21, v21, v10
	v_pk_mov_b32 v[2:3], s[8:9], s[8:9] op_sel:[0,1]
	v_pk_mov_b32 v[4:5], s[88:89], s[88:89] op_sel:[0,1]
	;; [unrolled: 1-line block ×3, first 2 shown]
	s_or_b64 s[60:61], vcc, s[60:61]
	v_pk_mov_b32 v[8:9], s[66:67], s[66:67] op_sel:[0,1]
	s_andn2_b64 exec, exec, s[60:61]
	s_cbranch_execnz .LBB110_69
; %bb.70:                               ;   in Loop: Header=BB110_22 Depth=1
	s_or_b64 exec, exec, s[60:61]
	v_readlane_b32 s66, v42, 50
	v_readlane_b32 s67, v42, 51
.LBB110_71:                             ;   in Loop: Header=BB110_22 Depth=1
	s_or_b64 exec, exec, s[62:63]
	v_add_u32_e32 v10, s90, v0
	v_cmp_gt_u32_e32 vcc, s72, v10
	s_and_saveexec_b64 s[8:9], vcc
	s_cbranch_execz .LBB110_75
; %bb.72:                               ;   in Loop: Header=BB110_22 Depth=1
	s_and_b32 s90, s72, 0x7fffffff
	s_and_b32 s20, s3, 0xfe
	v_lshlrev_b32_e32 v21, 1, v10
	v_lshlrev_b32_e32 v33, 1, v20
	s_mov_b64 s[18:19], 0
	v_pk_mov_b32 v[18:19], v[10:11], v[10:11] op_sel:[0,1]
.LBB110_73:                             ;   Parent Loop BB110_22 Depth=1
                                        ; =>  This Inner Loop Header: Depth=2
	ds_read_i16 v10, v21
	v_add_co_u32_e32 v18, vcc, v18, v20
	v_addc_co_u32_e32 v19, vcc, 0, v19, vcc
	s_waitcnt lgkmcnt(0)
	v_add_u32_e32 v10, 0x8000, v10
	v_and_b32_e32 v34, s27, v10
	v_bfe_u32 v10, v10, s20, 2
	v_cmp_eq_u32_e64 s[6:7], s94, v34
	v_cmp_eq_u32_e64 s[10:11], 0, v10
	v_cmp_eq_u32_e64 s[12:13], 1, v10
	s_and_b64 s[10:11], s[6:7], s[10:11]
	v_cmp_eq_u32_e64 s[14:15], 2, v10
	v_cmp_eq_u32_e64 s[16:17], 3, v10
	v_cndmask_b32_e64 v10, 0, 1, s[10:11]
	s_and_b64 s[10:11], s[6:7], s[12:13]
	v_cndmask_b32_e64 v34, 0, 1, s[10:11]
	s_and_b64 s[10:11], s[6:7], s[14:15]
	s_and_b64 s[6:7], s[6:7], s[16:17]
	v_cndmask_b32_e64 v35, 0, 1, s[10:11]
	v_cndmask_b32_e64 v36, 0, 1, s[6:7]
	v_cmp_ne_u32_e64 s[6:7], 0, v10
	v_cmp_ne_u32_e64 s[10:11], 0, v34
	;; [unrolled: 1-line block ×4, first 2 shown]
	v_cmp_le_u64_e32 vcc, s[90:91], v[18:19]
	s_bcnt1_i32_b64 s6, s[6:7]
	s_bcnt1_i32_b64 s7, s[10:11]
	;; [unrolled: 1-line block ×4, first 2 shown]
	s_or_b64 s[18:19], vcc, s[18:19]
	v_add_co_u32_e32 v2, vcc, s6, v2
	v_addc_co_u32_e32 v3, vcc, 0, v3, vcc
	v_add_co_u32_e32 v4, vcc, s7, v4
	v_addc_co_u32_e32 v5, vcc, 0, v5, vcc
	;; [unrolled: 2-line block ×3, first 2 shown]
	v_add_co_u32_e32 v8, vcc, s11, v8
	v_add_u32_e32 v21, v21, v33
	v_addc_co_u32_e32 v9, vcc, 0, v9, vcc
	s_andn2_b64 exec, exec, s[18:19]
	s_cbranch_execnz .LBB110_73
; %bb.74:                               ;   in Loop: Header=BB110_22 Depth=1
	s_or_b64 exec, exec, s[18:19]
.LBB110_75:                             ;   in Loop: Header=BB110_22 Depth=1
	s_or_b64 exec, exec, s[8:9]
.LBB110_76:                             ;   in Loop: Header=BB110_22 Depth=1
	s_lshl_b32 s8, s26, 6
	s_and_saveexec_b64 s[6:7], s[4:5]
	s_cbranch_execz .LBB110_78
; %bb.77:                               ;   in Loop: Header=BB110_22 Depth=1
	s_waitcnt vmcnt(0)
	v_or_b32_e32 v10, s8, v26
	v_lshlrev_b32_e32 v10, 3, v10
	ds_write_b128 v10, v[2:5] offset:3072
	ds_write_b128 v10, v[6:9] offset:3088
.LBB110_78:                             ;   in Loop: Header=BB110_22 Depth=1
	s_or_b64 exec, exec, s[6:7]
	s_waitcnt lgkmcnt(0)
	s_barrier
	s_and_saveexec_b64 s[6:7], s[66:67]
	s_cbranch_execz .LBB110_90
; %bb.79:                               ;   in Loop: Header=BB110_22 Depth=1
	v_readlane_b32 s10, v42, 42
	v_readlane_b32 s11, v42, 43
	s_andn2_b64 vcc, exec, s[10:11]
	v_pk_mov_b32 v[2:3], 0, 0
	s_cbranch_vccnz .LBB110_89
; %bb.80:                               ;   in Loop: Header=BB110_22 Depth=1
	v_readlane_b32 s10, v42, 45
	v_readlane_b32 s11, v42, 46
	s_andn2_b64 vcc, exec, s[10:11]
	s_cbranch_vccnz .LBB110_85
; %bb.81:                               ;   in Loop: Header=BB110_22 Depth=1
	s_waitcnt vmcnt(0)
	v_lshl_add_u32 v4, s26, 9, v29
	s_mov_b32 s9, 0
	v_pk_mov_b32 v[2:3], 0, 0
.LBB110_82:                             ;   Parent Loop BB110_22 Depth=1
                                        ; =>  This Inner Loop Header: Depth=2
	ds_read2_b64 v[6:9], v4 offset1:4
	ds_read2_b64 v[18:21], v4 offset0:8 offset1:12
	ds_read2_b64 v[34:37], v4 offset0:16 offset1:20
	;; [unrolled: 1-line block ×3, first 2 shown]
	s_add_i32 s9, s9, 8
	s_waitcnt lgkmcnt(3)
	v_add_co_u32_e32 v2, vcc, v6, v2
	v_addc_co_u32_e32 v3, vcc, v7, v3, vcc
	v_add_co_u32_e32 v2, vcc, v8, v2
	v_addc_co_u32_e32 v3, vcc, v9, v3, vcc
	s_waitcnt lgkmcnt(2)
	v_add_co_u32_e32 v2, vcc, v18, v2
	v_addc_co_u32_e32 v3, vcc, v19, v3, vcc
	v_add_co_u32_e32 v2, vcc, v20, v2
	v_addc_co_u32_e32 v3, vcc, v21, v3, vcc
	;; [unrolled: 5-line block ×3, first 2 shown]
	s_waitcnt lgkmcnt(0)
	v_add_co_u32_e32 v2, vcc, v38, v2
	v_addc_co_u32_e32 v3, vcc, v39, v3, vcc
	v_add_co_u32_e32 v2, vcc, v40, v2
	v_add_u32_e32 v4, 0x100, v4
	s_cmp_eq_u32 s85, s9
	v_addc_co_u32_e32 v3, vcc, v41, v3, vcc
	s_cbranch_scc0 .LBB110_82
; %bb.83:                               ;   in Loop: Header=BB110_22 Depth=1
	s_mov_b32 s9, s85
	s_branch .LBB110_86
.LBB110_84:                             ;   in Loop: Header=BB110_22 Depth=1
                                        ; implicit-def: $vgpr2_vgpr3
	s_branch .LBB110_52
.LBB110_85:                             ;   in Loop: Header=BB110_22 Depth=1
	s_mov_b32 s9, 0
	v_pk_mov_b32 v[2:3], 0, 0
.LBB110_86:                             ;   in Loop: Header=BB110_22 Depth=1
	v_readlane_b32 s10, v42, 48
	v_readlane_b32 s11, v42, 49
	s_andn2_b64 vcc, exec, s[10:11]
	s_cbranch_vccnz .LBB110_89
; %bb.87:                               ;   in Loop: Header=BB110_22 Depth=1
	s_lshl_b32 s10, s26, 9
	s_lshl_b32 s9, s9, 5
	s_add_i32 s10, s10, s9
	s_waitcnt vmcnt(0)
	v_add_u32_e32 v4, s10, v29
	v_readlane_b32 s9, v42, 47
.LBB110_88:                             ;   Parent Loop BB110_22 Depth=1
                                        ; =>  This Inner Loop Header: Depth=2
	ds_read_b64 v[6:7], v4
	s_add_i32 s9, s9, -1
	v_add_u32_e32 v4, 32, v4
	s_cmp_lg_u32 s9, 0
	s_waitcnt lgkmcnt(0)
	v_add_co_u32_e32 v2, vcc, v6, v2
	v_addc_co_u32_e32 v3, vcc, v7, v3, vcc
	s_cbranch_scc1 .LBB110_88
.LBB110_89:                             ;   in Loop: Header=BB110_22 Depth=1
	s_waitcnt vmcnt(0)
	v_add_lshl_u32 v4, s8, v22, 3
	ds_write_b64 v4, v[2:3] offset:3072
.LBB110_90:                             ;   in Loop: Header=BB110_22 Depth=1
	s_or_b64 exec, exec, s[6:7]
	s_lshl_b32 s6, s8, 3
	v_mov_b32_e32 v6, s6
	s_waitcnt lgkmcnt(0)
	s_barrier
	s_waitcnt vmcnt(0)
	ds_read_b128 v[2:5], v6 offset:3072
	ds_read_b128 v[6:9], v6 offset:3088
	s_and_b32 s40, s3, 0xfe
	s_lshl_b32 s48, 3, s40
	s_not_b32 s41, s48
	s_waitcnt lgkmcnt(1)
	v_readfirstlane_b32 s15, v3
	v_readfirstlane_b32 s14, v2
	s_cmp_eq_u64 s[14:15], 1
	s_cselect_b64 s[6:7], -1, 0
	s_cmp_eq_u64 s[92:93], 1
	s_cselect_b64 s[8:9], -1, 0
	s_and_b64 s[20:21], s[6:7], s[8:9]
	v_readfirstlane_b32 s28, v4
	v_readfirstlane_b32 s29, v5
	s_waitcnt lgkmcnt(0)
	v_readfirstlane_b32 s16, v6
	v_readfirstlane_b32 s17, v7
	;; [unrolled: 1-line block ×4, first 2 shown]
	s_mov_b64 s[18:19], -1
	s_and_b64 vcc, exec, s[20:21]
	s_cbranch_vccz .LBB110_105
; %bb.91:                               ;   in Loop: Header=BB110_22 Depth=1
	ds_read_b64 v[2:3], v11 offset:5120
	s_waitcnt lgkmcnt(0)
	s_barrier
	v_readfirstlane_b32 s8, v2
	v_readfirstlane_b32 s9, v3
	s_mov_b64 s[6:7], exec
	v_readlane_b32 s12, v42, 38
	v_readlane_b32 s13, v42, 39
	s_and_b64 s[12:13], s[6:7], s[12:13]
	s_mov_b64 exec, s[12:13]
	s_cbranch_execz .LBB110_93
; %bb.92:                               ;   in Loop: Header=BB110_22 Depth=1
	ds_write_b16 v24, v1
.LBB110_93:                             ;   in Loop: Header=BB110_22 Depth=1
	s_or_b64 exec, exec, s[6:7]
	s_and_b32 s94, s94, s41
	s_or_b32 s27, s27, s48
	s_cmp_eq_u64 s[8:9], 0
	s_waitcnt lgkmcnt(0)
	s_barrier
	s_cbranch_scc1 .LBB110_106
; %bb.94:                               ;   in Loop: Header=BB110_22 Depth=1
	s_add_u32 s22, s95, s8
	v_readlane_b32 s6, v42, 44
	s_addc_u32 s7, s6, s9
	s_mov_b32 s6, s91
	s_cmp_lg_u64 s[6:7], 0
	s_cbranch_scc0 .LBB110_151
; %bb.95:                               ;   in Loop: Header=BB110_22 Depth=1
	v_cvt_f32_u32_e32 v2, s55
	s_sub_u32 s6, 0, s55
	s_subb_u32 s12, 0, 0
	v_mac_f32_e32 v2, 0, v30
	v_rcp_f32_e32 v2, v2
	v_mul_f32_e32 v2, 0x5f7ffffc, v2
	v_mul_f32_e32 v3, 0x2f800000, v2
	v_trunc_f32_e32 v3, v3
	v_mac_f32_e32 v2, 0xcf800000, v3
	v_cvt_u32_f32_e32 v3, v3
	v_cvt_u32_f32_e32 v2, v2
	v_readfirstlane_b32 s13, v3
	v_readfirstlane_b32 s23, v2
	s_mul_i32 s24, s6, s13
	s_mul_hi_u32 s30, s6, s23
	s_mul_i32 s25, s12, s23
	s_add_i32 s24, s30, s24
	s_mul_i32 s31, s6, s23
	s_add_i32 s24, s24, s25
	s_mul_hi_u32 s30, s23, s31
	s_mul_hi_u32 s25, s23, s24
	s_mul_i32 s23, s23, s24
	s_add_u32 s23, s30, s23
	s_addc_u32 s25, 0, s25
	s_mul_hi_u32 s34, s13, s31
	s_mul_i32 s31, s13, s31
	s_add_u32 s23, s23, s31
	s_mul_hi_u32 s30, s13, s24
	s_addc_u32 s23, s25, s34
	s_addc_u32 s25, s30, 0
	s_mul_i32 s24, s13, s24
	s_add_u32 s23, s23, s24
	s_addc_u32 s24, 0, s25
	v_add_co_u32_e32 v2, vcc, s23, v2
	s_cmp_lg_u64 vcc, 0
	s_addc_u32 s13, s13, s24
	v_readfirstlane_b32 s24, v2
	s_mul_i32 s23, s6, s13
	s_mul_hi_u32 s25, s6, s24
	s_add_i32 s23, s25, s23
	s_mul_i32 s12, s12, s24
	s_add_i32 s23, s23, s12
	s_mul_i32 s6, s6, s24
	s_mul_hi_u32 s25, s13, s6
	s_mul_i32 s30, s13, s6
	s_mul_i32 s34, s24, s23
	s_mul_hi_u32 s6, s24, s6
	s_mul_hi_u32 s31, s24, s23
	s_add_u32 s6, s6, s34
	s_addc_u32 s24, 0, s31
	s_add_u32 s6, s6, s30
	s_mul_hi_u32 s12, s13, s23
	s_addc_u32 s6, s24, s25
	s_addc_u32 s12, s12, 0
	s_mul_i32 s23, s13, s23
	s_add_u32 s6, s6, s23
	s_addc_u32 s12, 0, s12
	v_add_co_u32_e32 v2, vcc, s6, v2
	s_cmp_lg_u64 vcc, 0
	s_addc_u32 s6, s13, s12
	v_readfirstlane_b32 s23, v2
	s_mul_i32 s13, s22, s6
	s_mul_hi_u32 s24, s22, s23
	s_mul_hi_u32 s12, s22, s6
	s_add_u32 s13, s24, s13
	s_addc_u32 s12, 0, s12
	s_mul_hi_u32 s25, s7, s23
	s_mul_i32 s23, s7, s23
	s_add_u32 s13, s13, s23
	s_mul_hi_u32 s24, s7, s6
	s_addc_u32 s12, s12, s25
	s_addc_u32 s13, s24, 0
	s_mul_i32 s6, s7, s6
	s_add_u32 s6, s12, s6
	s_addc_u32 s12, 0, s13
	s_mul_hi_u32 s13, s55, s6
	s_mul_i32 s6, s55, s6
	s_mul_i32 s12, s55, s12
	v_mov_b32_e32 v2, s6
	s_add_i32 s13, s13, s12
	v_sub_co_u32_e32 v2, vcc, s22, v2
	s_cmp_lg_u64 vcc, 0
	s_subb_u32 s6, s7, s13
	v_subrev_co_u32_e32 v3, vcc, s55, v2
	s_cmp_lg_u64 vcc, 0
	s_subb_u32 s12, s6, 0
	v_subrev_co_u32_e32 v4, vcc, s55, v3
	s_cmp_lg_u64 vcc, 0
	s_subb_u32 s13, s12, 0
	v_cmp_le_u32_e32 vcc, s55, v3
	s_cmp_eq_u32 s12, 0
	v_cndmask_b32_e64 v5, 0, -1, vcc
	s_cselect_b64 vcc, -1, 0
	v_cndmask_b32_e32 v5, -1, v5, vcc
	v_mov_b32_e32 v6, s12
	v_mov_b32_e32 v7, s13
	v_cmp_ne_u32_e32 vcc, 0, v5
	v_cndmask_b32_e32 v5, v6, v7, vcc
	v_cndmask_b32_e32 v4, v3, v4, vcc
	v_cmp_le_u32_e32 vcc, s55, v2
	s_cmp_eq_u32 s6, 0
	v_cndmask_b32_e64 v3, 0, -1, vcc
	s_cselect_b64 vcc, -1, 0
	v_cndmask_b32_e32 v3, -1, v3, vcc
	v_mov_b32_e32 v6, s6
	v_cmp_ne_u32_e32 vcc, 0, v3
	v_cndmask_b32_e32 v3, v6, v5, vcc
	v_cndmask_b32_e32 v2, v2, v4, vcc
	s_cbranch_execnz .LBB110_97
.LBB110_96:                             ;   in Loop: Header=BB110_22 Depth=1
	v_cvt_f32_u32_e32 v2, s55
	s_sub_i32 s6, 0, s55
	v_rcp_iflag_f32_e32 v2, v2
	v_mul_f32_e32 v2, 0x4f7ffffe, v2
	v_cvt_u32_f32_e32 v2, v2
	v_mul_lo_u32 v3, s6, v2
	v_mul_hi_u32 v3, v2, v3
	v_add_u32_e32 v2, v2, v3
	v_mul_hi_u32 v2, s22, v2
	v_mul_lo_u32 v2, v2, s55
	v_sub_u32_e32 v2, s22, v2
	v_subrev_u32_e32 v3, s55, v2
	v_cmp_le_u32_e32 vcc, s55, v2
	v_cndmask_b32_e32 v2, v2, v3, vcc
	v_subrev_u32_e32 v3, s55, v2
	v_cmp_le_u32_e32 vcc, s55, v2
	v_cndmask_b32_e32 v10, v2, v3, vcc
	v_pk_mov_b32 v[2:3], v[10:11], v[10:11] op_sel:[0,1]
.LBB110_97:                             ;   in Loop: Header=BB110_22 Depth=1
	v_mov_b32_e32 v4, s7
	v_sub_co_u32_e32 v2, vcc, s22, v2
	v_subb_co_u32_e32 v3, vcc, v4, v3, vcc
	v_cmp_gt_u64_e32 vcc, v[2:3], v[0:1]
	s_mov_b64 s[6:7], 0
                                        ; implicit-def: $vgpr32
	s_and_saveexec_b64 s[12:13], vcc
	s_cbranch_execz .LBB110_108
; %bb.98:                               ;   in Loop: Header=BB110_22 Depth=1
	s_mov_b64 s[22:23], 0
	v_mov_b32_e32 v6, v23
	v_pk_mov_b32 v[4:5], v[0:1], v[0:1] op_sel:[0,1]
                                        ; implicit-def: $sgpr24_sgpr25
	s_branch .LBB110_100
.LBB110_99:                             ;   in Loop: Header=BB110_100 Depth=2
	s_or_b64 exec, exec, s[6:7]
	s_waitcnt lgkmcnt(0)
	s_barrier
	ds_read_b32 v7, v11 offset:3072
	v_mov_b32_e32 v8, s54
	v_add_co_u32_e64 v4, s[6:7], s55, v4
	v_addc_co_u32_e64 v5, s[6:7], v5, v8, s[6:7]
	s_waitcnt lgkmcnt(0)
	v_cmp_ne_u16_e32 vcc, 0, v7
	v_cmp_ge_u64_e64 s[6:7], v[4:5], v[2:3]
	s_or_b64 s[6:7], s[6:7], vcc
	s_and_b64 s[6:7], exec, s[6:7]
	s_or_b64 s[22:23], s[6:7], s[22:23]
	s_andn2_b64 s[6:7], s[24:25], exec
	s_and_b64 s[24:25], vcc, exec
	v_add_u32_e32 v6, s0, v6
	s_or_b64 s[24:25], s[6:7], s[24:25]
	s_barrier
	s_andn2_b64 exec, exec, s[22:23]
	s_cbranch_execz .LBB110_107
.LBB110_100:                            ;   Parent Loop BB110_22 Depth=1
                                        ; =>  This Inner Loop Header: Depth=2
	v_cmp_gt_u64_e32 vcc, s[8:9], v[4:5]
	v_mov_b32_e32 v7, 0
	s_and_saveexec_b64 s[6:7], vcc
	s_cbranch_execz .LBB110_102
; %bb.101:                              ;   in Loop: Header=BB110_100 Depth=2
	ds_read_u16 v7, v6
.LBB110_102:                            ;   in Loop: Header=BB110_100 Depth=2
	s_or_b64 exec, exec, s[6:7]
	s_and_saveexec_b64 s[6:7], vcc
	s_cbranch_execz .LBB110_99
; %bb.103:                              ;   in Loop: Header=BB110_100 Depth=2
	s_waitcnt lgkmcnt(0)
	v_add_u32_sdwa v8, sext(v7), s2 dst_sel:DWORD dst_unused:UNUSED_PAD src0_sel:WORD_0 src1_sel:DWORD
	v_and_b32_e32 v8, s27, v8
	v_cmp_eq_u32_e32 vcc, s94, v8
	s_and_b64 exec, exec, vcc
	s_cbranch_execz .LBB110_99
; %bb.104:                              ;   in Loop: Header=BB110_100 Depth=2
	v_perm_b32 v7, v7, 1, v31
	ds_write_b32 v11, v7 offset:3072
	s_branch .LBB110_99
.LBB110_105:                            ;   in Loop: Header=BB110_22 Depth=1
	s_mov_b64 s[6:7], -1
                                        ; implicit-def: $sgpr8_sgpr9
                                        ; implicit-def: $sgpr22_sgpr23
                                        ; implicit-def: $sgpr12_sgpr13
	s_branch .LBB110_122
.LBB110_106:                            ;   in Loop: Header=BB110_22 Depth=1
	s_mov_b64 s[8:9], -1
	s_mov_b64 s[6:7], 0
                                        ; implicit-def: $sgpr12_sgpr13
                                        ; implicit-def: $vgpr32
	s_mov_b64 s[22:23], s[8:9]
	s_cbranch_execnz .LBB110_109
	s_branch .LBB110_122
.LBB110_107:                            ;   in Loop: Header=BB110_22 Depth=1
	s_or_b64 exec, exec, s[22:23]
	v_lshrrev_b32_e32 v32, 16, v7
	s_and_b64 s[6:7], s[24:25], exec
.LBB110_108:                            ;   in Loop: Header=BB110_22 Depth=1
	s_or_b64 exec, exec, s[12:13]
	s_mov_b64 s[12:13], -1
	s_mov_b64 s[8:9], 0
	s_mov_b64 s[22:23], s[8:9]
	s_branch .LBB110_122
.LBB110_109:                            ;   in Loop: Header=BB110_22 Depth=1
	s_mov_b32 s82, s91
	s_cmp_lg_u64 s[82:83], 0
	s_cbranch_scc0 .LBB110_155
; %bb.110:                              ;   in Loop: Header=BB110_22 Depth=1
	v_cvt_f32_u32_e32 v2, s55
	s_sub_u32 s6, 0, s55
	s_subb_u32 s7, 0, 0
	v_mac_f32_e32 v2, 0, v30
	v_rcp_f32_e32 v2, v2
	v_mul_f32_e32 v2, 0x5f7ffffc, v2
	v_mul_f32_e32 v3, 0x2f800000, v2
	v_trunc_f32_e32 v3, v3
	v_mac_f32_e32 v2, 0xcf800000, v3
	v_cvt_u32_f32_e32 v3, v3
	v_cvt_u32_f32_e32 v2, v2
	v_readfirstlane_b32 s8, v3
	v_readfirstlane_b32 s9, v2
	s_mul_i32 s12, s6, s8
	s_mul_hi_u32 s22, s6, s9
	s_mul_i32 s13, s7, s9
	s_add_i32 s12, s22, s12
	s_mul_i32 s23, s6, s9
	s_add_i32 s12, s12, s13
	s_mul_hi_u32 s22, s9, s23
	s_mul_hi_u32 s13, s9, s12
	s_mul_i32 s9, s9, s12
	s_add_u32 s9, s22, s9
	s_addc_u32 s13, 0, s13
	s_mul_hi_u32 s24, s8, s23
	s_mul_i32 s23, s8, s23
	s_add_u32 s9, s9, s23
	s_mul_hi_u32 s22, s8, s12
	s_addc_u32 s9, s13, s24
	s_addc_u32 s13, s22, 0
	s_mul_i32 s12, s8, s12
	s_add_u32 s9, s9, s12
	s_addc_u32 s12, 0, s13
	v_add_co_u32_e32 v2, vcc, s9, v2
	s_cmp_lg_u64 vcc, 0
	s_addc_u32 s8, s8, s12
	v_readfirstlane_b32 s12, v2
	s_mul_i32 s9, s6, s8
	s_mul_hi_u32 s13, s6, s12
	s_add_i32 s9, s13, s9
	s_mul_i32 s7, s7, s12
	s_add_i32 s9, s9, s7
	s_mul_i32 s6, s6, s12
	s_mul_hi_u32 s13, s8, s6
	s_mul_i32 s22, s8, s6
	s_mul_i32 s24, s12, s9
	s_mul_hi_u32 s6, s12, s6
	s_mul_hi_u32 s23, s12, s9
	s_add_u32 s6, s6, s24
	s_addc_u32 s12, 0, s23
	s_add_u32 s6, s6, s22
	s_mul_hi_u32 s7, s8, s9
	s_addc_u32 s6, s12, s13
	s_addc_u32 s7, s7, 0
	s_mul_i32 s9, s8, s9
	s_add_u32 s6, s6, s9
	s_addc_u32 s7, 0, s7
	v_add_co_u32_e32 v2, vcc, s6, v2
	s_cmp_lg_u64 vcc, 0
	s_addc_u32 s6, s8, s7
	v_readfirstlane_b32 s9, v2
	s_mul_i32 s8, s1, s6
	s_mul_hi_u32 s12, s1, s9
	s_mul_hi_u32 s7, s1, s6
	s_add_u32 s8, s12, s8
	s_addc_u32 s7, 0, s7
	s_mul_hi_u32 s13, s83, s9
	s_mul_i32 s9, s83, s9
	s_add_u32 s8, s8, s9
	s_mul_hi_u32 s12, s83, s6
	s_addc_u32 s7, s7, s13
	s_addc_u32 s8, s12, 0
	s_mul_i32 s6, s83, s6
	s_add_u32 s6, s7, s6
	s_addc_u32 s7, 0, s8
	s_mul_hi_u32 s8, s55, s6
	s_mul_i32 s6, s55, s6
	s_mul_i32 s7, s55, s7
	v_mov_b32_e32 v2, s6
	s_add_i32 s8, s8, s7
	v_sub_co_u32_e32 v2, vcc, s1, v2
	s_cmp_lg_u64 vcc, 0
	s_subb_u32 s6, s83, s8
	v_subrev_co_u32_e32 v3, vcc, s55, v2
	s_cmp_lg_u64 vcc, 0
	s_subb_u32 s7, s6, 0
	v_subrev_co_u32_e32 v4, vcc, s55, v3
	s_cmp_lg_u64 vcc, 0
	s_subb_u32 s8, s7, 0
	v_cmp_le_u32_e32 vcc, s55, v3
	s_cmp_eq_u32 s7, 0
	v_cndmask_b32_e64 v5, 0, -1, vcc
	s_cselect_b64 vcc, -1, 0
	v_cndmask_b32_e32 v5, -1, v5, vcc
	v_mov_b32_e32 v6, s7
	v_mov_b32_e32 v7, s8
	v_cmp_ne_u32_e32 vcc, 0, v5
	v_cndmask_b32_e32 v5, v6, v7, vcc
	v_cndmask_b32_e32 v4, v3, v4, vcc
	v_cmp_le_u32_e32 vcc, s55, v2
	s_cmp_eq_u32 s6, 0
	v_cndmask_b32_e64 v3, 0, -1, vcc
	s_cselect_b64 vcc, -1, 0
	v_cndmask_b32_e32 v3, -1, v3, vcc
	v_mov_b32_e32 v6, s6
	v_cmp_ne_u32_e32 vcc, 0, v3
	v_cndmask_b32_e32 v3, v6, v5, vcc
	v_cndmask_b32_e32 v2, v2, v4, vcc
	s_cbranch_execnz .LBB110_112
.LBB110_111:                            ;   in Loop: Header=BB110_22 Depth=1
	v_cvt_f32_u32_e32 v2, s55
	s_sub_i32 s6, 0, s55
	v_rcp_iflag_f32_e32 v2, v2
	v_mul_f32_e32 v2, 0x4f7ffffe, v2
	v_cvt_u32_f32_e32 v2, v2
	v_mul_lo_u32 v3, s6, v2
	v_mul_hi_u32 v3, v2, v3
	v_add_u32_e32 v2, v2, v3
	v_mul_hi_u32 v2, s1, v2
	v_mul_lo_u32 v2, v2, s55
	v_sub_u32_e32 v2, s1, v2
	v_subrev_u32_e32 v3, s55, v2
	v_cmp_le_u32_e32 vcc, s55, v2
	v_cndmask_b32_e32 v2, v2, v3, vcc
	v_subrev_u32_e32 v3, s55, v2
	v_cmp_le_u32_e32 vcc, s55, v2
	v_cndmask_b32_e32 v10, v2, v3, vcc
	v_pk_mov_b32 v[2:3], v[10:11], v[10:11] op_sel:[0,1]
.LBB110_112:                            ;   in Loop: Header=BB110_22 Depth=1
	v_mov_b32_e32 v4, s83
	v_sub_co_u32_e32 v2, vcc, s1, v2
	v_subb_co_u32_e32 v3, vcc, v4, v3, vcc
	v_cmp_gt_u64_e32 vcc, v[2:3], v[0:1]
	s_mov_b64 s[6:7], 0
                                        ; implicit-def: $vgpr32
	s_and_saveexec_b64 s[8:9], vcc
	s_cbranch_execz .LBB110_121
; %bb.113:                              ;   in Loop: Header=BB110_22 Depth=1
	s_mov_b64 s[12:13], 0
	v_pk_mov_b32 v[4:5], v[0:1], v[0:1] op_sel:[0,1]
                                        ; implicit-def: $sgpr22_sgpr23
	s_branch .LBB110_115
.LBB110_114:                            ;   in Loop: Header=BB110_115 Depth=2
	s_or_b64 exec, exec, s[6:7]
	s_waitcnt lgkmcnt(0)
	s_barrier
	s_waitcnt vmcnt(0)
	ds_read_b32 v6, v11 offset:3072
	v_mov_b32_e32 v7, s54
	v_add_co_u32_e64 v4, s[6:7], s55, v4
	v_addc_co_u32_e64 v5, s[6:7], v5, v7, s[6:7]
	s_waitcnt lgkmcnt(0)
	v_cmp_ne_u16_e32 vcc, 0, v6
	v_cmp_ge_u64_e64 s[6:7], v[4:5], v[2:3]
	s_or_b64 s[6:7], s[6:7], vcc
	s_and_b64 s[6:7], exec, s[6:7]
	s_or_b64 s[12:13], s[6:7], s[12:13]
	s_andn2_b64 s[6:7], s[22:23], exec
	s_and_b64 s[22:23], vcc, exec
	s_or_b64 s[22:23], s[6:7], s[22:23]
	s_barrier
	s_andn2_b64 exec, exec, s[12:13]
	s_cbranch_execz .LBB110_120
.LBB110_115:                            ;   Parent Loop BB110_22 Depth=1
                                        ; =>  This Inner Loop Header: Depth=2
	v_cmp_gt_u64_e32 vcc, s[52:53], v[4:5]
	v_mov_b32_e32 v6, 0
	s_and_saveexec_b64 s[24:25], vcc
	s_cbranch_execz .LBB110_117
; %bb.116:                              ;   in Loop: Header=BB110_115 Depth=2
	v_mul_lo_u32 v8, v5, s80
	v_mul_lo_u32 v9, v4, s81
	v_mad_u64_u32 v[6:7], s[6:7], v4, s80, 0
	v_add3_u32 v7, v7, v9, v8
	v_lshlrev_b64 v[6:7], 1, v[6:7]
	v_mov_b32_e32 v8, s84
	v_add_co_u32_e64 v6, s[6:7], s33, v6
	v_addc_co_u32_e64 v7, s[6:7], v8, v7, s[6:7]
	global_load_ushort v6, v[6:7], off
.LBB110_117:                            ;   in Loop: Header=BB110_115 Depth=2
	s_or_b64 exec, exec, s[24:25]
	s_and_saveexec_b64 s[6:7], vcc
	s_cbranch_execz .LBB110_114
; %bb.118:                              ;   in Loop: Header=BB110_115 Depth=2
	s_waitcnt vmcnt(0)
	v_add_u32_sdwa v7, sext(v6), s2 dst_sel:DWORD dst_unused:UNUSED_PAD src0_sel:WORD_0 src1_sel:DWORD
	v_and_b32_e32 v7, s27, v7
	v_cmp_eq_u32_e32 vcc, s94, v7
	s_and_b64 exec, exec, vcc
	s_cbranch_execz .LBB110_114
; %bb.119:                              ;   in Loop: Header=BB110_115 Depth=2
	v_perm_b32 v6, v6, 1, v31
	ds_write_b32 v11, v6 offset:3072
	s_branch .LBB110_114
.LBB110_120:                            ;   in Loop: Header=BB110_22 Depth=1
	s_or_b64 exec, exec, s[12:13]
	v_lshrrev_b32_e32 v32, 16, v6
	s_and_b64 s[6:7], s[22:23], exec
.LBB110_121:                            ;   in Loop: Header=BB110_22 Depth=1
	s_or_b64 exec, exec, s[8:9]
	s_mov_b64 s[22:23], -1
	s_mov_b64 s[8:9], 0
	s_mov_b64 s[12:13], 0
.LBB110_122:                            ;   in Loop: Header=BB110_22 Depth=1
	s_andn2_b64 s[24:25], s[58:59], exec
	s_and_b64 s[8:9], s[8:9], exec
	s_or_b64 s[58:59], s[24:25], s[8:9]
	s_andn2_b64 s[8:9], s[56:57], exec
	s_and_b64 s[22:23], s[22:23], exec
	s_or_b64 s[56:57], s[8:9], s[22:23]
	;; [unrolled: 3-line block ×3, first 2 shown]
	s_and_saveexec_b64 s[12:13], s[6:7]
	s_cbranch_execz .LBB110_21
; %bb.123:                              ;   in Loop: Header=BB110_22 Depth=1
	s_xor_b64 s[6:7], s[20:21], -1
	s_andn2_b64 vcc, exec, s[6:7]
	s_mov_b32 s49, 1
	s_cbranch_vccnz .LBB110_134
; %bb.124:                              ;   in Loop: Header=BB110_22 Depth=1
	v_pk_mov_b32 v[2:3], s[14:15], s[14:15] op_sel:[0,1]
	v_cmp_gt_u64_e32 vcc, s[92:93], v[2:3]
	s_mov_b64 s[6:7], -1
                                        ; implicit-def: $sgpr49
                                        ; implicit-def: $sgpr8
                                        ; implicit-def: $sgpr9
	s_cbranch_vccnz .LBB110_130
; %bb.125:                              ;   in Loop: Header=BB110_22 Depth=1
	ds_read_b64 v[2:3], v11 offset:5120
	s_waitcnt lgkmcnt(0)
	v_cmp_ne_u64_e32 vcc, 0, v[2:3]
	s_cbranch_vccnz .LBB110_129
; %bb.126:                              ;   in Loop: Header=BB110_22 Depth=1
	s_mov_b64 s[6:7], exec
	v_readlane_b32 s8, v42, 28
	v_readlane_b32 s9, v42, 29
	s_and_b64 s[8:9], s[6:7], s[8:9]
	s_mov_b64 exec, s[8:9]
	s_cbranch_execz .LBB110_128
; %bb.127:                              ;   in Loop: Header=BB110_22 Depth=1
	v_pk_mov_b32 v[2:3], s[14:15], s[14:15] op_sel:[0,1]
	ds_write_b64 v11, v[2:3] offset:5128
.LBB110_128:                            ;   in Loop: Header=BB110_22 Depth=1
	s_or_b64 exec, exec, s[6:7]
	s_waitcnt lgkmcnt(0)
	s_barrier
.LBB110_129:                            ;   in Loop: Header=BB110_22 Depth=1
	s_and_b32 s8, s94, s41
	s_or_b32 s9, s27, s48
	s_mov_b64 s[6:7], 0
	s_mov_b32 s49, 8
.LBB110_130:                            ;   in Loop: Header=BB110_22 Depth=1
	s_andn2_b64 vcc, exec, s[6:7]
	s_cbranch_vccnz .LBB110_132
; %bb.131:                              ;   in Loop: Header=BB110_22 Depth=1
	s_sub_u32 s92, s92, s14
	s_subb_u32 s93, s93, s15
	s_mov_b64 s[6:7], -1
	s_mov_b32 s49, 0
	s_mov_b32 s8, s94
	s_mov_b32 s9, s27
.LBB110_132:                            ;   in Loop: Header=BB110_22 Depth=1
	s_mov_b32 s27, s9
	s_mov_b32 s94, s8
	s_mov_b64 s[14:15], -1
	s_and_b64 vcc, exec, s[6:7]
	s_cbranch_vccnz .LBB110_135
.LBB110_133:                            ;   in Loop: Header=BB110_22 Depth=1
	s_mov_b64 s[8:9], -1
                                        ; implicit-def: $sgpr18_sgpr19
                                        ; implicit-def: $sgpr22_sgpr23
                                        ; implicit-def: $sgpr20_sgpr21
	s_and_saveexec_b64 s[6:7], s[8:9]
	s_xor_b64 s[6:7], exec, s[6:7]
	s_cbranch_execz .LBB110_20
	s_branch .LBB110_284
.LBB110_134:                            ;   in Loop: Header=BB110_22 Depth=1
	s_mov_b64 s[92:93], 1
	s_mov_b64 s[14:15], -1
	s_branch .LBB110_133
.LBB110_135:                            ;   in Loop: Header=BB110_22 Depth=1
	s_cmp_eq_u64 s[28:29], 1
	s_cselect_b64 s[6:7], -1, 0
	s_cmp_eq_u64 s[92:93], 1
	s_cselect_b64 s[8:9], -1, 0
	s_and_b64 s[30:31], s[6:7], s[8:9]
	s_mov_b64 s[6:7], -1
	s_and_b64 vcc, exec, s[30:31]
	s_cbranch_vccz .LBB110_150
; %bb.136:                              ;   in Loop: Header=BB110_22 Depth=1
	ds_read_b64 v[2:3], v11 offset:5120
	s_waitcnt lgkmcnt(0)
	s_barrier
	v_readfirstlane_b32 s8, v2
	v_readfirstlane_b32 s9, v3
	s_mov_b64 s[6:7], exec
	v_readlane_b32 s18, v42, 38
	v_readlane_b32 s19, v42, 39
	s_and_b64 s[18:19], s[6:7], s[18:19]
	s_mov_b64 exec, s[18:19]
	s_cbranch_execz .LBB110_138
; %bb.137:                              ;   in Loop: Header=BB110_22 Depth=1
	ds_write_b16 v24, v1
.LBB110_138:                            ;   in Loop: Header=BB110_22 Depth=1
	s_or_b64 exec, exec, s[6:7]
	s_lshl_b32 s6, 1, s40
	s_and_b32 s7, s94, s41
	s_or_b32 s94, s7, s6
	s_or_b32 s27, s27, s48
	s_cmp_eq_u64 s[8:9], 0
	s_waitcnt lgkmcnt(0)
	s_barrier
	s_cbranch_scc1 .LBB110_156
; %bb.139:                              ;   in Loop: Header=BB110_22 Depth=1
	s_add_u32 s20, s95, s8
	v_readlane_b32 s6, v42, 44
	s_addc_u32 s7, s6, s9
	s_mov_b32 s6, s91
	s_cmp_lg_u64 s[6:7], 0
	s_cbranch_scc0 .LBB110_201
; %bb.140:                              ;   in Loop: Header=BB110_22 Depth=1
	v_cvt_f32_u32_e32 v2, s55
	s_sub_u32 s6, 0, s55
	s_subb_u32 s18, 0, 0
	v_mac_f32_e32 v2, 0, v30
	v_rcp_f32_e32 v2, v2
	v_mul_f32_e32 v2, 0x5f7ffffc, v2
	v_mul_f32_e32 v3, 0x2f800000, v2
	v_trunc_f32_e32 v3, v3
	v_mac_f32_e32 v2, 0xcf800000, v3
	v_cvt_u32_f32_e32 v3, v3
	v_cvt_u32_f32_e32 v2, v2
	v_readfirstlane_b32 s19, v3
	v_readfirstlane_b32 s21, v2
	s_mul_i32 s22, s6, s19
	s_mul_hi_u32 s24, s6, s21
	s_mul_i32 s23, s18, s21
	s_add_i32 s22, s24, s22
	s_mul_i32 s25, s6, s21
	s_add_i32 s22, s22, s23
	s_mul_hi_u32 s24, s21, s25
	s_mul_hi_u32 s23, s21, s22
	s_mul_i32 s21, s21, s22
	s_add_u32 s21, s24, s21
	s_addc_u32 s23, 0, s23
	s_mul_hi_u32 s34, s19, s25
	s_mul_i32 s25, s19, s25
	s_add_u32 s21, s21, s25
	s_mul_hi_u32 s24, s19, s22
	s_addc_u32 s21, s23, s34
	s_addc_u32 s23, s24, 0
	s_mul_i32 s22, s19, s22
	s_add_u32 s21, s21, s22
	s_addc_u32 s22, 0, s23
	v_add_co_u32_e32 v2, vcc, s21, v2
	s_cmp_lg_u64 vcc, 0
	s_addc_u32 s19, s19, s22
	v_readfirstlane_b32 s22, v2
	s_mul_i32 s21, s6, s19
	s_mul_hi_u32 s23, s6, s22
	s_add_i32 s21, s23, s21
	s_mul_i32 s18, s18, s22
	s_add_i32 s21, s21, s18
	s_mul_i32 s6, s6, s22
	s_mul_hi_u32 s23, s19, s6
	s_mul_i32 s24, s19, s6
	s_mul_i32 s34, s22, s21
	s_mul_hi_u32 s6, s22, s6
	s_mul_hi_u32 s25, s22, s21
	s_add_u32 s6, s6, s34
	s_addc_u32 s22, 0, s25
	s_add_u32 s6, s6, s24
	s_mul_hi_u32 s18, s19, s21
	s_addc_u32 s6, s22, s23
	s_addc_u32 s18, s18, 0
	s_mul_i32 s21, s19, s21
	s_add_u32 s6, s6, s21
	s_addc_u32 s18, 0, s18
	v_add_co_u32_e32 v2, vcc, s6, v2
	s_cmp_lg_u64 vcc, 0
	s_addc_u32 s6, s19, s18
	v_readfirstlane_b32 s21, v2
	s_mul_i32 s19, s20, s6
	s_mul_hi_u32 s22, s20, s21
	s_mul_hi_u32 s18, s20, s6
	s_add_u32 s19, s22, s19
	s_addc_u32 s18, 0, s18
	s_mul_hi_u32 s23, s7, s21
	s_mul_i32 s21, s7, s21
	s_add_u32 s19, s19, s21
	s_mul_hi_u32 s22, s7, s6
	s_addc_u32 s18, s18, s23
	s_addc_u32 s19, s22, 0
	s_mul_i32 s6, s7, s6
	s_add_u32 s6, s18, s6
	s_addc_u32 s18, 0, s19
	s_mul_hi_u32 s19, s55, s6
	s_mul_i32 s6, s55, s6
	s_mul_i32 s18, s55, s18
	v_mov_b32_e32 v2, s6
	s_add_i32 s19, s19, s18
	v_sub_co_u32_e32 v2, vcc, s20, v2
	s_cmp_lg_u64 vcc, 0
	s_subb_u32 s6, s7, s19
	v_subrev_co_u32_e32 v3, vcc, s55, v2
	s_cmp_lg_u64 vcc, 0
	s_subb_u32 s18, s6, 0
	v_subrev_co_u32_e32 v4, vcc, s55, v3
	s_cmp_lg_u64 vcc, 0
	s_subb_u32 s19, s18, 0
	v_cmp_le_u32_e32 vcc, s55, v3
	s_cmp_eq_u32 s18, 0
	v_cndmask_b32_e64 v5, 0, -1, vcc
	s_cselect_b64 vcc, -1, 0
	v_cndmask_b32_e32 v5, -1, v5, vcc
	v_mov_b32_e32 v6, s18
	v_mov_b32_e32 v7, s19
	v_cmp_ne_u32_e32 vcc, 0, v5
	v_cndmask_b32_e32 v5, v6, v7, vcc
	v_cndmask_b32_e32 v4, v3, v4, vcc
	v_cmp_le_u32_e32 vcc, s55, v2
	s_cmp_eq_u32 s6, 0
	v_cndmask_b32_e64 v3, 0, -1, vcc
	s_cselect_b64 vcc, -1, 0
	v_cndmask_b32_e32 v3, -1, v3, vcc
	v_mov_b32_e32 v6, s6
	v_cmp_ne_u32_e32 vcc, 0, v3
	v_cndmask_b32_e32 v3, v6, v5, vcc
	v_cndmask_b32_e32 v2, v2, v4, vcc
	s_cbranch_execnz .LBB110_142
.LBB110_141:                            ;   in Loop: Header=BB110_22 Depth=1
	v_cvt_f32_u32_e32 v2, s55
	s_sub_i32 s6, 0, s55
	v_rcp_iflag_f32_e32 v2, v2
	v_mul_f32_e32 v2, 0x4f7ffffe, v2
	v_cvt_u32_f32_e32 v2, v2
	v_mul_lo_u32 v3, s6, v2
	v_mul_hi_u32 v3, v2, v3
	v_add_u32_e32 v2, v2, v3
	v_mul_hi_u32 v2, s20, v2
	v_mul_lo_u32 v2, v2, s55
	v_sub_u32_e32 v2, s20, v2
	v_subrev_u32_e32 v3, s55, v2
	v_cmp_le_u32_e32 vcc, s55, v2
	v_cndmask_b32_e32 v2, v2, v3, vcc
	v_subrev_u32_e32 v3, s55, v2
	v_cmp_le_u32_e32 vcc, s55, v2
	v_cndmask_b32_e32 v10, v2, v3, vcc
	v_pk_mov_b32 v[2:3], v[10:11], v[10:11] op_sel:[0,1]
.LBB110_142:                            ;   in Loop: Header=BB110_22 Depth=1
	v_mov_b32_e32 v4, s7
	v_sub_co_u32_e32 v2, vcc, s20, v2
	v_subb_co_u32_e32 v3, vcc, v4, v3, vcc
	v_cmp_gt_u64_e32 vcc, v[2:3], v[0:1]
	s_mov_b64 s[6:7], 0
                                        ; implicit-def: $vgpr32
	s_and_saveexec_b64 s[18:19], vcc
	s_cbranch_execz .LBB110_158
; %bb.143:                              ;   in Loop: Header=BB110_22 Depth=1
	s_mov_b64 s[20:21], 0
	v_mov_b32_e32 v6, v23
	v_pk_mov_b32 v[4:5], v[0:1], v[0:1] op_sel:[0,1]
                                        ; implicit-def: $sgpr22_sgpr23
	s_branch .LBB110_145
.LBB110_144:                            ;   in Loop: Header=BB110_145 Depth=2
	s_or_b64 exec, exec, s[6:7]
	s_waitcnt lgkmcnt(0)
	s_barrier
	ds_read_b32 v7, v11 offset:3072
	v_mov_b32_e32 v8, s54
	v_add_co_u32_e64 v4, s[6:7], s55, v4
	v_addc_co_u32_e64 v5, s[6:7], v5, v8, s[6:7]
	s_waitcnt lgkmcnt(0)
	v_cmp_ne_u16_e32 vcc, 0, v7
	v_cmp_ge_u64_e64 s[6:7], v[4:5], v[2:3]
	s_or_b64 s[6:7], s[6:7], vcc
	s_and_b64 s[6:7], exec, s[6:7]
	s_or_b64 s[20:21], s[6:7], s[20:21]
	s_andn2_b64 s[6:7], s[22:23], exec
	s_and_b64 s[22:23], vcc, exec
	v_add_u32_e32 v6, s0, v6
	s_or_b64 s[22:23], s[6:7], s[22:23]
	s_barrier
	s_andn2_b64 exec, exec, s[20:21]
	s_cbranch_execz .LBB110_157
.LBB110_145:                            ;   Parent Loop BB110_22 Depth=1
                                        ; =>  This Inner Loop Header: Depth=2
	v_cmp_gt_u64_e32 vcc, s[8:9], v[4:5]
	v_mov_b32_e32 v7, 0
	s_and_saveexec_b64 s[6:7], vcc
	s_cbranch_execz .LBB110_147
; %bb.146:                              ;   in Loop: Header=BB110_145 Depth=2
	ds_read_u16 v7, v6
.LBB110_147:                            ;   in Loop: Header=BB110_145 Depth=2
	s_or_b64 exec, exec, s[6:7]
	s_and_saveexec_b64 s[6:7], vcc
	s_cbranch_execz .LBB110_144
; %bb.148:                              ;   in Loop: Header=BB110_145 Depth=2
	s_waitcnt lgkmcnt(0)
	v_add_u32_sdwa v8, sext(v7), s2 dst_sel:DWORD dst_unused:UNUSED_PAD src0_sel:WORD_0 src1_sel:DWORD
	v_and_b32_e32 v8, s27, v8
	v_cmp_eq_u32_e32 vcc, s94, v8
	s_and_b64 exec, exec, vcc
	s_cbranch_execz .LBB110_144
; %bb.149:                              ;   in Loop: Header=BB110_145 Depth=2
	v_perm_b32 v7, v7, 1, v31
	ds_write_b32 v11, v7 offset:3072
	s_branch .LBB110_144
.LBB110_150:                            ;   in Loop: Header=BB110_22 Depth=1
                                        ; implicit-def: $sgpr20_sgpr21
                                        ; implicit-def: $sgpr22_sgpr23
                                        ; implicit-def: $sgpr18_sgpr19
	s_branch .LBB110_172
.LBB110_151:                            ;   in Loop: Header=BB110_22 Depth=1
                                        ; implicit-def: $vgpr2_vgpr3
	s_branch .LBB110_96
.LBB110_152:                            ;   in Loop: Header=BB110_22 Depth=1
	s_or_b64 exec, exec, s[8:9]
	s_waitcnt lgkmcnt(0)
	s_barrier
	s_mov_b64 s[6:7], exec
	v_readlane_b32 s8, v42, 28
	v_readlane_b32 s9, v42, 29
	s_and_b64 s[8:9], s[6:7], s[8:9]
	s_mov_b64 exec, s[8:9]
	s_cbranch_execz .LBB110_154
; %bb.153:                              ;   in Loop: Header=BB110_22 Depth=1
	ds_read_b32 v2, v11 offset:5144
	s_waitcnt lgkmcnt(0)
	v_ashrrev_i32_e32 v3, 31, v2
	ds_write_b64 v11, v[2:3] offset:5120
.LBB110_154:                            ;   in Loop: Header=BB110_22 Depth=1
	s_or_b64 exec, exec, s[6:7]
	s_waitcnt lgkmcnt(0)
	s_barrier
	s_mov_b64 s[6:7], -1
	s_and_b64 vcc, exec, s[72:73]
	s_cbranch_vccnz .LBB110_37
	s_branch .LBB110_47
.LBB110_155:                            ;   in Loop: Header=BB110_22 Depth=1
                                        ; implicit-def: $vgpr2_vgpr3
	s_branch .LBB110_111
.LBB110_156:                            ;   in Loop: Header=BB110_22 Depth=1
	s_mov_b64 s[20:21], -1
	s_mov_b64 s[6:7], 0
                                        ; implicit-def: $sgpr18_sgpr19
                                        ; implicit-def: $vgpr32
	s_mov_b64 s[22:23], s[20:21]
	s_cbranch_execnz .LBB110_159
	s_branch .LBB110_172
.LBB110_157:                            ;   in Loop: Header=BB110_22 Depth=1
	s_or_b64 exec, exec, s[20:21]
	v_lshrrev_b32_e32 v32, 16, v7
	s_and_b64 s[6:7], s[22:23], exec
.LBB110_158:                            ;   in Loop: Header=BB110_22 Depth=1
	s_or_b64 exec, exec, s[18:19]
	s_mov_b64 s[18:19], -1
	s_mov_b64 s[20:21], 0
	s_mov_b64 s[22:23], s[20:21]
	s_branch .LBB110_172
.LBB110_159:                            ;   in Loop: Header=BB110_22 Depth=1
	s_mov_b32 s82, s91
	s_cmp_lg_u64 s[82:83], 0
	s_cbranch_scc0 .LBB110_202
; %bb.160:                              ;   in Loop: Header=BB110_22 Depth=1
	v_cvt_f32_u32_e32 v2, s55
	s_sub_u32 s6, 0, s55
	s_subb_u32 s7, 0, 0
	v_mac_f32_e32 v2, 0, v30
	v_rcp_f32_e32 v2, v2
	v_mul_f32_e32 v2, 0x5f7ffffc, v2
	v_mul_f32_e32 v3, 0x2f800000, v2
	v_trunc_f32_e32 v3, v3
	v_mac_f32_e32 v2, 0xcf800000, v3
	v_cvt_u32_f32_e32 v3, v3
	v_cvt_u32_f32_e32 v2, v2
	v_readfirstlane_b32 s8, v3
	v_readfirstlane_b32 s9, v2
	s_mul_i32 s18, s6, s8
	s_mul_hi_u32 s20, s6, s9
	s_mul_i32 s19, s7, s9
	s_add_i32 s18, s20, s18
	s_mul_i32 s21, s6, s9
	s_add_i32 s18, s18, s19
	s_mul_hi_u32 s20, s9, s21
	s_mul_hi_u32 s19, s9, s18
	s_mul_i32 s9, s9, s18
	s_add_u32 s9, s20, s9
	s_addc_u32 s19, 0, s19
	s_mul_hi_u32 s22, s8, s21
	s_mul_i32 s21, s8, s21
	s_add_u32 s9, s9, s21
	s_mul_hi_u32 s20, s8, s18
	s_addc_u32 s9, s19, s22
	s_addc_u32 s19, s20, 0
	s_mul_i32 s18, s8, s18
	s_add_u32 s9, s9, s18
	s_addc_u32 s18, 0, s19
	v_add_co_u32_e32 v2, vcc, s9, v2
	s_cmp_lg_u64 vcc, 0
	s_addc_u32 s8, s8, s18
	v_readfirstlane_b32 s18, v2
	s_mul_i32 s9, s6, s8
	s_mul_hi_u32 s19, s6, s18
	s_add_i32 s9, s19, s9
	s_mul_i32 s7, s7, s18
	s_add_i32 s9, s9, s7
	s_mul_i32 s6, s6, s18
	s_mul_hi_u32 s19, s8, s6
	s_mul_i32 s20, s8, s6
	s_mul_i32 s22, s18, s9
	s_mul_hi_u32 s6, s18, s6
	s_mul_hi_u32 s21, s18, s9
	s_add_u32 s6, s6, s22
	s_addc_u32 s18, 0, s21
	s_add_u32 s6, s6, s20
	s_mul_hi_u32 s7, s8, s9
	s_addc_u32 s6, s18, s19
	s_addc_u32 s7, s7, 0
	s_mul_i32 s9, s8, s9
	s_add_u32 s6, s6, s9
	s_addc_u32 s7, 0, s7
	v_add_co_u32_e32 v2, vcc, s6, v2
	s_cmp_lg_u64 vcc, 0
	s_addc_u32 s6, s8, s7
	v_readfirstlane_b32 s9, v2
	s_mul_i32 s8, s1, s6
	s_mul_hi_u32 s18, s1, s9
	s_mul_hi_u32 s7, s1, s6
	s_add_u32 s8, s18, s8
	s_addc_u32 s7, 0, s7
	s_mul_hi_u32 s19, s83, s9
	s_mul_i32 s9, s83, s9
	s_add_u32 s8, s8, s9
	s_mul_hi_u32 s18, s83, s6
	s_addc_u32 s7, s7, s19
	s_addc_u32 s8, s18, 0
	s_mul_i32 s6, s83, s6
	s_add_u32 s6, s7, s6
	s_addc_u32 s7, 0, s8
	s_mul_hi_u32 s8, s55, s6
	s_mul_i32 s6, s55, s6
	s_mul_i32 s7, s55, s7
	v_mov_b32_e32 v2, s6
	s_add_i32 s8, s8, s7
	v_sub_co_u32_e32 v2, vcc, s1, v2
	s_cmp_lg_u64 vcc, 0
	s_subb_u32 s6, s83, s8
	v_subrev_co_u32_e32 v3, vcc, s55, v2
	s_cmp_lg_u64 vcc, 0
	s_subb_u32 s7, s6, 0
	v_subrev_co_u32_e32 v4, vcc, s55, v3
	s_cmp_lg_u64 vcc, 0
	s_subb_u32 s8, s7, 0
	v_cmp_le_u32_e32 vcc, s55, v3
	s_cmp_eq_u32 s7, 0
	v_cndmask_b32_e64 v5, 0, -1, vcc
	s_cselect_b64 vcc, -1, 0
	v_cndmask_b32_e32 v5, -1, v5, vcc
	v_mov_b32_e32 v6, s7
	v_mov_b32_e32 v7, s8
	v_cmp_ne_u32_e32 vcc, 0, v5
	v_cndmask_b32_e32 v5, v6, v7, vcc
	v_cndmask_b32_e32 v4, v3, v4, vcc
	v_cmp_le_u32_e32 vcc, s55, v2
	s_cmp_eq_u32 s6, 0
	v_cndmask_b32_e64 v3, 0, -1, vcc
	s_cselect_b64 vcc, -1, 0
	v_cndmask_b32_e32 v3, -1, v3, vcc
	v_mov_b32_e32 v6, s6
	v_cmp_ne_u32_e32 vcc, 0, v3
	v_cndmask_b32_e32 v3, v6, v5, vcc
	v_cndmask_b32_e32 v2, v2, v4, vcc
	s_cbranch_execnz .LBB110_162
.LBB110_161:                            ;   in Loop: Header=BB110_22 Depth=1
	v_cvt_f32_u32_e32 v2, s55
	s_sub_i32 s6, 0, s55
	v_rcp_iflag_f32_e32 v2, v2
	v_mul_f32_e32 v2, 0x4f7ffffe, v2
	v_cvt_u32_f32_e32 v2, v2
	v_mul_lo_u32 v3, s6, v2
	v_mul_hi_u32 v3, v2, v3
	v_add_u32_e32 v2, v2, v3
	v_mul_hi_u32 v2, s1, v2
	v_mul_lo_u32 v2, v2, s55
	v_sub_u32_e32 v2, s1, v2
	v_subrev_u32_e32 v3, s55, v2
	v_cmp_le_u32_e32 vcc, s55, v2
	v_cndmask_b32_e32 v2, v2, v3, vcc
	v_subrev_u32_e32 v3, s55, v2
	v_cmp_le_u32_e32 vcc, s55, v2
	v_cndmask_b32_e32 v10, v2, v3, vcc
	v_pk_mov_b32 v[2:3], v[10:11], v[10:11] op_sel:[0,1]
.LBB110_162:                            ;   in Loop: Header=BB110_22 Depth=1
	v_mov_b32_e32 v4, s83
	v_sub_co_u32_e32 v2, vcc, s1, v2
	v_subb_co_u32_e32 v3, vcc, v4, v3, vcc
	v_cmp_gt_u64_e32 vcc, v[2:3], v[0:1]
	s_mov_b64 s[6:7], 0
                                        ; implicit-def: $vgpr32
	s_and_saveexec_b64 s[8:9], vcc
	s_cbranch_execz .LBB110_171
; %bb.163:                              ;   in Loop: Header=BB110_22 Depth=1
	s_mov_b64 s[18:19], 0
	v_pk_mov_b32 v[4:5], v[0:1], v[0:1] op_sel:[0,1]
                                        ; implicit-def: $sgpr20_sgpr21
	s_branch .LBB110_165
.LBB110_164:                            ;   in Loop: Header=BB110_165 Depth=2
	s_or_b64 exec, exec, s[6:7]
	s_waitcnt lgkmcnt(0)
	s_barrier
	s_waitcnt vmcnt(0)
	ds_read_b32 v6, v11 offset:3072
	v_mov_b32_e32 v7, s54
	v_add_co_u32_e64 v4, s[6:7], s55, v4
	v_addc_co_u32_e64 v5, s[6:7], v5, v7, s[6:7]
	s_waitcnt lgkmcnt(0)
	v_cmp_ne_u16_e32 vcc, 0, v6
	v_cmp_ge_u64_e64 s[6:7], v[4:5], v[2:3]
	s_or_b64 s[6:7], s[6:7], vcc
	s_and_b64 s[6:7], exec, s[6:7]
	s_or_b64 s[18:19], s[6:7], s[18:19]
	s_andn2_b64 s[6:7], s[20:21], exec
	s_and_b64 s[20:21], vcc, exec
	s_or_b64 s[20:21], s[6:7], s[20:21]
	s_barrier
	s_andn2_b64 exec, exec, s[18:19]
	s_cbranch_execz .LBB110_170
.LBB110_165:                            ;   Parent Loop BB110_22 Depth=1
                                        ; =>  This Inner Loop Header: Depth=2
	v_cmp_gt_u64_e32 vcc, s[52:53], v[4:5]
	v_mov_b32_e32 v6, 0
	s_and_saveexec_b64 s[22:23], vcc
	s_cbranch_execz .LBB110_167
; %bb.166:                              ;   in Loop: Header=BB110_165 Depth=2
	v_mul_lo_u32 v8, v5, s80
	v_mul_lo_u32 v9, v4, s81
	v_mad_u64_u32 v[6:7], s[6:7], v4, s80, 0
	v_add3_u32 v7, v7, v9, v8
	v_lshlrev_b64 v[6:7], 1, v[6:7]
	v_mov_b32_e32 v8, s84
	v_add_co_u32_e64 v6, s[6:7], s33, v6
	v_addc_co_u32_e64 v7, s[6:7], v8, v7, s[6:7]
	global_load_ushort v6, v[6:7], off
.LBB110_167:                            ;   in Loop: Header=BB110_165 Depth=2
	s_or_b64 exec, exec, s[22:23]
	s_and_saveexec_b64 s[6:7], vcc
	s_cbranch_execz .LBB110_164
; %bb.168:                              ;   in Loop: Header=BB110_165 Depth=2
	s_waitcnt vmcnt(0)
	v_add_u32_sdwa v7, sext(v6), s2 dst_sel:DWORD dst_unused:UNUSED_PAD src0_sel:WORD_0 src1_sel:DWORD
	v_and_b32_e32 v7, s27, v7
	v_cmp_eq_u32_e32 vcc, s94, v7
	s_and_b64 exec, exec, vcc
	s_cbranch_execz .LBB110_164
; %bb.169:                              ;   in Loop: Header=BB110_165 Depth=2
	v_perm_b32 v6, v6, 1, v31
	ds_write_b32 v11, v6 offset:3072
	s_branch .LBB110_164
.LBB110_170:                            ;   in Loop: Header=BB110_22 Depth=1
	s_or_b64 exec, exec, s[18:19]
	v_lshrrev_b32_e32 v32, 16, v6
	s_and_b64 s[6:7], s[20:21], exec
.LBB110_171:                            ;   in Loop: Header=BB110_22 Depth=1
	s_or_b64 exec, exec, s[8:9]
	s_mov_b64 s[22:23], -1
	s_mov_b64 s[20:21], 0
	s_mov_b64 s[18:19], 0
.LBB110_172:                            ;   in Loop: Header=BB110_22 Depth=1
	s_mov_b64 s[8:9], 0
                                        ; implicit-def: $sgpr49
	s_and_saveexec_b64 s[24:25], s[6:7]
	s_cbranch_execz .LBB110_283
; %bb.173:                              ;   in Loop: Header=BB110_22 Depth=1
	s_xor_b64 s[6:7], s[30:31], -1
	s_andn2_b64 vcc, exec, s[6:7]
	s_mov_b32 s49, 1
	s_cbranch_vccnz .LBB110_184
; %bb.174:                              ;   in Loop: Header=BB110_22 Depth=1
	v_pk_mov_b32 v[2:3], s[28:29], s[28:29] op_sel:[0,1]
	v_cmp_gt_u64_e32 vcc, s[92:93], v[2:3]
	s_mov_b64 s[6:7], -1
                                        ; implicit-def: $sgpr49
                                        ; implicit-def: $sgpr8
                                        ; implicit-def: $sgpr9
	s_cbranch_vccnz .LBB110_180
; %bb.175:                              ;   in Loop: Header=BB110_22 Depth=1
	ds_read_b64 v[2:3], v11 offset:5120
	s_waitcnt lgkmcnt(0)
	v_cmp_ne_u64_e32 vcc, 0, v[2:3]
	s_cbranch_vccnz .LBB110_179
; %bb.176:                              ;   in Loop: Header=BB110_22 Depth=1
	s_mov_b64 s[6:7], exec
	v_readlane_b32 s8, v42, 28
	v_readlane_b32 s9, v42, 29
	s_and_b64 s[8:9], s[6:7], s[8:9]
	s_mov_b64 exec, s[8:9]
	s_cbranch_execz .LBB110_178
; %bb.177:                              ;   in Loop: Header=BB110_22 Depth=1
	v_pk_mov_b32 v[2:3], s[28:29], s[28:29] op_sel:[0,1]
	ds_write_b64 v11, v[2:3] offset:5128
.LBB110_178:                            ;   in Loop: Header=BB110_22 Depth=1
	s_or_b64 exec, exec, s[6:7]
	s_waitcnt lgkmcnt(0)
	s_barrier
.LBB110_179:                            ;   in Loop: Header=BB110_22 Depth=1
	s_lshl_b32 s6, 1, s40
	s_and_b32 s7, s94, s41
	s_or_b32 s8, s7, s6
	s_or_b32 s9, s27, s48
	s_mov_b64 s[6:7], 0
	s_mov_b32 s49, 8
.LBB110_180:                            ;   in Loop: Header=BB110_22 Depth=1
	s_andn2_b64 vcc, exec, s[6:7]
	s_cbranch_vccnz .LBB110_182
; %bb.181:                              ;   in Loop: Header=BB110_22 Depth=1
	s_sub_u32 s92, s92, s28
	s_subb_u32 s93, s93, s29
	s_mov_b64 s[6:7], -1
	s_mov_b32 s49, 0
	s_mov_b32 s8, s94
	;; [unrolled: 1-line block ×3, first 2 shown]
.LBB110_182:                            ;   in Loop: Header=BB110_22 Depth=1
	s_mov_b32 s27, s9
	s_mov_b32 s94, s8
	s_andn2_b64 vcc, exec, s[6:7]
	s_mov_b64 s[8:9], -1
	s_cbranch_vccz .LBB110_185
.LBB110_183:                            ;   in Loop: Header=BB110_22 Depth=1
                                        ; implicit-def: $sgpr30_sgpr31
                                        ; implicit-def: $sgpr34_sgpr35
                                        ; implicit-def: $sgpr28_sgpr29
	s_branch .LBB110_282
.LBB110_184:                            ;   in Loop: Header=BB110_22 Depth=1
	s_mov_b64 s[92:93], 1
	s_mov_b64 s[8:9], -1
	s_cbranch_execnz .LBB110_183
.LBB110_185:                            ;   in Loop: Header=BB110_22 Depth=1
	s_cmp_eq_u64 s[16:17], 1
	s_cselect_b64 s[6:7], -1, 0
	s_cmp_eq_u64 s[92:93], 1
	s_cselect_b64 s[8:9], -1, 0
	s_and_b64 s[38:39], s[6:7], s[8:9]
	s_mov_b64 s[6:7], -1
	s_and_b64 vcc, exec, s[38:39]
	s_cbranch_vccz .LBB110_200
; %bb.186:                              ;   in Loop: Header=BB110_22 Depth=1
	ds_read_b64 v[2:3], v11 offset:5120
	s_waitcnt lgkmcnt(0)
	s_barrier
	v_readfirstlane_b32 s8, v2
	v_readfirstlane_b32 s9, v3
	s_mov_b64 s[6:7], exec
	v_readlane_b32 s28, v42, 38
	v_readlane_b32 s29, v42, 39
	s_and_b64 s[28:29], s[6:7], s[28:29]
	s_mov_b64 exec, s[28:29]
	s_cbranch_execz .LBB110_188
; %bb.187:                              ;   in Loop: Header=BB110_22 Depth=1
	ds_write_b16 v24, v1
.LBB110_188:                            ;   in Loop: Header=BB110_22 Depth=1
	s_or_b64 exec, exec, s[6:7]
	s_lshl_b32 s6, 2, s40
	s_and_b32 s7, s94, s41
	s_or_b32 s94, s7, s6
	s_or_b32 s27, s27, s48
	s_cmp_eq_u64 s[8:9], 0
	s_waitcnt lgkmcnt(0)
	s_barrier
	s_cbranch_scc1 .LBB110_203
; %bb.189:                              ;   in Loop: Header=BB110_22 Depth=1
	s_add_u32 s30, s95, s8
	v_readlane_b32 s6, v42, 44
	s_addc_u32 s7, s6, s9
	s_mov_b32 s6, s91
	s_cmp_lg_u64 s[6:7], 0
	s_cbranch_scc0 .LBB110_248
; %bb.190:                              ;   in Loop: Header=BB110_22 Depth=1
	v_cvt_f32_u32_e32 v2, s55
	s_sub_u32 s6, 0, s55
	s_subb_u32 s28, 0, 0
	v_mac_f32_e32 v2, 0, v30
	v_rcp_f32_e32 v2, v2
	v_mul_f32_e32 v2, 0x5f7ffffc, v2
	v_mul_f32_e32 v3, 0x2f800000, v2
	v_trunc_f32_e32 v3, v3
	v_mac_f32_e32 v2, 0xcf800000, v3
	v_cvt_u32_f32_e32 v3, v3
	v_cvt_u32_f32_e32 v2, v2
	v_readfirstlane_b32 s29, v3
	v_readfirstlane_b32 s31, v2
	s_mul_i32 s34, s6, s29
	s_mul_hi_u32 s36, s6, s31
	s_mul_i32 s35, s28, s31
	s_add_i32 s34, s36, s34
	s_mul_i32 s37, s6, s31
	s_add_i32 s34, s34, s35
	s_mul_hi_u32 s36, s31, s37
	s_mul_hi_u32 s35, s31, s34
	s_mul_i32 s31, s31, s34
	s_add_u32 s31, s36, s31
	s_addc_u32 s35, 0, s35
	s_mul_hi_u32 s42, s29, s37
	s_mul_i32 s37, s29, s37
	s_add_u32 s31, s31, s37
	s_mul_hi_u32 s36, s29, s34
	s_addc_u32 s31, s35, s42
	s_addc_u32 s35, s36, 0
	s_mul_i32 s34, s29, s34
	s_add_u32 s31, s31, s34
	s_addc_u32 s34, 0, s35
	v_add_co_u32_e32 v2, vcc, s31, v2
	s_cmp_lg_u64 vcc, 0
	s_addc_u32 s29, s29, s34
	v_readfirstlane_b32 s34, v2
	s_mul_i32 s31, s6, s29
	s_mul_hi_u32 s35, s6, s34
	s_add_i32 s31, s35, s31
	s_mul_i32 s28, s28, s34
	s_add_i32 s31, s31, s28
	s_mul_i32 s6, s6, s34
	s_mul_hi_u32 s35, s29, s6
	s_mul_i32 s36, s29, s6
	s_mul_i32 s42, s34, s31
	s_mul_hi_u32 s6, s34, s6
	s_mul_hi_u32 s37, s34, s31
	s_add_u32 s6, s6, s42
	s_addc_u32 s34, 0, s37
	s_add_u32 s6, s6, s36
	s_mul_hi_u32 s28, s29, s31
	s_addc_u32 s6, s34, s35
	s_addc_u32 s28, s28, 0
	s_mul_i32 s31, s29, s31
	s_add_u32 s6, s6, s31
	s_addc_u32 s28, 0, s28
	v_add_co_u32_e32 v2, vcc, s6, v2
	s_cmp_lg_u64 vcc, 0
	s_addc_u32 s6, s29, s28
	v_readfirstlane_b32 s31, v2
	s_mul_i32 s29, s30, s6
	s_mul_hi_u32 s34, s30, s31
	s_mul_hi_u32 s28, s30, s6
	s_add_u32 s29, s34, s29
	s_addc_u32 s28, 0, s28
	s_mul_hi_u32 s35, s7, s31
	s_mul_i32 s31, s7, s31
	s_add_u32 s29, s29, s31
	s_mul_hi_u32 s34, s7, s6
	s_addc_u32 s28, s28, s35
	s_addc_u32 s29, s34, 0
	s_mul_i32 s6, s7, s6
	s_add_u32 s6, s28, s6
	s_addc_u32 s28, 0, s29
	s_mul_hi_u32 s29, s55, s6
	s_mul_i32 s6, s55, s6
	s_mul_i32 s28, s55, s28
	v_mov_b32_e32 v2, s6
	s_add_i32 s29, s29, s28
	v_sub_co_u32_e32 v2, vcc, s30, v2
	s_cmp_lg_u64 vcc, 0
	s_subb_u32 s6, s7, s29
	v_subrev_co_u32_e32 v3, vcc, s55, v2
	s_cmp_lg_u64 vcc, 0
	s_subb_u32 s28, s6, 0
	v_subrev_co_u32_e32 v4, vcc, s55, v3
	s_cmp_lg_u64 vcc, 0
	s_subb_u32 s29, s28, 0
	v_cmp_le_u32_e32 vcc, s55, v3
	s_cmp_eq_u32 s28, 0
	v_cndmask_b32_e64 v5, 0, -1, vcc
	s_cselect_b64 vcc, -1, 0
	v_cndmask_b32_e32 v5, -1, v5, vcc
	v_mov_b32_e32 v6, s28
	v_mov_b32_e32 v7, s29
	v_cmp_ne_u32_e32 vcc, 0, v5
	v_cndmask_b32_e32 v5, v6, v7, vcc
	v_cndmask_b32_e32 v4, v3, v4, vcc
	v_cmp_le_u32_e32 vcc, s55, v2
	s_cmp_eq_u32 s6, 0
	v_cndmask_b32_e64 v3, 0, -1, vcc
	s_cselect_b64 vcc, -1, 0
	v_cndmask_b32_e32 v3, -1, v3, vcc
	v_mov_b32_e32 v6, s6
	v_cmp_ne_u32_e32 vcc, 0, v3
	v_cndmask_b32_e32 v3, v6, v5, vcc
	v_cndmask_b32_e32 v2, v2, v4, vcc
	s_cbranch_execnz .LBB110_192
.LBB110_191:                            ;   in Loop: Header=BB110_22 Depth=1
	v_cvt_f32_u32_e32 v2, s55
	s_sub_i32 s6, 0, s55
	v_rcp_iflag_f32_e32 v2, v2
	v_mul_f32_e32 v2, 0x4f7ffffe, v2
	v_cvt_u32_f32_e32 v2, v2
	v_mul_lo_u32 v3, s6, v2
	v_mul_hi_u32 v3, v2, v3
	v_add_u32_e32 v2, v2, v3
	v_mul_hi_u32 v2, s30, v2
	v_mul_lo_u32 v2, v2, s55
	v_sub_u32_e32 v2, s30, v2
	v_subrev_u32_e32 v3, s55, v2
	v_cmp_le_u32_e32 vcc, s55, v2
	v_cndmask_b32_e32 v2, v2, v3, vcc
	v_subrev_u32_e32 v3, s55, v2
	v_cmp_le_u32_e32 vcc, s55, v2
	v_cndmask_b32_e32 v10, v2, v3, vcc
	v_pk_mov_b32 v[2:3], v[10:11], v[10:11] op_sel:[0,1]
.LBB110_192:                            ;   in Loop: Header=BB110_22 Depth=1
	v_mov_b32_e32 v4, s7
	v_sub_co_u32_e32 v2, vcc, s30, v2
	v_subb_co_u32_e32 v3, vcc, v4, v3, vcc
	v_cmp_gt_u64_e32 vcc, v[2:3], v[0:1]
	s_mov_b64 s[6:7], 0
                                        ; implicit-def: $vgpr32
	s_and_saveexec_b64 s[28:29], vcc
	s_cbranch_execz .LBB110_205
; %bb.193:                              ;   in Loop: Header=BB110_22 Depth=1
	s_mov_b64 s[30:31], 0
	v_mov_b32_e32 v6, v23
	v_pk_mov_b32 v[4:5], v[0:1], v[0:1] op_sel:[0,1]
                                        ; implicit-def: $sgpr34_sgpr35
	s_branch .LBB110_195
.LBB110_194:                            ;   in Loop: Header=BB110_195 Depth=2
	s_or_b64 exec, exec, s[6:7]
	s_waitcnt lgkmcnt(0)
	s_barrier
	ds_read_b32 v7, v11 offset:3072
	v_mov_b32_e32 v8, s54
	v_add_co_u32_e64 v4, s[6:7], s55, v4
	v_addc_co_u32_e64 v5, s[6:7], v5, v8, s[6:7]
	s_waitcnt lgkmcnt(0)
	v_cmp_ne_u16_e32 vcc, 0, v7
	v_cmp_ge_u64_e64 s[6:7], v[4:5], v[2:3]
	s_or_b64 s[6:7], s[6:7], vcc
	s_and_b64 s[6:7], exec, s[6:7]
	s_or_b64 s[30:31], s[6:7], s[30:31]
	s_andn2_b64 s[6:7], s[34:35], exec
	s_and_b64 s[34:35], vcc, exec
	v_add_u32_e32 v6, s0, v6
	s_or_b64 s[34:35], s[6:7], s[34:35]
	s_barrier
	s_andn2_b64 exec, exec, s[30:31]
	s_cbranch_execz .LBB110_204
.LBB110_195:                            ;   Parent Loop BB110_22 Depth=1
                                        ; =>  This Inner Loop Header: Depth=2
	v_cmp_gt_u64_e32 vcc, s[8:9], v[4:5]
	v_mov_b32_e32 v7, 0
	s_and_saveexec_b64 s[6:7], vcc
	s_cbranch_execz .LBB110_197
; %bb.196:                              ;   in Loop: Header=BB110_195 Depth=2
	ds_read_u16 v7, v6
.LBB110_197:                            ;   in Loop: Header=BB110_195 Depth=2
	s_or_b64 exec, exec, s[6:7]
	s_and_saveexec_b64 s[6:7], vcc
	s_cbranch_execz .LBB110_194
; %bb.198:                              ;   in Loop: Header=BB110_195 Depth=2
	s_waitcnt lgkmcnt(0)
	v_add_u32_sdwa v8, sext(v7), s2 dst_sel:DWORD dst_unused:UNUSED_PAD src0_sel:WORD_0 src1_sel:DWORD
	v_and_b32_e32 v8, s27, v8
	v_cmp_eq_u32_e32 vcc, s94, v8
	s_and_b64 exec, exec, vcc
	s_cbranch_execz .LBB110_194
; %bb.199:                              ;   in Loop: Header=BB110_195 Depth=2
	v_perm_b32 v7, v7, 1, v31
	ds_write_b32 v11, v7 offset:3072
	s_branch .LBB110_194
.LBB110_200:                            ;   in Loop: Header=BB110_22 Depth=1
                                        ; implicit-def: $sgpr28_sgpr29
                                        ; implicit-def: $sgpr34_sgpr35
                                        ; implicit-def: $sgpr30_sgpr31
	s_branch .LBB110_219
.LBB110_201:                            ;   in Loop: Header=BB110_22 Depth=1
                                        ; implicit-def: $vgpr2_vgpr3
	s_branch .LBB110_141
.LBB110_202:                            ;   in Loop: Header=BB110_22 Depth=1
                                        ; implicit-def: $vgpr2_vgpr3
	s_branch .LBB110_161
.LBB110_203:                            ;   in Loop: Header=BB110_22 Depth=1
	s_mov_b64 s[28:29], -1
	s_mov_b64 s[6:7], 0
                                        ; implicit-def: $sgpr30_sgpr31
                                        ; implicit-def: $vgpr32
	s_mov_b64 s[34:35], s[28:29]
	s_cbranch_execnz .LBB110_206
	s_branch .LBB110_219
.LBB110_204:                            ;   in Loop: Header=BB110_22 Depth=1
	s_or_b64 exec, exec, s[30:31]
	v_lshrrev_b32_e32 v32, 16, v7
	s_and_b64 s[6:7], s[34:35], exec
.LBB110_205:                            ;   in Loop: Header=BB110_22 Depth=1
	s_or_b64 exec, exec, s[28:29]
	s_mov_b64 s[30:31], -1
	s_mov_b64 s[28:29], 0
	s_mov_b64 s[34:35], s[28:29]
	s_branch .LBB110_219
.LBB110_206:                            ;   in Loop: Header=BB110_22 Depth=1
	s_mov_b32 s82, s91
	s_cmp_lg_u64 s[82:83], 0
	s_cbranch_scc0 .LBB110_249
; %bb.207:                              ;   in Loop: Header=BB110_22 Depth=1
	v_cvt_f32_u32_e32 v2, s55
	s_sub_u32 s6, 0, s55
	s_subb_u32 s7, 0, 0
	v_mac_f32_e32 v2, 0, v30
	v_rcp_f32_e32 v2, v2
	v_mul_f32_e32 v2, 0x5f7ffffc, v2
	v_mul_f32_e32 v3, 0x2f800000, v2
	v_trunc_f32_e32 v3, v3
	v_mac_f32_e32 v2, 0xcf800000, v3
	v_cvt_u32_f32_e32 v3, v3
	v_cvt_u32_f32_e32 v2, v2
	v_readfirstlane_b32 s8, v3
	v_readfirstlane_b32 s9, v2
	s_mul_i32 s28, s6, s8
	s_mul_hi_u32 s30, s6, s9
	s_mul_i32 s29, s7, s9
	s_add_i32 s28, s30, s28
	s_mul_i32 s31, s6, s9
	s_add_i32 s28, s28, s29
	s_mul_hi_u32 s30, s9, s31
	s_mul_hi_u32 s29, s9, s28
	s_mul_i32 s9, s9, s28
	s_add_u32 s9, s30, s9
	s_addc_u32 s29, 0, s29
	s_mul_hi_u32 s34, s8, s31
	s_mul_i32 s31, s8, s31
	s_add_u32 s9, s9, s31
	s_mul_hi_u32 s30, s8, s28
	s_addc_u32 s9, s29, s34
	s_addc_u32 s29, s30, 0
	s_mul_i32 s28, s8, s28
	s_add_u32 s9, s9, s28
	s_addc_u32 s28, 0, s29
	v_add_co_u32_e32 v2, vcc, s9, v2
	s_cmp_lg_u64 vcc, 0
	s_addc_u32 s8, s8, s28
	v_readfirstlane_b32 s28, v2
	s_mul_i32 s9, s6, s8
	s_mul_hi_u32 s29, s6, s28
	s_add_i32 s9, s29, s9
	s_mul_i32 s7, s7, s28
	s_add_i32 s9, s9, s7
	s_mul_i32 s6, s6, s28
	s_mul_hi_u32 s29, s8, s6
	s_mul_i32 s30, s8, s6
	s_mul_i32 s34, s28, s9
	s_mul_hi_u32 s6, s28, s6
	s_mul_hi_u32 s31, s28, s9
	s_add_u32 s6, s6, s34
	s_addc_u32 s28, 0, s31
	s_add_u32 s6, s6, s30
	s_mul_hi_u32 s7, s8, s9
	s_addc_u32 s6, s28, s29
	s_addc_u32 s7, s7, 0
	s_mul_i32 s9, s8, s9
	s_add_u32 s6, s6, s9
	s_addc_u32 s7, 0, s7
	v_add_co_u32_e32 v2, vcc, s6, v2
	s_cmp_lg_u64 vcc, 0
	s_addc_u32 s6, s8, s7
	v_readfirstlane_b32 s9, v2
	s_mul_i32 s8, s1, s6
	s_mul_hi_u32 s28, s1, s9
	s_mul_hi_u32 s7, s1, s6
	s_add_u32 s8, s28, s8
	s_addc_u32 s7, 0, s7
	s_mul_hi_u32 s29, s83, s9
	s_mul_i32 s9, s83, s9
	s_add_u32 s8, s8, s9
	s_mul_hi_u32 s28, s83, s6
	s_addc_u32 s7, s7, s29
	s_addc_u32 s8, s28, 0
	s_mul_i32 s6, s83, s6
	s_add_u32 s6, s7, s6
	s_addc_u32 s7, 0, s8
	s_mul_hi_u32 s8, s55, s6
	s_mul_i32 s6, s55, s6
	s_mul_i32 s7, s55, s7
	v_mov_b32_e32 v2, s6
	s_add_i32 s8, s8, s7
	v_sub_co_u32_e32 v2, vcc, s1, v2
	s_cmp_lg_u64 vcc, 0
	s_subb_u32 s6, s83, s8
	v_subrev_co_u32_e32 v3, vcc, s55, v2
	s_cmp_lg_u64 vcc, 0
	s_subb_u32 s7, s6, 0
	v_subrev_co_u32_e32 v4, vcc, s55, v3
	s_cmp_lg_u64 vcc, 0
	s_subb_u32 s8, s7, 0
	v_cmp_le_u32_e32 vcc, s55, v3
	s_cmp_eq_u32 s7, 0
	v_cndmask_b32_e64 v5, 0, -1, vcc
	s_cselect_b64 vcc, -1, 0
	v_cndmask_b32_e32 v5, -1, v5, vcc
	v_mov_b32_e32 v6, s7
	v_mov_b32_e32 v7, s8
	v_cmp_ne_u32_e32 vcc, 0, v5
	v_cndmask_b32_e32 v5, v6, v7, vcc
	v_cndmask_b32_e32 v4, v3, v4, vcc
	v_cmp_le_u32_e32 vcc, s55, v2
	s_cmp_eq_u32 s6, 0
	v_cndmask_b32_e64 v3, 0, -1, vcc
	s_cselect_b64 vcc, -1, 0
	v_cndmask_b32_e32 v3, -1, v3, vcc
	v_mov_b32_e32 v6, s6
	v_cmp_ne_u32_e32 vcc, 0, v3
	v_cndmask_b32_e32 v3, v6, v5, vcc
	v_cndmask_b32_e32 v2, v2, v4, vcc
	s_cbranch_execnz .LBB110_209
.LBB110_208:                            ;   in Loop: Header=BB110_22 Depth=1
	v_cvt_f32_u32_e32 v2, s55
	s_sub_i32 s6, 0, s55
	v_rcp_iflag_f32_e32 v2, v2
	v_mul_f32_e32 v2, 0x4f7ffffe, v2
	v_cvt_u32_f32_e32 v2, v2
	v_mul_lo_u32 v3, s6, v2
	v_mul_hi_u32 v3, v2, v3
	v_add_u32_e32 v2, v2, v3
	v_mul_hi_u32 v2, s1, v2
	v_mul_lo_u32 v2, v2, s55
	v_sub_u32_e32 v2, s1, v2
	v_subrev_u32_e32 v3, s55, v2
	v_cmp_le_u32_e32 vcc, s55, v2
	v_cndmask_b32_e32 v2, v2, v3, vcc
	v_subrev_u32_e32 v3, s55, v2
	v_cmp_le_u32_e32 vcc, s55, v2
	v_cndmask_b32_e32 v10, v2, v3, vcc
	v_pk_mov_b32 v[2:3], v[10:11], v[10:11] op_sel:[0,1]
.LBB110_209:                            ;   in Loop: Header=BB110_22 Depth=1
	v_mov_b32_e32 v4, s83
	v_sub_co_u32_e32 v2, vcc, s1, v2
	v_subb_co_u32_e32 v3, vcc, v4, v3, vcc
	v_cmp_gt_u64_e32 vcc, v[2:3], v[0:1]
	s_mov_b64 s[6:7], 0
                                        ; implicit-def: $vgpr32
	s_and_saveexec_b64 s[8:9], vcc
	s_cbranch_execz .LBB110_218
; %bb.210:                              ;   in Loop: Header=BB110_22 Depth=1
	s_mov_b64 s[28:29], 0
	v_pk_mov_b32 v[4:5], v[0:1], v[0:1] op_sel:[0,1]
                                        ; implicit-def: $sgpr30_sgpr31
	s_branch .LBB110_212
.LBB110_211:                            ;   in Loop: Header=BB110_212 Depth=2
	s_or_b64 exec, exec, s[6:7]
	s_waitcnt lgkmcnt(0)
	s_barrier
	s_waitcnt vmcnt(0)
	ds_read_b32 v6, v11 offset:3072
	v_mov_b32_e32 v7, s54
	v_add_co_u32_e64 v4, s[6:7], s55, v4
	v_addc_co_u32_e64 v5, s[6:7], v5, v7, s[6:7]
	s_waitcnt lgkmcnt(0)
	v_cmp_ne_u16_e32 vcc, 0, v6
	v_cmp_ge_u64_e64 s[6:7], v[4:5], v[2:3]
	s_or_b64 s[6:7], s[6:7], vcc
	s_and_b64 s[6:7], exec, s[6:7]
	s_or_b64 s[28:29], s[6:7], s[28:29]
	s_andn2_b64 s[6:7], s[30:31], exec
	s_and_b64 s[30:31], vcc, exec
	s_or_b64 s[30:31], s[6:7], s[30:31]
	s_barrier
	s_andn2_b64 exec, exec, s[28:29]
	s_cbranch_execz .LBB110_217
.LBB110_212:                            ;   Parent Loop BB110_22 Depth=1
                                        ; =>  This Inner Loop Header: Depth=2
	v_cmp_gt_u64_e32 vcc, s[52:53], v[4:5]
	v_mov_b32_e32 v6, 0
	s_and_saveexec_b64 s[34:35], vcc
	s_cbranch_execz .LBB110_214
; %bb.213:                              ;   in Loop: Header=BB110_212 Depth=2
	v_mul_lo_u32 v8, v5, s80
	v_mul_lo_u32 v9, v4, s81
	v_mad_u64_u32 v[6:7], s[6:7], v4, s80, 0
	v_add3_u32 v7, v7, v9, v8
	v_lshlrev_b64 v[6:7], 1, v[6:7]
	v_mov_b32_e32 v8, s84
	v_add_co_u32_e64 v6, s[6:7], s33, v6
	v_addc_co_u32_e64 v7, s[6:7], v8, v7, s[6:7]
	global_load_ushort v6, v[6:7], off
.LBB110_214:                            ;   in Loop: Header=BB110_212 Depth=2
	s_or_b64 exec, exec, s[34:35]
	s_and_saveexec_b64 s[6:7], vcc
	s_cbranch_execz .LBB110_211
; %bb.215:                              ;   in Loop: Header=BB110_212 Depth=2
	s_waitcnt vmcnt(0)
	v_add_u32_sdwa v7, sext(v6), s2 dst_sel:DWORD dst_unused:UNUSED_PAD src0_sel:WORD_0 src1_sel:DWORD
	v_and_b32_e32 v7, s27, v7
	v_cmp_eq_u32_e32 vcc, s94, v7
	s_and_b64 exec, exec, vcc
	s_cbranch_execz .LBB110_211
; %bb.216:                              ;   in Loop: Header=BB110_212 Depth=2
	v_perm_b32 v6, v6, 1, v31
	ds_write_b32 v11, v6 offset:3072
	s_branch .LBB110_211
.LBB110_217:                            ;   in Loop: Header=BB110_22 Depth=1
	s_or_b64 exec, exec, s[28:29]
	v_lshrrev_b32_e32 v32, 16, v6
	s_and_b64 s[6:7], s[30:31], exec
.LBB110_218:                            ;   in Loop: Header=BB110_22 Depth=1
	s_or_b64 exec, exec, s[8:9]
	s_mov_b64 s[34:35], -1
	s_mov_b64 s[28:29], 0
	s_mov_b64 s[30:31], 0
.LBB110_219:                            ;   in Loop: Header=BB110_22 Depth=1
	s_mov_b64 s[8:9], 0
                                        ; implicit-def: $sgpr49
	s_and_saveexec_b64 s[36:37], s[6:7]
	s_cbranch_execz .LBB110_281
; %bb.220:                              ;   in Loop: Header=BB110_22 Depth=1
	s_xor_b64 s[6:7], s[38:39], -1
	s_andn2_b64 vcc, exec, s[6:7]
	s_mov_b32 s49, 1
	s_cbranch_vccnz .LBB110_231
; %bb.221:                              ;   in Loop: Header=BB110_22 Depth=1
	v_pk_mov_b32 v[2:3], s[16:17], s[16:17] op_sel:[0,1]
	v_cmp_gt_u64_e32 vcc, s[92:93], v[2:3]
	s_mov_b64 s[6:7], -1
                                        ; implicit-def: $sgpr49
                                        ; implicit-def: $sgpr8
                                        ; implicit-def: $sgpr9
	s_cbranch_vccnz .LBB110_227
; %bb.222:                              ;   in Loop: Header=BB110_22 Depth=1
	ds_read_b64 v[2:3], v11 offset:5120
	s_waitcnt lgkmcnt(0)
	v_cmp_ne_u64_e32 vcc, 0, v[2:3]
	s_cbranch_vccnz .LBB110_226
; %bb.223:                              ;   in Loop: Header=BB110_22 Depth=1
	s_mov_b64 s[6:7], exec
	v_readlane_b32 s8, v42, 28
	v_readlane_b32 s9, v42, 29
	s_and_b64 s[8:9], s[6:7], s[8:9]
	s_mov_b64 exec, s[8:9]
	s_cbranch_execz .LBB110_225
; %bb.224:                              ;   in Loop: Header=BB110_22 Depth=1
	v_pk_mov_b32 v[2:3], s[16:17], s[16:17] op_sel:[0,1]
	ds_write_b64 v11, v[2:3] offset:5128
.LBB110_225:                            ;   in Loop: Header=BB110_22 Depth=1
	s_or_b64 exec, exec, s[6:7]
	s_waitcnt lgkmcnt(0)
	s_barrier
.LBB110_226:                            ;   in Loop: Header=BB110_22 Depth=1
	s_lshl_b32 s6, 2, s40
	s_and_b32 s7, s94, s41
	s_or_b32 s8, s7, s6
	s_or_b32 s9, s27, s48
	s_mov_b64 s[6:7], 0
	s_mov_b32 s49, 8
.LBB110_227:                            ;   in Loop: Header=BB110_22 Depth=1
	s_andn2_b64 vcc, exec, s[6:7]
	s_cbranch_vccnz .LBB110_229
; %bb.228:                              ;   in Loop: Header=BB110_22 Depth=1
	s_sub_u32 s92, s92, s16
	s_subb_u32 s93, s93, s17
	s_mov_b64 s[6:7], -1
	s_mov_b32 s49, 0
	s_mov_b32 s8, s94
	;; [unrolled: 1-line block ×3, first 2 shown]
.LBB110_229:                            ;   in Loop: Header=BB110_22 Depth=1
	s_mov_b32 s27, s9
	s_mov_b32 s94, s8
	s_andn2_b64 vcc, exec, s[6:7]
	s_mov_b64 s[44:45], -1
	s_cbranch_vccz .LBB110_232
.LBB110_230:                            ;   in Loop: Header=BB110_22 Depth=1
                                        ; implicit-def: $sgpr6_sgpr7
                                        ; implicit-def: $sgpr38_sgpr39
                                        ; implicit-def: $sgpr8_sgpr9
	s_branch .LBB110_280
.LBB110_231:                            ;   in Loop: Header=BB110_22 Depth=1
	s_mov_b64 s[92:93], 1
	s_mov_b64 s[44:45], -1
	s_cbranch_execnz .LBB110_230
.LBB110_232:                            ;   in Loop: Header=BB110_22 Depth=1
	s_cmp_eq_u64 s[10:11], 1
	s_cselect_b64 s[6:7], -1, 0
	s_cmp_eq_u64 s[92:93], 1
	s_cselect_b64 s[8:9], -1, 0
	s_and_b64 s[16:17], s[6:7], s[8:9]
	s_mov_b64 s[40:41], -1
	s_and_b64 vcc, exec, s[16:17]
	s_cbranch_vccz .LBB110_247
; %bb.233:                              ;   in Loop: Header=BB110_22 Depth=1
	ds_read_b64 v[2:3], v11 offset:5120
	s_waitcnt lgkmcnt(0)
	s_barrier
	v_readfirstlane_b32 s8, v2
	v_readfirstlane_b32 s9, v3
	s_mov_b64 s[6:7], exec
	v_readlane_b32 s38, v42, 38
	v_readlane_b32 s39, v42, 39
	s_and_b64 s[38:39], s[6:7], s[38:39]
	s_mov_b64 exec, s[38:39]
	s_cbranch_execz .LBB110_235
; %bb.234:                              ;   in Loop: Header=BB110_22 Depth=1
	ds_write_b16 v24, v1
.LBB110_235:                            ;   in Loop: Header=BB110_22 Depth=1
	s_or_b64 exec, exec, s[6:7]
	s_or_b32 s94, s94, s48
	s_or_b32 s27, s27, s48
	s_cmp_eq_u64 s[8:9], 0
	s_waitcnt lgkmcnt(0)
	s_barrier
	s_cbranch_scc1 .LBB110_250
; %bb.236:                              ;   in Loop: Header=BB110_22 Depth=1
	s_add_u32 s40, s95, s8
	v_readlane_b32 s6, v42, 44
	s_addc_u32 s7, s6, s9
	s_mov_b32 s6, s91
	s_cmp_lg_u64 s[6:7], 0
	s_cbranch_scc0 .LBB110_286
; %bb.237:                              ;   in Loop: Header=BB110_22 Depth=1
	v_cvt_f32_u32_e32 v2, s55
	s_sub_u32 s6, 0, s55
	s_subb_u32 s38, 0, 0
	v_mac_f32_e32 v2, 0, v30
	v_rcp_f32_e32 v2, v2
	v_mul_f32_e32 v2, 0x5f7ffffc, v2
	v_mul_f32_e32 v3, 0x2f800000, v2
	v_trunc_f32_e32 v3, v3
	v_mac_f32_e32 v2, 0xcf800000, v3
	v_cvt_u32_f32_e32 v3, v3
	v_cvt_u32_f32_e32 v2, v2
	v_readfirstlane_b32 s39, v3
	v_readfirstlane_b32 s41, v2
	s_mul_i32 s42, s6, s39
	s_mul_hi_u32 s44, s6, s41
	s_mul_i32 s43, s38, s41
	s_add_i32 s42, s44, s42
	s_mul_i32 s45, s6, s41
	s_add_i32 s42, s42, s43
	s_mul_hi_u32 s44, s41, s45
	s_mul_hi_u32 s43, s41, s42
	s_mul_i32 s41, s41, s42
	s_add_u32 s41, s44, s41
	s_addc_u32 s43, 0, s43
	s_mul_hi_u32 s46, s39, s45
	s_mul_i32 s45, s39, s45
	s_add_u32 s41, s41, s45
	s_mul_hi_u32 s44, s39, s42
	s_addc_u32 s41, s43, s46
	s_addc_u32 s43, s44, 0
	s_mul_i32 s42, s39, s42
	s_add_u32 s41, s41, s42
	s_addc_u32 s42, 0, s43
	v_add_co_u32_e32 v2, vcc, s41, v2
	s_cmp_lg_u64 vcc, 0
	s_addc_u32 s39, s39, s42
	v_readfirstlane_b32 s42, v2
	s_mul_i32 s41, s6, s39
	s_mul_hi_u32 s43, s6, s42
	s_add_i32 s41, s43, s41
	s_mul_i32 s38, s38, s42
	s_add_i32 s41, s41, s38
	s_mul_i32 s6, s6, s42
	s_mul_hi_u32 s43, s39, s6
	s_mul_i32 s44, s39, s6
	s_mul_i32 s46, s42, s41
	s_mul_hi_u32 s6, s42, s6
	s_mul_hi_u32 s45, s42, s41
	s_add_u32 s6, s6, s46
	s_addc_u32 s42, 0, s45
	s_add_u32 s6, s6, s44
	s_mul_hi_u32 s38, s39, s41
	s_addc_u32 s6, s42, s43
	s_addc_u32 s38, s38, 0
	s_mul_i32 s41, s39, s41
	s_add_u32 s6, s6, s41
	s_addc_u32 s38, 0, s38
	v_add_co_u32_e32 v2, vcc, s6, v2
	s_cmp_lg_u64 vcc, 0
	s_addc_u32 s6, s39, s38
	v_readfirstlane_b32 s41, v2
	s_mul_i32 s39, s40, s6
	s_mul_hi_u32 s42, s40, s41
	s_mul_hi_u32 s38, s40, s6
	s_add_u32 s39, s42, s39
	s_addc_u32 s38, 0, s38
	s_mul_hi_u32 s43, s7, s41
	s_mul_i32 s41, s7, s41
	s_add_u32 s39, s39, s41
	s_mul_hi_u32 s42, s7, s6
	s_addc_u32 s38, s38, s43
	s_addc_u32 s39, s42, 0
	s_mul_i32 s6, s7, s6
	s_add_u32 s6, s38, s6
	s_addc_u32 s38, 0, s39
	s_mul_hi_u32 s39, s55, s6
	s_mul_i32 s6, s55, s6
	s_mul_i32 s38, s55, s38
	v_mov_b32_e32 v2, s6
	s_add_i32 s39, s39, s38
	v_sub_co_u32_e32 v2, vcc, s40, v2
	s_cmp_lg_u64 vcc, 0
	s_subb_u32 s6, s7, s39
	v_subrev_co_u32_e32 v3, vcc, s55, v2
	s_cmp_lg_u64 vcc, 0
	s_subb_u32 s38, s6, 0
	v_subrev_co_u32_e32 v4, vcc, s55, v3
	s_cmp_lg_u64 vcc, 0
	s_subb_u32 s39, s38, 0
	v_cmp_le_u32_e32 vcc, s55, v3
	s_cmp_eq_u32 s38, 0
	v_cndmask_b32_e64 v5, 0, -1, vcc
	s_cselect_b64 vcc, -1, 0
	v_cndmask_b32_e32 v5, -1, v5, vcc
	v_mov_b32_e32 v6, s38
	v_mov_b32_e32 v7, s39
	v_cmp_ne_u32_e32 vcc, 0, v5
	v_cndmask_b32_e32 v5, v6, v7, vcc
	v_cndmask_b32_e32 v4, v3, v4, vcc
	v_cmp_le_u32_e32 vcc, s55, v2
	s_cmp_eq_u32 s6, 0
	v_cndmask_b32_e64 v3, 0, -1, vcc
	s_cselect_b64 vcc, -1, 0
	v_cndmask_b32_e32 v3, -1, v3, vcc
	v_mov_b32_e32 v6, s6
	v_cmp_ne_u32_e32 vcc, 0, v3
	v_cndmask_b32_e32 v3, v6, v5, vcc
	v_cndmask_b32_e32 v2, v2, v4, vcc
	s_cbranch_execnz .LBB110_239
.LBB110_238:                            ;   in Loop: Header=BB110_22 Depth=1
	v_cvt_f32_u32_e32 v2, s55
	s_sub_i32 s6, 0, s55
	v_rcp_iflag_f32_e32 v2, v2
	v_mul_f32_e32 v2, 0x4f7ffffe, v2
	v_cvt_u32_f32_e32 v2, v2
	v_mul_lo_u32 v3, s6, v2
	v_mul_hi_u32 v3, v2, v3
	v_add_u32_e32 v2, v2, v3
	v_mul_hi_u32 v2, s40, v2
	v_mul_lo_u32 v2, v2, s55
	v_sub_u32_e32 v2, s40, v2
	v_subrev_u32_e32 v3, s55, v2
	v_cmp_le_u32_e32 vcc, s55, v2
	v_cndmask_b32_e32 v2, v2, v3, vcc
	v_subrev_u32_e32 v3, s55, v2
	v_cmp_le_u32_e32 vcc, s55, v2
	v_cndmask_b32_e32 v10, v2, v3, vcc
	v_pk_mov_b32 v[2:3], v[10:11], v[10:11] op_sel:[0,1]
.LBB110_239:                            ;   in Loop: Header=BB110_22 Depth=1
	v_mov_b32_e32 v4, s7
	v_sub_co_u32_e32 v2, vcc, s40, v2
	v_subb_co_u32_e32 v3, vcc, v4, v3, vcc
	v_cmp_gt_u64_e32 vcc, v[2:3], v[0:1]
	s_mov_b64 s[40:41], 0
                                        ; implicit-def: $vgpr32
	s_and_saveexec_b64 s[38:39], vcc
	s_cbranch_execz .LBB110_252
; %bb.240:                              ;   in Loop: Header=BB110_22 Depth=1
	v_mov_b32_e32 v6, v23
	v_pk_mov_b32 v[4:5], v[0:1], v[0:1] op_sel:[0,1]
                                        ; implicit-def: $sgpr42_sgpr43
	s_branch .LBB110_242
.LBB110_241:                            ;   in Loop: Header=BB110_242 Depth=2
	s_or_b64 exec, exec, s[6:7]
	s_waitcnt lgkmcnt(0)
	s_barrier
	ds_read_b32 v7, v11 offset:3072
	v_mov_b32_e32 v8, s54
	v_add_co_u32_e64 v4, s[6:7], s55, v4
	v_addc_co_u32_e64 v5, s[6:7], v5, v8, s[6:7]
	s_waitcnt lgkmcnt(0)
	v_cmp_ne_u16_e32 vcc, 0, v7
	v_cmp_ge_u64_e64 s[6:7], v[4:5], v[2:3]
	s_or_b64 s[6:7], s[6:7], vcc
	s_and_b64 s[6:7], exec, s[6:7]
	s_or_b64 s[40:41], s[6:7], s[40:41]
	s_andn2_b64 s[6:7], s[42:43], exec
	s_and_b64 s[42:43], vcc, exec
	v_add_u32_e32 v6, s0, v6
	s_or_b64 s[42:43], s[6:7], s[42:43]
	s_barrier
	s_andn2_b64 exec, exec, s[40:41]
	s_cbranch_execz .LBB110_251
.LBB110_242:                            ;   Parent Loop BB110_22 Depth=1
                                        ; =>  This Inner Loop Header: Depth=2
	v_cmp_gt_u64_e32 vcc, s[8:9], v[4:5]
	v_mov_b32_e32 v7, 0
	s_and_saveexec_b64 s[6:7], vcc
	s_cbranch_execz .LBB110_244
; %bb.243:                              ;   in Loop: Header=BB110_242 Depth=2
	ds_read_u16 v7, v6
.LBB110_244:                            ;   in Loop: Header=BB110_242 Depth=2
	s_or_b64 exec, exec, s[6:7]
	s_and_saveexec_b64 s[6:7], vcc
	s_cbranch_execz .LBB110_241
; %bb.245:                              ;   in Loop: Header=BB110_242 Depth=2
	s_waitcnt lgkmcnt(0)
	v_add_u32_sdwa v8, sext(v7), s2 dst_sel:DWORD dst_unused:UNUSED_PAD src0_sel:WORD_0 src1_sel:DWORD
	v_and_b32_e32 v8, s27, v8
	v_cmp_eq_u32_e32 vcc, s94, v8
	s_and_b64 exec, exec, vcc
	s_cbranch_execz .LBB110_241
; %bb.246:                              ;   in Loop: Header=BB110_242 Depth=2
	v_perm_b32 v7, v7, 1, v31
	ds_write_b32 v11, v7 offset:3072
	s_branch .LBB110_241
.LBB110_247:                            ;   in Loop: Header=BB110_22 Depth=1
                                        ; implicit-def: $sgpr6_sgpr7
                                        ; implicit-def: $sgpr38_sgpr39
                                        ; implicit-def: $sgpr8_sgpr9
	s_branch .LBB110_266
.LBB110_248:                            ;   in Loop: Header=BB110_22 Depth=1
                                        ; implicit-def: $vgpr2_vgpr3
	s_branch .LBB110_191
.LBB110_249:                            ;   in Loop: Header=BB110_22 Depth=1
                                        ; implicit-def: $vgpr2_vgpr3
	s_branch .LBB110_208
.LBB110_250:                            ;   in Loop: Header=BB110_22 Depth=1
	s_mov_b64 s[6:7], -1
	s_mov_b64 s[40:41], 0
                                        ; implicit-def: $sgpr8_sgpr9
                                        ; implicit-def: $vgpr32
	s_mov_b64 s[38:39], s[6:7]
	s_cbranch_execnz .LBB110_253
	s_branch .LBB110_266
.LBB110_251:                            ;   in Loop: Header=BB110_22 Depth=1
	s_or_b64 exec, exec, s[40:41]
	v_lshrrev_b32_e32 v32, 16, v7
	s_and_b64 s[40:41], s[42:43], exec
.LBB110_252:                            ;   in Loop: Header=BB110_22 Depth=1
	s_or_b64 exec, exec, s[38:39]
	s_mov_b64 s[8:9], -1
	s_mov_b64 s[6:7], 0
	s_mov_b64 s[38:39], s[6:7]
	s_branch .LBB110_266
.LBB110_253:                            ;   in Loop: Header=BB110_22 Depth=1
	s_mov_b32 s82, s91
	s_cmp_lg_u64 s[82:83], 0
	s_cbranch_scc0 .LBB110_287
; %bb.254:                              ;   in Loop: Header=BB110_22 Depth=1
	v_cvt_f32_u32_e32 v2, s55
	s_sub_u32 s6, 0, s55
	s_subb_u32 s7, 0, 0
	v_mac_f32_e32 v2, 0, v30
	v_rcp_f32_e32 v2, v2
	v_mul_f32_e32 v2, 0x5f7ffffc, v2
	v_mul_f32_e32 v3, 0x2f800000, v2
	v_trunc_f32_e32 v3, v3
	v_mac_f32_e32 v2, 0xcf800000, v3
	v_cvt_u32_f32_e32 v3, v3
	v_cvt_u32_f32_e32 v2, v2
	v_readfirstlane_b32 s8, v3
	v_readfirstlane_b32 s9, v2
	s_mul_i32 s38, s6, s8
	s_mul_hi_u32 s40, s6, s9
	s_mul_i32 s39, s7, s9
	s_add_i32 s38, s40, s38
	s_mul_i32 s41, s6, s9
	s_add_i32 s38, s38, s39
	s_mul_hi_u32 s40, s9, s41
	s_mul_hi_u32 s39, s9, s38
	s_mul_i32 s9, s9, s38
	s_add_u32 s9, s40, s9
	s_addc_u32 s39, 0, s39
	s_mul_hi_u32 s42, s8, s41
	s_mul_i32 s41, s8, s41
	s_add_u32 s9, s9, s41
	s_mul_hi_u32 s40, s8, s38
	s_addc_u32 s9, s39, s42
	s_addc_u32 s39, s40, 0
	s_mul_i32 s38, s8, s38
	s_add_u32 s9, s9, s38
	s_addc_u32 s38, 0, s39
	v_add_co_u32_e32 v2, vcc, s9, v2
	s_cmp_lg_u64 vcc, 0
	s_addc_u32 s8, s8, s38
	v_readfirstlane_b32 s38, v2
	s_mul_i32 s9, s6, s8
	s_mul_hi_u32 s39, s6, s38
	s_add_i32 s9, s39, s9
	s_mul_i32 s7, s7, s38
	s_add_i32 s9, s9, s7
	s_mul_i32 s6, s6, s38
	s_mul_hi_u32 s39, s8, s6
	s_mul_i32 s40, s8, s6
	s_mul_i32 s42, s38, s9
	s_mul_hi_u32 s6, s38, s6
	s_mul_hi_u32 s41, s38, s9
	s_add_u32 s6, s6, s42
	s_addc_u32 s38, 0, s41
	s_add_u32 s6, s6, s40
	s_mul_hi_u32 s7, s8, s9
	s_addc_u32 s6, s38, s39
	s_addc_u32 s7, s7, 0
	s_mul_i32 s9, s8, s9
	s_add_u32 s6, s6, s9
	s_addc_u32 s7, 0, s7
	v_add_co_u32_e32 v2, vcc, s6, v2
	s_cmp_lg_u64 vcc, 0
	s_addc_u32 s6, s8, s7
	v_readfirstlane_b32 s9, v2
	s_mul_i32 s8, s1, s6
	s_mul_hi_u32 s38, s1, s9
	s_mul_hi_u32 s7, s1, s6
	s_add_u32 s8, s38, s8
	s_addc_u32 s7, 0, s7
	s_mul_hi_u32 s39, s83, s9
	s_mul_i32 s9, s83, s9
	s_add_u32 s8, s8, s9
	s_mul_hi_u32 s38, s83, s6
	s_addc_u32 s7, s7, s39
	s_addc_u32 s8, s38, 0
	s_mul_i32 s6, s83, s6
	s_add_u32 s6, s7, s6
	s_addc_u32 s7, 0, s8
	s_mul_hi_u32 s8, s55, s6
	s_mul_i32 s6, s55, s6
	s_mul_i32 s7, s55, s7
	v_mov_b32_e32 v2, s6
	s_add_i32 s8, s8, s7
	v_sub_co_u32_e32 v2, vcc, s1, v2
	s_cmp_lg_u64 vcc, 0
	s_subb_u32 s6, s83, s8
	v_subrev_co_u32_e32 v3, vcc, s55, v2
	s_cmp_lg_u64 vcc, 0
	s_subb_u32 s7, s6, 0
	v_subrev_co_u32_e32 v4, vcc, s55, v3
	s_cmp_lg_u64 vcc, 0
	s_subb_u32 s8, s7, 0
	v_cmp_le_u32_e32 vcc, s55, v3
	s_cmp_eq_u32 s7, 0
	v_cndmask_b32_e64 v5, 0, -1, vcc
	s_cselect_b64 vcc, -1, 0
	v_cndmask_b32_e32 v5, -1, v5, vcc
	v_mov_b32_e32 v6, s7
	v_mov_b32_e32 v7, s8
	v_cmp_ne_u32_e32 vcc, 0, v5
	v_cndmask_b32_e32 v5, v6, v7, vcc
	v_cndmask_b32_e32 v4, v3, v4, vcc
	v_cmp_le_u32_e32 vcc, s55, v2
	s_cmp_eq_u32 s6, 0
	v_cndmask_b32_e64 v3, 0, -1, vcc
	s_cselect_b64 vcc, -1, 0
	v_cndmask_b32_e32 v3, -1, v3, vcc
	v_mov_b32_e32 v6, s6
	v_cmp_ne_u32_e32 vcc, 0, v3
	v_cndmask_b32_e32 v3, v6, v5, vcc
	v_cndmask_b32_e32 v2, v2, v4, vcc
	s_cbranch_execnz .LBB110_256
.LBB110_255:                            ;   in Loop: Header=BB110_22 Depth=1
	v_cvt_f32_u32_e32 v2, s55
	s_sub_i32 s6, 0, s55
	v_rcp_iflag_f32_e32 v2, v2
	v_mul_f32_e32 v2, 0x4f7ffffe, v2
	v_cvt_u32_f32_e32 v2, v2
	v_mul_lo_u32 v3, s6, v2
	v_mul_hi_u32 v3, v2, v3
	v_add_u32_e32 v2, v2, v3
	v_mul_hi_u32 v2, s1, v2
	v_mul_lo_u32 v2, v2, s55
	v_sub_u32_e32 v2, s1, v2
	v_subrev_u32_e32 v3, s55, v2
	v_cmp_le_u32_e32 vcc, s55, v2
	v_cndmask_b32_e32 v2, v2, v3, vcc
	v_subrev_u32_e32 v3, s55, v2
	v_cmp_le_u32_e32 vcc, s55, v2
	v_cndmask_b32_e32 v10, v2, v3, vcc
	v_pk_mov_b32 v[2:3], v[10:11], v[10:11] op_sel:[0,1]
.LBB110_256:                            ;   in Loop: Header=BB110_22 Depth=1
	v_mov_b32_e32 v4, s83
	v_sub_co_u32_e32 v2, vcc, s1, v2
	v_subb_co_u32_e32 v3, vcc, v4, v3, vcc
	v_cmp_gt_u64_e32 vcc, v[2:3], v[0:1]
	s_mov_b64 s[40:41], 0
                                        ; implicit-def: $vgpr32
	s_and_saveexec_b64 s[8:9], vcc
	s_cbranch_execz .LBB110_265
; %bb.257:                              ;   in Loop: Header=BB110_22 Depth=1
	s_mov_b64 s[38:39], 0
	v_pk_mov_b32 v[4:5], v[0:1], v[0:1] op_sel:[0,1]
                                        ; implicit-def: $sgpr40_sgpr41
	s_branch .LBB110_259
.LBB110_258:                            ;   in Loop: Header=BB110_259 Depth=2
	s_or_b64 exec, exec, s[6:7]
	s_waitcnt lgkmcnt(0)
	s_barrier
	s_waitcnt vmcnt(0)
	ds_read_b32 v6, v11 offset:3072
	v_mov_b32_e32 v7, s54
	v_add_co_u32_e64 v4, s[6:7], s55, v4
	v_addc_co_u32_e64 v5, s[6:7], v5, v7, s[6:7]
	s_waitcnt lgkmcnt(0)
	v_cmp_ne_u16_e32 vcc, 0, v6
	v_cmp_ge_u64_e64 s[6:7], v[4:5], v[2:3]
	s_or_b64 s[6:7], s[6:7], vcc
	s_and_b64 s[6:7], exec, s[6:7]
	s_or_b64 s[38:39], s[6:7], s[38:39]
	s_andn2_b64 s[6:7], s[40:41], exec
	s_and_b64 s[40:41], vcc, exec
	s_or_b64 s[40:41], s[6:7], s[40:41]
	s_barrier
	s_andn2_b64 exec, exec, s[38:39]
	s_cbranch_execz .LBB110_264
.LBB110_259:                            ;   Parent Loop BB110_22 Depth=1
                                        ; =>  This Inner Loop Header: Depth=2
	v_cmp_gt_u64_e32 vcc, s[52:53], v[4:5]
	v_mov_b32_e32 v6, 0
	s_and_saveexec_b64 s[42:43], vcc
	s_cbranch_execz .LBB110_261
; %bb.260:                              ;   in Loop: Header=BB110_259 Depth=2
	v_mul_lo_u32 v8, v5, s80
	v_mul_lo_u32 v9, v4, s81
	v_mad_u64_u32 v[6:7], s[6:7], v4, s80, 0
	v_add3_u32 v7, v7, v9, v8
	v_lshlrev_b64 v[6:7], 1, v[6:7]
	v_mov_b32_e32 v8, s84
	v_add_co_u32_e64 v6, s[6:7], s33, v6
	v_addc_co_u32_e64 v7, s[6:7], v8, v7, s[6:7]
	global_load_ushort v6, v[6:7], off
.LBB110_261:                            ;   in Loop: Header=BB110_259 Depth=2
	s_or_b64 exec, exec, s[42:43]
	s_and_saveexec_b64 s[6:7], vcc
	s_cbranch_execz .LBB110_258
; %bb.262:                              ;   in Loop: Header=BB110_259 Depth=2
	s_waitcnt vmcnt(0)
	v_add_u32_sdwa v7, sext(v6), s2 dst_sel:DWORD dst_unused:UNUSED_PAD src0_sel:WORD_0 src1_sel:DWORD
	v_and_b32_e32 v7, s27, v7
	v_cmp_eq_u32_e32 vcc, s94, v7
	s_and_b64 exec, exec, vcc
	s_cbranch_execz .LBB110_258
; %bb.263:                              ;   in Loop: Header=BB110_259 Depth=2
	v_perm_b32 v6, v6, 1, v31
	ds_write_b32 v11, v6 offset:3072
	s_branch .LBB110_258
.LBB110_264:                            ;   in Loop: Header=BB110_22 Depth=1
	s_or_b64 exec, exec, s[38:39]
	v_lshrrev_b32_e32 v32, 16, v6
	s_and_b64 s[40:41], s[40:41], exec
.LBB110_265:                            ;   in Loop: Header=BB110_22 Depth=1
	s_or_b64 exec, exec, s[8:9]
	s_mov_b64 s[38:39], -1
	s_mov_b64 s[6:7], 0
	s_mov_b64 s[8:9], 0
.LBB110_266:                            ;   in Loop: Header=BB110_22 Depth=1
	s_mov_b64 s[44:45], 0
                                        ; implicit-def: $sgpr49
                                        ; implicit-def: $sgpr46_sgpr47
	s_and_saveexec_b64 s[42:43], s[40:41]
	s_cbranch_execz .LBB110_279
; %bb.267:                              ;   in Loop: Header=BB110_22 Depth=1
	s_xor_b64 s[16:17], s[16:17], -1
	s_mov_b64 s[46:47], 1
	s_andn2_b64 vcc, exec, s[16:17]
	s_mov_b32 s49, 1
	s_cbranch_vccnz .LBB110_278
; %bb.268:                              ;   in Loop: Header=BB110_22 Depth=1
	v_pk_mov_b32 v[2:3], s[10:11], s[10:11] op_sel:[0,1]
	v_cmp_gt_u64_e32 vcc, s[92:93], v[2:3]
	s_cbranch_vccnz .LBB110_274
; %bb.269:                              ;   in Loop: Header=BB110_22 Depth=1
	ds_read_b64 v[2:3], v11 offset:5120
	s_waitcnt lgkmcnt(0)
	v_cmp_ne_u64_e32 vcc, 0, v[2:3]
	s_cbranch_vccnz .LBB110_273
; %bb.270:                              ;   in Loop: Header=BB110_22 Depth=1
	s_mov_b64 s[16:17], exec
	v_readlane_b32 s40, v42, 28
	v_readlane_b32 s41, v42, 29
	s_and_b64 s[40:41], s[16:17], s[40:41]
	s_mov_b64 exec, s[40:41]
	s_cbranch_execz .LBB110_272
; %bb.271:                              ;   in Loop: Header=BB110_22 Depth=1
	v_pk_mov_b32 v[2:3], s[10:11], s[10:11] op_sel:[0,1]
	ds_write_b64 v11, v[2:3] offset:5128
.LBB110_272:                            ;   in Loop: Header=BB110_22 Depth=1
	s_or_b64 exec, exec, s[16:17]
	s_waitcnt lgkmcnt(0)
	s_barrier
.LBB110_273:                            ;   in Loop: Header=BB110_22 Depth=1
	s_or_b32 s40, s94, s48
	s_or_b32 s41, s27, s48
	s_mov_b64 s[16:17], 0
	s_mov_b32 s49, 8
	s_branch .LBB110_275
.LBB110_274:                            ;   in Loop: Header=BB110_22 Depth=1
	s_mov_b64 s[16:17], -1
                                        ; implicit-def: $sgpr49
                                        ; implicit-def: $sgpr40
                                        ; implicit-def: $sgpr41
.LBB110_275:                            ;   in Loop: Header=BB110_22 Depth=1
	s_andn2_b64 vcc, exec, s[16:17]
	s_cbranch_vccnz .LBB110_277
; %bb.276:                              ;   in Loop: Header=BB110_22 Depth=1
	s_sub_u32 s92, s92, s10
	s_subb_u32 s93, s93, s11
	s_mov_b32 s49, 8
	s_mov_b32 s40, s94
	;; [unrolled: 1-line block ×3, first 2 shown]
.LBB110_277:                            ;   in Loop: Header=BB110_22 Depth=1
	s_mov_b64 s[46:47], s[92:93]
	s_mov_b32 s94, s40
	s_mov_b32 s27, s41
.LBB110_278:                            ;   in Loop: Header=BB110_22 Depth=1
	s_mov_b64 s[44:45], exec
.LBB110_279:                            ;   in Loop: Header=BB110_22 Depth=1
	s_or_b64 exec, exec, s[42:43]
	s_mov_b64 s[92:93], s[46:47]
.LBB110_280:                            ;   in Loop: Header=BB110_22 Depth=1
	s_andn2_b64 s[10:11], s[28:29], exec
	s_and_b64 s[6:7], s[6:7], exec
	s_or_b64 s[28:29], s[10:11], s[6:7]
	s_andn2_b64 s[6:7], s[34:35], exec
	s_and_b64 s[10:11], s[38:39], exec
	s_or_b64 s[34:35], s[6:7], s[10:11]
	;; [unrolled: 3-line block ×3, first 2 shown]
	s_and_b64 s[8:9], s[44:45], exec
.LBB110_281:                            ;   in Loop: Header=BB110_22 Depth=1
	s_or_b64 exec, exec, s[36:37]
.LBB110_282:                            ;   in Loop: Header=BB110_22 Depth=1
	s_andn2_b64 s[6:7], s[20:21], exec
	s_and_b64 s[10:11], s[28:29], exec
	s_or_b64 s[20:21], s[6:7], s[10:11]
	s_andn2_b64 s[6:7], s[22:23], exec
	s_and_b64 s[10:11], s[34:35], exec
	s_or_b64 s[22:23], s[6:7], s[10:11]
	;; [unrolled: 3-line block ×3, first 2 shown]
	s_and_b64 s[8:9], s[8:9], exec
.LBB110_283:                            ;   in Loop: Header=BB110_22 Depth=1
	s_or_b64 exec, exec, s[24:25]
	s_and_saveexec_b64 s[6:7], s[8:9]
	s_xor_b64 s[6:7], exec, s[6:7]
	s_cbranch_execz .LBB110_20
.LBB110_284:                            ;   in Loop: Header=BB110_22 Depth=1
	s_and_b32 s8, s49, -9
	s_cmp_eq_u32 s8, 0
	s_cbranch_scc1 .LBB110_18
; %bb.285:                              ;   in Loop: Header=BB110_22 Depth=1
	s_mov_b64 s[8:9], -1
                                        ; implicit-def: $sgpr27
                                        ; implicit-def: $sgpr92_sgpr93
                                        ; implicit-def: $sgpr3
                                        ; implicit-def: $sgpr26
	s_mov_b64 s[10:11], -1
	s_branch .LBB110_19
.LBB110_286:                            ;   in Loop: Header=BB110_22 Depth=1
                                        ; implicit-def: $vgpr2_vgpr3
	s_branch .LBB110_238
.LBB110_287:                            ;   in Loop: Header=BB110_22 Depth=1
                                        ; implicit-def: $vgpr2_vgpr3
	s_branch .LBB110_255
.LBB110_288:
	s_or_b64 exec, exec, s[86:87]
	s_xor_b64 s[8:9], s[78:79], -1
	s_xor_b64 s[0:1], s[70:71], -1
	s_xor_b64 s[6:7], s[74:75], -1
	s_mov_b64 s[4:5], 0
	s_and_saveexec_b64 s[2:3], s[0:1]
	s_xor_b64 s[0:1], exec, s[2:3]
	s_cbranch_execnz .LBB110_293
; %bb.289:
	s_andn2_saveexec_b64 s[0:1], s[0:1]
	s_cbranch_execnz .LBB110_306
.LBB110_290:
	s_or_b64 exec, exec, s[0:1]
	s_and_saveexec_b64 s[0:1], s[4:5]
.LBB110_291:
	; divergent unreachable
.LBB110_292:
	s_endpgm
.LBB110_293:
	s_and_saveexec_b64 s[2:3], s[8:9]
	s_xor_b64 s[4:5], exec, s[2:3]
	s_cbranch_execz .LBB110_304
; %bb.294:
	s_and_saveexec_b64 s[2:3], s[6:7]
	s_xor_b64 s[6:7], exec, s[2:3]
; %bb.295:
	v_xor_b32_e32 v32, 0xffff8000, v2
; %bb.296:
	s_or_b64 exec, exec, s[6:7]
	v_readlane_b32 s8, v42, 8
	v_readlane_b32 s2, v42, 0
	;; [unrolled: 1-line block ×4, first 2 shown]
	s_mov_b32 s14, s2
	s_mul_i32 s2, s2, s9
	s_mul_hi_u32 s3, s14, s8
	s_add_i32 s3, s3, s2
	s_mul_i32 s2, s14, s8
	v_readlane_b32 s12, v42, 2
	v_readlane_b32 s16, v42, 24
	;; [unrolled: 1-line block ×3, first 2 shown]
	s_sub_u32 s2, s12, s2
	v_readlane_b32 s18, v42, 26
	v_readlane_b32 s19, v42, 27
	s_subb_u32 s3, s13, s3
	s_mul_i32 s6, s2, s19
	s_mul_hi_u32 s7, s2, s18
	v_readlane_b32 s10, v42, 10
	v_readlane_b32 s11, v42, 11
	;; [unrolled: 1-line block ×3, first 2 shown]
	s_add_i32 s6, s7, s6
	s_mul_i32 s3, s3, s18
	s_add_i32 s3, s6, s3
	s_mul_i32 s6, s14, s17
	s_mul_hi_u32 s7, s14, s16
	s_mul_i32 s8, s12, s11
	s_mul_hi_u32 s9, s12, s10
	s_mul_i32 s2, s2, s18
	s_add_i32 s7, s7, s6
	s_add_i32 s9, s9, s8
	s_mul_i32 s8, s12, s10
	v_readlane_b32 s18, v42, 34
	v_readlane_b32 s12, v42, 22
	s_sub_u32 s8, s18, s8
	v_readlane_b32 s13, v42, 23
	s_subb_u32 s9, 0, s9
	s_mul_i32 s10, s8, s13
	s_mul_hi_u32 s11, s8, s12
	s_mul_i32 s6, s14, s16
	s_add_i32 s10, s11, s10
	s_mul_i32 s9, s9, s12
	s_add_i32 s9, s10, s9
	s_lshl_b64 s[6:7], s[6:7], 1
	v_readlane_b32 s10, v42, 32
	v_readlane_b32 s11, v42, 33
	s_add_u32 s6, s10, s6
	s_addc_u32 s7, s11, s7
	s_lshl_b64 s[2:3], s[2:3], 1
	s_mul_i32 s8, s8, s12
	s_add_u32 s6, s6, s2
	s_addc_u32 s7, s7, s3
	s_lshl_b64 s[2:3], s[8:9], 1
	s_add_u32 s2, s6, s2
	s_addc_u32 s3, s7, s3
	v_mov_b32_e32 v2, 0
	v_readlane_b32 s19, v42, 35
	global_store_short v2, v32, s[2:3]
	s_mov_b64 s[6:7], exec
	v_readlane_b32 s2, v42, 36
	v_readlane_b32 s3, v42, 37
	s_and_b64 s[2:3], s[6:7], s[2:3]
	s_mov_b64 exec, s[2:3]
	s_cbranch_execz .LBB110_303
; %bb.297:
	s_mov_b64 s[2:3], 0
	v_mov_b32_e32 v4, s84
                                        ; implicit-def: $sgpr8_sgpr9
                                        ; implicit-def: $sgpr12_sgpr13
                                        ; implicit-def: $sgpr10_sgpr11
	s_branch .LBB110_299
.LBB110_298:                            ;   in Loop: Header=BB110_299 Depth=1
	s_or_b64 exec, exec, s[14:15]
	s_and_b64 s[14:15], exec, s[12:13]
	s_or_b64 s[2:3], s[14:15], s[2:3]
	s_andn2_b64 s[8:9], s[8:9], exec
	s_and_b64 s[14:15], s[10:11], exec
	s_or_b64 s[8:9], s[8:9], s[14:15]
	s_andn2_b64 exec, exec, s[2:3]
	s_cbranch_execz .LBB110_301
.LBB110_299:                            ; =>This Inner Loop Header: Depth=1
	v_pk_mov_b32 v[2:3], v[0:1], v[0:1] op_sel:[0,1]
	v_mul_lo_u32 v5, v3, s80
	v_mul_lo_u32 v6, v2, s81
	v_mad_u64_u32 v[0:1], s[14:15], v2, s80, 0
	v_add3_u32 v1, v1, v6, v5
	v_lshlrev_b64 v[0:1], 1, v[0:1]
	v_add_co_u32_e32 v0, vcc, s33, v0
	v_addc_co_u32_e32 v1, vcc, v4, v1, vcc
	global_load_ushort v0, v[0:1], off
	s_or_b64 s[10:11], s[10:11], exec
	s_or_b64 s[12:13], s[12:13], exec
	s_waitcnt vmcnt(0)
	v_cmp_ne_u16_e32 vcc, v0, v32
                                        ; implicit-def: $vgpr0_vgpr1
	s_and_saveexec_b64 s[14:15], vcc
	s_cbranch_execz .LBB110_298
; %bb.300:                              ;   in Loop: Header=BB110_299 Depth=1
	v_mov_b32_e32 v1, s54
	v_add_co_u32_e32 v0, vcc, s55, v2
	v_addc_co_u32_e32 v1, vcc, v3, v1, vcc
	v_cmp_le_u64_e32 vcc, s[52:53], v[0:1]
	s_andn2_b64 s[12:13], s[12:13], exec
	s_and_b64 s[16:17], vcc, exec
	s_andn2_b64 s[10:11], s[10:11], exec
	s_or_b64 s[12:13], s[12:13], s[16:17]
	s_branch .LBB110_298
.LBB110_301:
	s_or_b64 exec, exec, s[2:3]
	s_and_saveexec_b64 s[2:3], s[8:9]
	s_xor_b64 s[2:3], exec, s[2:3]
	s_cbranch_execz .LBB110_303
; %bb.302:
	v_readlane_b32 s12, v42, 4
	v_readlane_b32 s2, v42, 14
	;; [unrolled: 1-line block ×4, first 2 shown]
	s_mov_b32 s10, s2
	s_mul_i32 s2, s2, s13
	s_mul_hi_u32 s3, s10, s12
	s_add_i32 s3, s3, s2
	s_mul_i32 s2, s10, s12
	v_readlane_b32 s12, v42, 12
	v_readlane_b32 s20, v42, 18
	;; [unrolled: 1-line block ×3, first 2 shown]
	s_sub_u32 s2, s12, s2
	v_readlane_b32 s22, v42, 20
	v_readlane_b32 s23, v42, 21
	s_subb_u32 s3, s13, s3
	s_mul_i32 s8, s2, s23
	s_mul_hi_u32 s9, s2, s22
	v_readlane_b32 s21, v42, 19
	s_add_i32 s8, s9, s8
	s_mul_i32 s3, s3, s22
	v_readlane_b32 s14, v42, 6
	v_readlane_b32 s15, v42, 7
	s_add_i32 s3, s8, s3
	s_mul_i32 s8, s10, s21
	s_mul_hi_u32 s9, s10, s20
	s_add_i32 s9, s9, s8
	s_mul_i32 s8, s10, s20
	s_mul_i32 s10, s12, s15
	s_mul_hi_u32 s11, s12, s14
	s_add_i32 s11, s11, s10
	s_mul_i32 s10, s12, s14
	v_readlane_b32 s14, v42, 16
	s_sub_u32 s10, s18, s10
	v_readlane_b32 s15, v42, 17
	s_subb_u32 s11, 0, s11
	s_mul_i32 s12, s10, s15
	s_mul_hi_u32 s13, s10, s14
	s_add_i32 s12, s13, s12
	s_mul_i32 s11, s11, s14
	s_add_i32 s11, s12, s11
	s_lshl_b64 s[8:9], s[8:9], 3
	v_readlane_b32 s12, v42, 30
	s_mul_i32 s2, s2, s22
	v_readlane_b32 s13, v42, 31
	s_add_u32 s8, s12, s8
	s_addc_u32 s9, s13, s9
	s_lshl_b64 s[2:3], s[2:3], 3
	s_mul_i32 s10, s10, s14
	s_add_u32 s8, s8, s2
	s_addc_u32 s9, s9, s3
	s_lshl_b64 s[2:3], s[10:11], 3
	s_add_u32 s2, s8, s2
	s_addc_u32 s3, s9, s3
	v_mov_b32_e32 v0, 0
	global_store_dwordx2 v0, v[2:3], s[2:3]
.LBB110_303:
	s_or_b64 exec, exec, s[6:7]
.LBB110_304:
	s_or_saveexec_b64 s[2:3], s[4:5]
	s_mov_b64 s[4:5], 0
	s_xor_b64 exec, exec, s[2:3]
	s_cbranch_execnz .LBB110_307
.LBB110_305:
	s_or_b64 exec, exec, s[2:3]
	s_and_b64 s[4:5], s[4:5], exec
	s_andn2_saveexec_b64 s[0:1], s[0:1]
	s_cbranch_execz .LBB110_290
.LBB110_306:
	s_or_b64 s[4:5], s[4:5], exec
	s_trap 2
	s_or_b64 exec, exec, s[0:1]
	s_and_saveexec_b64 s[0:1], s[4:5]
	s_cbranch_execnz .LBB110_291
	s_branch .LBB110_292
.LBB110_307:
	s_mov_b64 s[4:5], exec
	s_trap 2
	s_branch .LBB110_305
	.section	.rodata,"a",@progbits
	.p2align	6, 0x0
	.amdhsa_kernel _ZN2at6native12_GLOBAL__N_112gatherMedianIsmLi3EEEvNS_4cuda6detail10TensorInfoIT_T0_EENS5_IlS7_EENS5_IKS6_S7_EES7_S7_S7_b
		.amdhsa_group_segment_fixed_size 5152
		.amdhsa_private_segment_fixed_size 0
		.amdhsa_kernarg_size 1536
		.amdhsa_user_sgpr_count 6
		.amdhsa_user_sgpr_private_segment_buffer 1
		.amdhsa_user_sgpr_dispatch_ptr 0
		.amdhsa_user_sgpr_queue_ptr 0
		.amdhsa_user_sgpr_kernarg_segment_ptr 1
		.amdhsa_user_sgpr_dispatch_id 0
		.amdhsa_user_sgpr_flat_scratch_init 0
		.amdhsa_user_sgpr_kernarg_preload_length 0
		.amdhsa_user_sgpr_kernarg_preload_offset 0
		.amdhsa_user_sgpr_private_segment_size 0
		.amdhsa_uses_dynamic_stack 0
		.amdhsa_system_sgpr_private_segment_wavefront_offset 0
		.amdhsa_system_sgpr_workgroup_id_x 1
		.amdhsa_system_sgpr_workgroup_id_y 1
		.amdhsa_system_sgpr_workgroup_id_z 1
		.amdhsa_system_sgpr_workgroup_info 0
		.amdhsa_system_vgpr_workitem_id 0
		.amdhsa_next_free_vgpr 43
		.amdhsa_next_free_sgpr 96
		.amdhsa_accum_offset 44
		.amdhsa_reserve_vcc 1
		.amdhsa_reserve_flat_scratch 0
		.amdhsa_float_round_mode_32 0
		.amdhsa_float_round_mode_16_64 0
		.amdhsa_float_denorm_mode_32 3
		.amdhsa_float_denorm_mode_16_64 3
		.amdhsa_dx10_clamp 1
		.amdhsa_ieee_mode 1
		.amdhsa_fp16_overflow 0
		.amdhsa_tg_split 0
		.amdhsa_exception_fp_ieee_invalid_op 0
		.amdhsa_exception_fp_denorm_src 0
		.amdhsa_exception_fp_ieee_div_zero 0
		.amdhsa_exception_fp_ieee_overflow 0
		.amdhsa_exception_fp_ieee_underflow 0
		.amdhsa_exception_fp_ieee_inexact 0
		.amdhsa_exception_int_div_zero 0
	.end_amdhsa_kernel
	.section	.text._ZN2at6native12_GLOBAL__N_112gatherMedianIsmLi3EEEvNS_4cuda6detail10TensorInfoIT_T0_EENS5_IlS7_EENS5_IKS6_S7_EES7_S7_S7_b,"axG",@progbits,_ZN2at6native12_GLOBAL__N_112gatherMedianIsmLi3EEEvNS_4cuda6detail10TensorInfoIT_T0_EENS5_IlS7_EENS5_IKS6_S7_EES7_S7_S7_b,comdat
.Lfunc_end110:
	.size	_ZN2at6native12_GLOBAL__N_112gatherMedianIsmLi3EEEvNS_4cuda6detail10TensorInfoIT_T0_EENS5_IlS7_EENS5_IKS6_S7_EES7_S7_S7_b, .Lfunc_end110-_ZN2at6native12_GLOBAL__N_112gatherMedianIsmLi3EEEvNS_4cuda6detail10TensorInfoIT_T0_EENS5_IlS7_EENS5_IKS6_S7_EES7_S7_S7_b
                                        ; -- End function
	.section	.AMDGPU.csdata,"",@progbits
; Kernel info:
; codeLenInByte = 16724
; NumSgprs: 100
; NumVgprs: 43
; NumAgprs: 0
; TotalNumVgprs: 43
; ScratchSize: 0
; MemoryBound: 0
; FloatMode: 240
; IeeeMode: 1
; LDSByteSize: 5152 bytes/workgroup (compile time only)
; SGPRBlocks: 12
; VGPRBlocks: 5
; NumSGPRsForWavesPerEU: 100
; NumVGPRsForWavesPerEU: 43
; AccumOffset: 44
; Occupancy: 8
; WaveLimiterHint : 1
; COMPUTE_PGM_RSRC2:SCRATCH_EN: 0
; COMPUTE_PGM_RSRC2:USER_SGPR: 6
; COMPUTE_PGM_RSRC2:TRAP_HANDLER: 0
; COMPUTE_PGM_RSRC2:TGID_X_EN: 1
; COMPUTE_PGM_RSRC2:TGID_Y_EN: 1
; COMPUTE_PGM_RSRC2:TGID_Z_EN: 1
; COMPUTE_PGM_RSRC2:TIDIG_COMP_CNT: 0
; COMPUTE_PGM_RSRC3_GFX90A:ACCUM_OFFSET: 10
; COMPUTE_PGM_RSRC3_GFX90A:TG_SPLIT: 0
	.section	.text._ZN2at6native12_GLOBAL__N_112gatherMedianIsmLin1EEEvNS_4cuda6detail10TensorInfoIT_T0_EENS5_IlS7_EENS5_IKS6_S7_EES7_S7_S7_b,"axG",@progbits,_ZN2at6native12_GLOBAL__N_112gatherMedianIsmLin1EEEvNS_4cuda6detail10TensorInfoIT_T0_EENS5_IlS7_EENS5_IKS6_S7_EES7_S7_S7_b,comdat
	.globl	_ZN2at6native12_GLOBAL__N_112gatherMedianIsmLin1EEEvNS_4cuda6detail10TensorInfoIT_T0_EENS5_IlS7_EENS5_IKS6_S7_EES7_S7_S7_b ; -- Begin function _ZN2at6native12_GLOBAL__N_112gatherMedianIsmLin1EEEvNS_4cuda6detail10TensorInfoIT_T0_EENS5_IlS7_EENS5_IKS6_S7_EES7_S7_S7_b
	.p2align	8
	.type	_ZN2at6native12_GLOBAL__N_112gatherMedianIsmLin1EEEvNS_4cuda6detail10TensorInfoIT_T0_EENS5_IlS7_EENS5_IKS6_S7_EES7_S7_S7_b,@function
_ZN2at6native12_GLOBAL__N_112gatherMedianIsmLin1EEEvNS_4cuda6detail10TensorInfoIT_T0_EENS5_IlS7_EENS5_IKS6_S7_EES7_S7_S7_b: ; @_ZN2at6native12_GLOBAL__N_112gatherMedianIsmLin1EEEvNS_4cuda6detail10TensorInfoIT_T0_EENS5_IlS7_EENS5_IKS6_S7_EES7_S7_S7_b
; %bb.0:
	s_load_dwordx4 s[52:55], s[4:5], 0x4e0
	s_load_dwordx2 s[2:3], s[4:5], 0x500
	s_add_u32 s10, s4, 0x500
	s_addc_u32 s11, s5, 0
	s_mov_b32 s9, 0
	s_waitcnt lgkmcnt(0)
	v_mov_b32_e32 v2, s54
	s_mul_i32 s0, s3, s8
	s_add_i32 s0, s0, s7
	s_mul_i32 s0, s0, s2
	v_mov_b32_e32 v3, s55
	s_add_i32 s8, s0, s6
	v_cmp_ge_u64_e32 vcc, s[8:9], v[2:3]
	s_cbranch_vccnz .LBB111_305
; %bb.1:
	s_load_dword s0, s[4:5], 0x198
	s_load_dwordx2 s[56:57], s[4:5], 0x4f0
	s_mov_b64 s[26:27], 0
	s_mov_b64 s[20:21], s[8:9]
	s_waitcnt lgkmcnt(0)
	s_cmp_lt_i32 s0, 2
	s_cbranch_scc1 .LBB111_9
; %bb.2:
	s_mov_b32 s12, 0
	s_add_i32 s3, s0, 1
	s_add_i32 s0, s0, -1
	s_mov_b32 s1, s12
	s_lshl_b64 s[0:1], s[0:1], 3
	s_add_u32 s0, s0, s4
	s_addc_u32 s1, s1, s5
	s_add_u32 s14, s0, 8
	s_addc_u32 s15, s1, 0
	s_mov_b64 s[16:17], s[8:9]
.LBB111_3:                              ; =>This Inner Loop Header: Depth=1
	s_load_dwordx2 s[18:19], s[14:15], 0x0
	s_waitcnt lgkmcnt(0)
	s_or_b64 s[0:1], s[16:17], s[18:19]
	s_mov_b32 s13, s1
	s_cmp_lg_u64 s[12:13], 0
	s_cbranch_scc0 .LBB111_8
; %bb.4:                                ;   in Loop: Header=BB111_3 Depth=1
	v_cvt_f32_u32_e32 v1, s18
	v_cvt_f32_u32_e32 v2, s19
	s_sub_u32 s0, 0, s18
	s_subb_u32 s1, 0, s19
	v_mac_f32_e32 v1, 0x4f800000, v2
	v_rcp_f32_e32 v1, v1
	v_mul_f32_e32 v1, 0x5f7ffffc, v1
	v_mul_f32_e32 v2, 0x2f800000, v1
	v_trunc_f32_e32 v2, v2
	v_mac_f32_e32 v1, 0xcf800000, v2
	v_cvt_u32_f32_e32 v2, v2
	v_cvt_u32_f32_e32 v1, v1
	v_readfirstlane_b32 s7, v2
	v_readfirstlane_b32 s13, v1
	s_mul_i32 s20, s0, s7
	s_mul_hi_u32 s22, s0, s13
	s_mul_i32 s21, s1, s13
	s_add_i32 s20, s22, s20
	s_mul_i32 s23, s0, s13
	s_add_i32 s20, s20, s21
	s_mul_hi_u32 s21, s13, s20
	s_mul_i32 s22, s13, s20
	s_mul_hi_u32 s13, s13, s23
	s_add_u32 s13, s13, s22
	s_addc_u32 s21, 0, s21
	s_mul_hi_u32 s24, s7, s23
	s_mul_i32 s23, s7, s23
	s_add_u32 s13, s13, s23
	s_mul_hi_u32 s22, s7, s20
	s_addc_u32 s13, s21, s24
	s_addc_u32 s21, s22, 0
	s_mul_i32 s20, s7, s20
	s_add_u32 s13, s13, s20
	s_addc_u32 s20, 0, s21
	v_add_co_u32_e32 v1, vcc, s13, v1
	s_cmp_lg_u64 vcc, 0
	s_addc_u32 s7, s7, s20
	v_readfirstlane_b32 s20, v1
	s_mul_i32 s13, s0, s7
	s_mul_hi_u32 s21, s0, s20
	s_add_i32 s13, s21, s13
	s_mul_i32 s1, s1, s20
	s_add_i32 s13, s13, s1
	s_mul_i32 s0, s0, s20
	s_mul_hi_u32 s21, s7, s0
	s_mul_i32 s22, s7, s0
	s_mul_i32 s24, s20, s13
	s_mul_hi_u32 s0, s20, s0
	s_mul_hi_u32 s23, s20, s13
	s_add_u32 s0, s0, s24
	s_addc_u32 s20, 0, s23
	s_add_u32 s0, s0, s22
	s_mul_hi_u32 s1, s7, s13
	s_addc_u32 s0, s20, s21
	s_addc_u32 s1, s1, 0
	s_mul_i32 s13, s7, s13
	s_add_u32 s0, s0, s13
	s_addc_u32 s1, 0, s1
	v_add_co_u32_e32 v1, vcc, s0, v1
	s_cmp_lg_u64 vcc, 0
	s_addc_u32 s0, s7, s1
	v_readfirstlane_b32 s13, v1
	s_mul_i32 s7, s16, s0
	s_mul_hi_u32 s20, s16, s13
	s_mul_hi_u32 s1, s16, s0
	s_add_u32 s7, s20, s7
	s_addc_u32 s1, 0, s1
	s_mul_hi_u32 s21, s17, s13
	s_mul_i32 s13, s17, s13
	s_add_u32 s7, s7, s13
	s_mul_hi_u32 s20, s17, s0
	s_addc_u32 s1, s1, s21
	s_addc_u32 s7, s20, 0
	s_mul_i32 s0, s17, s0
	s_add_u32 s13, s1, s0
	s_addc_u32 s7, 0, s7
	s_mul_i32 s0, s18, s7
	s_mul_hi_u32 s1, s18, s13
	s_add_i32 s0, s1, s0
	s_mul_i32 s1, s19, s13
	s_add_i32 s20, s0, s1
	s_mul_i32 s1, s18, s13
	v_mov_b32_e32 v1, s1
	s_sub_i32 s0, s17, s20
	v_sub_co_u32_e32 v1, vcc, s16, v1
	s_cmp_lg_u64 vcc, 0
	s_subb_u32 s21, s0, s19
	v_subrev_co_u32_e64 v2, s[0:1], s18, v1
	s_cmp_lg_u64 s[0:1], 0
	s_subb_u32 s0, s21, 0
	s_cmp_ge_u32 s0, s19
	v_readfirstlane_b32 s21, v2
	s_cselect_b32 s1, -1, 0
	s_cmp_ge_u32 s21, s18
	s_cselect_b32 s21, -1, 0
	s_cmp_eq_u32 s0, s19
	s_cselect_b32 s0, s21, s1
	s_add_u32 s1, s13, 1
	s_addc_u32 s21, s7, 0
	s_add_u32 s22, s13, 2
	s_addc_u32 s23, s7, 0
	s_cmp_lg_u32 s0, 0
	s_cselect_b32 s0, s22, s1
	s_cselect_b32 s1, s23, s21
	s_cmp_lg_u64 vcc, 0
	s_subb_u32 s20, s17, s20
	s_cmp_ge_u32 s20, s19
	v_readfirstlane_b32 s22, v1
	s_cselect_b32 s21, -1, 0
	s_cmp_ge_u32 s22, s18
	s_cselect_b32 s22, -1, 0
	s_cmp_eq_u32 s20, s19
	s_cselect_b32 s20, s22, s21
	s_cmp_lg_u32 s20, 0
	s_cselect_b32 s21, s1, s7
	s_cselect_b32 s20, s0, s13
	s_cbranch_execnz .LBB111_6
.LBB111_5:                              ;   in Loop: Header=BB111_3 Depth=1
	v_cvt_f32_u32_e32 v1, s18
	s_sub_i32 s0, 0, s18
	s_mov_b32 s21, s12
	v_rcp_iflag_f32_e32 v1, v1
	v_mul_f32_e32 v1, 0x4f7ffffe, v1
	v_cvt_u32_f32_e32 v1, v1
	v_readfirstlane_b32 s1, v1
	s_mul_i32 s0, s0, s1
	s_mul_hi_u32 s0, s1, s0
	s_add_i32 s1, s1, s0
	s_mul_hi_u32 s0, s16, s1
	s_mul_i32 s7, s0, s18
	s_sub_i32 s7, s16, s7
	s_add_i32 s1, s0, 1
	s_sub_i32 s13, s7, s18
	s_cmp_ge_u32 s7, s18
	s_cselect_b32 s0, s1, s0
	s_cselect_b32 s7, s13, s7
	s_add_i32 s1, s0, 1
	s_cmp_ge_u32 s7, s18
	s_cselect_b32 s20, s1, s0
.LBB111_6:                              ;   in Loop: Header=BB111_3 Depth=1
	s_mul_i32 s0, s20, s19
	s_mul_hi_u32 s1, s20, s18
	s_add_i32 s7, s1, s0
	s_load_dwordx2 s[0:1], s[14:15], 0xc8
	s_mul_i32 s13, s21, s18
	s_add_i32 s7, s7, s13
	s_mul_i32 s13, s20, s18
	s_sub_u32 s13, s16, s13
	s_subb_u32 s7, s17, s7
	s_waitcnt lgkmcnt(0)
	s_mul_i32 s7, s0, s7
	s_mul_hi_u32 s16, s0, s13
	s_add_i32 s7, s16, s7
	s_mul_i32 s1, s1, s13
	s_add_i32 s7, s7, s1
	s_mul_i32 s0, s0, s13
	s_add_u32 s26, s0, s26
	s_addc_u32 s27, s7, s27
	s_add_i32 s3, s3, -1
	s_add_u32 s14, s14, -8
	s_addc_u32 s15, s15, -1
	s_cmp_gt_u32 s3, 2
	s_cbranch_scc0 .LBB111_9
; %bb.7:                                ;   in Loop: Header=BB111_3 Depth=1
	s_mov_b64 s[16:17], s[20:21]
	s_branch .LBB111_3
.LBB111_8:                              ;   in Loop: Header=BB111_3 Depth=1
                                        ; implicit-def: $sgpr20_sgpr21
	s_branch .LBB111_5
.LBB111_9:
                                        ; implicit-def: $vgpr51 : SGPR spill to VGPR lane
	s_load_dword s0, s[4:5], 0x338
	s_load_dwordx2 s[12:13], s[4:5], 0xd0
	v_writelane_b32 v51, s26, 0
	v_writelane_b32 v51, s27, 1
	;; [unrolled: 1-line block ×4, first 2 shown]
	s_waitcnt lgkmcnt(0)
	v_writelane_b32 v51, s12, 4
	v_writelane_b32 v51, s13, 5
	s_add_u32 s12, s4, 0x1a0
	s_addc_u32 s13, s5, 0
	s_mov_b64 s[58:59], 0
	s_cmp_lt_i32 s0, 2
	s_mov_b64 s[64:65], s[8:9]
	s_cbranch_scc1 .LBB111_17
; %bb.10:
	s_mov_b32 s14, 0
	s_add_i32 s3, s0, 1
	s_add_i32 s0, s0, -1
	s_mov_b32 s1, s14
	s_lshl_b64 s[0:1], s[0:1], 3
	s_add_u32 s0, s0, s12
	s_addc_u32 s1, s1, s13
	s_add_u32 s16, s0, 8
	s_addc_u32 s17, s1, 0
	s_mov_b64 s[18:19], s[8:9]
.LBB111_11:                             ; =>This Inner Loop Header: Depth=1
	s_load_dwordx2 s[20:21], s[16:17], 0x0
	s_waitcnt lgkmcnt(0)
	s_or_b64 s[0:1], s[18:19], s[20:21]
	s_mov_b32 s15, s1
	s_cmp_lg_u64 s[14:15], 0
	s_cbranch_scc0 .LBB111_16
; %bb.12:                               ;   in Loop: Header=BB111_11 Depth=1
	v_cvt_f32_u32_e32 v1, s20
	v_cvt_f32_u32_e32 v2, s21
	s_sub_u32 s0, 0, s20
	s_subb_u32 s1, 0, s21
	v_mac_f32_e32 v1, 0x4f800000, v2
	v_rcp_f32_e32 v1, v1
	v_mul_f32_e32 v1, 0x5f7ffffc, v1
	v_mul_f32_e32 v2, 0x2f800000, v1
	v_trunc_f32_e32 v2, v2
	v_mac_f32_e32 v1, 0xcf800000, v2
	v_cvt_u32_f32_e32 v2, v2
	v_cvt_u32_f32_e32 v1, v1
	v_readfirstlane_b32 s7, v2
	v_readfirstlane_b32 s15, v1
	s_mul_i32 s22, s0, s7
	s_mul_hi_u32 s24, s0, s15
	s_mul_i32 s23, s1, s15
	s_add_i32 s22, s24, s22
	s_mul_i32 s25, s0, s15
	s_add_i32 s22, s22, s23
	s_mul_hi_u32 s23, s15, s22
	s_mul_i32 s24, s15, s22
	s_mul_hi_u32 s15, s15, s25
	s_add_u32 s15, s15, s24
	s_addc_u32 s23, 0, s23
	s_mul_hi_u32 s26, s7, s25
	s_mul_i32 s25, s7, s25
	s_add_u32 s15, s15, s25
	s_mul_hi_u32 s24, s7, s22
	s_addc_u32 s15, s23, s26
	s_addc_u32 s23, s24, 0
	s_mul_i32 s22, s7, s22
	s_add_u32 s15, s15, s22
	s_addc_u32 s22, 0, s23
	v_add_co_u32_e32 v1, vcc, s15, v1
	s_cmp_lg_u64 vcc, 0
	s_addc_u32 s7, s7, s22
	v_readfirstlane_b32 s22, v1
	s_mul_i32 s15, s0, s7
	s_mul_hi_u32 s23, s0, s22
	s_add_i32 s15, s23, s15
	s_mul_i32 s1, s1, s22
	s_add_i32 s15, s15, s1
	s_mul_i32 s0, s0, s22
	s_mul_hi_u32 s23, s7, s0
	s_mul_i32 s24, s7, s0
	s_mul_i32 s26, s22, s15
	s_mul_hi_u32 s0, s22, s0
	s_mul_hi_u32 s25, s22, s15
	s_add_u32 s0, s0, s26
	s_addc_u32 s22, 0, s25
	s_add_u32 s0, s0, s24
	s_mul_hi_u32 s1, s7, s15
	s_addc_u32 s0, s22, s23
	s_addc_u32 s1, s1, 0
	s_mul_i32 s15, s7, s15
	s_add_u32 s0, s0, s15
	s_addc_u32 s1, 0, s1
	v_add_co_u32_e32 v1, vcc, s0, v1
	s_cmp_lg_u64 vcc, 0
	s_addc_u32 s0, s7, s1
	v_readfirstlane_b32 s15, v1
	s_mul_i32 s7, s18, s0
	s_mul_hi_u32 s22, s18, s15
	s_mul_hi_u32 s1, s18, s0
	s_add_u32 s7, s22, s7
	s_addc_u32 s1, 0, s1
	s_mul_hi_u32 s23, s19, s15
	s_mul_i32 s15, s19, s15
	s_add_u32 s7, s7, s15
	s_mul_hi_u32 s22, s19, s0
	s_addc_u32 s1, s1, s23
	s_addc_u32 s7, s22, 0
	s_mul_i32 s0, s19, s0
	s_add_u32 s15, s1, s0
	s_addc_u32 s7, 0, s7
	s_mul_i32 s0, s20, s7
	s_mul_hi_u32 s1, s20, s15
	s_add_i32 s0, s1, s0
	s_mul_i32 s1, s21, s15
	s_add_i32 s22, s0, s1
	s_mul_i32 s1, s20, s15
	v_mov_b32_e32 v1, s1
	s_sub_i32 s0, s19, s22
	v_sub_co_u32_e32 v1, vcc, s18, v1
	s_cmp_lg_u64 vcc, 0
	s_subb_u32 s23, s0, s21
	v_subrev_co_u32_e64 v2, s[0:1], s20, v1
	s_cmp_lg_u64 s[0:1], 0
	s_subb_u32 s0, s23, 0
	s_cmp_ge_u32 s0, s21
	v_readfirstlane_b32 s23, v2
	s_cselect_b32 s1, -1, 0
	s_cmp_ge_u32 s23, s20
	s_cselect_b32 s23, -1, 0
	s_cmp_eq_u32 s0, s21
	s_cselect_b32 s0, s23, s1
	s_add_u32 s1, s15, 1
	s_addc_u32 s23, s7, 0
	s_add_u32 s24, s15, 2
	s_addc_u32 s25, s7, 0
	s_cmp_lg_u32 s0, 0
	s_cselect_b32 s0, s24, s1
	s_cselect_b32 s1, s25, s23
	s_cmp_lg_u64 vcc, 0
	s_subb_u32 s22, s19, s22
	s_cmp_ge_u32 s22, s21
	v_readfirstlane_b32 s24, v1
	s_cselect_b32 s23, -1, 0
	s_cmp_ge_u32 s24, s20
	s_cselect_b32 s24, -1, 0
	s_cmp_eq_u32 s22, s21
	s_cselect_b32 s22, s24, s23
	s_cmp_lg_u32 s22, 0
	s_cselect_b32 s65, s1, s7
	s_cselect_b32 s64, s0, s15
	s_cbranch_execnz .LBB111_14
.LBB111_13:                             ;   in Loop: Header=BB111_11 Depth=1
	v_cvt_f32_u32_e32 v1, s20
	s_sub_i32 s0, 0, s20
	s_mov_b32 s65, s14
	v_rcp_iflag_f32_e32 v1, v1
	v_mul_f32_e32 v1, 0x4f7ffffe, v1
	v_cvt_u32_f32_e32 v1, v1
	v_readfirstlane_b32 s1, v1
	s_mul_i32 s0, s0, s1
	s_mul_hi_u32 s0, s1, s0
	s_add_i32 s1, s1, s0
	s_mul_hi_u32 s0, s18, s1
	s_mul_i32 s7, s0, s20
	s_sub_i32 s7, s18, s7
	s_add_i32 s1, s0, 1
	s_sub_i32 s15, s7, s20
	s_cmp_ge_u32 s7, s20
	s_cselect_b32 s0, s1, s0
	s_cselect_b32 s7, s15, s7
	s_add_i32 s1, s0, 1
	s_cmp_ge_u32 s7, s20
	s_cselect_b32 s64, s1, s0
.LBB111_14:                             ;   in Loop: Header=BB111_11 Depth=1
	s_mul_i32 s0, s64, s21
	s_mul_hi_u32 s1, s64, s20
	s_add_i32 s7, s1, s0
	s_load_dwordx2 s[0:1], s[16:17], 0xc8
	s_mul_i32 s15, s65, s20
	s_add_i32 s7, s7, s15
	s_mul_i32 s15, s64, s20
	s_sub_u32 s15, s18, s15
	s_subb_u32 s7, s19, s7
	s_waitcnt lgkmcnt(0)
	s_mul_i32 s7, s0, s7
	s_mul_hi_u32 s18, s0, s15
	s_add_i32 s7, s18, s7
	s_mul_i32 s1, s1, s15
	s_add_i32 s7, s7, s1
	s_mul_i32 s0, s0, s15
	s_add_u32 s58, s0, s58
	s_addc_u32 s59, s7, s59
	s_add_i32 s3, s3, -1
	s_add_u32 s16, s16, -8
	s_addc_u32 s17, s17, -1
	s_cmp_gt_u32 s3, 2
	s_cbranch_scc0 .LBB111_17
; %bb.15:                               ;   in Loop: Header=BB111_11 Depth=1
	s_mov_b64 s[18:19], s[64:65]
	s_branch .LBB111_11
.LBB111_16:                             ;   in Loop: Header=BB111_11 Depth=1
                                        ; implicit-def: $sgpr64_sgpr65
	s_branch .LBB111_13
.LBB111_17:
	s_load_dword s7, s[4:5], 0x4d8
	s_load_dwordx2 s[0:1], s[12:13], 0xd0
                                        ; kill: killed $sgpr12 killed $sgpr13
	s_mov_b64 s[12:13], 0
	s_waitcnt lgkmcnt(0)
	v_writelane_b32 v51, s0, 6
	v_writelane_b32 v51, s1, 7
	s_add_u32 s0, s4, 0x340
	s_addc_u32 s1, s5, 0
	s_cmp_lt_i32 s7, 2
	s_cbranch_scc1 .LBB111_25
; %bb.18:
	s_mov_b32 s14, 0
	s_add_i32 s12, s7, -1
	s_mov_b32 s13, s14
	s_add_i32 s3, s7, 1
	s_lshl_b64 s[12:13], s[12:13], 3
	s_add_u32 s0, s12, s0
	s_addc_u32 s1, s13, s1
	s_add_u32 s16, s0, 8
	s_addc_u32 s17, s1, 0
	s_mov_b64 s[12:13], 0
.LBB111_19:                             ; =>This Inner Loop Header: Depth=1
	s_load_dwordx2 s[18:19], s[16:17], 0x0
	s_waitcnt lgkmcnt(0)
	s_or_b64 s[0:1], s[8:9], s[18:19]
	s_mov_b32 s15, s1
	s_cmp_lg_u64 s[14:15], 0
	s_cbranch_scc0 .LBB111_24
; %bb.20:                               ;   in Loop: Header=BB111_19 Depth=1
	v_cvt_f32_u32_e32 v1, s18
	v_cvt_f32_u32_e32 v2, s19
	s_sub_u32 s0, 0, s18
	s_subb_u32 s1, 0, s19
	v_mac_f32_e32 v1, 0x4f800000, v2
	v_rcp_f32_e32 v1, v1
	v_mul_f32_e32 v1, 0x5f7ffffc, v1
	v_mul_f32_e32 v2, 0x2f800000, v1
	v_trunc_f32_e32 v2, v2
	v_mac_f32_e32 v1, 0xcf800000, v2
	v_cvt_u32_f32_e32 v2, v2
	v_cvt_u32_f32_e32 v1, v1
	v_readfirstlane_b32 s7, v2
	v_readfirstlane_b32 s15, v1
	s_mul_i32 s20, s0, s7
	s_mul_hi_u32 s22, s0, s15
	s_mul_i32 s21, s1, s15
	s_add_i32 s20, s22, s20
	s_mul_i32 s23, s0, s15
	s_add_i32 s20, s20, s21
	s_mul_hi_u32 s21, s15, s20
	s_mul_i32 s22, s15, s20
	s_mul_hi_u32 s15, s15, s23
	s_add_u32 s15, s15, s22
	s_addc_u32 s21, 0, s21
	s_mul_hi_u32 s24, s7, s23
	s_mul_i32 s23, s7, s23
	s_add_u32 s15, s15, s23
	s_mul_hi_u32 s22, s7, s20
	s_addc_u32 s15, s21, s24
	s_addc_u32 s21, s22, 0
	s_mul_i32 s20, s7, s20
	s_add_u32 s15, s15, s20
	s_addc_u32 s20, 0, s21
	v_add_co_u32_e32 v1, vcc, s15, v1
	s_cmp_lg_u64 vcc, 0
	s_addc_u32 s7, s7, s20
	v_readfirstlane_b32 s20, v1
	s_mul_i32 s15, s0, s7
	s_mul_hi_u32 s21, s0, s20
	s_add_i32 s15, s21, s15
	s_mul_i32 s1, s1, s20
	s_add_i32 s15, s15, s1
	s_mul_i32 s0, s0, s20
	s_mul_hi_u32 s21, s7, s0
	s_mul_i32 s22, s7, s0
	s_mul_i32 s24, s20, s15
	s_mul_hi_u32 s0, s20, s0
	s_mul_hi_u32 s23, s20, s15
	s_add_u32 s0, s0, s24
	s_addc_u32 s20, 0, s23
	s_add_u32 s0, s0, s22
	s_mul_hi_u32 s1, s7, s15
	s_addc_u32 s0, s20, s21
	s_addc_u32 s1, s1, 0
	s_mul_i32 s15, s7, s15
	s_add_u32 s0, s0, s15
	s_addc_u32 s1, 0, s1
	v_add_co_u32_e32 v1, vcc, s0, v1
	s_cmp_lg_u64 vcc, 0
	s_addc_u32 s0, s7, s1
	v_readfirstlane_b32 s15, v1
	s_mul_i32 s7, s8, s0
	s_mul_hi_u32 s20, s8, s15
	s_mul_hi_u32 s1, s8, s0
	s_add_u32 s7, s20, s7
	s_addc_u32 s1, 0, s1
	s_mul_hi_u32 s21, s9, s15
	s_mul_i32 s15, s9, s15
	s_add_u32 s7, s7, s15
	s_mul_hi_u32 s20, s9, s0
	s_addc_u32 s1, s1, s21
	s_addc_u32 s7, s20, 0
	s_mul_i32 s0, s9, s0
	s_add_u32 s15, s1, s0
	s_addc_u32 s7, 0, s7
	s_mul_i32 s0, s18, s7
	s_mul_hi_u32 s1, s18, s15
	s_add_i32 s0, s1, s0
	s_mul_i32 s1, s19, s15
	s_add_i32 s20, s0, s1
	s_mul_i32 s1, s18, s15
	v_mov_b32_e32 v1, s1
	s_sub_i32 s0, s9, s20
	v_sub_co_u32_e32 v1, vcc, s8, v1
	s_cmp_lg_u64 vcc, 0
	s_subb_u32 s21, s0, s19
	v_subrev_co_u32_e64 v2, s[0:1], s18, v1
	s_cmp_lg_u64 s[0:1], 0
	s_subb_u32 s0, s21, 0
	s_cmp_ge_u32 s0, s19
	v_readfirstlane_b32 s21, v2
	s_cselect_b32 s1, -1, 0
	s_cmp_ge_u32 s21, s18
	s_cselect_b32 s21, -1, 0
	s_cmp_eq_u32 s0, s19
	s_cselect_b32 s0, s21, s1
	s_add_u32 s1, s15, 1
	s_addc_u32 s21, s7, 0
	s_add_u32 s22, s15, 2
	s_addc_u32 s23, s7, 0
	s_cmp_lg_u32 s0, 0
	s_cselect_b32 s0, s22, s1
	s_cselect_b32 s1, s23, s21
	s_cmp_lg_u64 vcc, 0
	s_subb_u32 s20, s9, s20
	s_cmp_ge_u32 s20, s19
	v_readfirstlane_b32 s22, v1
	s_cselect_b32 s21, -1, 0
	s_cmp_ge_u32 s22, s18
	s_cselect_b32 s22, -1, 0
	s_cmp_eq_u32 s20, s19
	s_cselect_b32 s20, s22, s21
	s_cmp_lg_u32 s20, 0
	s_cselect_b32 s21, s1, s7
	s_cselect_b32 s20, s0, s15
	s_cbranch_execnz .LBB111_22
.LBB111_21:                             ;   in Loop: Header=BB111_19 Depth=1
	v_cvt_f32_u32_e32 v1, s18
	s_sub_i32 s0, 0, s18
	s_mov_b32 s21, s14
	v_rcp_iflag_f32_e32 v1, v1
	v_mul_f32_e32 v1, 0x4f7ffffe, v1
	v_cvt_u32_f32_e32 v1, v1
	v_readfirstlane_b32 s1, v1
	s_mul_i32 s0, s0, s1
	s_mul_hi_u32 s0, s1, s0
	s_add_i32 s1, s1, s0
	s_mul_hi_u32 s0, s8, s1
	s_mul_i32 s7, s0, s18
	s_sub_i32 s7, s8, s7
	s_add_i32 s1, s0, 1
	s_sub_i32 s15, s7, s18
	s_cmp_ge_u32 s7, s18
	s_cselect_b32 s0, s1, s0
	s_cselect_b32 s7, s15, s7
	s_add_i32 s1, s0, 1
	s_cmp_ge_u32 s7, s18
	s_cselect_b32 s20, s1, s0
.LBB111_22:                             ;   in Loop: Header=BB111_19 Depth=1
	s_mul_i32 s0, s20, s19
	s_mul_hi_u32 s1, s20, s18
	s_add_i32 s7, s1, s0
	s_load_dwordx2 s[0:1], s[16:17], 0xc8
	s_mul_i32 s15, s21, s18
	s_add_i32 s7, s7, s15
	s_mul_i32 s15, s20, s18
	s_sub_u32 s8, s8, s15
	s_subb_u32 s7, s9, s7
	s_waitcnt lgkmcnt(0)
	s_mul_i32 s7, s0, s7
	s_mul_hi_u32 s9, s0, s8
	s_add_i32 s7, s9, s7
	s_mul_i32 s1, s1, s8
	s_add_i32 s7, s7, s1
	s_mul_i32 s0, s0, s8
	s_add_u32 s12, s0, s12
	s_addc_u32 s13, s7, s13
	s_add_i32 s3, s3, -1
	s_add_u32 s16, s16, -8
	s_addc_u32 s17, s17, -1
	s_cmp_gt_u32 s3, 2
	s_cbranch_scc0 .LBB111_26
; %bb.23:                               ;   in Loop: Header=BB111_19 Depth=1
	s_mov_b64 s[8:9], s[20:21]
	s_branch .LBB111_19
.LBB111_24:                             ;   in Loop: Header=BB111_19 Depth=1
                                        ; implicit-def: $sgpr20_sgpr21
	s_branch .LBB111_21
.LBB111_25:
	s_mov_b64 s[20:21], s[8:9]
.LBB111_26:
	s_load_dwordx2 s[8:9], s[4:5], 0x410
	s_load_dwordx2 s[0:1], s[4:5], 0x340
	v_cmp_eq_u32_e64 s[16:17], 0, v0
	s_mov_b64 s[14:15], exec
	v_writelane_b32 v51, s16, 8
	v_writelane_b32 v51, s17, 9
	s_and_b64 s[16:17], s[14:15], s[16:17]
	s_mov_b64 exec, s[16:17]
	s_cbranch_execz .LBB111_28
; %bb.27:
	v_mov_b32_e32 v2, 0
	v_mov_b32_e32 v3, v2
	ds_write_b64 v2, v[2:3] offset:5136
.LBB111_28:
	s_or_b64 exec, exec, s[14:15]
	s_load_dwordx2 s[14:15], s[4:5], 0x0
	v_mov_b32_e32 v11, 0
	s_waitcnt lgkmcnt(0)
	s_barrier
	v_writelane_b32 v51, s14, 10
	v_writelane_b32 v51, s15, 11
	s_load_dwordx2 s[14:15], s[4:5], 0x1a0
	s_waitcnt lgkmcnt(0)
	s_barrier
	ds_read_b64 v[2:3], v11 offset:5136
	v_writelane_b32 v51, s14, 12
	v_writelane_b32 v51, s15, 13
	s_waitcnt lgkmcnt(0)
	v_readfirstlane_b32 s14, v2
	v_readfirstlane_b32 s15, v3
	s_mov_b64 s[16:17], exec
	v_readlane_b32 s18, v51, 8
	v_readlane_b32 s19, v51, 9
	s_and_b64 s[18:19], s[16:17], s[18:19]
	s_mov_b64 exec, s[18:19]
	s_cbranch_execz .LBB111_30
; %bb.29:
	v_mov_b32_e32 v2, 0
	v_mov_b32_e32 v4, s52
	;; [unrolled: 1-line block ×4, first 2 shown]
	ds_write_b32 v2, v2 offset:5144
	ds_write_b128 v2, v[2:5] offset:5120
.LBB111_30:
	s_or_b64 exec, exec, s[16:17]
	s_load_dword s3, s[4:5], 0x4f8
	v_cmp_lt_i64_e64 s[4:5], s[14:15], 1
	s_mul_i32 s7, s8, s21
	v_mov_b32_e32 v1, 0
	v_mbcnt_lo_u32_b32 v2, -1, 0
	s_waitcnt lgkmcnt(0)
	s_bitcmp1_b32 s3, 0
	s_cselect_b64 s[16:17], -1, 0
	s_not_b64 s[14:15], s[14:15]
	s_or_b64 s[4:5], s[16:17], s[4:5]
	s_add_u32 s14, s14, s52
	s_addc_u32 s15, s15, s53
	s_lshr_b64 s[14:15], s[14:15], 1
	s_add_u32 s3, s14, 1
	s_addc_u32 s14, s15, 0
	s_and_b64 s[4:5], s[4:5], exec
	s_cselect_b32 s50, s3, s52
	s_mul_hi_u32 s3, s8, s20
	s_cselect_b32 s51, s14, s53
	s_add_i32 s3, s3, s7
	s_mul_i32 s4, s9, s20
	s_add_i32 s5, s3, s4
	s_mul_i32 s4, s8, s20
	s_lshl_b64 s[14:15], s[4:5], 1
	v_cmp_gt_u64_e64 s[4:5], s[52:53], v[0:1]
	v_writelane_b32 v51, s4, 14
	v_writelane_b32 v51, s5, 15
	v_mbcnt_hi_u32_b32 v40, -1, v2
	v_cmp_gt_u32_e64 s[4:5], 2, v0
	v_mov_b32_e32 v2, 0x600
	v_writelane_b32 v51, s4, 16
	v_mov_b32_e32 v3, 0
	s_barrier
	v_writelane_b32 v51, s5, 17
	v_cmp_gt_u64_e64 s[4:5], s[52:53], v[2:3]
	s_load_dword s3, s[10:11], 0xc
	s_lshl_b64 s[72:73], s[12:13], 1
	v_writelane_b32 v51, s4, 18
	s_add_u32 s12, s0, s14
	v_writelane_b32 v51, s5, 19
	v_mad_u64_u32 v[2:3], s[4:5], v0, s56, 0
	s_addc_u32 s13, s1, s15
	v_mov_b32_e32 v4, v3
	s_add_u32 s79, s12, s72
	v_cmp_gt_u32_e32 vcc, 64, v0
	v_cmp_gt_i32_e64 s[8:9], 4, v40
	v_mad_u64_u32 v[4:5], s[4:5], v0, s57, v[4:5]
	s_addc_u32 s87, s13, s73
	s_and_b64 s[48:49], vcc, s[8:9]
	s_waitcnt lgkmcnt(0)
	s_and_b32 s33, s3, 0xffff
	s_bfe_u32 s4, s3, 0xa0006
	v_cmp_gt_u16_e64 s[8:9], s3, 63
	v_writelane_b32 v51, s8, 20
	s_add_u32 s3, s33, -1
	v_writelane_b32 v51, s9, 21
	s_addc_u32 s5, 0, -1
	v_writelane_b32 v51, s3, 22
	s_add_u32 s3, s3, s52
	s_addc_u32 s69, s5, s53
	s_cmp_lt_u32 s6, s2
	s_cselect_b32 s2, 12, 18
	s_add_u32 s90, s10, s2
	v_writelane_b32 v51, s3, 23
	s_addc_u32 s91, s11, 0
	s_add_i32 s2, s4, -1
	s_bfe_u32 s3, s33, 0x30006
	s_cmp_gt_u32 s2, 6
	v_writelane_b32 v51, s5, 24
	s_cselect_b64 s[6:7], -1, 0
	v_writelane_b32 v51, s6, 25
	s_and_b32 s84, s4, 0x3f8
	v_writelane_b32 v51, s7, 26
	s_cmp_lg_u32 s3, 0
	v_writelane_b32 v51, s3, 27
	s_cselect_b64 s[2:3], -1, 0
	v_writelane_b32 v51, s2, 28
	v_mov_b32_e32 v3, v4
	v_writelane_b32 v51, s3, 29
	s_add_u32 s2, s14, s72
	v_lshlrev_b64 v[4:5], 1, v[2:3]
	s_addc_u32 s3, s15, s73
	v_mov_b32_e32 v6, s87
	v_add_co_u32_e32 v14, vcc, s79, v4
	s_add_u32 s2, s0, s2
	v_addc_co_u32_e32 v15, vcc, v6, v5, vcc
	v_lshrrev_b32_e32 v6, 4, v0
	s_addc_u32 s3, s1, s3
	v_and_b32_e32 v43, 60, v6
	v_lshlrev_b32_e32 v6, 2, v40
	v_writelane_b32 v51, s2, 30
	v_and_b32_e32 v44, 0x100, v6
	v_lshlrev_b64 v[6:7], v40, -1
	v_writelane_b32 v51, s3, 31
	s_lshl_b64 s[2:3], s[56:57], 1
	v_lshlrev_b32_e32 v45, 3, v0
	v_not_b32_e32 v19, v7
	v_not_b32_e32 v18, v6
	v_writelane_b32 v51, s2, 32
	v_or_b32_e32 v9, 6, v45
	v_pk_mov_b32 v[6:7], s[12:13], s[12:13] op_sel:[0,1]
	v_writelane_b32 v51, s3, 33
	v_mad_u64_u32 v[20:21], s[2:3], s56, v9, v[6:7]
	v_mov_b32_e32 v8, v21
	v_mad_u64_u32 v[8:9], s[2:3], s57, v9, v[8:9]
	s_lshl_b64 s[2:3], s[56:57], 3
	v_writelane_b32 v51, s2, 34
	v_or_b32_e32 v9, 4, v45
	v_writelane_b32 v51, s3, 35
	v_mad_u64_u32 v[22:23], s[2:3], s56, v9, v[6:7]
	v_cmp_eq_u32_e64 s[46:47], 0, v40
	v_mov_b32_e32 v21, v8
	v_mov_b32_e32 v8, v23
	v_mad_u64_u32 v[8:9], s[2:3], s57, v9, v[8:9]
	v_writelane_b32 v51, s46, 36
	v_mov_b32_e32 v23, v8
	v_or_b32_e32 v8, 2, v45
	v_writelane_b32 v51, s47, 37
	v_mad_u64_u32 v[24:25], s[2:3], s56, v8, v[6:7]
	s_lshl_b32 s80, s33, 1
	v_writelane_b32 v51, s48, 38
	v_mov_b32_e32 v6, v25
	s_add_u32 s0, s0, s72
	v_writelane_b32 v51, s49, 39
	v_mad_u64_u32 v[6:7], s[2:3], s57, v8, v[6:7]
	v_lshlrev_b64 v[2:3], 3, v[2:3]
	s_addc_u32 s1, s1, s73
	v_writelane_b32 v51, s90, 40
	v_mov_b32_e32 v25, v6
	v_mov_b32_e32 v6, s13
	v_add_co_u32_e32 v26, vcc, s12, v2
	s_add_u32 s0, s0, s14
	v_writelane_b32 v51, s91, 41
	v_addc_co_u32_e32 v27, vcc, v6, v3, vcc
	v_mov_b32_e32 v2, 0xc00
	s_addc_u32 s1, s1, s15
	v_writelane_b32 v51, s79, 42
	v_lshl_or_b32 v46, v40, 3, v2
	v_mov_b32_e32 v2, s1
	v_add_co_u32_e32 v12, vcc, s0, v4
	s_mul_i32 s0, s57, s33
	s_mul_hi_u32 s1, s56, s33
	v_writelane_b32 v51, s84, 43
	s_mov_b32 s77, 0
	v_lshlrev_b32_e32 v41, 1, v0
	s_add_i32 s1, s1, s0
	s_mul_i32 s0, s56, s33
	v_writelane_b32 v51, s58, 44
	v_add_u32_e32 v42, 0xc00, v41
	v_lshlrev_b32_e32 v16, 2, v0
	v_mov_b32_e32 v17, v1
	s_mov_b32 s86, s77
	v_addc_co_u32_e32 v13, vcc, v2, v5, vcc
	s_lshl_b64 s[74:75], s[0:1], 1
	s_mov_b32 s78, 14
	s_mov_b64 s[66:67], 0
	s_mov_b32 s81, 0x8000
	v_mov_b32_e32 v47, 0x4f800000
	v_mov_b32_e32 v48, 0x5040100
	;; [unrolled: 1-line block ×3, first 2 shown]
	s_mov_b32 s85, 0
	s_mov_b32 s61, 0
	s_mov_b32 s60, 0
	v_writelane_b32 v51, s59, 45
                                        ; implicit-def: $sgpr62_sgpr63
                                        ; implicit-def: $sgpr88_sgpr89
                                        ; implicit-def: $sgpr70_sgpr71
                                        ; implicit-def: $sgpr8_sgpr9
                                        ; implicit-def: $sgpr92_sgpr93
                                        ; implicit-def: $sgpr54_sgpr55
	v_writelane_b32 v51, s87, 46
	s_branch .LBB111_35
.LBB111_31:                             ;   in Loop: Header=BB111_35 Depth=1
	s_xor_b32 s85, s85, 1
	s_add_i32 s4, s78, -2
	s_cmp_eq_u32 s78, 0
	s_mov_b64 s[2:3], 0
	s_cselect_b64 s[6:7], -1, 0
	s_mov_b32 s78, s4
.LBB111_32:                             ;   in Loop: Header=BB111_35 Depth=1
	s_andn2_b64 s[4:5], s[20:21], exec
	s_and_b64 s[2:3], s[2:3], exec
	s_or_b64 s[20:21], s[4:5], s[2:3]
	s_andn2_b64 s[22:23], s[22:23], exec
	s_andn2_b64 s[18:19], s[18:19], exec
	s_orn2_b64 s[14:15], s[6:7], exec
.LBB111_33:                             ;   in Loop: Header=BB111_35 Depth=1
	s_or_b64 exec, exec, s[0:1]
	s_andn2_b64 s[0:1], s[54:55], exec
	s_and_b64 s[2:3], s[20:21], exec
	s_or_b64 s[54:55], s[0:1], s[2:3]
	s_andn2_b64 s[0:1], s[92:93], exec
	s_and_b64 s[2:3], s[22:23], exec
	s_or_b64 s[92:93], s[0:1], s[2:3]
	s_andn2_b64 s[0:1], s[8:9], exec
	s_and_b64 s[2:3], s[18:19], exec
	s_or_b64 s[8:9], s[0:1], s[2:3]
	s_orn2_b64 s[14:15], s[14:15], exec
.LBB111_34:                             ;   in Loop: Header=BB111_35 Depth=1
	s_or_b64 exec, exec, s[12:13]
	s_and_b64 s[0:1], exec, s[14:15]
	s_or_b64 s[66:67], s[0:1], s[66:67]
	s_andn2_b64 s[0:1], s[70:71], exec
	s_and_b64 s[2:3], s[54:55], exec
	s_or_b64 s[70:71], s[0:1], s[2:3]
	s_andn2_b64 s[0:1], s[88:89], exec
	s_and_b64 s[2:3], s[92:93], exec
	;; [unrolled: 3-line block ×3, first 2 shown]
	v_mov_b32_e32 v2, s61
	s_or_b64 s[62:63], s[0:1], s[2:3]
	s_andn2_b64 exec, exec, s[66:67]
	s_cbranch_execz .LBB111_301
.LBB111_35:                             ; =>This Loop Header: Depth=1
                                        ;     Child Loop BB111_40 Depth 2
                                        ;     Child Loop BB111_55 Depth 2
	;; [unrolled: 1-line block ×16, first 2 shown]
	ds_read_b128 v[2:5], v11 offset:5120
	s_waitcnt lgkmcnt(0)
	v_readfirstlane_b32 s3, v3
	v_readfirstlane_b32 s2, v2
	s_cmp_lg_u64 s[2:3], 0
	s_cbranch_scc1 .LBB111_62
; %bb.36:                               ;   in Loop: Header=BB111_35 Depth=1
	v_readlane_b32 s0, v51, 18
	v_readlane_b32 s1, v51, 19
	s_and_b64 vcc, exec, s[0:1]
	s_cbranch_vccz .LBB111_48
; %bb.37:                               ;   in Loop: Header=BB111_35 Depth=1
	s_mov_b64 s[0:1], 0x601
	v_cmp_gt_u64_e32 vcc, s[0:1], v[4:5]
	s_mov_b64 s[2:3], 0
	s_mov_b64 s[0:1], 0
	s_cbranch_vccz .LBB111_49
; %bb.38:                               ;   in Loop: Header=BB111_35 Depth=1
	global_load_ushort v6, v11, s[90:91]
	global_load_ushort v7, v[14:15], off
	v_readlane_b32 s0, v51, 30
	v_readlane_b32 s1, v51, 31
	v_pk_mov_b32 v[2:3], s[0:1], s[0:1] op_sel:[0,1]
	v_readlane_b32 s12, v51, 32
	v_readlane_b32 s13, v51, 33
	s_mov_b64 s[0:1], 0
	s_waitcnt vmcnt(1)
	v_readfirstlane_b32 s4, v6
	s_and_b32 s4, 0xffff, s4
	v_add_u32_e32 v5, s4, v0
	v_mad_u64_u32 v[2:3], s[6:7], s12, v5, v[2:3]
	v_mov_b32_e32 v4, v3
	s_mul_i32 s5, s13, s4
	s_mul_hi_u32 s10, s12, s4
	v_mad_u64_u32 v[4:5], s[6:7], s13, v5, v[4:5]
	s_mul_i32 s4, s12, s4
	s_add_i32 s5, s10, s5
	v_mov_b32_e32 v3, v4
	v_pk_mov_b32 v[4:5], v[0:1], v[0:1] op_sel:[0,1]
	s_branch .LBB111_40
.LBB111_39:                             ;   in Loop: Header=BB111_40 Depth=2
	s_or_b64 exec, exec, s[6:7]
	v_mov_b32_e32 v7, s5
	v_add_co_u32_e32 v2, vcc, s4, v2
	v_addc_co_u32_e32 v3, vcc, v3, v7, vcc
	v_mov_b32_e32 v7, v8
	s_andn2_b64 exec, exec, s[0:1]
	s_cbranch_execz .LBB111_165
.LBB111_40:                             ;   Parent Loop BB111_35 Depth=1
                                        ; =>  This Inner Loop Header: Depth=2
	v_add_co_u32_sdwa v4, vcc, v4, v6 dst_sel:DWORD dst_unused:UNUSED_PAD src0_sel:DWORD src1_sel:WORD_0
	v_addc_co_u32_e32 v5, vcc, 0, v5, vcc
	v_cmp_gt_u64_e64 s[6:7], s[52:53], v[4:5]
	v_cmp_le_u64_e32 vcc, s[52:53], v[4:5]
	s_waitcnt lgkmcnt(0)
	v_mov_b32_e32 v9, 0
	v_mov_b32_e32 v8, 0
	s_and_saveexec_b64 s[10:11], s[6:7]
	s_cbranch_execz .LBB111_42
; %bb.41:                               ;   in Loop: Header=BB111_40 Depth=2
	global_load_ushort v8, v[2:3], off
.LBB111_42:                             ;   in Loop: Header=BB111_40 Depth=2
	s_or_b64 exec, exec, s[10:11]
	s_waitcnt vmcnt(0)
	v_add_u32_sdwa v10, sext(v7), s81 dst_sel:DWORD dst_unused:UNUSED_PAD src0_sel:WORD_0 src1_sel:DWORD
	v_and_b32_e32 v10, s60, v10
	v_cmp_eq_u32_e64 s[10:11], s61, v10
	s_cmp_lg_u64 s[10:11], 0
	s_cselect_b64 s[6:7], -1, 0
	s_and_b64 s[6:7], s[46:47], s[6:7]
	s_and_saveexec_b64 s[12:13], s[6:7]
	s_cbranch_execz .LBB111_46
; %bb.43:                               ;   in Loop: Header=BB111_40 Depth=2
	s_mov_b64 s[16:17], exec
	v_mbcnt_lo_u32_b32 v9, s16, 0
	v_mbcnt_hi_u32_b32 v9, s17, v9
	s_bcnt1_i32_b64 s18, s[10:11]
	v_cmp_eq_u32_e64 s[6:7], 0, v9
                                        ; implicit-def: $vgpr10
	s_and_saveexec_b64 s[14:15], s[6:7]
	s_cbranch_execz .LBB111_45
; %bb.44:                               ;   in Loop: Header=BB111_40 Depth=2
	s_bcnt1_i32_b64 s6, s[16:17]
	s_mul_i32 s6, s18, s6
	v_mov_b32_e32 v10, s6
	ds_add_rtn_u32 v10, v11, v10 offset:5144
.LBB111_45:                             ;   in Loop: Header=BB111_40 Depth=2
	s_or_b64 exec, exec, s[14:15]
	s_waitcnt lgkmcnt(0)
	v_readfirstlane_b32 s6, v10
	v_mov_b32_e32 v10, s6
	v_mad_u32_u24 v9, s18, v9, v10
.LBB111_46:                             ;   in Loop: Header=BB111_40 Depth=2
	s_or_b64 exec, exec, s[12:13]
	ds_bpermute_b32 v9, v44, v9
	s_and_b64 s[6:7], exec, vcc
	s_or_b64 s[0:1], s[6:7], s[0:1]
	s_and_saveexec_b64 s[6:7], s[10:11]
	s_cbranch_execz .LBB111_39
; %bb.47:                               ;   in Loop: Header=BB111_40 Depth=2
	v_and_b32_e32 v28, s10, v18
	v_and_b32_e32 v10, s11, v19
	v_bcnt_u32_b32 v28, v28, 0
	v_bcnt_u32_b32 v10, v10, v28
	v_lshlrev_b32_e32 v10, 1, v10
	s_waitcnt lgkmcnt(0)
	v_lshl_add_u32 v9, v9, 1, v10
	ds_write_b16 v9, v7
	s_branch .LBB111_39
.LBB111_48:                             ;   in Loop: Header=BB111_35 Depth=1
	s_mov_b64 s[2:3], -1
	s_mov_b64 s[0:1], 0
.LBB111_49:                             ;   in Loop: Header=BB111_35 Depth=1
	s_and_b64 vcc, exec, s[2:3]
	s_cbranch_vccz .LBB111_60
.LBB111_50:                             ;   in Loop: Header=BB111_35 Depth=1
	v_mov_b32_e32 v6, 0
	s_mov_b64 s[0:1], exec
	v_readlane_b32 s2, v51, 14
	v_readlane_b32 s3, v51, 15
	s_and_b64 s[2:3], s[0:1], s[2:3]
	s_mov_b64 exec, s[2:3]
	s_cbranch_execz .LBB111_52
; %bb.51:                               ;   in Loop: Header=BB111_35 Depth=1
	global_load_ushort v6, v[14:15], off
.LBB111_52:                             ;   in Loop: Header=BB111_35 Depth=1
	s_or_b64 exec, exec, s[0:1]
	s_mov_b64 s[0:1], exec
	v_readlane_b32 s2, v51, 14
	v_readlane_b32 s3, v51, 15
	s_and_b64 s[2:3], s[0:1], s[2:3]
	s_mov_b64 exec, s[2:3]
	s_cbranch_execz .LBB111_57
; %bb.53:                               ;   in Loop: Header=BB111_35 Depth=1
	global_load_ushort v7, v11, s[90:91]
	v_readlane_b32 s2, v51, 30
	v_readlane_b32 s3, v51, 31
	v_pk_mov_b32 v[2:3], s[2:3], s[2:3] op_sel:[0,1]
	v_readlane_b32 s12, v51, 32
	v_readlane_b32 s13, v51, 33
	s_mov_b64 s[2:3], 0
	v_mov_b32_e32 v8, v41
	s_waitcnt vmcnt(0)
	v_readfirstlane_b32 s4, v7
	s_and_b32 s5, 0xffff, s4
	v_add_u32_e32 v5, s5, v0
	v_mad_u64_u32 v[2:3], s[6:7], s12, v5, v[2:3]
	v_mov_b32_e32 v4, v3
	s_mul_i32 s10, s13, s5
	s_mul_hi_u32 s11, s12, s5
	v_mad_u64_u32 v[4:5], s[6:7], s13, v5, v[4:5]
	s_lshl_b32 s4, s5, 1
	s_mul_i32 s5, s12, s5
	s_add_i32 s12, s11, s10
	v_mov_b32_e32 v3, v4
	v_pk_mov_b32 v[4:5], v[0:1], v[0:1] op_sel:[0,1]
	s_branch .LBB111_55
.LBB111_54:                             ;   in Loop: Header=BB111_55 Depth=2
	s_or_b64 exec, exec, s[10:11]
	s_and_b64 s[6:7], exec, vcc
	ds_write_b16 v8, v6
	v_mov_b32_e32 v6, s12
	v_add_co_u32_e32 v2, vcc, s5, v2
	s_or_b64 s[2:3], s[6:7], s[2:3]
	v_add_u32_e32 v8, s4, v8
	v_addc_co_u32_e32 v3, vcc, v3, v6, vcc
	s_waitcnt vmcnt(0)
	v_mov_b32_e32 v6, v9
	s_andn2_b64 exec, exec, s[2:3]
	s_cbranch_execz .LBB111_57
.LBB111_55:                             ;   Parent Loop BB111_35 Depth=1
                                        ; =>  This Inner Loop Header: Depth=2
	v_add_co_u32_sdwa v4, vcc, v4, v7 dst_sel:DWORD dst_unused:UNUSED_PAD src0_sel:DWORD src1_sel:WORD_0
	v_addc_co_u32_e32 v5, vcc, 0, v5, vcc
	v_cmp_gt_u64_e64 s[6:7], s[52:53], v[4:5]
	v_cmp_le_u64_e32 vcc, s[52:53], v[4:5]
	v_mov_b32_e32 v9, 0
	s_and_saveexec_b64 s[10:11], s[6:7]
	s_cbranch_execz .LBB111_54
; %bb.56:                               ;   in Loop: Header=BB111_55 Depth=2
	global_load_ushort v9, v[2:3], off
	s_branch .LBB111_54
.LBB111_57:                             ;   in Loop: Header=BB111_35 Depth=1
	s_or_b64 exec, exec, s[0:1]
	s_waitcnt lgkmcnt(0)
	s_barrier
	s_mov_b64 s[0:1], exec
	v_readlane_b32 s2, v51, 8
	v_readlane_b32 s3, v51, 9
	s_and_b64 s[2:3], s[0:1], s[2:3]
	s_mov_b64 exec, s[2:3]
	s_cbranch_execz .LBB111_59
; %bb.58:                               ;   in Loop: Header=BB111_35 Depth=1
	v_pk_mov_b32 v[2:3], s[52:53], s[52:53] op_sel:[0,1]
	ds_write_b64 v11, v[2:3] offset:5120
.LBB111_59:                             ;   in Loop: Header=BB111_35 Depth=1
	s_or_b64 exec, exec, s[0:1]
	s_mov_b64 s[0:1], -1
	s_waitcnt lgkmcnt(0)
	s_barrier
                                        ; implicit-def: $sgpr2_sgpr3
.LBB111_60:                             ;   in Loop: Header=BB111_35 Depth=1
	s_and_b64 vcc, exec, s[0:1]
	s_cbranch_vccz .LBB111_62
; %bb.61:                               ;   in Loop: Header=BB111_35 Depth=1
	ds_read_b64 v[2:3], v11 offset:5120
	s_waitcnt lgkmcnt(0)
	v_readfirstlane_b32 s2, v2
.LBB111_62:                             ;   in Loop: Header=BB111_35 Depth=1
	s_cmp_lt_i32 s2, 1
	s_cbranch_scc0 .LBB111_77
; %bb.63:                               ;   in Loop: Header=BB111_35 Depth=1
	global_load_ushort v2, v11, s[90:91]
	s_mov_b32 s0, s77
	s_waitcnt vmcnt(0)
	v_readfirstlane_b32 s1, v2
	s_and_b32 s3, s1, 0xffff
	s_lshl_b32 s76, s3, 2
	s_mov_b32 s1, s53
	s_cmp_lg_u64 s[0:1], 0
	s_cbranch_scc0 .LBB111_97
; %bb.64:                               ;   in Loop: Header=BB111_35 Depth=1
	v_cvt_f32_u32_e32 v2, s76
	s_sub_u32 s0, 0, s76
	s_subb_u32 s1, 0, 0
	v_mac_f32_e32 v2, 0, v47
	v_rcp_f32_e32 v2, v2
	v_mul_f32_e32 v2, 0x5f7ffffc, v2
	v_mul_f32_e32 v3, 0x2f800000, v2
	v_trunc_f32_e32 v3, v3
	v_mac_f32_e32 v2, 0xcf800000, v3
	v_cvt_u32_f32_e32 v3, v3
	v_cvt_u32_f32_e32 v2, v2
	v_readfirstlane_b32 s4, v3
	v_readfirstlane_b32 s5, v2
	s_mul_i32 s6, s0, s4
	s_mul_hi_u32 s10, s0, s5
	s_mul_i32 s7, s1, s5
	s_add_i32 s6, s10, s6
	s_mul_i32 s11, s0, s5
	s_add_i32 s6, s6, s7
	s_mul_hi_u32 s10, s5, s11
	s_mul_hi_u32 s7, s5, s6
	s_mul_i32 s5, s5, s6
	s_add_u32 s5, s10, s5
	s_addc_u32 s7, 0, s7
	s_mul_hi_u32 s12, s4, s11
	s_mul_i32 s11, s4, s11
	s_add_u32 s5, s5, s11
	s_mul_hi_u32 s10, s4, s6
	s_addc_u32 s5, s7, s12
	s_addc_u32 s7, s10, 0
	s_mul_i32 s6, s4, s6
	s_add_u32 s5, s5, s6
	s_addc_u32 s6, 0, s7
	v_add_co_u32_e32 v2, vcc, s5, v2
	s_cmp_lg_u64 vcc, 0
	s_addc_u32 s4, s4, s6
	v_readfirstlane_b32 s6, v2
	s_mul_i32 s5, s0, s4
	s_mul_hi_u32 s7, s0, s6
	s_add_i32 s5, s7, s5
	s_mul_i32 s1, s1, s6
	s_add_i32 s5, s5, s1
	s_mul_i32 s0, s0, s6
	s_mul_hi_u32 s7, s4, s0
	s_mul_i32 s10, s4, s0
	s_mul_i32 s12, s6, s5
	s_mul_hi_u32 s0, s6, s0
	s_mul_hi_u32 s11, s6, s5
	s_add_u32 s0, s0, s12
	s_addc_u32 s6, 0, s11
	s_add_u32 s0, s0, s10
	s_mul_hi_u32 s1, s4, s5
	s_addc_u32 s0, s6, s7
	s_addc_u32 s1, s1, 0
	s_mul_i32 s5, s4, s5
	s_add_u32 s0, s0, s5
	s_addc_u32 s1, 0, s1
	v_add_co_u32_e32 v2, vcc, s0, v2
	s_cmp_lg_u64 vcc, 0
	s_addc_u32 s0, s4, s1
	v_readfirstlane_b32 s5, v2
	s_mul_i32 s4, s52, s0
	s_mul_hi_u32 s6, s52, s5
	s_mul_hi_u32 s1, s52, s0
	s_add_u32 s4, s6, s4
	s_addc_u32 s1, 0, s1
	s_mul_hi_u32 s7, s53, s5
	s_mul_i32 s5, s53, s5
	s_add_u32 s4, s4, s5
	s_mul_hi_u32 s6, s53, s0
	s_addc_u32 s1, s1, s7
	s_addc_u32 s4, s6, 0
	s_mul_i32 s0, s53, s0
	s_add_u32 s0, s1, s0
	s_addc_u32 s1, 0, s4
	s_mul_hi_u32 s4, s76, s0
	s_mul_i32 s0, s76, s0
	s_mul_i32 s1, s76, s1
	v_mov_b32_e32 v2, s0
	s_add_i32 s4, s4, s1
	v_sub_co_u32_e32 v2, vcc, s52, v2
	s_cmp_lg_u64 vcc, 0
	s_subb_u32 s0, s53, s4
	v_subrev_co_u32_e32 v3, vcc, s76, v2
	s_cmp_lg_u64 vcc, 0
	s_subb_u32 s1, s0, 0
	v_subrev_co_u32_e32 v4, vcc, s76, v3
	s_cmp_lg_u64 vcc, 0
	s_subb_u32 s4, s1, 0
	v_cmp_le_u32_e32 vcc, s76, v3
	s_cmp_eq_u32 s1, 0
	v_cndmask_b32_e64 v5, 0, -1, vcc
	s_cselect_b64 vcc, -1, 0
	v_cndmask_b32_e32 v5, -1, v5, vcc
	v_mov_b32_e32 v6, s1
	v_mov_b32_e32 v7, s4
	v_cmp_ne_u32_e32 vcc, 0, v5
	v_cndmask_b32_e32 v5, v6, v7, vcc
	v_cndmask_b32_e32 v4, v3, v4, vcc
	v_cmp_le_u32_e32 vcc, s76, v2
	s_cmp_eq_u32 s0, 0
	v_cndmask_b32_e64 v3, 0, -1, vcc
	s_cselect_b64 vcc, -1, 0
	v_cndmask_b32_e32 v3, -1, v3, vcc
	v_mov_b32_e32 v6, s0
	v_cmp_ne_u32_e32 vcc, 0, v3
	v_cndmask_b32_e32 v3, v6, v5, vcc
	v_cndmask_b32_e32 v2, v2, v4, vcc
	s_cbranch_execnz .LBB111_66
.LBB111_65:                             ;   in Loop: Header=BB111_35 Depth=1
	v_cvt_f32_u32_e32 v2, s76
	s_sub_i32 s0, 0, s76
	v_rcp_iflag_f32_e32 v2, v2
	v_mul_f32_e32 v2, 0x4f7ffffe, v2
	v_cvt_u32_f32_e32 v2, v2
	v_mul_lo_u32 v3, s0, v2
	v_mul_hi_u32 v3, v2, v3
	v_add_u32_e32 v2, v2, v3
	v_mul_hi_u32 v2, s52, v2
	v_mul_lo_u32 v2, v2, s76
	v_sub_u32_e32 v2, s52, v2
	v_subrev_u32_e32 v3, s76, v2
	v_cmp_le_u32_e32 vcc, s76, v2
	v_cndmask_b32_e32 v2, v2, v3, vcc
	v_subrev_u32_e32 v3, s76, v2
	v_cmp_le_u32_e32 vcc, s76, v2
	v_cndmask_b32_e32 v10, v2, v3, vcc
	v_pk_mov_b32 v[2:3], v[10:11], v[10:11] op_sel:[0,1]
.LBB111_66:                             ;   in Loop: Header=BB111_35 Depth=1
	v_mov_b32_e32 v4, s53
	v_sub_co_u32_e32 v28, vcc, s52, v2
	v_subb_co_u32_e32 v29, vcc, v4, v3, vcc
	v_pk_mov_b32 v[2:3], 0, 0
	v_cmp_gt_u64_e32 vcc, v[28:29], v[16:17]
	s_mov_b64 s[82:83], 0
	v_pk_mov_b32 v[4:5], v[2:3], v[2:3] op_sel:[0,1]
	v_pk_mov_b32 v[6:7], v[2:3], v[2:3] op_sel:[0,1]
	;; [unrolled: 1-line block ×3, first 2 shown]
	s_and_saveexec_b64 s[0:1], vcc
	s_cbranch_execz .LBB111_70
; %bb.67:                               ;   in Loop: Header=BB111_35 Depth=1
	v_readlane_b32 s6, v51, 34
	v_readlane_b32 s7, v51, 35
	s_mul_i32 s4, s7, s3
	s_mul_hi_u32 s5, s6, s3
	s_mov_b32 s87, s85
	s_mov_b64 s[58:59], s[54:55]
	s_mov_b64 s[54:55], s[92:93]
	;; [unrolled: 1-line block ×6, first 2 shown]
	s_mov_b32 s9, s69
	s_mov_b64 s[92:93], s[50:51]
	s_mov_b64 s[90:91], s[64:65]
	s_mov_b32 s8, s78
	s_and_b32 s64, s78, 0xfe
	s_add_i32 s65, s5, s4
	s_mul_i32 s4, s6, s3
	v_pk_mov_b32 v[30:31], v[26:27], v[26:27] op_sel:[0,1]
	v_pk_mov_b32 v[32:33], v[24:25], v[24:25] op_sel:[0,1]
	;; [unrolled: 1-line block ×4, first 2 shown]
	s_mov_b64 s[26:27], 0
	s_mov_b64 s[68:69], 0
	;; [unrolled: 1-line block ×4, first 2 shown]
	v_pk_mov_b32 v[38:39], v[16:17], v[16:17] op_sel:[0,1]
.LBB111_68:                             ;   Parent Loop BB111_35 Depth=1
                                        ; =>  This Inner Loop Header: Depth=2
	v_mov_b32_e32 v7, s73
	v_add_co_u32_e32 v2, vcc, s72, v32
	v_add_co_u32_e64 v8, s[18:19], s72, v30
	v_add_co_u32_e64 v4, s[10:11], s72, v34
	;; [unrolled: 1-line block ×3, first 2 shown]
	v_addc_co_u32_e64 v9, s[18:19], v31, v7, s[18:19]
	v_addc_co_u32_e32 v3, vcc, v33, v7, vcc
	v_addc_co_u32_e64 v5, vcc, v35, v7, s[10:11]
	v_addc_co_u32_e64 v7, vcc, v37, v7, s[12:13]
	global_load_sshort v8, v[8:9], off
	s_nop 0
	global_load_sshort v2, v[2:3], off
	s_nop 0
	global_load_sshort v3, v[4:5], off
	s_nop 0
	global_load_sshort v4, v[6:7], off
	v_mov_b32_e32 v10, s65
	v_add_co_u32_e64 v36, s[6:7], s4, v36
	v_add_co_u32_e64 v32, s[16:17], s4, v32
	;; [unrolled: 1-line block ×4, first 2 shown]
	v_addc_co_u32_e64 v37, vcc, v37, v10, s[6:7]
	v_addc_co_u32_e64 v33, vcc, v33, v10, s[16:17]
	v_addc_co_u32_e64 v39, s[22:23], 0, v39, s[22:23]
	v_addc_co_u32_e64 v35, vcc, v35, v10, s[14:15]
	v_add_co_u32_e64 v30, s[20:21], s4, v30
	v_addc_co_u32_e64 v31, vcc, v31, v10, s[20:21]
	v_cmp_ge_u64_e32 vcc, v[38:39], v[28:29]
	s_waitcnt vmcnt(3)
	v_add_u32_e32 v5, 0x8000, v8
	s_waitcnt vmcnt(2)
	v_add_u32_e32 v2, 0x8000, v2
	v_and_b32_e32 v6, s60, v5
	v_bfe_u32 v5, v5, s64, 2
	s_waitcnt vmcnt(1)
	v_add_u32_e32 v3, 0x8000, v3
	v_and_b32_e32 v7, s60, v2
	v_bfe_u32 v2, v2, s64, 2
	v_cmp_eq_u32_e64 s[16:17], s61, v6
	v_cmp_eq_u32_e64 s[6:7], 0, v5
	s_waitcnt vmcnt(0)
	v_add_u32_e32 v4, 0x8000, v4
	v_and_b32_e32 v8, s60, v3
	v_bfe_u32 v3, v3, s64, 2
	v_cmp_eq_u32_e64 s[14:15], s61, v7
	v_cmp_eq_u32_e64 s[28:29], 0, v2
	s_and_b64 s[6:7], s[16:17], s[6:7]
	v_and_b32_e32 v9, s60, v4
	v_bfe_u32 v4, v4, s64, 2
	v_cmp_eq_u32_e64 s[12:13], s61, v8
	v_cmp_eq_u32_e64 s[30:31], 0, v3
	;; [unrolled: 1-line block ×5, first 2 shown]
	v_cndmask_b32_e64 v2, 0, 1, s[6:7]
	s_and_b64 s[6:7], s[14:15], s[28:29]
	v_cmp_eq_u32_e64 s[10:11], s61, v9
	v_cmp_eq_u32_e64 s[34:35], 0, v4
	;; [unrolled: 1-line block ×5, first 2 shown]
	v_cndmask_b32_e64 v3, 0, 1, s[6:7]
	s_and_b64 s[6:7], s[12:13], s[30:31]
	v_cmp_eq_u32_e64 s[42:43], 1, v4
	v_cmp_eq_u32_e64 s[50:51], 2, v4
	;; [unrolled: 1-line block ×3, first 2 shown]
	v_cndmask_b32_e64 v4, 0, 1, s[6:7]
	s_and_b64 s[6:7], s[10:11], s[34:35]
	v_cmp_eq_u32_e64 s[36:37], 1, v5
	v_cmp_eq_u32_e64 s[44:45], 2, v5
	;; [unrolled: 1-line block ×3, first 2 shown]
	v_cndmask_b32_e64 v5, 0, 1, s[6:7]
	v_cmp_ne_u32_e64 s[6:7], 0, v2
	v_cmp_ne_u32_e64 s[28:29], 0, v3
	v_cmp_ne_u32_e64 s[30:31], 0, v4
	v_cmp_ne_u32_e64 s[34:35], 0, v5
	s_bcnt1_i32_b64 s5, s[6:7]
	s_bcnt1_i32_b64 s6, s[28:29]
	s_bcnt1_i32_b64 s7, s[30:31]
	s_bcnt1_i32_b64 s28, s[34:35]
	s_add_u32 s5, s5, s78
	s_addc_u32 s29, 0, s79
	s_add_u32 s5, s5, s6
	s_addc_u32 s6, s29, 0
	s_add_u32 s5, s5, s7
	s_addc_u32 s6, s6, 0
	s_add_u32 s78, s5, s28
	s_addc_u32 s79, s6, 0
	s_and_b64 s[6:7], s[16:17], s[36:37]
	v_cndmask_b32_e64 v4, 0, 1, s[6:7]
	s_and_b64 s[6:7], s[14:15], s[38:39]
	v_cndmask_b32_e64 v5, 0, 1, s[6:7]
	s_and_b64 s[6:7], s[12:13], s[40:41]
	v_cndmask_b32_e64 v6, 0, 1, s[6:7]
	s_and_b64 s[6:7], s[10:11], s[42:43]
	v_cndmask_b32_e64 v7, 0, 1, s[6:7]
	v_cmp_ne_u32_e64 s[6:7], 0, v4
	v_cmp_ne_u32_e64 s[28:29], 0, v5
	v_cmp_ne_u32_e64 s[30:31], 0, v6
	v_cmp_ne_u32_e64 s[34:35], 0, v7
	s_bcnt1_i32_b64 s5, s[6:7]
	s_bcnt1_i32_b64 s6, s[28:29]
	s_bcnt1_i32_b64 s7, s[30:31]
	s_bcnt1_i32_b64 s28, s[34:35]
	s_add_u32 s5, s5, s94
	s_addc_u32 s29, 0, s95
	s_add_u32 s5, s5, s6
	s_addc_u32 s6, s29, 0
	s_add_u32 s5, s5, s7
	s_addc_u32 s6, s6, 0
	s_add_u32 s94, s5, s28
	s_addc_u32 s95, s6, 0
	s_and_b64 s[6:7], s[16:17], s[44:45]
	v_cndmask_b32_e64 v6, 0, 1, s[6:7]
	s_and_b64 s[6:7], s[14:15], s[46:47]
	v_cndmask_b32_e64 v7, 0, 1, s[6:7]
	s_and_b64 s[6:7], s[12:13], s[48:49]
	v_cndmask_b32_e64 v8, 0, 1, s[6:7]
	s_and_b64 s[6:7], s[10:11], s[50:51]
	;; [unrolled: 24-line block ×3, first 2 shown]
	v_cndmask_b32_e64 v50, 0, 1, s[6:7]
	v_cmp_ne_u32_e64 s[6:7], 0, v8
	v_cmp_ne_u32_e64 s[10:11], 0, v9
	;; [unrolled: 1-line block ×4, first 2 shown]
	s_bcnt1_i32_b64 s5, s[6:7]
	s_bcnt1_i32_b64 s6, s[10:11]
	;; [unrolled: 1-line block ×4, first 2 shown]
	s_add_u32 s5, s5, s26
	s_addc_u32 s11, 0, s27
	s_add_u32 s5, s5, s6
	s_addc_u32 s6, s11, 0
	;; [unrolled: 2-line block ×4, first 2 shown]
	v_pk_mov_b32 v[2:3], s[78:79], s[78:79] op_sel:[0,1]
	v_pk_mov_b32 v[4:5], s[94:95], s[94:95] op_sel:[0,1]
	;; [unrolled: 1-line block ×3, first 2 shown]
	s_or_b64 s[82:83], vcc, s[82:83]
	v_pk_mov_b32 v[8:9], s[26:27], s[26:27] op_sel:[0,1]
	s_andn2_b64 exec, exec, s[82:83]
	s_cbranch_execnz .LBB111_68
; %bb.69:                               ;   in Loop: Header=BB111_35 Depth=1
	s_or_b64 exec, exec, s[82:83]
	s_mov_b64 s[64:65], s[90:91]
	v_readlane_b32 s46, v51, 36
	v_readlane_b32 s48, v51, 38
	s_mov_b64 s[50:51], s[92:93]
	v_readlane_b32 s90, v51, 40
	s_mov_b64 s[92:93], s[54:55]
	s_mov_b64 s[54:55], s[58:59]
	v_readlane_b32 s58, v51, 44
	v_readlane_b32 s47, v51, 37
	;; [unrolled: 1-line block ×3, first 2 shown]
	s_mov_b32 s69, s9
	v_readlane_b32 s91, v51, 41
	s_mov_b32 s78, s8
	s_mov_b64 s[8:9], s[62:63]
	s_mov_b64 s[62:63], s[70:71]
	;; [unrolled: 1-line block ×4, first 2 shown]
	v_readlane_b32 s79, v51, 42
	v_readlane_b32 s84, v51, 43
	;; [unrolled: 1-line block ×3, first 2 shown]
	s_mov_b32 s85, s87
	v_readlane_b32 s87, v51, 46
.LBB111_70:                             ;   in Loop: Header=BB111_35 Depth=1
	s_or_b64 exec, exec, s[0:1]
	v_add_co_u32_e32 v28, vcc, v28, v0
	v_addc_co_u32_e32 v29, vcc, 0, v29, vcc
	v_cmp_gt_u64_e32 vcc, s[52:53], v[28:29]
	v_mov_b32_e32 v10, 0
	s_and_saveexec_b64 s[0:1], vcc
	s_cbranch_execz .LBB111_72
; %bb.71:                               ;   in Loop: Header=BB111_35 Depth=1
	v_mul_lo_u32 v10, v29, s56
	v_mul_lo_u32 v32, v28, s57
	v_mad_u64_u32 v[30:31], s[4:5], v28, s56, 0
	v_add3_u32 v31, v31, v32, v10
	v_lshlrev_b64 v[30:31], 1, v[30:31]
	v_mov_b32_e32 v10, s87
	v_add_co_u32_e64 v30, s[6:7], s79, v30
	v_addc_co_u32_e64 v31, s[6:7], v10, v31, s[6:7]
	global_load_ushort v10, v[30:31], off
.LBB111_72:                             ;   in Loop: Header=BB111_35 Depth=1
	s_or_b64 exec, exec, s[0:1]
	s_and_saveexec_b64 s[0:1], vcc
	s_cbranch_execz .LBB111_79
; %bb.73:                               ;   in Loop: Header=BB111_35 Depth=1
	s_and_b32 s4, s78, 0xfe
	s_mov_b64 s[10:11], 0
	s_branch .LBB111_75
.LBB111_74:                             ;   in Loop: Header=BB111_75 Depth=2
	s_or_b64 exec, exec, s[12:13]
	s_waitcnt vmcnt(0)
	v_add_u32_sdwa v10, sext(v10), s81 dst_sel:DWORD dst_unused:UNUSED_PAD src0_sel:WORD_0 src1_sel:DWORD
	s_and_b64 s[6:7], exec, vcc
	v_and_b32_e32 v31, s60, v10
	v_bfe_u32 v10, v10, s4, 2
	s_or_b64 s[10:11], s[6:7], s[10:11]
	v_cmp_eq_u32_e32 vcc, s61, v31
	v_cmp_eq_u32_e64 s[6:7], 0, v10
	s_and_b64 s[6:7], vcc, s[6:7]
	v_cndmask_b32_e64 v31, 0, 1, s[6:7]
	v_cmp_ne_u32_e64 s[6:7], 0, v31
	s_bcnt1_i32_b64 s5, s[6:7]
	v_add_co_u32_e64 v2, s[6:7], s5, v2
	v_addc_co_u32_e64 v3, s[6:7], 0, v3, s[6:7]
	v_cmp_eq_u32_e64 s[6:7], 1, v10
	s_and_b64 s[6:7], vcc, s[6:7]
	v_cndmask_b32_e64 v31, 0, 1, s[6:7]
	v_cmp_ne_u32_e64 s[6:7], 0, v31
	s_bcnt1_i32_b64 s5, s[6:7]
	v_add_co_u32_e64 v4, s[6:7], s5, v4
	v_addc_co_u32_e64 v5, s[6:7], 0, v5, s[6:7]
	;; [unrolled: 7-line block ×3, first 2 shown]
	v_cmp_eq_u32_e64 s[6:7], 3, v10
	s_and_b64 s[6:7], vcc, s[6:7]
	v_cndmask_b32_e64 v10, 0, 1, s[6:7]
	v_cmp_ne_u32_e32 vcc, 0, v10
	s_bcnt1_i32_b64 s5, vcc
	v_add_co_u32_e32 v8, vcc, s5, v8
	v_addc_co_u32_e32 v9, vcc, 0, v9, vcc
	v_mov_b32_e32 v10, v30
	s_andn2_b64 exec, exec, s[10:11]
	s_cbranch_execz .LBB111_78
.LBB111_75:                             ;   Parent Loop BB111_35 Depth=1
                                        ; =>  This Inner Loop Header: Depth=2
	v_mov_b32_e32 v30, s77
	v_add_co_u32_e32 v28, vcc, s3, v28
	v_addc_co_u32_e32 v29, vcc, v29, v30, vcc
	v_cmp_gt_u64_e64 s[6:7], s[52:53], v[28:29]
	v_cmp_le_u64_e32 vcc, s[52:53], v[28:29]
	v_mov_b32_e32 v30, 0
	s_and_saveexec_b64 s[12:13], s[6:7]
	s_cbranch_execz .LBB111_74
; %bb.76:                               ;   in Loop: Header=BB111_75 Depth=2
	v_mul_lo_u32 v32, v29, s56
	v_mul_lo_u32 v33, v28, s57
	v_mad_u64_u32 v[30:31], s[6:7], v28, s56, 0
	v_add3_u32 v31, v31, v33, v32
	v_lshlrev_b64 v[30:31], 1, v[30:31]
	v_mov_b32_e32 v32, s87
	v_add_co_u32_e64 v30, s[6:7], s79, v30
	v_addc_co_u32_e64 v31, s[6:7], v32, v31, s[6:7]
	global_load_ushort v30, v[30:31], off
	s_branch .LBB111_74
.LBB111_77:                             ;   in Loop: Header=BB111_35 Depth=1
                                        ; implicit-def: $vgpr8_vgpr9
                                        ; implicit-def: $vgpr4_vgpr5
	s_cbranch_execnz .LBB111_80
	s_branch .LBB111_89
.LBB111_78:                             ;   in Loop: Header=BB111_35 Depth=1
	s_or_b64 exec, exec, s[10:11]
.LBB111_79:                             ;   in Loop: Header=BB111_35 Depth=1
	s_or_b64 exec, exec, s[0:1]
	s_branch .LBB111_89
.LBB111_80:                             ;   in Loop: Header=BB111_35 Depth=1
	global_load_ushort v8, v11, s[90:91]
	s_waitcnt vmcnt(0)
	v_readfirstlane_b32 s0, v8
	s_and_b32 s0, 0xffff, s0
	s_lshl_b32 s3, s0, 2
	v_cvt_f32_u32_e32 v2, s3
	s_sub_i32 s4, 0, s3
	s_mov_b64 s[0:1], 0
	v_and_b32_e32 v30, 0xffff, v8
	v_rcp_iflag_f32_e32 v6, v2
	v_pk_mov_b32 v[2:3], 0, 0
	v_pk_mov_b32 v[4:5], v[2:3], v[2:3] op_sel:[0,1]
	v_mul_f32_e32 v6, 0x4f7ffffe, v6
	v_cvt_u32_f32_e32 v9, v6
	v_pk_mov_b32 v[6:7], v[2:3], v[2:3] op_sel:[0,1]
	v_readfirstlane_b32 s5, v9
	s_mul_i32 s4, s4, s5
	s_mul_hi_u32 s4, s5, s4
	s_add_i32 s5, s5, s4
	s_mul_hi_u32 s4, s2, s5
	s_mul_i32 s4, s4, s3
	s_sub_i32 s4, s2, s4
	s_sub_i32 s5, s4, s3
	s_cmp_ge_u32 s4, s3
	s_cselect_b32 s4, s5, s4
	s_sub_i32 s5, s4, s3
	s_cmp_ge_u32 s4, s3
	s_cselect_b32 s4, s5, s4
	s_sub_i32 s76, s2, s4
	v_cmp_gt_u32_e32 vcc, s76, v16
	v_pk_mov_b32 v[8:9], v[2:3], v[2:3] op_sel:[0,1]
	s_and_saveexec_b64 s[26:27], vcc
	s_cbranch_execz .LBB111_84
; %bb.81:                               ;   in Loop: Header=BB111_35 Depth=1
	s_mov_b32 s87, s85
	s_mov_b64 s[84:85], s[88:89]
	s_mov_b64 s[88:89], s[70:71]
	;; [unrolled: 1-line block ×4, first 2 shown]
	s_mov_b32 s9, s69
	s_mov_b64 s[90:91], s[50:51]
	s_mov_b32 s8, s78
	s_and_b32 s4, s78, 0xfe
	v_lshlrev_b32_e32 v10, 3, v30
	v_mov_b32_e32 v31, v45
	s_mov_b64 s[68:69], 0
	s_mov_b64 s[78:79], 0
	;; [unrolled: 1-line block ×4, first 2 shown]
	v_pk_mov_b32 v[28:29], v[16:17], v[16:17] op_sel:[0,1]
.LBB111_82:                             ;   Parent Loop BB111_35 Depth=1
                                        ; =>  This Inner Loop Header: Depth=2
	ds_read_b64 v[2:3], v31
	v_add_co_u32_e32 v28, vcc, s3, v28
	v_addc_co_u32_e32 v29, vcc, 0, v29, vcc
	s_waitcnt lgkmcnt(0)
	v_add_u32_sdwa v4, sext(v2), s81 dst_sel:DWORD dst_unused:UNUSED_PAD src0_sel:WORD_0 src1_sel:DWORD
	v_add_u32_sdwa v2, sext(v2), s81 dst_sel:DWORD dst_unused:UNUSED_PAD src0_sel:WORD_1 src1_sel:DWORD
	v_and_b32_e32 v6, s60, v4
	v_bfe_u32 v4, v4, s4, 2
	v_add_u32_sdwa v5, sext(v3), s81 dst_sel:DWORD dst_unused:UNUSED_PAD src0_sel:WORD_0 src1_sel:DWORD
	v_and_b32_e32 v7, s60, v2
	v_bfe_u32 v2, v2, s4, 2
	v_cmp_eq_u32_e64 s[16:17], s61, v6
	v_cmp_eq_u32_e64 s[6:7], 0, v4
	v_add_u32_sdwa v3, sext(v3), s81 dst_sel:DWORD dst_unused:UNUSED_PAD src0_sel:WORD_1 src1_sel:DWORD
	v_and_b32_e32 v8, s60, v5
	v_bfe_u32 v5, v5, s4, 2
	v_cmp_eq_u32_e64 s[14:15], s61, v7
	v_cmp_eq_u32_e64 s[28:29], 0, v2
	s_and_b64 s[6:7], s[16:17], s[6:7]
	v_and_b32_e32 v9, s60, v3
	v_bfe_u32 v3, v3, s4, 2
	v_cmp_eq_u32_e64 s[12:13], s61, v8
	v_cmp_eq_u32_e64 s[30:31], 0, v5
	;; [unrolled: 1-line block ×5, first 2 shown]
	v_cndmask_b32_e64 v2, 0, 1, s[6:7]
	s_and_b64 s[6:7], s[14:15], s[28:29]
	v_cmp_eq_u32_e64 s[10:11], s61, v9
	v_cmp_eq_u32_e64 s[34:35], 0, v3
	;; [unrolled: 1-line block ×5, first 2 shown]
	v_cndmask_b32_e64 v3, 0, 1, s[6:7]
	s_and_b64 s[6:7], s[12:13], s[30:31]
	v_cmp_eq_u32_e64 s[36:37], 1, v4
	v_cmp_eq_u32_e64 s[44:45], 2, v4
	;; [unrolled: 1-line block ×3, first 2 shown]
	v_cndmask_b32_e64 v4, 0, 1, s[6:7]
	s_and_b64 s[6:7], s[10:11], s[34:35]
	v_cmp_eq_u32_e64 s[40:41], 1, v5
	v_cmp_eq_u32_e64 s[48:49], 2, v5
	;; [unrolled: 1-line block ×3, first 2 shown]
	v_cndmask_b32_e64 v5, 0, 1, s[6:7]
	v_cmp_ne_u32_e64 s[6:7], 0, v2
	v_cmp_ne_u32_e64 s[28:29], 0, v3
	v_cmp_ne_u32_e64 s[30:31], 0, v4
	v_cmp_ne_u32_e64 s[34:35], 0, v5
	s_bcnt1_i32_b64 s5, s[6:7]
	s_bcnt1_i32_b64 s6, s[28:29]
	s_bcnt1_i32_b64 s7, s[30:31]
	s_bcnt1_i32_b64 s28, s[34:35]
	s_add_u32 s5, s5, s94
	s_addc_u32 s29, 0, s95
	s_add_u32 s5, s5, s6
	s_addc_u32 s6, s29, 0
	s_add_u32 s5, s5, s7
	s_addc_u32 s6, s6, 0
	s_add_u32 s94, s5, s28
	s_addc_u32 s95, s6, 0
	s_and_b64 s[6:7], s[16:17], s[36:37]
	v_cndmask_b32_e64 v4, 0, 1, s[6:7]
	s_and_b64 s[6:7], s[14:15], s[38:39]
	v_cndmask_b32_e64 v5, 0, 1, s[6:7]
	s_and_b64 s[6:7], s[12:13], s[40:41]
	v_cndmask_b32_e64 v6, 0, 1, s[6:7]
	s_and_b64 s[6:7], s[10:11], s[42:43]
	v_cndmask_b32_e64 v7, 0, 1, s[6:7]
	v_cmp_ne_u32_e64 s[6:7], 0, v4
	v_cmp_ne_u32_e64 s[28:29], 0, v5
	v_cmp_ne_u32_e64 s[30:31], 0, v6
	v_cmp_ne_u32_e64 s[34:35], 0, v7
	s_bcnt1_i32_b64 s5, s[6:7]
	s_bcnt1_i32_b64 s6, s[28:29]
	s_bcnt1_i32_b64 s7, s[30:31]
	s_bcnt1_i32_b64 s28, s[34:35]
	s_add_u32 s5, s5, s82
	s_addc_u32 s29, 0, s83
	s_add_u32 s5, s5, s6
	s_addc_u32 s6, s29, 0
	s_add_u32 s5, s5, s7
	s_addc_u32 s6, s6, 0
	s_add_u32 s82, s5, s28
	s_addc_u32 s83, s6, 0
	s_and_b64 s[6:7], s[16:17], s[44:45]
	v_cndmask_b32_e64 v6, 0, 1, s[6:7]
	s_and_b64 s[6:7], s[14:15], s[46:47]
	v_cndmask_b32_e64 v7, 0, 1, s[6:7]
	s_and_b64 s[6:7], s[12:13], s[48:49]
	v_cndmask_b32_e64 v8, 0, 1, s[6:7]
	s_and_b64 s[6:7], s[10:11], s[50:51]
	;; [unrolled: 24-line block ×3, first 2 shown]
	v_cndmask_b32_e64 v33, 0, 1, s[6:7]
	v_cmp_ne_u32_e64 s[6:7], 0, v8
	v_cmp_ne_u32_e64 s[10:11], 0, v9
	v_cmp_ne_u32_e64 s[12:13], 0, v32
	v_cmp_ne_u32_e64 s[14:15], 0, v33
	s_bcnt1_i32_b64 s5, s[6:7]
	s_bcnt1_i32_b64 s6, s[10:11]
	;; [unrolled: 1-line block ×4, first 2 shown]
	s_add_u32 s5, s5, s68
	s_addc_u32 s11, 0, s69
	s_add_u32 s5, s5, s6
	s_addc_u32 s6, s11, 0
	;; [unrolled: 2-line block ×3, first 2 shown]
	s_add_u32 s68, s5, s10
	v_cmp_le_u64_e32 vcc, s[76:77], v[28:29]
	s_addc_u32 s69, s6, 0
	v_add_u32_e32 v31, v31, v10
	v_pk_mov_b32 v[2:3], s[94:95], s[94:95] op_sel:[0,1]
	v_pk_mov_b32 v[4:5], s[82:83], s[82:83] op_sel:[0,1]
	;; [unrolled: 1-line block ×3, first 2 shown]
	s_or_b64 s[0:1], vcc, s[0:1]
	v_pk_mov_b32 v[8:9], s[68:69], s[68:69] op_sel:[0,1]
	s_andn2_b64 exec, exec, s[0:1]
	s_cbranch_execnz .LBB111_82
; %bb.83:                               ;   in Loop: Header=BB111_35 Depth=1
	s_or_b64 exec, exec, s[0:1]
	v_readlane_b32 s46, v51, 36
	v_readlane_b32 s48, v51, 38
	s_mov_b64 s[50:51], s[90:91]
	v_readlane_b32 s90, v51, 40
	v_readlane_b32 s58, v51, 44
	;; [unrolled: 1-line block ×4, first 2 shown]
	s_mov_b32 s69, s9
	v_readlane_b32 s91, v51, 41
	s_mov_b32 s78, s8
	s_mov_b64 s[8:9], s[62:63]
	s_mov_b64 s[62:63], s[70:71]
	;; [unrolled: 1-line block ×4, first 2 shown]
	v_readlane_b32 s79, v51, 42
	v_readlane_b32 s84, v51, 43
	;; [unrolled: 1-line block ×3, first 2 shown]
	s_mov_b32 s85, s87
	v_readlane_b32 s87, v51, 46
.LBB111_84:                             ;   in Loop: Header=BB111_35 Depth=1
	s_or_b64 exec, exec, s[26:27]
	v_add_u32_e32 v10, s76, v0
	v_cmp_gt_u32_e32 vcc, s2, v10
	s_and_saveexec_b64 s[0:1], vcc
	s_cbranch_execz .LBB111_88
; %bb.85:                               ;   in Loop: Header=BB111_35 Depth=1
	s_and_b32 s76, s2, 0x7fffffff
	s_and_b32 s4, s78, 0xfe
	v_lshlrev_b32_e32 v31, 1, v10
	v_lshlrev_b32_e32 v32, 1, v30
	s_mov_b64 s[2:3], 0
	v_pk_mov_b32 v[28:29], v[10:11], v[10:11] op_sel:[0,1]
.LBB111_86:                             ;   Parent Loop BB111_35 Depth=1
                                        ; =>  This Inner Loop Header: Depth=2
	ds_read_i16 v10, v31
	v_add_co_u32_e32 v28, vcc, v28, v30
	v_addc_co_u32_e32 v29, vcc, 0, v29, vcc
	s_waitcnt lgkmcnt(0)
	v_add_u32_e32 v10, 0x8000, v10
	v_and_b32_e32 v33, s60, v10
	v_bfe_u32 v10, v10, s4, 2
	v_cmp_eq_u32_e64 s[6:7], s61, v33
	v_cmp_eq_u32_e64 s[10:11], 0, v10
	v_cmp_eq_u32_e64 s[12:13], 1, v10
	s_and_b64 s[10:11], s[6:7], s[10:11]
	v_cmp_eq_u32_e64 s[14:15], 2, v10
	v_cmp_eq_u32_e64 s[16:17], 3, v10
	v_cndmask_b32_e64 v10, 0, 1, s[10:11]
	s_and_b64 s[10:11], s[6:7], s[12:13]
	v_cndmask_b32_e64 v33, 0, 1, s[10:11]
	s_and_b64 s[10:11], s[6:7], s[14:15]
	s_and_b64 s[6:7], s[6:7], s[16:17]
	v_cndmask_b32_e64 v34, 0, 1, s[10:11]
	v_cndmask_b32_e64 v35, 0, 1, s[6:7]
	v_cmp_ne_u32_e64 s[6:7], 0, v10
	v_cmp_ne_u32_e64 s[10:11], 0, v33
	;; [unrolled: 1-line block ×4, first 2 shown]
	v_cmp_le_u64_e32 vcc, s[76:77], v[28:29]
	s_bcnt1_i32_b64 s5, s[6:7]
	s_bcnt1_i32_b64 s6, s[10:11]
	;; [unrolled: 1-line block ×4, first 2 shown]
	s_or_b64 s[2:3], vcc, s[2:3]
	v_add_co_u32_e32 v2, vcc, s5, v2
	v_addc_co_u32_e32 v3, vcc, 0, v3, vcc
	v_add_co_u32_e32 v4, vcc, s6, v4
	v_addc_co_u32_e32 v5, vcc, 0, v5, vcc
	;; [unrolled: 2-line block ×3, first 2 shown]
	v_add_co_u32_e32 v8, vcc, s10, v8
	v_add_u32_e32 v31, v31, v32
	v_addc_co_u32_e32 v9, vcc, 0, v9, vcc
	s_andn2_b64 exec, exec, s[2:3]
	s_cbranch_execnz .LBB111_86
; %bb.87:                               ;   in Loop: Header=BB111_35 Depth=1
	s_or_b64 exec, exec, s[2:3]
.LBB111_88:                             ;   in Loop: Header=BB111_35 Depth=1
	s_or_b64 exec, exec, s[0:1]
.LBB111_89:                             ;   in Loop: Header=BB111_35 Depth=1
	s_lshl_b32 s2, s85, 6
	s_and_saveexec_b64 s[0:1], s[46:47]
	s_cbranch_execz .LBB111_91
; %bb.90:                               ;   in Loop: Header=BB111_35 Depth=1
	s_waitcnt vmcnt(0)
	v_or_b32_e32 v10, s2, v43
	v_lshlrev_b32_e32 v10, 3, v10
	ds_write_b128 v10, v[2:5] offset:3072
	ds_write_b128 v10, v[6:9] offset:3088
.LBB111_91:                             ;   in Loop: Header=BB111_35 Depth=1
	s_or_b64 exec, exec, s[0:1]
	s_waitcnt lgkmcnt(0)
	s_barrier
	s_and_saveexec_b64 s[0:1], s[48:49]
	s_cbranch_execz .LBB111_103
; %bb.92:                               ;   in Loop: Header=BB111_35 Depth=1
	v_readlane_b32 s4, v51, 20
	v_readlane_b32 s5, v51, 21
	s_andn2_b64 vcc, exec, s[4:5]
	v_pk_mov_b32 v[2:3], 0, 0
	s_cbranch_vccnz .LBB111_102
; %bb.93:                               ;   in Loop: Header=BB111_35 Depth=1
	v_readlane_b32 s4, v51, 25
	v_readlane_b32 s5, v51, 26
	s_andn2_b64 vcc, exec, s[4:5]
	s_cbranch_vccnz .LBB111_98
; %bb.94:                               ;   in Loop: Header=BB111_35 Depth=1
	v_lshl_add_u32 v4, s85, 9, v46
	s_mov_b32 s3, 0
	v_pk_mov_b32 v[2:3], 0, 0
.LBB111_95:                             ;   Parent Loop BB111_35 Depth=1
                                        ; =>  This Inner Loop Header: Depth=2
	s_waitcnt vmcnt(0)
	ds_read2_b64 v[6:9], v4 offset1:4
	ds_read2_b64 v[28:31], v4 offset0:8 offset1:12
	ds_read2_b64 v[32:35], v4 offset0:16 offset1:20
	;; [unrolled: 1-line block ×3, first 2 shown]
	s_add_i32 s3, s3, 8
	s_waitcnt lgkmcnt(3)
	v_add_co_u32_e32 v2, vcc, v6, v2
	v_addc_co_u32_e32 v3, vcc, v7, v3, vcc
	v_add_co_u32_e32 v2, vcc, v8, v2
	v_addc_co_u32_e32 v3, vcc, v9, v3, vcc
	s_waitcnt lgkmcnt(2)
	v_add_co_u32_e32 v2, vcc, v28, v2
	v_addc_co_u32_e32 v3, vcc, v29, v3, vcc
	v_add_co_u32_e32 v2, vcc, v30, v2
	v_addc_co_u32_e32 v3, vcc, v31, v3, vcc
	;; [unrolled: 5-line block ×3, first 2 shown]
	s_waitcnt lgkmcnt(0)
	v_add_co_u32_e32 v2, vcc, v36, v2
	v_addc_co_u32_e32 v3, vcc, v37, v3, vcc
	v_add_co_u32_e32 v2, vcc, v38, v2
	v_add_u32_e32 v4, 0x100, v4
	s_cmp_eq_u32 s84, s3
	v_addc_co_u32_e32 v3, vcc, v39, v3, vcc
	s_cbranch_scc0 .LBB111_95
; %bb.96:                               ;   in Loop: Header=BB111_35 Depth=1
	s_mov_b32 s3, s84
	s_branch .LBB111_99
.LBB111_97:                             ;   in Loop: Header=BB111_35 Depth=1
                                        ; implicit-def: $vgpr2_vgpr3
	s_branch .LBB111_65
.LBB111_98:                             ;   in Loop: Header=BB111_35 Depth=1
	s_mov_b32 s3, 0
	v_pk_mov_b32 v[2:3], 0, 0
.LBB111_99:                             ;   in Loop: Header=BB111_35 Depth=1
	v_readlane_b32 s4, v51, 28
	v_readlane_b32 s5, v51, 29
	s_andn2_b64 vcc, exec, s[4:5]
	s_cbranch_vccnz .LBB111_102
; %bb.100:                              ;   in Loop: Header=BB111_35 Depth=1
	s_lshl_b32 s4, s85, 9
	s_lshl_b32 s3, s3, 5
	s_add_i32 s4, s4, s3
	v_add_u32_e32 v4, s4, v46
	v_readlane_b32 s3, v51, 27
.LBB111_101:                            ;   Parent Loop BB111_35 Depth=1
                                        ; =>  This Inner Loop Header: Depth=2
	s_waitcnt vmcnt(0)
	ds_read_b64 v[6:7], v4
	s_add_i32 s3, s3, -1
	v_add_u32_e32 v4, 32, v4
	s_cmp_lg_u32 s3, 0
	s_waitcnt lgkmcnt(0)
	v_add_co_u32_e32 v2, vcc, v6, v2
	v_addc_co_u32_e32 v3, vcc, v7, v3, vcc
	s_cbranch_scc1 .LBB111_101
.LBB111_102:                            ;   in Loop: Header=BB111_35 Depth=1
	v_add_lshl_u32 v4, s2, v40, 3
	ds_write_b64 v4, v[2:3] offset:3072
.LBB111_103:                            ;   in Loop: Header=BB111_35 Depth=1
	s_or_b64 exec, exec, s[0:1]
	s_lshl_b32 s0, s2, 3
	s_waitcnt vmcnt(0)
	v_mov_b32_e32 v6, s0
	s_waitcnt lgkmcnt(0)
	s_barrier
	ds_read_b128 v[2:5], v6 offset:3072
	ds_read_b128 v[6:9], v6 offset:3088
	s_and_b32 s38, s78, 0xfe
	s_lshl_b32 s44, 3, s38
	s_not_b32 s39, s44
	s_waitcnt lgkmcnt(1)
	v_readfirstlane_b32 s3, v3
	v_readfirstlane_b32 s2, v2
	s_cmp_eq_u64 s[2:3], 1
	s_cselect_b64 s[0:1], -1, 0
	s_cmp_eq_u64 s[50:51], 1
	s_cselect_b64 s[4:5], -1, 0
	s_and_b64 s[18:19], s[0:1], s[4:5]
	v_readfirstlane_b32 s28, v4
	v_readfirstlane_b32 s29, v5
	s_waitcnt lgkmcnt(0)
	v_readfirstlane_b32 s16, v6
	v_readfirstlane_b32 s17, v7
	;; [unrolled: 1-line block ×4, first 2 shown]
	s_mov_b64 s[14:15], -1
	s_and_b64 vcc, exec, s[18:19]
	s_cbranch_vccz .LBB111_118
; %bb.104:                              ;   in Loop: Header=BB111_35 Depth=1
	ds_read_b64 v[2:3], v11 offset:5120
	s_waitcnt lgkmcnt(0)
	s_barrier
	v_readfirstlane_b32 s0, v2
	v_readfirstlane_b32 s1, v3
	s_mov_b64 s[6:7], exec
	v_readlane_b32 s4, v51, 16
	v_readlane_b32 s5, v51, 17
	s_and_b64 s[4:5], s[6:7], s[4:5]
	s_mov_b64 exec, s[4:5]
	s_cbranch_execz .LBB111_106
; %bb.105:                              ;   in Loop: Header=BB111_35 Depth=1
	ds_write_b16 v42, v1
.LBB111_106:                            ;   in Loop: Header=BB111_35 Depth=1
	s_or_b64 exec, exec, s[6:7]
	s_and_b32 s61, s61, s39
	s_or_b32 s60, s60, s44
	s_cmp_eq_u64 s[0:1], 0
	s_waitcnt lgkmcnt(0)
	s_barrier
	s_cbranch_scc1 .LBB111_119
; %bb.107:                              ;   in Loop: Header=BB111_35 Depth=1
	v_readlane_b32 s4, v51, 22
	s_add_u32 s4, s4, s0
	v_readlane_b32 s5, v51, 24
	s_addc_u32 s7, s5, s1
	s_mov_b32 s6, s77
	s_cmp_lg_u64 s[6:7], 0
	s_cbranch_scc0 .LBB111_164
; %bb.108:                              ;   in Loop: Header=BB111_35 Depth=1
	v_cvt_f32_u32_e32 v2, s33
	s_sub_u32 s5, 0, s33
	s_subb_u32 s6, 0, 0
	v_mac_f32_e32 v2, 0, v47
	v_rcp_f32_e32 v2, v2
	v_mul_f32_e32 v2, 0x5f7ffffc, v2
	v_mul_f32_e32 v3, 0x2f800000, v2
	v_trunc_f32_e32 v3, v3
	v_mac_f32_e32 v2, 0xcf800000, v3
	v_cvt_u32_f32_e32 v3, v3
	v_cvt_u32_f32_e32 v2, v2
	v_readfirstlane_b32 s12, v3
	v_readfirstlane_b32 s13, v2
	s_mul_i32 s20, s5, s12
	s_mul_hi_u32 s22, s5, s13
	s_mul_i32 s21, s6, s13
	s_add_i32 s20, s22, s20
	s_mul_i32 s23, s5, s13
	s_add_i32 s20, s20, s21
	s_mul_hi_u32 s22, s13, s23
	s_mul_hi_u32 s21, s13, s20
	s_mul_i32 s13, s13, s20
	s_add_u32 s13, s22, s13
	s_addc_u32 s21, 0, s21
	s_mul_hi_u32 s24, s12, s23
	s_mul_i32 s23, s12, s23
	s_add_u32 s13, s13, s23
	s_mul_hi_u32 s22, s12, s20
	s_addc_u32 s13, s21, s24
	s_addc_u32 s21, s22, 0
	s_mul_i32 s20, s12, s20
	s_add_u32 s13, s13, s20
	s_addc_u32 s20, 0, s21
	v_add_co_u32_e32 v2, vcc, s13, v2
	s_cmp_lg_u64 vcc, 0
	s_addc_u32 s12, s12, s20
	v_readfirstlane_b32 s20, v2
	s_mul_i32 s13, s5, s12
	s_mul_hi_u32 s21, s5, s20
	s_add_i32 s13, s21, s13
	s_mul_i32 s6, s6, s20
	s_add_i32 s13, s13, s6
	s_mul_i32 s5, s5, s20
	s_mul_hi_u32 s21, s12, s5
	s_mul_i32 s22, s12, s5
	s_mul_i32 s24, s20, s13
	s_mul_hi_u32 s5, s20, s5
	s_mul_hi_u32 s23, s20, s13
	s_add_u32 s5, s5, s24
	s_addc_u32 s20, 0, s23
	s_add_u32 s5, s5, s22
	s_mul_hi_u32 s6, s12, s13
	s_addc_u32 s5, s20, s21
	s_addc_u32 s6, s6, 0
	s_mul_i32 s13, s12, s13
	s_add_u32 s5, s5, s13
	s_addc_u32 s6, 0, s6
	v_add_co_u32_e32 v2, vcc, s5, v2
	s_cmp_lg_u64 vcc, 0
	s_addc_u32 s5, s12, s6
	v_readfirstlane_b32 s13, v2
	s_mul_i32 s12, s4, s5
	s_mul_hi_u32 s20, s4, s13
	s_mul_hi_u32 s6, s4, s5
	s_add_u32 s12, s20, s12
	s_addc_u32 s6, 0, s6
	s_mul_hi_u32 s21, s7, s13
	s_mul_i32 s13, s7, s13
	s_add_u32 s12, s12, s13
	s_mul_hi_u32 s20, s7, s5
	s_addc_u32 s6, s6, s21
	s_addc_u32 s12, s20, 0
	s_mul_i32 s5, s7, s5
	s_add_u32 s5, s6, s5
	s_addc_u32 s6, 0, s12
	s_mul_hi_u32 s12, s33, s5
	s_mul_i32 s5, s33, s5
	s_mul_i32 s6, s33, s6
	v_mov_b32_e32 v2, s5
	s_add_i32 s12, s12, s6
	v_sub_co_u32_e32 v2, vcc, s4, v2
	s_cmp_lg_u64 vcc, 0
	s_subb_u32 s5, s7, s12
	v_subrev_co_u32_e32 v3, vcc, s33, v2
	s_cmp_lg_u64 vcc, 0
	s_subb_u32 s6, s5, 0
	v_subrev_co_u32_e32 v4, vcc, s33, v3
	s_cmp_lg_u64 vcc, 0
	s_subb_u32 s12, s6, 0
	v_cmp_le_u32_e32 vcc, s33, v3
	s_cmp_eq_u32 s6, 0
	v_cndmask_b32_e64 v5, 0, -1, vcc
	s_cselect_b64 vcc, -1, 0
	v_cndmask_b32_e32 v5, -1, v5, vcc
	v_mov_b32_e32 v6, s6
	v_mov_b32_e32 v7, s12
	v_cmp_ne_u32_e32 vcc, 0, v5
	v_cndmask_b32_e32 v5, v6, v7, vcc
	v_cndmask_b32_e32 v4, v3, v4, vcc
	v_cmp_le_u32_e32 vcc, s33, v2
	s_cmp_eq_u32 s5, 0
	v_cndmask_b32_e64 v3, 0, -1, vcc
	s_cselect_b64 vcc, -1, 0
	v_cndmask_b32_e32 v3, -1, v3, vcc
	v_mov_b32_e32 v6, s5
	v_cmp_ne_u32_e32 vcc, 0, v3
	v_cndmask_b32_e32 v3, v6, v5, vcc
	v_cndmask_b32_e32 v2, v2, v4, vcc
	s_cbranch_execnz .LBB111_110
.LBB111_109:                            ;   in Loop: Header=BB111_35 Depth=1
	v_cvt_f32_u32_e32 v2, s33
	s_sub_i32 s5, 0, s33
	v_rcp_iflag_f32_e32 v2, v2
	v_mul_f32_e32 v2, 0x4f7ffffe, v2
	v_cvt_u32_f32_e32 v2, v2
	v_mul_lo_u32 v3, s5, v2
	v_mul_hi_u32 v3, v2, v3
	v_add_u32_e32 v2, v2, v3
	v_mul_hi_u32 v2, s4, v2
	v_mul_lo_u32 v2, v2, s33
	v_sub_u32_e32 v2, s4, v2
	v_subrev_u32_e32 v3, s33, v2
	v_cmp_le_u32_e32 vcc, s33, v2
	v_cndmask_b32_e32 v2, v2, v3, vcc
	v_subrev_u32_e32 v3, s33, v2
	v_cmp_le_u32_e32 vcc, s33, v2
	v_cndmask_b32_e32 v10, v2, v3, vcc
	v_pk_mov_b32 v[2:3], v[10:11], v[10:11] op_sel:[0,1]
.LBB111_110:                            ;   in Loop: Header=BB111_35 Depth=1
	v_mov_b32_e32 v4, s7
	v_sub_co_u32_e32 v2, vcc, s4, v2
	v_subb_co_u32_e32 v3, vcc, v4, v3, vcc
	v_cmp_gt_u64_e32 vcc, v[2:3], v[0:1]
	s_mov_b64 s[6:7], 0
                                        ; implicit-def: $vgpr49
	s_and_saveexec_b64 s[12:13], vcc
	s_cbranch_execz .LBB111_121
; %bb.111:                              ;   in Loop: Header=BB111_35 Depth=1
	s_mov_b64 s[20:21], 0
	v_mov_b32_e32 v6, v41
	v_pk_mov_b32 v[4:5], v[0:1], v[0:1] op_sel:[0,1]
                                        ; implicit-def: $sgpr22_sgpr23
	s_branch .LBB111_113
.LBB111_112:                            ;   in Loop: Header=BB111_113 Depth=2
	s_or_b64 exec, exec, s[6:7]
	s_waitcnt lgkmcnt(0)
	s_barrier
	ds_read_b32 v7, v11 offset:3072
	v_mov_b32_e32 v8, s86
	v_add_co_u32_e64 v4, s[6:7], s33, v4
	v_addc_co_u32_e64 v5, s[6:7], v5, v8, s[6:7]
	s_waitcnt lgkmcnt(0)
	v_cmp_ne_u16_e32 vcc, 0, v7
	v_cmp_ge_u64_e64 s[6:7], v[4:5], v[2:3]
	s_or_b64 s[4:5], s[6:7], vcc
	s_and_b64 s[4:5], exec, s[4:5]
	s_or_b64 s[20:21], s[4:5], s[20:21]
	s_andn2_b64 s[4:5], s[22:23], exec
	s_and_b64 s[6:7], vcc, exec
	v_add_u32_e32 v6, s80, v6
	s_or_b64 s[22:23], s[4:5], s[6:7]
	s_barrier
	s_andn2_b64 exec, exec, s[20:21]
	s_cbranch_execz .LBB111_120
.LBB111_113:                            ;   Parent Loop BB111_35 Depth=1
                                        ; =>  This Inner Loop Header: Depth=2
	v_cmp_gt_u64_e32 vcc, s[0:1], v[4:5]
	v_mov_b32_e32 v7, 0
	s_and_saveexec_b64 s[6:7], vcc
	s_cbranch_execz .LBB111_115
; %bb.114:                              ;   in Loop: Header=BB111_113 Depth=2
	ds_read_u16 v7, v6
.LBB111_115:                            ;   in Loop: Header=BB111_113 Depth=2
	s_or_b64 exec, exec, s[6:7]
	s_and_saveexec_b64 s[6:7], vcc
	s_cbranch_execz .LBB111_112
; %bb.116:                              ;   in Loop: Header=BB111_113 Depth=2
	s_waitcnt lgkmcnt(0)
	v_add_u32_sdwa v8, sext(v7), s81 dst_sel:DWORD dst_unused:UNUSED_PAD src0_sel:WORD_0 src1_sel:DWORD
	v_and_b32_e32 v8, s60, v8
	v_cmp_eq_u32_e32 vcc, s61, v8
	s_and_b64 exec, exec, vcc
	s_cbranch_execz .LBB111_112
; %bb.117:                              ;   in Loop: Header=BB111_113 Depth=2
	v_perm_b32 v7, v7, 1, v48
	ds_write_b32 v11, v7 offset:3072
	s_branch .LBB111_112
.LBB111_118:                            ;   in Loop: Header=BB111_35 Depth=1
	s_mov_b64 s[6:7], -1
                                        ; implicit-def: $sgpr0_sgpr1
                                        ; implicit-def: $sgpr20_sgpr21
                                        ; implicit-def: $sgpr12_sgpr13
	s_branch .LBB111_135
.LBB111_119:                            ;   in Loop: Header=BB111_35 Depth=1
	s_mov_b64 s[0:1], -1
	s_mov_b64 s[6:7], 0
                                        ; implicit-def: $sgpr12_sgpr13
                                        ; implicit-def: $vgpr49
	s_mov_b64 s[20:21], s[0:1]
	s_cbranch_execnz .LBB111_122
	s_branch .LBB111_135
.LBB111_120:                            ;   in Loop: Header=BB111_35 Depth=1
	s_or_b64 exec, exec, s[20:21]
	v_lshrrev_b32_e32 v49, 16, v7
	s_and_b64 s[6:7], s[22:23], exec
.LBB111_121:                            ;   in Loop: Header=BB111_35 Depth=1
	s_or_b64 exec, exec, s[12:13]
	s_mov_b64 s[12:13], -1
	s_mov_b64 s[0:1], 0
	s_mov_b64 s[20:21], s[0:1]
	s_branch .LBB111_135
.LBB111_122:                            ;   in Loop: Header=BB111_35 Depth=1
	s_mov_b32 s68, s77
	s_cmp_lg_u64 s[68:69], 0
	s_cbranch_scc0 .LBB111_168
; %bb.123:                              ;   in Loop: Header=BB111_35 Depth=1
	v_cvt_f32_u32_e32 v2, s33
	s_sub_u32 s0, 0, s33
	s_subb_u32 s1, 0, 0
	v_mac_f32_e32 v2, 0, v47
	v_rcp_f32_e32 v2, v2
	v_mul_f32_e32 v2, 0x5f7ffffc, v2
	v_mul_f32_e32 v3, 0x2f800000, v2
	v_trunc_f32_e32 v3, v3
	v_mac_f32_e32 v2, 0xcf800000, v3
	v_cvt_u32_f32_e32 v3, v3
	v_cvt_u32_f32_e32 v2, v2
	v_readfirstlane_b32 s4, v3
	v_readfirstlane_b32 s5, v2
	s_mul_i32 s6, s0, s4
	s_mul_hi_u32 s12, s0, s5
	s_mul_i32 s7, s1, s5
	s_add_i32 s6, s12, s6
	s_mul_i32 s13, s0, s5
	s_add_i32 s6, s6, s7
	s_mul_hi_u32 s12, s5, s13
	s_mul_hi_u32 s7, s5, s6
	s_mul_i32 s5, s5, s6
	s_add_u32 s5, s12, s5
	s_addc_u32 s7, 0, s7
	s_mul_hi_u32 s20, s4, s13
	s_mul_i32 s13, s4, s13
	s_add_u32 s5, s5, s13
	s_mul_hi_u32 s12, s4, s6
	s_addc_u32 s5, s7, s20
	s_addc_u32 s7, s12, 0
	s_mul_i32 s6, s4, s6
	s_add_u32 s5, s5, s6
	s_addc_u32 s6, 0, s7
	v_add_co_u32_e32 v2, vcc, s5, v2
	s_cmp_lg_u64 vcc, 0
	s_addc_u32 s4, s4, s6
	v_readfirstlane_b32 s6, v2
	s_mul_i32 s5, s0, s4
	s_mul_hi_u32 s7, s0, s6
	s_add_i32 s5, s7, s5
	s_mul_i32 s1, s1, s6
	s_add_i32 s5, s5, s1
	s_mul_i32 s0, s0, s6
	s_mul_hi_u32 s7, s4, s0
	s_mul_i32 s12, s4, s0
	s_mul_i32 s20, s6, s5
	s_mul_hi_u32 s0, s6, s0
	s_mul_hi_u32 s13, s6, s5
	s_add_u32 s0, s0, s20
	s_addc_u32 s6, 0, s13
	s_add_u32 s0, s0, s12
	s_mul_hi_u32 s1, s4, s5
	s_addc_u32 s0, s6, s7
	s_addc_u32 s1, s1, 0
	s_mul_i32 s5, s4, s5
	s_add_u32 s0, s0, s5
	s_addc_u32 s1, 0, s1
	v_add_co_u32_e32 v2, vcc, s0, v2
	s_cmp_lg_u64 vcc, 0
	s_addc_u32 s0, s4, s1
	v_readlane_b32 s12, v51, 23
	v_readfirstlane_b32 s5, v2
	s_mul_i32 s4, s12, s0
	s_mul_hi_u32 s6, s12, s5
	s_mul_hi_u32 s1, s12, s0
	s_add_u32 s4, s6, s4
	s_addc_u32 s1, 0, s1
	s_mul_hi_u32 s7, s69, s5
	s_mul_i32 s5, s69, s5
	s_add_u32 s4, s4, s5
	s_mul_hi_u32 s6, s69, s0
	s_addc_u32 s1, s1, s7
	s_addc_u32 s4, s6, 0
	s_mul_i32 s0, s69, s0
	s_add_u32 s0, s1, s0
	s_addc_u32 s1, 0, s4
	s_mul_hi_u32 s4, s33, s0
	s_mul_i32 s0, s33, s0
	s_mul_i32 s1, s33, s1
	v_mov_b32_e32 v2, s0
	s_add_i32 s4, s4, s1
	v_sub_co_u32_e32 v2, vcc, s12, v2
	s_cmp_lg_u64 vcc, 0
	s_subb_u32 s0, s69, s4
	v_subrev_co_u32_e32 v3, vcc, s33, v2
	s_cmp_lg_u64 vcc, 0
	s_subb_u32 s1, s0, 0
	v_subrev_co_u32_e32 v4, vcc, s33, v3
	s_cmp_lg_u64 vcc, 0
	s_subb_u32 s4, s1, 0
	v_cmp_le_u32_e32 vcc, s33, v3
	s_cmp_eq_u32 s1, 0
	v_cndmask_b32_e64 v5, 0, -1, vcc
	s_cselect_b64 vcc, -1, 0
	v_cndmask_b32_e32 v5, -1, v5, vcc
	v_mov_b32_e32 v6, s1
	v_mov_b32_e32 v7, s4
	v_cmp_ne_u32_e32 vcc, 0, v5
	v_cndmask_b32_e32 v5, v6, v7, vcc
	v_cndmask_b32_e32 v4, v3, v4, vcc
	v_cmp_le_u32_e32 vcc, s33, v2
	s_cmp_eq_u32 s0, 0
	v_cndmask_b32_e64 v3, 0, -1, vcc
	s_cselect_b64 vcc, -1, 0
	v_cndmask_b32_e32 v3, -1, v3, vcc
	v_mov_b32_e32 v6, s0
	v_cmp_ne_u32_e32 vcc, 0, v3
	v_cndmask_b32_e32 v3, v6, v5, vcc
	v_cndmask_b32_e32 v2, v2, v4, vcc
	s_cbranch_execnz .LBB111_125
.LBB111_124:                            ;   in Loop: Header=BB111_35 Depth=1
	v_cvt_f32_u32_e32 v2, s33
	s_sub_i32 s0, 0, s33
	v_rcp_iflag_f32_e32 v2, v2
	v_mul_f32_e32 v2, 0x4f7ffffe, v2
	v_cvt_u32_f32_e32 v2, v2
	v_mul_lo_u32 v3, s0, v2
	v_mul_hi_u32 v3, v2, v3
	v_add_u32_e32 v2, v2, v3
	v_readlane_b32 s0, v51, 23
	v_mul_hi_u32 v2, s0, v2
	v_mul_lo_u32 v2, v2, s33
	v_sub_u32_e32 v2, s0, v2
	v_subrev_u32_e32 v3, s33, v2
	v_cmp_le_u32_e32 vcc, s33, v2
	v_cndmask_b32_e32 v2, v2, v3, vcc
	v_subrev_u32_e32 v3, s33, v2
	v_cmp_le_u32_e32 vcc, s33, v2
	v_cndmask_b32_e32 v10, v2, v3, vcc
	v_pk_mov_b32 v[2:3], v[10:11], v[10:11] op_sel:[0,1]
.LBB111_125:                            ;   in Loop: Header=BB111_35 Depth=1
	v_readlane_b32 s0, v51, 23
	v_mov_b32_e32 v4, s69
	v_sub_co_u32_e32 v2, vcc, s0, v2
	v_subb_co_u32_e32 v3, vcc, v4, v3, vcc
	v_cmp_gt_u64_e32 vcc, v[2:3], v[0:1]
	s_mov_b64 s[6:7], 0
                                        ; implicit-def: $vgpr49
	s_and_saveexec_b64 s[0:1], vcc
	s_cbranch_execz .LBB111_134
; %bb.126:                              ;   in Loop: Header=BB111_35 Depth=1
	s_mov_b64 s[12:13], 0
	v_pk_mov_b32 v[4:5], v[12:13], v[12:13] op_sel:[0,1]
	v_pk_mov_b32 v[6:7], v[0:1], v[0:1] op_sel:[0,1]
                                        ; implicit-def: $sgpr20_sgpr21
	s_branch .LBB111_128
.LBB111_127:                            ;   in Loop: Header=BB111_128 Depth=2
	s_or_b64 exec, exec, s[6:7]
	s_waitcnt lgkmcnt(0)
	s_barrier
	s_waitcnt vmcnt(0)
	ds_read_b32 v8, v11 offset:3072
	v_mov_b32_e32 v9, s86
	v_add_co_u32_e64 v6, s[6:7], s33, v6
	v_addc_co_u32_e64 v7, s[6:7], v7, v9, s[6:7]
	s_waitcnt lgkmcnt(0)
	v_cmp_ne_u16_e32 vcc, 0, v8
	v_cmp_ge_u64_e64 s[6:7], v[6:7], v[2:3]
	s_or_b64 s[4:5], s[6:7], vcc
	v_mov_b32_e32 v9, s75
	v_add_co_u32_e64 v4, s[6:7], s74, v4
	s_and_b64 s[4:5], exec, s[4:5]
	v_addc_co_u32_e64 v5, s[6:7], v5, v9, s[6:7]
	s_or_b64 s[12:13], s[4:5], s[12:13]
	s_andn2_b64 s[4:5], s[20:21], exec
	s_and_b64 s[6:7], vcc, exec
	s_or_b64 s[20:21], s[4:5], s[6:7]
	s_barrier
	s_andn2_b64 exec, exec, s[12:13]
	s_cbranch_execz .LBB111_133
.LBB111_128:                            ;   Parent Loop BB111_35 Depth=1
                                        ; =>  This Inner Loop Header: Depth=2
	v_cmp_gt_u64_e32 vcc, s[52:53], v[6:7]
	v_mov_b32_e32 v8, 0
	s_and_saveexec_b64 s[6:7], vcc
	s_cbranch_execz .LBB111_130
; %bb.129:                              ;   in Loop: Header=BB111_128 Depth=2
	global_load_ushort v8, v[4:5], off
.LBB111_130:                            ;   in Loop: Header=BB111_128 Depth=2
	s_or_b64 exec, exec, s[6:7]
	s_and_saveexec_b64 s[6:7], vcc
	s_cbranch_execz .LBB111_127
; %bb.131:                              ;   in Loop: Header=BB111_128 Depth=2
	s_waitcnt vmcnt(0)
	v_add_u32_sdwa v9, sext(v8), s81 dst_sel:DWORD dst_unused:UNUSED_PAD src0_sel:WORD_0 src1_sel:DWORD
	v_and_b32_e32 v9, s60, v9
	v_cmp_eq_u32_e32 vcc, s61, v9
	s_and_b64 exec, exec, vcc
	s_cbranch_execz .LBB111_127
; %bb.132:                              ;   in Loop: Header=BB111_128 Depth=2
	v_perm_b32 v8, v8, 1, v48
	ds_write_b32 v11, v8 offset:3072
	s_branch .LBB111_127
.LBB111_133:                            ;   in Loop: Header=BB111_35 Depth=1
	s_or_b64 exec, exec, s[12:13]
	v_lshrrev_b32_e32 v49, 16, v8
	s_and_b64 s[6:7], s[20:21], exec
.LBB111_134:                            ;   in Loop: Header=BB111_35 Depth=1
	s_or_b64 exec, exec, s[0:1]
	s_mov_b64 s[20:21], -1
	s_mov_b64 s[0:1], 0
	s_mov_b64 s[12:13], 0
.LBB111_135:                            ;   in Loop: Header=BB111_35 Depth=1
	s_andn2_b64 s[4:5], s[54:55], exec
	s_and_b64 s[0:1], s[0:1], exec
	s_or_b64 s[54:55], s[4:5], s[0:1]
	s_andn2_b64 s[0:1], s[92:93], exec
	s_and_b64 s[4:5], s[20:21], exec
	s_or_b64 s[92:93], s[0:1], s[4:5]
	;; [unrolled: 3-line block ×3, first 2 shown]
	s_and_saveexec_b64 s[12:13], s[6:7]
	s_cbranch_execz .LBB111_34
; %bb.136:                              ;   in Loop: Header=BB111_35 Depth=1
	s_xor_b64 s[0:1], s[18:19], -1
	s_andn2_b64 vcc, exec, s[0:1]
	s_mov_b32 s45, 1
	s_cbranch_vccnz .LBB111_147
; %bb.137:                              ;   in Loop: Header=BB111_35 Depth=1
	v_pk_mov_b32 v[2:3], s[2:3], s[2:3] op_sel:[0,1]
	v_cmp_gt_u64_e32 vcc, s[50:51], v[2:3]
	s_mov_b64 s[0:1], -1
                                        ; implicit-def: $sgpr45
                                        ; implicit-def: $sgpr4
                                        ; implicit-def: $sgpr5
	s_cbranch_vccnz .LBB111_143
; %bb.138:                              ;   in Loop: Header=BB111_35 Depth=1
	ds_read_b64 v[2:3], v11 offset:5120
	s_waitcnt lgkmcnt(0)
	v_cmp_ne_u64_e32 vcc, 0, v[2:3]
	s_cbranch_vccnz .LBB111_142
; %bb.139:                              ;   in Loop: Header=BB111_35 Depth=1
	s_mov_b64 s[0:1], exec
	v_readlane_b32 s4, v51, 8
	v_readlane_b32 s5, v51, 9
	s_and_b64 s[4:5], s[0:1], s[4:5]
	s_mov_b64 exec, s[4:5]
	s_cbranch_execz .LBB111_141
; %bb.140:                              ;   in Loop: Header=BB111_35 Depth=1
	v_pk_mov_b32 v[2:3], s[2:3], s[2:3] op_sel:[0,1]
	ds_write_b64 v11, v[2:3] offset:5128
.LBB111_141:                            ;   in Loop: Header=BB111_35 Depth=1
	s_or_b64 exec, exec, s[0:1]
	s_waitcnt lgkmcnt(0)
	s_barrier
.LBB111_142:                            ;   in Loop: Header=BB111_35 Depth=1
	s_and_b32 s4, s61, s39
	s_or_b32 s5, s60, s44
	s_mov_b64 s[0:1], 0
	s_mov_b32 s45, 8
.LBB111_143:                            ;   in Loop: Header=BB111_35 Depth=1
	s_andn2_b64 vcc, exec, s[0:1]
	s_cbranch_vccnz .LBB111_145
; %bb.144:                              ;   in Loop: Header=BB111_35 Depth=1
	s_sub_u32 s50, s50, s2
	s_subb_u32 s51, s51, s3
	s_mov_b64 s[0:1], -1
	s_mov_b32 s45, 0
	s_mov_b32 s4, s61
	;; [unrolled: 1-line block ×3, first 2 shown]
.LBB111_145:                            ;   in Loop: Header=BB111_35 Depth=1
	s_mov_b32 s60, s5
	s_mov_b32 s61, s4
	s_mov_b64 s[14:15], -1
	s_and_b64 vcc, exec, s[0:1]
	s_cbranch_vccnz .LBB111_148
.LBB111_146:                            ;   in Loop: Header=BB111_35 Depth=1
	s_mov_b64 s[0:1], -1
                                        ; implicit-def: $sgpr18_sgpr19
                                        ; implicit-def: $sgpr22_sgpr23
                                        ; implicit-def: $sgpr20_sgpr21
	s_and_saveexec_b64 s[2:3], s[0:1]
	s_xor_b64 s[0:1], exec, s[2:3]
	s_cbranch_execz .LBB111_33
	s_branch .LBB111_297
.LBB111_147:                            ;   in Loop: Header=BB111_35 Depth=1
	s_mov_b64 s[50:51], 1
	s_mov_b64 s[14:15], -1
	s_branch .LBB111_146
.LBB111_148:                            ;   in Loop: Header=BB111_35 Depth=1
	s_cmp_eq_u64 s[28:29], 1
	s_cselect_b64 s[0:1], -1, 0
	s_cmp_eq_u64 s[50:51], 1
	s_cselect_b64 s[2:3], -1, 0
	s_and_b64 s[2:3], s[0:1], s[2:3]
	s_mov_b64 s[6:7], -1
	s_and_b64 vcc, exec, s[2:3]
	s_cbranch_vccz .LBB111_163
; %bb.149:                              ;   in Loop: Header=BB111_35 Depth=1
	ds_read_b64 v[2:3], v11 offset:5120
	s_waitcnt lgkmcnt(0)
	s_barrier
	v_readfirstlane_b32 s0, v2
	v_readfirstlane_b32 s1, v3
	s_mov_b64 s[6:7], exec
	v_readlane_b32 s4, v51, 16
	v_readlane_b32 s5, v51, 17
	s_and_b64 s[4:5], s[6:7], s[4:5]
	s_mov_b64 exec, s[4:5]
	s_cbranch_execz .LBB111_151
; %bb.150:                              ;   in Loop: Header=BB111_35 Depth=1
	ds_write_b16 v42, v1
.LBB111_151:                            ;   in Loop: Header=BB111_35 Depth=1
	s_or_b64 exec, exec, s[6:7]
	s_lshl_b32 s4, 1, s38
	s_and_b32 s5, s61, s39
	s_or_b32 s61, s5, s4
	s_or_b32 s60, s60, s44
	s_cmp_eq_u64 s[0:1], 0
	s_waitcnt lgkmcnt(0)
	s_barrier
	s_cbranch_scc1 .LBB111_169
; %bb.152:                              ;   in Loop: Header=BB111_35 Depth=1
	v_readlane_b32 s4, v51, 22
	s_add_u32 s4, s4, s0
	v_readlane_b32 s5, v51, 24
	s_addc_u32 s7, s5, s1
	s_mov_b32 s6, s77
	s_cmp_lg_u64 s[6:7], 0
	s_cbranch_scc0 .LBB111_214
; %bb.153:                              ;   in Loop: Header=BB111_35 Depth=1
	v_cvt_f32_u32_e32 v2, s33
	s_sub_u32 s5, 0, s33
	s_subb_u32 s6, 0, 0
	v_mac_f32_e32 v2, 0, v47
	v_rcp_f32_e32 v2, v2
	v_mul_f32_e32 v2, 0x5f7ffffc, v2
	v_mul_f32_e32 v3, 0x2f800000, v2
	v_trunc_f32_e32 v3, v3
	v_mac_f32_e32 v2, 0xcf800000, v3
	v_cvt_u32_f32_e32 v3, v3
	v_cvt_u32_f32_e32 v2, v2
	v_readfirstlane_b32 s18, v3
	v_readfirstlane_b32 s19, v2
	s_mul_i32 s20, s5, s18
	s_mul_hi_u32 s22, s5, s19
	s_mul_i32 s21, s6, s19
	s_add_i32 s20, s22, s20
	s_mul_i32 s23, s5, s19
	s_add_i32 s20, s20, s21
	s_mul_hi_u32 s22, s19, s23
	s_mul_hi_u32 s21, s19, s20
	s_mul_i32 s19, s19, s20
	s_add_u32 s19, s22, s19
	s_addc_u32 s21, 0, s21
	s_mul_hi_u32 s24, s18, s23
	s_mul_i32 s23, s18, s23
	s_add_u32 s19, s19, s23
	s_mul_hi_u32 s22, s18, s20
	s_addc_u32 s19, s21, s24
	s_addc_u32 s21, s22, 0
	s_mul_i32 s20, s18, s20
	s_add_u32 s19, s19, s20
	s_addc_u32 s20, 0, s21
	v_add_co_u32_e32 v2, vcc, s19, v2
	s_cmp_lg_u64 vcc, 0
	s_addc_u32 s18, s18, s20
	v_readfirstlane_b32 s20, v2
	s_mul_i32 s19, s5, s18
	s_mul_hi_u32 s21, s5, s20
	s_add_i32 s19, s21, s19
	s_mul_i32 s6, s6, s20
	s_add_i32 s19, s19, s6
	s_mul_i32 s5, s5, s20
	s_mul_hi_u32 s21, s18, s5
	s_mul_i32 s22, s18, s5
	s_mul_i32 s24, s20, s19
	s_mul_hi_u32 s5, s20, s5
	s_mul_hi_u32 s23, s20, s19
	s_add_u32 s5, s5, s24
	s_addc_u32 s20, 0, s23
	s_add_u32 s5, s5, s22
	s_mul_hi_u32 s6, s18, s19
	s_addc_u32 s5, s20, s21
	s_addc_u32 s6, s6, 0
	s_mul_i32 s19, s18, s19
	s_add_u32 s5, s5, s19
	s_addc_u32 s6, 0, s6
	v_add_co_u32_e32 v2, vcc, s5, v2
	s_cmp_lg_u64 vcc, 0
	s_addc_u32 s5, s18, s6
	v_readfirstlane_b32 s19, v2
	s_mul_i32 s18, s4, s5
	s_mul_hi_u32 s20, s4, s19
	s_mul_hi_u32 s6, s4, s5
	s_add_u32 s18, s20, s18
	s_addc_u32 s6, 0, s6
	s_mul_hi_u32 s21, s7, s19
	s_mul_i32 s19, s7, s19
	s_add_u32 s18, s18, s19
	s_mul_hi_u32 s20, s7, s5
	s_addc_u32 s6, s6, s21
	s_addc_u32 s18, s20, 0
	s_mul_i32 s5, s7, s5
	s_add_u32 s5, s6, s5
	s_addc_u32 s6, 0, s18
	s_mul_hi_u32 s18, s33, s5
	s_mul_i32 s5, s33, s5
	s_mul_i32 s6, s33, s6
	v_mov_b32_e32 v2, s5
	s_add_i32 s18, s18, s6
	v_sub_co_u32_e32 v2, vcc, s4, v2
	s_cmp_lg_u64 vcc, 0
	s_subb_u32 s5, s7, s18
	v_subrev_co_u32_e32 v3, vcc, s33, v2
	s_cmp_lg_u64 vcc, 0
	s_subb_u32 s6, s5, 0
	v_subrev_co_u32_e32 v4, vcc, s33, v3
	s_cmp_lg_u64 vcc, 0
	s_subb_u32 s18, s6, 0
	v_cmp_le_u32_e32 vcc, s33, v3
	s_cmp_eq_u32 s6, 0
	v_cndmask_b32_e64 v5, 0, -1, vcc
	s_cselect_b64 vcc, -1, 0
	v_cndmask_b32_e32 v5, -1, v5, vcc
	v_mov_b32_e32 v6, s6
	v_mov_b32_e32 v7, s18
	v_cmp_ne_u32_e32 vcc, 0, v5
	v_cndmask_b32_e32 v5, v6, v7, vcc
	v_cndmask_b32_e32 v4, v3, v4, vcc
	v_cmp_le_u32_e32 vcc, s33, v2
	s_cmp_eq_u32 s5, 0
	v_cndmask_b32_e64 v3, 0, -1, vcc
	s_cselect_b64 vcc, -1, 0
	v_cndmask_b32_e32 v3, -1, v3, vcc
	v_mov_b32_e32 v6, s5
	v_cmp_ne_u32_e32 vcc, 0, v3
	v_cndmask_b32_e32 v3, v6, v5, vcc
	v_cndmask_b32_e32 v2, v2, v4, vcc
	s_cbranch_execnz .LBB111_155
.LBB111_154:                            ;   in Loop: Header=BB111_35 Depth=1
	v_cvt_f32_u32_e32 v2, s33
	s_sub_i32 s5, 0, s33
	v_rcp_iflag_f32_e32 v2, v2
	v_mul_f32_e32 v2, 0x4f7ffffe, v2
	v_cvt_u32_f32_e32 v2, v2
	v_mul_lo_u32 v3, s5, v2
	v_mul_hi_u32 v3, v2, v3
	v_add_u32_e32 v2, v2, v3
	v_mul_hi_u32 v2, s4, v2
	v_mul_lo_u32 v2, v2, s33
	v_sub_u32_e32 v2, s4, v2
	v_subrev_u32_e32 v3, s33, v2
	v_cmp_le_u32_e32 vcc, s33, v2
	v_cndmask_b32_e32 v2, v2, v3, vcc
	v_subrev_u32_e32 v3, s33, v2
	v_cmp_le_u32_e32 vcc, s33, v2
	v_cndmask_b32_e32 v10, v2, v3, vcc
	v_pk_mov_b32 v[2:3], v[10:11], v[10:11] op_sel:[0,1]
.LBB111_155:                            ;   in Loop: Header=BB111_35 Depth=1
	v_mov_b32_e32 v4, s7
	v_sub_co_u32_e32 v2, vcc, s4, v2
	v_subb_co_u32_e32 v3, vcc, v4, v3, vcc
	v_cmp_gt_u64_e32 vcc, v[2:3], v[0:1]
	s_mov_b64 s[6:7], 0
                                        ; implicit-def: $vgpr49
	s_and_saveexec_b64 s[18:19], vcc
	s_cbranch_execz .LBB111_171
; %bb.156:                              ;   in Loop: Header=BB111_35 Depth=1
	s_mov_b64 s[20:21], 0
	v_mov_b32_e32 v6, v41
	v_pk_mov_b32 v[4:5], v[0:1], v[0:1] op_sel:[0,1]
                                        ; implicit-def: $sgpr22_sgpr23
	s_branch .LBB111_158
.LBB111_157:                            ;   in Loop: Header=BB111_158 Depth=2
	s_or_b64 exec, exec, s[6:7]
	s_waitcnt lgkmcnt(0)
	s_barrier
	ds_read_b32 v7, v11 offset:3072
	v_mov_b32_e32 v8, s86
	v_add_co_u32_e64 v4, s[6:7], s33, v4
	v_addc_co_u32_e64 v5, s[6:7], v5, v8, s[6:7]
	s_waitcnt lgkmcnt(0)
	v_cmp_ne_u16_e32 vcc, 0, v7
	v_cmp_ge_u64_e64 s[6:7], v[4:5], v[2:3]
	s_or_b64 s[4:5], s[6:7], vcc
	s_and_b64 s[4:5], exec, s[4:5]
	s_or_b64 s[20:21], s[4:5], s[20:21]
	s_andn2_b64 s[4:5], s[22:23], exec
	s_and_b64 s[6:7], vcc, exec
	v_add_u32_e32 v6, s80, v6
	s_or_b64 s[22:23], s[4:5], s[6:7]
	s_barrier
	s_andn2_b64 exec, exec, s[20:21]
	s_cbranch_execz .LBB111_170
.LBB111_158:                            ;   Parent Loop BB111_35 Depth=1
                                        ; =>  This Inner Loop Header: Depth=2
	v_cmp_gt_u64_e32 vcc, s[0:1], v[4:5]
	v_mov_b32_e32 v7, 0
	s_and_saveexec_b64 s[6:7], vcc
	s_cbranch_execz .LBB111_160
; %bb.159:                              ;   in Loop: Header=BB111_158 Depth=2
	ds_read_u16 v7, v6
.LBB111_160:                            ;   in Loop: Header=BB111_158 Depth=2
	s_or_b64 exec, exec, s[6:7]
	s_and_saveexec_b64 s[6:7], vcc
	s_cbranch_execz .LBB111_157
; %bb.161:                              ;   in Loop: Header=BB111_158 Depth=2
	s_waitcnt lgkmcnt(0)
	v_add_u32_sdwa v8, sext(v7), s81 dst_sel:DWORD dst_unused:UNUSED_PAD src0_sel:WORD_0 src1_sel:DWORD
	v_and_b32_e32 v8, s60, v8
	v_cmp_eq_u32_e32 vcc, s61, v8
	s_and_b64 exec, exec, vcc
	s_cbranch_execz .LBB111_157
; %bb.162:                              ;   in Loop: Header=BB111_158 Depth=2
	v_perm_b32 v7, v7, 1, v48
	ds_write_b32 v11, v7 offset:3072
	s_branch .LBB111_157
.LBB111_163:                            ;   in Loop: Header=BB111_35 Depth=1
                                        ; implicit-def: $sgpr20_sgpr21
                                        ; implicit-def: $sgpr22_sgpr23
                                        ; implicit-def: $sgpr18_sgpr19
	s_branch .LBB111_185
.LBB111_164:                            ;   in Loop: Header=BB111_35 Depth=1
                                        ; implicit-def: $vgpr2_vgpr3
	s_branch .LBB111_109
.LBB111_165:                            ;   in Loop: Header=BB111_35 Depth=1
	s_or_b64 exec, exec, s[0:1]
	s_waitcnt lgkmcnt(0)
	s_barrier
	s_mov_b64 s[0:1], exec
	v_readlane_b32 s4, v51, 8
	v_readlane_b32 s5, v51, 9
	s_and_b64 s[4:5], s[0:1], s[4:5]
	s_mov_b64 exec, s[4:5]
	s_cbranch_execz .LBB111_167
; %bb.166:                              ;   in Loop: Header=BB111_35 Depth=1
	ds_read_b32 v2, v11 offset:5144
	s_waitcnt lgkmcnt(0)
	v_ashrrev_i32_e32 v3, 31, v2
	ds_write_b64 v11, v[2:3] offset:5120
.LBB111_167:                            ;   in Loop: Header=BB111_35 Depth=1
	s_or_b64 exec, exec, s[0:1]
	s_waitcnt lgkmcnt(0)
	s_barrier
	s_mov_b64 s[0:1], -1
	s_and_b64 vcc, exec, s[2:3]
	s_cbranch_vccnz .LBB111_50
	s_branch .LBB111_60
.LBB111_168:                            ;   in Loop: Header=BB111_35 Depth=1
                                        ; implicit-def: $vgpr2_vgpr3
	s_branch .LBB111_124
.LBB111_169:                            ;   in Loop: Header=BB111_35 Depth=1
	s_mov_b64 s[20:21], -1
	s_mov_b64 s[6:7], 0
                                        ; implicit-def: $sgpr18_sgpr19
                                        ; implicit-def: $vgpr49
	s_mov_b64 s[22:23], s[20:21]
	s_cbranch_execnz .LBB111_172
	s_branch .LBB111_185
.LBB111_170:                            ;   in Loop: Header=BB111_35 Depth=1
	s_or_b64 exec, exec, s[20:21]
	v_lshrrev_b32_e32 v49, 16, v7
	s_and_b64 s[6:7], s[22:23], exec
.LBB111_171:                            ;   in Loop: Header=BB111_35 Depth=1
	s_or_b64 exec, exec, s[18:19]
	s_mov_b64 s[18:19], -1
	s_mov_b64 s[20:21], 0
	s_mov_b64 s[22:23], s[20:21]
	s_branch .LBB111_185
.LBB111_172:                            ;   in Loop: Header=BB111_35 Depth=1
	s_mov_b32 s68, s77
	s_cmp_lg_u64 s[68:69], 0
	s_cbranch_scc0 .LBB111_215
; %bb.173:                              ;   in Loop: Header=BB111_35 Depth=1
	v_cvt_f32_u32_e32 v2, s33
	s_sub_u32 s0, 0, s33
	s_subb_u32 s1, 0, 0
	v_mac_f32_e32 v2, 0, v47
	v_rcp_f32_e32 v2, v2
	v_mul_f32_e32 v2, 0x5f7ffffc, v2
	v_mul_f32_e32 v3, 0x2f800000, v2
	v_trunc_f32_e32 v3, v3
	v_mac_f32_e32 v2, 0xcf800000, v3
	v_cvt_u32_f32_e32 v3, v3
	v_cvt_u32_f32_e32 v2, v2
	v_readfirstlane_b32 s4, v3
	v_readfirstlane_b32 s5, v2
	s_mul_i32 s6, s0, s4
	s_mul_hi_u32 s18, s0, s5
	s_mul_i32 s7, s1, s5
	s_add_i32 s6, s18, s6
	s_mul_i32 s19, s0, s5
	s_add_i32 s6, s6, s7
	s_mul_hi_u32 s18, s5, s19
	s_mul_hi_u32 s7, s5, s6
	s_mul_i32 s5, s5, s6
	s_add_u32 s5, s18, s5
	s_addc_u32 s7, 0, s7
	s_mul_hi_u32 s20, s4, s19
	s_mul_i32 s19, s4, s19
	s_add_u32 s5, s5, s19
	s_mul_hi_u32 s18, s4, s6
	s_addc_u32 s5, s7, s20
	s_addc_u32 s7, s18, 0
	s_mul_i32 s6, s4, s6
	s_add_u32 s5, s5, s6
	s_addc_u32 s6, 0, s7
	v_add_co_u32_e32 v2, vcc, s5, v2
	s_cmp_lg_u64 vcc, 0
	s_addc_u32 s4, s4, s6
	v_readfirstlane_b32 s6, v2
	s_mul_i32 s5, s0, s4
	s_mul_hi_u32 s7, s0, s6
	s_add_i32 s5, s7, s5
	s_mul_i32 s1, s1, s6
	s_add_i32 s5, s5, s1
	s_mul_i32 s0, s0, s6
	s_mul_hi_u32 s7, s4, s0
	s_mul_i32 s18, s4, s0
	s_mul_i32 s20, s6, s5
	s_mul_hi_u32 s0, s6, s0
	s_mul_hi_u32 s19, s6, s5
	s_add_u32 s0, s0, s20
	s_addc_u32 s6, 0, s19
	s_add_u32 s0, s0, s18
	s_mul_hi_u32 s1, s4, s5
	s_addc_u32 s0, s6, s7
	s_addc_u32 s1, s1, 0
	s_mul_i32 s5, s4, s5
	s_add_u32 s0, s0, s5
	s_addc_u32 s1, 0, s1
	v_add_co_u32_e32 v2, vcc, s0, v2
	s_cmp_lg_u64 vcc, 0
	s_addc_u32 s0, s4, s1
	v_readlane_b32 s18, v51, 23
	v_readfirstlane_b32 s5, v2
	s_mul_i32 s4, s18, s0
	s_mul_hi_u32 s6, s18, s5
	s_mul_hi_u32 s1, s18, s0
	s_add_u32 s4, s6, s4
	s_addc_u32 s1, 0, s1
	s_mul_hi_u32 s7, s69, s5
	s_mul_i32 s5, s69, s5
	s_add_u32 s4, s4, s5
	s_mul_hi_u32 s6, s69, s0
	s_addc_u32 s1, s1, s7
	s_addc_u32 s4, s6, 0
	s_mul_i32 s0, s69, s0
	s_add_u32 s0, s1, s0
	s_addc_u32 s1, 0, s4
	s_mul_hi_u32 s4, s33, s0
	s_mul_i32 s0, s33, s0
	s_mul_i32 s1, s33, s1
	v_mov_b32_e32 v2, s0
	s_add_i32 s4, s4, s1
	v_sub_co_u32_e32 v2, vcc, s18, v2
	s_cmp_lg_u64 vcc, 0
	s_subb_u32 s0, s69, s4
	v_subrev_co_u32_e32 v3, vcc, s33, v2
	s_cmp_lg_u64 vcc, 0
	s_subb_u32 s1, s0, 0
	v_subrev_co_u32_e32 v4, vcc, s33, v3
	s_cmp_lg_u64 vcc, 0
	s_subb_u32 s4, s1, 0
	v_cmp_le_u32_e32 vcc, s33, v3
	s_cmp_eq_u32 s1, 0
	v_cndmask_b32_e64 v5, 0, -1, vcc
	s_cselect_b64 vcc, -1, 0
	v_cndmask_b32_e32 v5, -1, v5, vcc
	v_mov_b32_e32 v6, s1
	v_mov_b32_e32 v7, s4
	v_cmp_ne_u32_e32 vcc, 0, v5
	v_cndmask_b32_e32 v5, v6, v7, vcc
	v_cndmask_b32_e32 v4, v3, v4, vcc
	v_cmp_le_u32_e32 vcc, s33, v2
	s_cmp_eq_u32 s0, 0
	v_cndmask_b32_e64 v3, 0, -1, vcc
	s_cselect_b64 vcc, -1, 0
	v_cndmask_b32_e32 v3, -1, v3, vcc
	v_mov_b32_e32 v6, s0
	v_cmp_ne_u32_e32 vcc, 0, v3
	v_cndmask_b32_e32 v3, v6, v5, vcc
	v_cndmask_b32_e32 v2, v2, v4, vcc
	s_cbranch_execnz .LBB111_175
.LBB111_174:                            ;   in Loop: Header=BB111_35 Depth=1
	v_cvt_f32_u32_e32 v2, s33
	s_sub_i32 s0, 0, s33
	v_rcp_iflag_f32_e32 v2, v2
	v_mul_f32_e32 v2, 0x4f7ffffe, v2
	v_cvt_u32_f32_e32 v2, v2
	v_mul_lo_u32 v3, s0, v2
	v_mul_hi_u32 v3, v2, v3
	v_add_u32_e32 v2, v2, v3
	v_readlane_b32 s0, v51, 23
	v_mul_hi_u32 v2, s0, v2
	v_mul_lo_u32 v2, v2, s33
	v_sub_u32_e32 v2, s0, v2
	v_subrev_u32_e32 v3, s33, v2
	v_cmp_le_u32_e32 vcc, s33, v2
	v_cndmask_b32_e32 v2, v2, v3, vcc
	v_subrev_u32_e32 v3, s33, v2
	v_cmp_le_u32_e32 vcc, s33, v2
	v_cndmask_b32_e32 v10, v2, v3, vcc
	v_pk_mov_b32 v[2:3], v[10:11], v[10:11] op_sel:[0,1]
.LBB111_175:                            ;   in Loop: Header=BB111_35 Depth=1
	v_readlane_b32 s0, v51, 23
	v_mov_b32_e32 v4, s69
	v_sub_co_u32_e32 v2, vcc, s0, v2
	v_subb_co_u32_e32 v3, vcc, v4, v3, vcc
	v_cmp_gt_u64_e32 vcc, v[2:3], v[0:1]
	s_mov_b64 s[6:7], 0
                                        ; implicit-def: $vgpr49
	s_and_saveexec_b64 s[0:1], vcc
	s_cbranch_execz .LBB111_184
; %bb.176:                              ;   in Loop: Header=BB111_35 Depth=1
	s_mov_b64 s[18:19], 0
	v_pk_mov_b32 v[4:5], v[12:13], v[12:13] op_sel:[0,1]
	v_pk_mov_b32 v[6:7], v[0:1], v[0:1] op_sel:[0,1]
                                        ; implicit-def: $sgpr20_sgpr21
	s_branch .LBB111_178
.LBB111_177:                            ;   in Loop: Header=BB111_178 Depth=2
	s_or_b64 exec, exec, s[6:7]
	s_waitcnt lgkmcnt(0)
	s_barrier
	s_waitcnt vmcnt(0)
	ds_read_b32 v8, v11 offset:3072
	v_mov_b32_e32 v9, s86
	v_add_co_u32_e64 v6, s[6:7], s33, v6
	v_addc_co_u32_e64 v7, s[6:7], v7, v9, s[6:7]
	s_waitcnt lgkmcnt(0)
	v_cmp_ne_u16_e32 vcc, 0, v8
	v_cmp_ge_u64_e64 s[6:7], v[6:7], v[2:3]
	s_or_b64 s[4:5], s[6:7], vcc
	v_mov_b32_e32 v9, s75
	v_add_co_u32_e64 v4, s[6:7], s74, v4
	s_and_b64 s[4:5], exec, s[4:5]
	v_addc_co_u32_e64 v5, s[6:7], v5, v9, s[6:7]
	s_or_b64 s[18:19], s[4:5], s[18:19]
	s_andn2_b64 s[4:5], s[20:21], exec
	s_and_b64 s[6:7], vcc, exec
	s_or_b64 s[20:21], s[4:5], s[6:7]
	s_barrier
	s_andn2_b64 exec, exec, s[18:19]
	s_cbranch_execz .LBB111_183
.LBB111_178:                            ;   Parent Loop BB111_35 Depth=1
                                        ; =>  This Inner Loop Header: Depth=2
	v_cmp_gt_u64_e32 vcc, s[52:53], v[6:7]
	v_mov_b32_e32 v8, 0
	s_and_saveexec_b64 s[6:7], vcc
	s_cbranch_execz .LBB111_180
; %bb.179:                              ;   in Loop: Header=BB111_178 Depth=2
	global_load_ushort v8, v[4:5], off
.LBB111_180:                            ;   in Loop: Header=BB111_178 Depth=2
	s_or_b64 exec, exec, s[6:7]
	s_and_saveexec_b64 s[6:7], vcc
	s_cbranch_execz .LBB111_177
; %bb.181:                              ;   in Loop: Header=BB111_178 Depth=2
	s_waitcnt vmcnt(0)
	v_add_u32_sdwa v9, sext(v8), s81 dst_sel:DWORD dst_unused:UNUSED_PAD src0_sel:WORD_0 src1_sel:DWORD
	v_and_b32_e32 v9, s60, v9
	v_cmp_eq_u32_e32 vcc, s61, v9
	s_and_b64 exec, exec, vcc
	s_cbranch_execz .LBB111_177
; %bb.182:                              ;   in Loop: Header=BB111_178 Depth=2
	v_perm_b32 v8, v8, 1, v48
	ds_write_b32 v11, v8 offset:3072
	s_branch .LBB111_177
.LBB111_183:                            ;   in Loop: Header=BB111_35 Depth=1
	s_or_b64 exec, exec, s[18:19]
	v_lshrrev_b32_e32 v49, 16, v8
	s_and_b64 s[6:7], s[20:21], exec
.LBB111_184:                            ;   in Loop: Header=BB111_35 Depth=1
	s_or_b64 exec, exec, s[0:1]
	s_mov_b64 s[22:23], -1
	s_mov_b64 s[20:21], 0
	s_mov_b64 s[18:19], 0
.LBB111_185:                            ;   in Loop: Header=BB111_35 Depth=1
	s_mov_b64 s[0:1], 0
                                        ; implicit-def: $sgpr45
	s_and_saveexec_b64 s[24:25], s[6:7]
	s_cbranch_execz .LBB111_296
; %bb.186:                              ;   in Loop: Header=BB111_35 Depth=1
	s_xor_b64 s[0:1], s[2:3], -1
	s_andn2_b64 vcc, exec, s[0:1]
	s_mov_b32 s45, 1
	s_cbranch_vccnz .LBB111_197
; %bb.187:                              ;   in Loop: Header=BB111_35 Depth=1
	v_pk_mov_b32 v[2:3], s[28:29], s[28:29] op_sel:[0,1]
	v_cmp_gt_u64_e32 vcc, s[50:51], v[2:3]
	s_mov_b64 s[0:1], -1
                                        ; implicit-def: $sgpr45
                                        ; implicit-def: $sgpr2
                                        ; implicit-def: $sgpr3
	s_cbranch_vccnz .LBB111_193
; %bb.188:                              ;   in Loop: Header=BB111_35 Depth=1
	ds_read_b64 v[2:3], v11 offset:5120
	s_waitcnt lgkmcnt(0)
	v_cmp_ne_u64_e32 vcc, 0, v[2:3]
	s_cbranch_vccnz .LBB111_192
; %bb.189:                              ;   in Loop: Header=BB111_35 Depth=1
	s_mov_b64 s[0:1], exec
	v_readlane_b32 s2, v51, 8
	v_readlane_b32 s3, v51, 9
	s_and_b64 s[2:3], s[0:1], s[2:3]
	s_mov_b64 exec, s[2:3]
	s_cbranch_execz .LBB111_191
; %bb.190:                              ;   in Loop: Header=BB111_35 Depth=1
	v_pk_mov_b32 v[2:3], s[28:29], s[28:29] op_sel:[0,1]
	ds_write_b64 v11, v[2:3] offset:5128
.LBB111_191:                            ;   in Loop: Header=BB111_35 Depth=1
	s_or_b64 exec, exec, s[0:1]
	s_waitcnt lgkmcnt(0)
	s_barrier
.LBB111_192:                            ;   in Loop: Header=BB111_35 Depth=1
	s_lshl_b32 s0, 1, s38
	s_and_b32 s1, s61, s39
	s_or_b32 s2, s1, s0
	s_or_b32 s3, s60, s44
	s_mov_b64 s[0:1], 0
	s_mov_b32 s45, 8
.LBB111_193:                            ;   in Loop: Header=BB111_35 Depth=1
	s_andn2_b64 vcc, exec, s[0:1]
	s_cbranch_vccnz .LBB111_195
; %bb.194:                              ;   in Loop: Header=BB111_35 Depth=1
	s_sub_u32 s50, s50, s28
	s_subb_u32 s51, s51, s29
	s_mov_b64 s[0:1], -1
	s_mov_b32 s45, 0
	s_mov_b32 s2, s61
	;; [unrolled: 1-line block ×3, first 2 shown]
.LBB111_195:                            ;   in Loop: Header=BB111_35 Depth=1
	s_mov_b32 s60, s3
	s_mov_b32 s61, s2
	s_andn2_b64 vcc, exec, s[0:1]
	s_mov_b64 s[0:1], -1
	s_cbranch_vccz .LBB111_198
.LBB111_196:                            ;   in Loop: Header=BB111_35 Depth=1
                                        ; implicit-def: $sgpr28_sgpr29
                                        ; implicit-def: $sgpr30_sgpr31
                                        ; implicit-def: $sgpr2_sgpr3
	s_branch .LBB111_295
.LBB111_197:                            ;   in Loop: Header=BB111_35 Depth=1
	s_mov_b64 s[50:51], 1
	s_mov_b64 s[0:1], -1
	s_cbranch_execnz .LBB111_196
.LBB111_198:                            ;   in Loop: Header=BB111_35 Depth=1
	s_cmp_eq_u64 s[16:17], 1
	s_cselect_b64 s[0:1], -1, 0
	s_cmp_eq_u64 s[50:51], 1
	s_cselect_b64 s[2:3], -1, 0
	s_and_b64 s[36:37], s[0:1], s[2:3]
	s_mov_b64 s[6:7], -1
	s_and_b64 vcc, exec, s[36:37]
	s_cbranch_vccz .LBB111_213
; %bb.199:                              ;   in Loop: Header=BB111_35 Depth=1
	ds_read_b64 v[2:3], v11 offset:5120
	s_waitcnt lgkmcnt(0)
	s_barrier
	v_readfirstlane_b32 s0, v2
	v_readfirstlane_b32 s1, v3
	s_mov_b64 s[2:3], exec
	v_readlane_b32 s4, v51, 16
	v_readlane_b32 s5, v51, 17
	s_and_b64 s[4:5], s[2:3], s[4:5]
	s_mov_b64 exec, s[4:5]
	s_cbranch_execz .LBB111_201
; %bb.200:                              ;   in Loop: Header=BB111_35 Depth=1
	ds_write_b16 v42, v1
.LBB111_201:                            ;   in Loop: Header=BB111_35 Depth=1
	s_or_b64 exec, exec, s[2:3]
	s_lshl_b32 s2, 2, s38
	s_and_b32 s3, s61, s39
	s_or_b32 s61, s3, s2
	s_or_b32 s60, s60, s44
	s_cmp_eq_u64 s[0:1], 0
	s_waitcnt lgkmcnt(0)
	s_barrier
	s_cbranch_scc1 .LBB111_216
; %bb.202:                              ;   in Loop: Header=BB111_35 Depth=1
	v_readlane_b32 s2, v51, 22
	s_add_u32 s4, s2, s0
	v_readlane_b32 s2, v51, 24
	s_addc_u32 s3, s2, s1
	s_mov_b32 s2, s77
	s_cmp_lg_u64 s[2:3], 0
	s_cbranch_scc0 .LBB111_261
; %bb.203:                              ;   in Loop: Header=BB111_35 Depth=1
	v_cvt_f32_u32_e32 v2, s33
	s_sub_u32 s2, 0, s33
	s_subb_u32 s5, 0, 0
	v_mac_f32_e32 v2, 0, v47
	v_rcp_f32_e32 v2, v2
	v_mul_f32_e32 v2, 0x5f7ffffc, v2
	v_mul_f32_e32 v3, 0x2f800000, v2
	v_trunc_f32_e32 v3, v3
	v_mac_f32_e32 v2, 0xcf800000, v3
	v_cvt_u32_f32_e32 v3, v3
	v_cvt_u32_f32_e32 v2, v2
	v_readfirstlane_b32 s6, v3
	v_readfirstlane_b32 s7, v2
	s_mul_i32 s26, s2, s6
	s_mul_hi_u32 s28, s2, s7
	s_mul_i32 s27, s5, s7
	s_add_i32 s26, s28, s26
	s_mul_i32 s29, s2, s7
	s_add_i32 s26, s26, s27
	s_mul_hi_u32 s28, s7, s29
	s_mul_hi_u32 s27, s7, s26
	s_mul_i32 s7, s7, s26
	s_add_u32 s7, s28, s7
	s_addc_u32 s27, 0, s27
	s_mul_hi_u32 s30, s6, s29
	s_mul_i32 s29, s6, s29
	s_add_u32 s7, s7, s29
	s_mul_hi_u32 s28, s6, s26
	s_addc_u32 s7, s27, s30
	s_addc_u32 s27, s28, 0
	s_mul_i32 s26, s6, s26
	s_add_u32 s7, s7, s26
	s_addc_u32 s26, 0, s27
	v_add_co_u32_e32 v2, vcc, s7, v2
	s_cmp_lg_u64 vcc, 0
	s_addc_u32 s6, s6, s26
	v_readfirstlane_b32 s26, v2
	s_mul_i32 s7, s2, s6
	s_mul_hi_u32 s27, s2, s26
	s_add_i32 s7, s27, s7
	s_mul_i32 s5, s5, s26
	s_add_i32 s7, s7, s5
	s_mul_i32 s2, s2, s26
	s_mul_hi_u32 s27, s6, s2
	s_mul_i32 s28, s6, s2
	s_mul_i32 s30, s26, s7
	s_mul_hi_u32 s2, s26, s2
	s_mul_hi_u32 s29, s26, s7
	s_add_u32 s2, s2, s30
	s_addc_u32 s26, 0, s29
	s_add_u32 s2, s2, s28
	s_mul_hi_u32 s5, s6, s7
	s_addc_u32 s2, s26, s27
	s_addc_u32 s5, s5, 0
	s_mul_i32 s7, s6, s7
	s_add_u32 s2, s2, s7
	s_addc_u32 s5, 0, s5
	v_add_co_u32_e32 v2, vcc, s2, v2
	s_cmp_lg_u64 vcc, 0
	s_addc_u32 s2, s6, s5
	v_readfirstlane_b32 s7, v2
	s_mul_i32 s6, s4, s2
	s_mul_hi_u32 s26, s4, s7
	s_mul_hi_u32 s5, s4, s2
	s_add_u32 s6, s26, s6
	s_addc_u32 s5, 0, s5
	s_mul_hi_u32 s27, s3, s7
	s_mul_i32 s7, s3, s7
	s_add_u32 s6, s6, s7
	s_mul_hi_u32 s26, s3, s2
	s_addc_u32 s5, s5, s27
	s_addc_u32 s6, s26, 0
	s_mul_i32 s2, s3, s2
	s_add_u32 s2, s5, s2
	s_addc_u32 s5, 0, s6
	s_mul_hi_u32 s6, s33, s2
	s_mul_i32 s2, s33, s2
	s_mul_i32 s5, s33, s5
	v_mov_b32_e32 v2, s2
	s_add_i32 s6, s6, s5
	v_sub_co_u32_e32 v2, vcc, s4, v2
	s_cmp_lg_u64 vcc, 0
	s_subb_u32 s2, s3, s6
	v_subrev_co_u32_e32 v3, vcc, s33, v2
	s_cmp_lg_u64 vcc, 0
	s_subb_u32 s5, s2, 0
	v_subrev_co_u32_e32 v4, vcc, s33, v3
	s_cmp_lg_u64 vcc, 0
	s_subb_u32 s6, s5, 0
	v_cmp_le_u32_e32 vcc, s33, v3
	s_cmp_eq_u32 s5, 0
	v_cndmask_b32_e64 v5, 0, -1, vcc
	s_cselect_b64 vcc, -1, 0
	v_cndmask_b32_e32 v5, -1, v5, vcc
	v_mov_b32_e32 v6, s5
	v_mov_b32_e32 v7, s6
	v_cmp_ne_u32_e32 vcc, 0, v5
	v_cndmask_b32_e32 v5, v6, v7, vcc
	v_cndmask_b32_e32 v4, v3, v4, vcc
	v_cmp_le_u32_e32 vcc, s33, v2
	s_cmp_eq_u32 s2, 0
	v_cndmask_b32_e64 v3, 0, -1, vcc
	s_cselect_b64 vcc, -1, 0
	v_cndmask_b32_e32 v3, -1, v3, vcc
	v_mov_b32_e32 v6, s2
	v_cmp_ne_u32_e32 vcc, 0, v3
	v_cndmask_b32_e32 v3, v6, v5, vcc
	v_cndmask_b32_e32 v2, v2, v4, vcc
	s_cbranch_execnz .LBB111_205
.LBB111_204:                            ;   in Loop: Header=BB111_35 Depth=1
	v_cvt_f32_u32_e32 v2, s33
	s_sub_i32 s2, 0, s33
	v_rcp_iflag_f32_e32 v2, v2
	v_mul_f32_e32 v2, 0x4f7ffffe, v2
	v_cvt_u32_f32_e32 v2, v2
	v_mul_lo_u32 v3, s2, v2
	v_mul_hi_u32 v3, v2, v3
	v_add_u32_e32 v2, v2, v3
	v_mul_hi_u32 v2, s4, v2
	v_mul_lo_u32 v2, v2, s33
	v_sub_u32_e32 v2, s4, v2
	v_subrev_u32_e32 v3, s33, v2
	v_cmp_le_u32_e32 vcc, s33, v2
	v_cndmask_b32_e32 v2, v2, v3, vcc
	v_subrev_u32_e32 v3, s33, v2
	v_cmp_le_u32_e32 vcc, s33, v2
	v_cndmask_b32_e32 v10, v2, v3, vcc
	v_pk_mov_b32 v[2:3], v[10:11], v[10:11] op_sel:[0,1]
.LBB111_205:                            ;   in Loop: Header=BB111_35 Depth=1
	v_mov_b32_e32 v4, s3
	v_sub_co_u32_e32 v2, vcc, s4, v2
	v_subb_co_u32_e32 v3, vcc, v4, v3, vcc
	v_cmp_gt_u64_e32 vcc, v[2:3], v[0:1]
	s_mov_b64 s[6:7], 0
                                        ; implicit-def: $vgpr49
	s_and_saveexec_b64 s[2:3], vcc
	s_cbranch_execz .LBB111_218
; %bb.206:                              ;   in Loop: Header=BB111_35 Depth=1
	s_mov_b64 s[26:27], 0
	v_mov_b32_e32 v6, v41
	v_pk_mov_b32 v[4:5], v[0:1], v[0:1] op_sel:[0,1]
                                        ; implicit-def: $sgpr28_sgpr29
	s_branch .LBB111_208
.LBB111_207:                            ;   in Loop: Header=BB111_208 Depth=2
	s_or_b64 exec, exec, s[6:7]
	s_waitcnt lgkmcnt(0)
	s_barrier
	ds_read_b32 v7, v11 offset:3072
	v_mov_b32_e32 v8, s86
	v_add_co_u32_e64 v4, s[6:7], s33, v4
	v_addc_co_u32_e64 v5, s[6:7], v5, v8, s[6:7]
	s_waitcnt lgkmcnt(0)
	v_cmp_ne_u16_e32 vcc, 0, v7
	v_cmp_ge_u64_e64 s[6:7], v[4:5], v[2:3]
	s_or_b64 s[4:5], s[6:7], vcc
	s_and_b64 s[4:5], exec, s[4:5]
	s_or_b64 s[26:27], s[4:5], s[26:27]
	s_andn2_b64 s[4:5], s[28:29], exec
	s_and_b64 s[6:7], vcc, exec
	v_add_u32_e32 v6, s80, v6
	s_or_b64 s[28:29], s[4:5], s[6:7]
	s_barrier
	s_andn2_b64 exec, exec, s[26:27]
	s_cbranch_execz .LBB111_217
.LBB111_208:                            ;   Parent Loop BB111_35 Depth=1
                                        ; =>  This Inner Loop Header: Depth=2
	v_cmp_gt_u64_e32 vcc, s[0:1], v[4:5]
	v_mov_b32_e32 v7, 0
	s_and_saveexec_b64 s[6:7], vcc
	s_cbranch_execz .LBB111_210
; %bb.209:                              ;   in Loop: Header=BB111_208 Depth=2
	ds_read_u16 v7, v6
.LBB111_210:                            ;   in Loop: Header=BB111_208 Depth=2
	s_or_b64 exec, exec, s[6:7]
	s_and_saveexec_b64 s[6:7], vcc
	s_cbranch_execz .LBB111_207
; %bb.211:                              ;   in Loop: Header=BB111_208 Depth=2
	s_waitcnt lgkmcnt(0)
	v_add_u32_sdwa v8, sext(v7), s81 dst_sel:DWORD dst_unused:UNUSED_PAD src0_sel:WORD_0 src1_sel:DWORD
	v_and_b32_e32 v8, s60, v8
	v_cmp_eq_u32_e32 vcc, s61, v8
	s_and_b64 exec, exec, vcc
	s_cbranch_execz .LBB111_207
; %bb.212:                              ;   in Loop: Header=BB111_208 Depth=2
	v_perm_b32 v7, v7, 1, v48
	ds_write_b32 v11, v7 offset:3072
	s_branch .LBB111_207
.LBB111_213:                            ;   in Loop: Header=BB111_35 Depth=1
                                        ; implicit-def: $sgpr2_sgpr3
                                        ; implicit-def: $sgpr30_sgpr31
                                        ; implicit-def: $sgpr28_sgpr29
	s_branch .LBB111_232
.LBB111_214:                            ;   in Loop: Header=BB111_35 Depth=1
                                        ; implicit-def: $vgpr2_vgpr3
	s_branch .LBB111_154
.LBB111_215:                            ;   in Loop: Header=BB111_35 Depth=1
                                        ; implicit-def: $vgpr2_vgpr3
	s_branch .LBB111_174
.LBB111_216:                            ;   in Loop: Header=BB111_35 Depth=1
	s_mov_b64 s[2:3], -1
	s_mov_b64 s[6:7], 0
                                        ; implicit-def: $sgpr28_sgpr29
                                        ; implicit-def: $vgpr49
	s_mov_b64 s[30:31], s[2:3]
	s_cbranch_execnz .LBB111_219
	s_branch .LBB111_232
.LBB111_217:                            ;   in Loop: Header=BB111_35 Depth=1
	s_or_b64 exec, exec, s[26:27]
	v_lshrrev_b32_e32 v49, 16, v7
	s_and_b64 s[6:7], s[28:29], exec
.LBB111_218:                            ;   in Loop: Header=BB111_35 Depth=1
	s_or_b64 exec, exec, s[2:3]
	s_mov_b64 s[28:29], -1
	s_mov_b64 s[2:3], 0
	s_mov_b64 s[30:31], s[2:3]
	s_branch .LBB111_232
.LBB111_219:                            ;   in Loop: Header=BB111_35 Depth=1
	s_mov_b32 s68, s77
	s_cmp_lg_u64 s[68:69], 0
	s_cbranch_scc0 .LBB111_262
; %bb.220:                              ;   in Loop: Header=BB111_35 Depth=1
	v_cvt_f32_u32_e32 v2, s33
	s_sub_u32 s0, 0, s33
	s_subb_u32 s1, 0, 0
	v_mac_f32_e32 v2, 0, v47
	v_rcp_f32_e32 v2, v2
	v_mul_f32_e32 v2, 0x5f7ffffc, v2
	v_mul_f32_e32 v3, 0x2f800000, v2
	v_trunc_f32_e32 v3, v3
	v_mac_f32_e32 v2, 0xcf800000, v3
	v_cvt_u32_f32_e32 v3, v3
	v_cvt_u32_f32_e32 v2, v2
	v_readfirstlane_b32 s2, v3
	v_readfirstlane_b32 s3, v2
	s_mul_i32 s4, s0, s2
	s_mul_hi_u32 s6, s0, s3
	s_mul_i32 s5, s1, s3
	s_add_i32 s4, s6, s4
	s_mul_i32 s7, s0, s3
	s_add_i32 s4, s4, s5
	s_mul_hi_u32 s6, s3, s7
	s_mul_hi_u32 s5, s3, s4
	s_mul_i32 s3, s3, s4
	s_add_u32 s3, s6, s3
	s_addc_u32 s5, 0, s5
	s_mul_hi_u32 s26, s2, s7
	s_mul_i32 s7, s2, s7
	s_add_u32 s3, s3, s7
	s_mul_hi_u32 s6, s2, s4
	s_addc_u32 s3, s5, s26
	s_addc_u32 s5, s6, 0
	s_mul_i32 s4, s2, s4
	s_add_u32 s3, s3, s4
	s_addc_u32 s4, 0, s5
	v_add_co_u32_e32 v2, vcc, s3, v2
	s_cmp_lg_u64 vcc, 0
	s_addc_u32 s2, s2, s4
	v_readfirstlane_b32 s4, v2
	s_mul_i32 s3, s0, s2
	s_mul_hi_u32 s5, s0, s4
	s_add_i32 s3, s5, s3
	s_mul_i32 s1, s1, s4
	s_add_i32 s3, s3, s1
	s_mul_i32 s0, s0, s4
	s_mul_hi_u32 s5, s2, s0
	s_mul_i32 s6, s2, s0
	s_mul_i32 s26, s4, s3
	s_mul_hi_u32 s0, s4, s0
	s_mul_hi_u32 s7, s4, s3
	s_add_u32 s0, s0, s26
	s_addc_u32 s4, 0, s7
	s_add_u32 s0, s0, s6
	s_mul_hi_u32 s1, s2, s3
	s_addc_u32 s0, s4, s5
	s_addc_u32 s1, s1, 0
	s_mul_i32 s3, s2, s3
	s_add_u32 s0, s0, s3
	s_addc_u32 s1, 0, s1
	v_add_co_u32_e32 v2, vcc, s0, v2
	s_cmp_lg_u64 vcc, 0
	s_addc_u32 s0, s2, s1
	v_readlane_b32 s6, v51, 23
	v_readfirstlane_b32 s3, v2
	s_mul_i32 s2, s6, s0
	s_mul_hi_u32 s4, s6, s3
	s_mul_hi_u32 s1, s6, s0
	s_add_u32 s2, s4, s2
	s_addc_u32 s1, 0, s1
	s_mul_hi_u32 s5, s69, s3
	s_mul_i32 s3, s69, s3
	s_add_u32 s2, s2, s3
	s_mul_hi_u32 s4, s69, s0
	s_addc_u32 s1, s1, s5
	s_addc_u32 s2, s4, 0
	s_mul_i32 s0, s69, s0
	s_add_u32 s0, s1, s0
	s_addc_u32 s1, 0, s2
	s_mul_hi_u32 s2, s33, s0
	s_mul_i32 s0, s33, s0
	s_mul_i32 s1, s33, s1
	v_mov_b32_e32 v2, s0
	s_add_i32 s2, s2, s1
	v_sub_co_u32_e32 v2, vcc, s6, v2
	s_cmp_lg_u64 vcc, 0
	s_subb_u32 s0, s69, s2
	v_subrev_co_u32_e32 v3, vcc, s33, v2
	s_cmp_lg_u64 vcc, 0
	s_subb_u32 s1, s0, 0
	v_subrev_co_u32_e32 v4, vcc, s33, v3
	s_cmp_lg_u64 vcc, 0
	s_subb_u32 s2, s1, 0
	v_cmp_le_u32_e32 vcc, s33, v3
	s_cmp_eq_u32 s1, 0
	v_cndmask_b32_e64 v5, 0, -1, vcc
	s_cselect_b64 vcc, -1, 0
	v_cndmask_b32_e32 v5, -1, v5, vcc
	v_mov_b32_e32 v6, s1
	v_mov_b32_e32 v7, s2
	v_cmp_ne_u32_e32 vcc, 0, v5
	v_cndmask_b32_e32 v5, v6, v7, vcc
	v_cndmask_b32_e32 v4, v3, v4, vcc
	v_cmp_le_u32_e32 vcc, s33, v2
	s_cmp_eq_u32 s0, 0
	v_cndmask_b32_e64 v3, 0, -1, vcc
	s_cselect_b64 vcc, -1, 0
	v_cndmask_b32_e32 v3, -1, v3, vcc
	v_mov_b32_e32 v6, s0
	v_cmp_ne_u32_e32 vcc, 0, v3
	v_cndmask_b32_e32 v3, v6, v5, vcc
	v_cndmask_b32_e32 v2, v2, v4, vcc
	s_cbranch_execnz .LBB111_222
.LBB111_221:                            ;   in Loop: Header=BB111_35 Depth=1
	v_cvt_f32_u32_e32 v2, s33
	s_sub_i32 s0, 0, s33
	v_rcp_iflag_f32_e32 v2, v2
	v_mul_f32_e32 v2, 0x4f7ffffe, v2
	v_cvt_u32_f32_e32 v2, v2
	v_mul_lo_u32 v3, s0, v2
	v_mul_hi_u32 v3, v2, v3
	v_add_u32_e32 v2, v2, v3
	v_readlane_b32 s0, v51, 23
	v_mul_hi_u32 v2, s0, v2
	v_mul_lo_u32 v2, v2, s33
	v_sub_u32_e32 v2, s0, v2
	v_subrev_u32_e32 v3, s33, v2
	v_cmp_le_u32_e32 vcc, s33, v2
	v_cndmask_b32_e32 v2, v2, v3, vcc
	v_subrev_u32_e32 v3, s33, v2
	v_cmp_le_u32_e32 vcc, s33, v2
	v_cndmask_b32_e32 v10, v2, v3, vcc
	v_pk_mov_b32 v[2:3], v[10:11], v[10:11] op_sel:[0,1]
.LBB111_222:                            ;   in Loop: Header=BB111_35 Depth=1
	v_readlane_b32 s0, v51, 23
	v_mov_b32_e32 v4, s69
	v_sub_co_u32_e32 v2, vcc, s0, v2
	v_subb_co_u32_e32 v3, vcc, v4, v3, vcc
	v_cmp_gt_u64_e32 vcc, v[2:3], v[0:1]
	s_mov_b64 s[6:7], 0
                                        ; implicit-def: $vgpr49
	s_and_saveexec_b64 s[0:1], vcc
	s_cbranch_execz .LBB111_231
; %bb.223:                              ;   in Loop: Header=BB111_35 Depth=1
	s_mov_b64 s[2:3], 0
	v_pk_mov_b32 v[4:5], v[12:13], v[12:13] op_sel:[0,1]
	v_pk_mov_b32 v[6:7], v[0:1], v[0:1] op_sel:[0,1]
                                        ; implicit-def: $sgpr26_sgpr27
	s_branch .LBB111_225
.LBB111_224:                            ;   in Loop: Header=BB111_225 Depth=2
	s_or_b64 exec, exec, s[6:7]
	s_waitcnt lgkmcnt(0)
	s_barrier
	s_waitcnt vmcnt(0)
	ds_read_b32 v8, v11 offset:3072
	v_mov_b32_e32 v9, s86
	v_add_co_u32_e64 v6, s[6:7], s33, v6
	v_addc_co_u32_e64 v7, s[6:7], v7, v9, s[6:7]
	s_waitcnt lgkmcnt(0)
	v_cmp_ne_u16_e32 vcc, 0, v8
	v_cmp_ge_u64_e64 s[6:7], v[6:7], v[2:3]
	s_or_b64 s[4:5], s[6:7], vcc
	v_mov_b32_e32 v9, s75
	v_add_co_u32_e64 v4, s[6:7], s74, v4
	s_and_b64 s[4:5], exec, s[4:5]
	v_addc_co_u32_e64 v5, s[6:7], v5, v9, s[6:7]
	s_or_b64 s[2:3], s[4:5], s[2:3]
	s_andn2_b64 s[4:5], s[26:27], exec
	s_and_b64 s[6:7], vcc, exec
	s_or_b64 s[26:27], s[4:5], s[6:7]
	s_barrier
	s_andn2_b64 exec, exec, s[2:3]
	s_cbranch_execz .LBB111_230
.LBB111_225:                            ;   Parent Loop BB111_35 Depth=1
                                        ; =>  This Inner Loop Header: Depth=2
	v_cmp_gt_u64_e32 vcc, s[52:53], v[6:7]
	v_mov_b32_e32 v8, 0
	s_and_saveexec_b64 s[6:7], vcc
	s_cbranch_execz .LBB111_227
; %bb.226:                              ;   in Loop: Header=BB111_225 Depth=2
	global_load_ushort v8, v[4:5], off
.LBB111_227:                            ;   in Loop: Header=BB111_225 Depth=2
	s_or_b64 exec, exec, s[6:7]
	s_and_saveexec_b64 s[6:7], vcc
	s_cbranch_execz .LBB111_224
; %bb.228:                              ;   in Loop: Header=BB111_225 Depth=2
	s_waitcnt vmcnt(0)
	v_add_u32_sdwa v9, sext(v8), s81 dst_sel:DWORD dst_unused:UNUSED_PAD src0_sel:WORD_0 src1_sel:DWORD
	v_and_b32_e32 v9, s60, v9
	v_cmp_eq_u32_e32 vcc, s61, v9
	s_and_b64 exec, exec, vcc
	s_cbranch_execz .LBB111_224
; %bb.229:                              ;   in Loop: Header=BB111_225 Depth=2
	v_perm_b32 v8, v8, 1, v48
	ds_write_b32 v11, v8 offset:3072
	s_branch .LBB111_224
.LBB111_230:                            ;   in Loop: Header=BB111_35 Depth=1
	s_or_b64 exec, exec, s[2:3]
	v_lshrrev_b32_e32 v49, 16, v8
	s_and_b64 s[6:7], s[26:27], exec
.LBB111_231:                            ;   in Loop: Header=BB111_35 Depth=1
	s_or_b64 exec, exec, s[0:1]
	s_mov_b64 s[30:31], -1
	s_mov_b64 s[2:3], 0
	s_mov_b64 s[28:29], 0
.LBB111_232:                            ;   in Loop: Header=BB111_35 Depth=1
	s_mov_b64 s[0:1], 0
                                        ; implicit-def: $sgpr45
	s_and_saveexec_b64 s[34:35], s[6:7]
	s_cbranch_execz .LBB111_294
; %bb.233:                              ;   in Loop: Header=BB111_35 Depth=1
	s_xor_b64 s[0:1], s[36:37], -1
	s_andn2_b64 vcc, exec, s[0:1]
	s_mov_b32 s45, 1
	s_cbranch_vccnz .LBB111_244
; %bb.234:                              ;   in Loop: Header=BB111_35 Depth=1
	v_pk_mov_b32 v[2:3], s[16:17], s[16:17] op_sel:[0,1]
	v_cmp_gt_u64_e32 vcc, s[50:51], v[2:3]
	s_mov_b64 s[0:1], -1
                                        ; implicit-def: $sgpr45
                                        ; implicit-def: $sgpr4
                                        ; implicit-def: $sgpr5
	s_cbranch_vccnz .LBB111_240
; %bb.235:                              ;   in Loop: Header=BB111_35 Depth=1
	ds_read_b64 v[2:3], v11 offset:5120
	s_waitcnt lgkmcnt(0)
	v_cmp_ne_u64_e32 vcc, 0, v[2:3]
	s_cbranch_vccnz .LBB111_239
; %bb.236:                              ;   in Loop: Header=BB111_35 Depth=1
	s_mov_b64 s[0:1], exec
	v_readlane_b32 s4, v51, 8
	v_readlane_b32 s5, v51, 9
	s_and_b64 s[4:5], s[0:1], s[4:5]
	s_mov_b64 exec, s[4:5]
	s_cbranch_execz .LBB111_238
; %bb.237:                              ;   in Loop: Header=BB111_35 Depth=1
	v_pk_mov_b32 v[2:3], s[16:17], s[16:17] op_sel:[0,1]
	ds_write_b64 v11, v[2:3] offset:5128
.LBB111_238:                            ;   in Loop: Header=BB111_35 Depth=1
	s_or_b64 exec, exec, s[0:1]
	s_waitcnt lgkmcnt(0)
	s_barrier
.LBB111_239:                            ;   in Loop: Header=BB111_35 Depth=1
	s_lshl_b32 s0, 2, s38
	s_and_b32 s1, s61, s39
	s_or_b32 s4, s1, s0
	s_or_b32 s5, s60, s44
	s_mov_b64 s[0:1], 0
	s_mov_b32 s45, 8
.LBB111_240:                            ;   in Loop: Header=BB111_35 Depth=1
	s_andn2_b64 vcc, exec, s[0:1]
	s_cbranch_vccnz .LBB111_242
; %bb.241:                              ;   in Loop: Header=BB111_35 Depth=1
	s_sub_u32 s50, s50, s16
	s_subb_u32 s51, s51, s17
	s_mov_b64 s[0:1], -1
	s_mov_b32 s45, 0
	s_mov_b32 s4, s61
	;; [unrolled: 1-line block ×3, first 2 shown]
.LBB111_242:                            ;   in Loop: Header=BB111_35 Depth=1
	s_mov_b32 s60, s5
	s_mov_b32 s61, s4
	s_andn2_b64 vcc, exec, s[0:1]
	s_mov_b64 s[40:41], -1
	s_cbranch_vccz .LBB111_245
.LBB111_243:                            ;   in Loop: Header=BB111_35 Depth=1
                                        ; implicit-def: $sgpr0_sgpr1
                                        ; implicit-def: $sgpr26_sgpr27
                                        ; implicit-def: $sgpr6_sgpr7
	s_branch .LBB111_293
.LBB111_244:                            ;   in Loop: Header=BB111_35 Depth=1
	s_mov_b64 s[50:51], 1
	s_mov_b64 s[40:41], -1
	s_cbranch_execnz .LBB111_243
.LBB111_245:                            ;   in Loop: Header=BB111_35 Depth=1
	s_cmp_eq_u64 s[10:11], 1
	s_cselect_b64 s[0:1], -1, 0
	s_cmp_eq_u64 s[50:51], 1
	s_cselect_b64 s[4:5], -1, 0
	s_and_b64 s[16:17], s[0:1], s[4:5]
	s_mov_b64 s[36:37], -1
	s_and_b64 vcc, exec, s[16:17]
	s_cbranch_vccz .LBB111_260
; %bb.246:                              ;   in Loop: Header=BB111_35 Depth=1
	ds_read_b64 v[2:3], v11 offset:5120
	s_waitcnt lgkmcnt(0)
	s_barrier
	v_readfirstlane_b32 s0, v2
	v_readfirstlane_b32 s1, v3
	s_mov_b64 s[6:7], exec
	v_readlane_b32 s4, v51, 16
	v_readlane_b32 s5, v51, 17
	s_and_b64 s[4:5], s[6:7], s[4:5]
	s_mov_b64 exec, s[4:5]
	s_cbranch_execz .LBB111_248
; %bb.247:                              ;   in Loop: Header=BB111_35 Depth=1
	ds_write_b16 v42, v1
.LBB111_248:                            ;   in Loop: Header=BB111_35 Depth=1
	s_or_b64 exec, exec, s[6:7]
	s_or_b32 s61, s61, s44
	s_or_b32 s60, s60, s44
	s_cmp_eq_u64 s[0:1], 0
	s_waitcnt lgkmcnt(0)
	s_barrier
	s_cbranch_scc1 .LBB111_263
; %bb.249:                              ;   in Loop: Header=BB111_35 Depth=1
	v_readlane_b32 s4, v51, 22
	s_add_u32 s4, s4, s0
	v_readlane_b32 s5, v51, 24
	s_addc_u32 s7, s5, s1
	s_mov_b32 s6, s77
	s_cmp_lg_u64 s[6:7], 0
	s_cbranch_scc0 .LBB111_299
; %bb.250:                              ;   in Loop: Header=BB111_35 Depth=1
	v_cvt_f32_u32_e32 v2, s33
	s_sub_u32 s5, 0, s33
	s_subb_u32 s6, 0, 0
	v_mac_f32_e32 v2, 0, v47
	v_rcp_f32_e32 v2, v2
	v_mul_f32_e32 v2, 0x5f7ffffc, v2
	v_mul_f32_e32 v3, 0x2f800000, v2
	v_trunc_f32_e32 v3, v3
	v_mac_f32_e32 v2, 0xcf800000, v3
	v_cvt_u32_f32_e32 v3, v3
	v_cvt_u32_f32_e32 v2, v2
	v_readfirstlane_b32 s26, v3
	v_readfirstlane_b32 s27, v2
	s_mul_i32 s36, s5, s26
	s_mul_hi_u32 s38, s5, s27
	s_mul_i32 s37, s6, s27
	s_add_i32 s36, s38, s36
	s_mul_i32 s39, s5, s27
	s_add_i32 s36, s36, s37
	s_mul_hi_u32 s38, s27, s39
	s_mul_hi_u32 s37, s27, s36
	s_mul_i32 s27, s27, s36
	s_add_u32 s27, s38, s27
	s_addc_u32 s37, 0, s37
	s_mul_hi_u32 s40, s26, s39
	s_mul_i32 s39, s26, s39
	s_add_u32 s27, s27, s39
	s_mul_hi_u32 s38, s26, s36
	s_addc_u32 s27, s37, s40
	s_addc_u32 s37, s38, 0
	s_mul_i32 s36, s26, s36
	s_add_u32 s27, s27, s36
	s_addc_u32 s36, 0, s37
	v_add_co_u32_e32 v2, vcc, s27, v2
	s_cmp_lg_u64 vcc, 0
	s_addc_u32 s26, s26, s36
	v_readfirstlane_b32 s36, v2
	s_mul_i32 s27, s5, s26
	s_mul_hi_u32 s37, s5, s36
	s_add_i32 s27, s37, s27
	s_mul_i32 s6, s6, s36
	s_add_i32 s27, s27, s6
	s_mul_i32 s5, s5, s36
	s_mul_hi_u32 s37, s26, s5
	s_mul_i32 s38, s26, s5
	s_mul_i32 s40, s36, s27
	s_mul_hi_u32 s5, s36, s5
	s_mul_hi_u32 s39, s36, s27
	s_add_u32 s5, s5, s40
	s_addc_u32 s36, 0, s39
	s_add_u32 s5, s5, s38
	s_mul_hi_u32 s6, s26, s27
	s_addc_u32 s5, s36, s37
	s_addc_u32 s6, s6, 0
	s_mul_i32 s27, s26, s27
	s_add_u32 s5, s5, s27
	s_addc_u32 s6, 0, s6
	v_add_co_u32_e32 v2, vcc, s5, v2
	s_cmp_lg_u64 vcc, 0
	s_addc_u32 s5, s26, s6
	v_readfirstlane_b32 s27, v2
	s_mul_i32 s26, s4, s5
	s_mul_hi_u32 s36, s4, s27
	s_mul_hi_u32 s6, s4, s5
	s_add_u32 s26, s36, s26
	s_addc_u32 s6, 0, s6
	s_mul_hi_u32 s37, s7, s27
	s_mul_i32 s27, s7, s27
	s_add_u32 s26, s26, s27
	s_mul_hi_u32 s36, s7, s5
	s_addc_u32 s6, s6, s37
	s_addc_u32 s26, s36, 0
	s_mul_i32 s5, s7, s5
	s_add_u32 s5, s6, s5
	s_addc_u32 s6, 0, s26
	s_mul_hi_u32 s26, s33, s5
	s_mul_i32 s5, s33, s5
	s_mul_i32 s6, s33, s6
	v_mov_b32_e32 v2, s5
	s_add_i32 s26, s26, s6
	v_sub_co_u32_e32 v2, vcc, s4, v2
	s_cmp_lg_u64 vcc, 0
	s_subb_u32 s5, s7, s26
	v_subrev_co_u32_e32 v3, vcc, s33, v2
	s_cmp_lg_u64 vcc, 0
	s_subb_u32 s6, s5, 0
	v_subrev_co_u32_e32 v4, vcc, s33, v3
	s_cmp_lg_u64 vcc, 0
	s_subb_u32 s26, s6, 0
	v_cmp_le_u32_e32 vcc, s33, v3
	s_cmp_eq_u32 s6, 0
	v_cndmask_b32_e64 v5, 0, -1, vcc
	s_cselect_b64 vcc, -1, 0
	v_cndmask_b32_e32 v5, -1, v5, vcc
	v_mov_b32_e32 v6, s6
	v_mov_b32_e32 v7, s26
	v_cmp_ne_u32_e32 vcc, 0, v5
	v_cndmask_b32_e32 v5, v6, v7, vcc
	v_cndmask_b32_e32 v4, v3, v4, vcc
	v_cmp_le_u32_e32 vcc, s33, v2
	s_cmp_eq_u32 s5, 0
	v_cndmask_b32_e64 v3, 0, -1, vcc
	s_cselect_b64 vcc, -1, 0
	v_cndmask_b32_e32 v3, -1, v3, vcc
	v_mov_b32_e32 v6, s5
	v_cmp_ne_u32_e32 vcc, 0, v3
	v_cndmask_b32_e32 v3, v6, v5, vcc
	v_cndmask_b32_e32 v2, v2, v4, vcc
	s_cbranch_execnz .LBB111_252
.LBB111_251:                            ;   in Loop: Header=BB111_35 Depth=1
	v_cvt_f32_u32_e32 v2, s33
	s_sub_i32 s5, 0, s33
	v_rcp_iflag_f32_e32 v2, v2
	v_mul_f32_e32 v2, 0x4f7ffffe, v2
	v_cvt_u32_f32_e32 v2, v2
	v_mul_lo_u32 v3, s5, v2
	v_mul_hi_u32 v3, v2, v3
	v_add_u32_e32 v2, v2, v3
	v_mul_hi_u32 v2, s4, v2
	v_mul_lo_u32 v2, v2, s33
	v_sub_u32_e32 v2, s4, v2
	v_subrev_u32_e32 v3, s33, v2
	v_cmp_le_u32_e32 vcc, s33, v2
	v_cndmask_b32_e32 v2, v2, v3, vcc
	v_subrev_u32_e32 v3, s33, v2
	v_cmp_le_u32_e32 vcc, s33, v2
	v_cndmask_b32_e32 v10, v2, v3, vcc
	v_pk_mov_b32 v[2:3], v[10:11], v[10:11] op_sel:[0,1]
.LBB111_252:                            ;   in Loop: Header=BB111_35 Depth=1
	v_mov_b32_e32 v4, s7
	v_sub_co_u32_e32 v2, vcc, s4, v2
	v_subb_co_u32_e32 v3, vcc, v4, v3, vcc
	v_cmp_gt_u64_e32 vcc, v[2:3], v[0:1]
	s_mov_b64 s[36:37], 0
                                        ; implicit-def: $vgpr49
	s_and_saveexec_b64 s[26:27], vcc
	s_cbranch_execz .LBB111_265
; %bb.253:                              ;   in Loop: Header=BB111_35 Depth=1
	v_mov_b32_e32 v6, v41
	v_pk_mov_b32 v[4:5], v[0:1], v[0:1] op_sel:[0,1]
                                        ; implicit-def: $sgpr38_sgpr39
	s_branch .LBB111_255
.LBB111_254:                            ;   in Loop: Header=BB111_255 Depth=2
	s_or_b64 exec, exec, s[6:7]
	s_waitcnt lgkmcnt(0)
	s_barrier
	ds_read_b32 v7, v11 offset:3072
	v_mov_b32_e32 v8, s86
	v_add_co_u32_e64 v4, s[6:7], s33, v4
	v_addc_co_u32_e64 v5, s[6:7], v5, v8, s[6:7]
	s_waitcnt lgkmcnt(0)
	v_cmp_ne_u16_e32 vcc, 0, v7
	v_cmp_ge_u64_e64 s[6:7], v[4:5], v[2:3]
	s_or_b64 s[4:5], s[6:7], vcc
	s_and_b64 s[4:5], exec, s[4:5]
	s_or_b64 s[36:37], s[4:5], s[36:37]
	s_andn2_b64 s[4:5], s[38:39], exec
	s_and_b64 s[6:7], vcc, exec
	v_add_u32_e32 v6, s80, v6
	s_or_b64 s[38:39], s[4:5], s[6:7]
	s_barrier
	s_andn2_b64 exec, exec, s[36:37]
	s_cbranch_execz .LBB111_264
.LBB111_255:                            ;   Parent Loop BB111_35 Depth=1
                                        ; =>  This Inner Loop Header: Depth=2
	v_cmp_gt_u64_e32 vcc, s[0:1], v[4:5]
	v_mov_b32_e32 v7, 0
	s_and_saveexec_b64 s[6:7], vcc
	s_cbranch_execz .LBB111_257
; %bb.256:                              ;   in Loop: Header=BB111_255 Depth=2
	ds_read_u16 v7, v6
.LBB111_257:                            ;   in Loop: Header=BB111_255 Depth=2
	s_or_b64 exec, exec, s[6:7]
	s_and_saveexec_b64 s[6:7], vcc
	s_cbranch_execz .LBB111_254
; %bb.258:                              ;   in Loop: Header=BB111_255 Depth=2
	s_waitcnt lgkmcnt(0)
	v_add_u32_sdwa v8, sext(v7), s81 dst_sel:DWORD dst_unused:UNUSED_PAD src0_sel:WORD_0 src1_sel:DWORD
	v_and_b32_e32 v8, s60, v8
	v_cmp_eq_u32_e32 vcc, s61, v8
	s_and_b64 exec, exec, vcc
	s_cbranch_execz .LBB111_254
; %bb.259:                              ;   in Loop: Header=BB111_255 Depth=2
	v_perm_b32 v7, v7, 1, v48
	ds_write_b32 v11, v7 offset:3072
	s_branch .LBB111_254
.LBB111_260:                            ;   in Loop: Header=BB111_35 Depth=1
                                        ; implicit-def: $sgpr0_sgpr1
                                        ; implicit-def: $sgpr26_sgpr27
                                        ; implicit-def: $sgpr6_sgpr7
	s_branch .LBB111_279
.LBB111_261:                            ;   in Loop: Header=BB111_35 Depth=1
                                        ; implicit-def: $vgpr2_vgpr3
	s_andn2_b64 vcc, exec, s[6:7]
	s_cbranch_vccz .LBB111_204
	s_branch .LBB111_205
.LBB111_262:                            ;   in Loop: Header=BB111_35 Depth=1
                                        ; implicit-def: $vgpr2_vgpr3
	s_branch .LBB111_221
.LBB111_263:                            ;   in Loop: Header=BB111_35 Depth=1
	s_mov_b64 s[0:1], -1
	s_mov_b64 s[36:37], 0
                                        ; implicit-def: $sgpr6_sgpr7
                                        ; implicit-def: $vgpr49
	s_mov_b64 s[26:27], s[0:1]
	s_cbranch_execnz .LBB111_266
	s_branch .LBB111_279
.LBB111_264:                            ;   in Loop: Header=BB111_35 Depth=1
	s_or_b64 exec, exec, s[36:37]
	v_lshrrev_b32_e32 v49, 16, v7
	s_and_b64 s[36:37], s[38:39], exec
.LBB111_265:                            ;   in Loop: Header=BB111_35 Depth=1
	s_or_b64 exec, exec, s[26:27]
	s_mov_b64 s[6:7], -1
	s_mov_b64 s[0:1], 0
	s_mov_b64 s[26:27], s[0:1]
	s_branch .LBB111_279
.LBB111_266:                            ;   in Loop: Header=BB111_35 Depth=1
	s_mov_b32 s68, s77
	s_cmp_lg_u64 s[68:69], 0
	s_cbranch_scc0 .LBB111_300
; %bb.267:                              ;   in Loop: Header=BB111_35 Depth=1
	v_cvt_f32_u32_e32 v2, s33
	s_sub_u32 s0, 0, s33
	s_subb_u32 s1, 0, 0
	v_mac_f32_e32 v2, 0, v47
	v_rcp_f32_e32 v2, v2
	v_mul_f32_e32 v2, 0x5f7ffffc, v2
	v_mul_f32_e32 v3, 0x2f800000, v2
	v_trunc_f32_e32 v3, v3
	v_mac_f32_e32 v2, 0xcf800000, v3
	v_cvt_u32_f32_e32 v3, v3
	v_cvt_u32_f32_e32 v2, v2
	v_readfirstlane_b32 s4, v3
	v_readfirstlane_b32 s5, v2
	s_mul_i32 s6, s0, s4
	s_mul_hi_u32 s26, s0, s5
	s_mul_i32 s7, s1, s5
	s_add_i32 s6, s26, s6
	s_mul_i32 s27, s0, s5
	s_add_i32 s6, s6, s7
	s_mul_hi_u32 s26, s5, s27
	s_mul_hi_u32 s7, s5, s6
	s_mul_i32 s5, s5, s6
	s_add_u32 s5, s26, s5
	s_addc_u32 s7, 0, s7
	s_mul_hi_u32 s36, s4, s27
	s_mul_i32 s27, s4, s27
	s_add_u32 s5, s5, s27
	s_mul_hi_u32 s26, s4, s6
	s_addc_u32 s5, s7, s36
	s_addc_u32 s7, s26, 0
	s_mul_i32 s6, s4, s6
	s_add_u32 s5, s5, s6
	s_addc_u32 s6, 0, s7
	v_add_co_u32_e32 v2, vcc, s5, v2
	s_cmp_lg_u64 vcc, 0
	s_addc_u32 s4, s4, s6
	v_readfirstlane_b32 s6, v2
	s_mul_i32 s5, s0, s4
	s_mul_hi_u32 s7, s0, s6
	s_add_i32 s5, s7, s5
	s_mul_i32 s1, s1, s6
	s_add_i32 s5, s5, s1
	s_mul_i32 s0, s0, s6
	s_mul_hi_u32 s7, s4, s0
	s_mul_i32 s26, s4, s0
	s_mul_i32 s36, s6, s5
	s_mul_hi_u32 s0, s6, s0
	s_mul_hi_u32 s27, s6, s5
	s_add_u32 s0, s0, s36
	s_addc_u32 s6, 0, s27
	s_add_u32 s0, s0, s26
	s_mul_hi_u32 s1, s4, s5
	s_addc_u32 s0, s6, s7
	s_addc_u32 s1, s1, 0
	s_mul_i32 s5, s4, s5
	s_add_u32 s0, s0, s5
	s_addc_u32 s1, 0, s1
	v_add_co_u32_e32 v2, vcc, s0, v2
	s_cmp_lg_u64 vcc, 0
	s_addc_u32 s0, s4, s1
	v_readlane_b32 s26, v51, 23
	v_readfirstlane_b32 s5, v2
	s_mul_i32 s4, s26, s0
	s_mul_hi_u32 s6, s26, s5
	s_mul_hi_u32 s1, s26, s0
	s_add_u32 s4, s6, s4
	s_addc_u32 s1, 0, s1
	s_mul_hi_u32 s7, s69, s5
	s_mul_i32 s5, s69, s5
	s_add_u32 s4, s4, s5
	s_mul_hi_u32 s6, s69, s0
	s_addc_u32 s1, s1, s7
	s_addc_u32 s4, s6, 0
	s_mul_i32 s0, s69, s0
	s_add_u32 s0, s1, s0
	s_addc_u32 s1, 0, s4
	s_mul_hi_u32 s4, s33, s0
	s_mul_i32 s0, s33, s0
	s_mul_i32 s1, s33, s1
	v_mov_b32_e32 v2, s0
	s_add_i32 s4, s4, s1
	v_sub_co_u32_e32 v2, vcc, s26, v2
	s_cmp_lg_u64 vcc, 0
	s_subb_u32 s0, s69, s4
	v_subrev_co_u32_e32 v3, vcc, s33, v2
	s_cmp_lg_u64 vcc, 0
	s_subb_u32 s1, s0, 0
	v_subrev_co_u32_e32 v4, vcc, s33, v3
	s_cmp_lg_u64 vcc, 0
	s_subb_u32 s4, s1, 0
	v_cmp_le_u32_e32 vcc, s33, v3
	s_cmp_eq_u32 s1, 0
	v_cndmask_b32_e64 v5, 0, -1, vcc
	s_cselect_b64 vcc, -1, 0
	v_cndmask_b32_e32 v5, -1, v5, vcc
	v_mov_b32_e32 v6, s1
	v_mov_b32_e32 v7, s4
	v_cmp_ne_u32_e32 vcc, 0, v5
	v_cndmask_b32_e32 v5, v6, v7, vcc
	v_cndmask_b32_e32 v4, v3, v4, vcc
	v_cmp_le_u32_e32 vcc, s33, v2
	s_cmp_eq_u32 s0, 0
	v_cndmask_b32_e64 v3, 0, -1, vcc
	s_cselect_b64 vcc, -1, 0
	v_cndmask_b32_e32 v3, -1, v3, vcc
	v_mov_b32_e32 v6, s0
	v_cmp_ne_u32_e32 vcc, 0, v3
	v_cndmask_b32_e32 v3, v6, v5, vcc
	v_cndmask_b32_e32 v2, v2, v4, vcc
	s_cbranch_execnz .LBB111_269
.LBB111_268:                            ;   in Loop: Header=BB111_35 Depth=1
	v_cvt_f32_u32_e32 v2, s33
	s_sub_i32 s0, 0, s33
	v_rcp_iflag_f32_e32 v2, v2
	v_mul_f32_e32 v2, 0x4f7ffffe, v2
	v_cvt_u32_f32_e32 v2, v2
	v_mul_lo_u32 v3, s0, v2
	v_mul_hi_u32 v3, v2, v3
	v_add_u32_e32 v2, v2, v3
	v_readlane_b32 s0, v51, 23
	v_mul_hi_u32 v2, s0, v2
	v_mul_lo_u32 v2, v2, s33
	v_sub_u32_e32 v2, s0, v2
	v_subrev_u32_e32 v3, s33, v2
	v_cmp_le_u32_e32 vcc, s33, v2
	v_cndmask_b32_e32 v2, v2, v3, vcc
	v_subrev_u32_e32 v3, s33, v2
	v_cmp_le_u32_e32 vcc, s33, v2
	v_cndmask_b32_e32 v10, v2, v3, vcc
	v_pk_mov_b32 v[2:3], v[10:11], v[10:11] op_sel:[0,1]
.LBB111_269:                            ;   in Loop: Header=BB111_35 Depth=1
	v_readlane_b32 s0, v51, 23
	v_mov_b32_e32 v4, s69
	v_sub_co_u32_e32 v2, vcc, s0, v2
	v_subb_co_u32_e32 v3, vcc, v4, v3, vcc
	v_cmp_gt_u64_e32 vcc, v[2:3], v[0:1]
	s_mov_b64 s[36:37], 0
                                        ; implicit-def: $vgpr49
	s_and_saveexec_b64 s[0:1], vcc
	s_cbranch_execz .LBB111_278
; %bb.270:                              ;   in Loop: Header=BB111_35 Depth=1
	s_mov_b64 s[26:27], 0
	v_pk_mov_b32 v[4:5], v[12:13], v[12:13] op_sel:[0,1]
	v_pk_mov_b32 v[6:7], v[0:1], v[0:1] op_sel:[0,1]
                                        ; implicit-def: $sgpr36_sgpr37
	s_branch .LBB111_272
.LBB111_271:                            ;   in Loop: Header=BB111_272 Depth=2
	s_or_b64 exec, exec, s[6:7]
	s_waitcnt lgkmcnt(0)
	s_barrier
	s_waitcnt vmcnt(0)
	ds_read_b32 v8, v11 offset:3072
	v_mov_b32_e32 v9, s86
	v_add_co_u32_e64 v6, s[6:7], s33, v6
	v_addc_co_u32_e64 v7, s[6:7], v7, v9, s[6:7]
	s_waitcnt lgkmcnt(0)
	v_cmp_ne_u16_e32 vcc, 0, v8
	v_cmp_ge_u64_e64 s[6:7], v[6:7], v[2:3]
	s_or_b64 s[4:5], s[6:7], vcc
	v_mov_b32_e32 v9, s75
	v_add_co_u32_e64 v4, s[6:7], s74, v4
	s_and_b64 s[4:5], exec, s[4:5]
	v_addc_co_u32_e64 v5, s[6:7], v5, v9, s[6:7]
	s_or_b64 s[26:27], s[4:5], s[26:27]
	s_andn2_b64 s[4:5], s[36:37], exec
	s_and_b64 s[6:7], vcc, exec
	s_or_b64 s[36:37], s[4:5], s[6:7]
	s_barrier
	s_andn2_b64 exec, exec, s[26:27]
	s_cbranch_execz .LBB111_277
.LBB111_272:                            ;   Parent Loop BB111_35 Depth=1
                                        ; =>  This Inner Loop Header: Depth=2
	v_cmp_gt_u64_e32 vcc, s[52:53], v[6:7]
	v_mov_b32_e32 v8, 0
	s_and_saveexec_b64 s[6:7], vcc
	s_cbranch_execz .LBB111_274
; %bb.273:                              ;   in Loop: Header=BB111_272 Depth=2
	global_load_ushort v8, v[4:5], off
.LBB111_274:                            ;   in Loop: Header=BB111_272 Depth=2
	s_or_b64 exec, exec, s[6:7]
	s_and_saveexec_b64 s[6:7], vcc
	s_cbranch_execz .LBB111_271
; %bb.275:                              ;   in Loop: Header=BB111_272 Depth=2
	s_waitcnt vmcnt(0)
	v_add_u32_sdwa v9, sext(v8), s81 dst_sel:DWORD dst_unused:UNUSED_PAD src0_sel:WORD_0 src1_sel:DWORD
	v_and_b32_e32 v9, s60, v9
	v_cmp_eq_u32_e32 vcc, s61, v9
	s_and_b64 exec, exec, vcc
	s_cbranch_execz .LBB111_271
; %bb.276:                              ;   in Loop: Header=BB111_272 Depth=2
	v_perm_b32 v8, v8, 1, v48
	ds_write_b32 v11, v8 offset:3072
	s_branch .LBB111_271
.LBB111_277:                            ;   in Loop: Header=BB111_35 Depth=1
	s_or_b64 exec, exec, s[26:27]
	v_lshrrev_b32_e32 v49, 16, v8
	s_and_b64 s[36:37], s[36:37], exec
.LBB111_278:                            ;   in Loop: Header=BB111_35 Depth=1
	s_or_b64 exec, exec, s[0:1]
	s_mov_b64 s[26:27], -1
	s_mov_b64 s[0:1], 0
	s_mov_b64 s[6:7], 0
.LBB111_279:                            ;   in Loop: Header=BB111_35 Depth=1
	s_mov_b64 s[40:41], 0
                                        ; implicit-def: $sgpr45
                                        ; implicit-def: $sgpr42_sgpr43
	s_and_saveexec_b64 s[38:39], s[36:37]
	s_cbranch_execz .LBB111_292
; %bb.280:                              ;   in Loop: Header=BB111_35 Depth=1
	s_xor_b64 s[4:5], s[16:17], -1
	s_mov_b64 s[42:43], 1
	s_andn2_b64 vcc, exec, s[4:5]
	s_mov_b32 s45, 1
	s_cbranch_vccnz .LBB111_291
; %bb.281:                              ;   in Loop: Header=BB111_35 Depth=1
	v_pk_mov_b32 v[2:3], s[10:11], s[10:11] op_sel:[0,1]
	v_cmp_gt_u64_e32 vcc, s[50:51], v[2:3]
	s_cbranch_vccnz .LBB111_287
; %bb.282:                              ;   in Loop: Header=BB111_35 Depth=1
	ds_read_b64 v[2:3], v11 offset:5120
	s_waitcnt lgkmcnt(0)
	v_cmp_ne_u64_e32 vcc, 0, v[2:3]
	s_cbranch_vccnz .LBB111_286
; %bb.283:                              ;   in Loop: Header=BB111_35 Depth=1
	s_mov_b64 s[16:17], exec
	v_readlane_b32 s4, v51, 8
	v_readlane_b32 s5, v51, 9
	s_and_b64 s[4:5], s[16:17], s[4:5]
	s_mov_b64 exec, s[4:5]
	s_cbranch_execz .LBB111_285
; %bb.284:                              ;   in Loop: Header=BB111_35 Depth=1
	v_pk_mov_b32 v[2:3], s[10:11], s[10:11] op_sel:[0,1]
	ds_write_b64 v11, v[2:3] offset:5128
.LBB111_285:                            ;   in Loop: Header=BB111_35 Depth=1
	s_or_b64 exec, exec, s[16:17]
	s_waitcnt lgkmcnt(0)
	s_barrier
.LBB111_286:                            ;   in Loop: Header=BB111_35 Depth=1
	s_or_b32 s4, s61, s44
	s_or_b32 s5, s60, s44
	s_mov_b64 s[16:17], 0
	s_mov_b32 s45, 8
	s_branch .LBB111_288
.LBB111_287:                            ;   in Loop: Header=BB111_35 Depth=1
	s_mov_b64 s[16:17], -1
                                        ; implicit-def: $sgpr45
                                        ; implicit-def: $sgpr4
                                        ; implicit-def: $sgpr5
.LBB111_288:                            ;   in Loop: Header=BB111_35 Depth=1
	s_andn2_b64 vcc, exec, s[16:17]
	s_cbranch_vccnz .LBB111_290
; %bb.289:                              ;   in Loop: Header=BB111_35 Depth=1
	s_sub_u32 s50, s50, s10
	s_subb_u32 s51, s51, s11
	s_mov_b32 s45, 8
	s_mov_b32 s4, s61
	;; [unrolled: 1-line block ×3, first 2 shown]
.LBB111_290:                            ;   in Loop: Header=BB111_35 Depth=1
	s_mov_b64 s[42:43], s[50:51]
	s_mov_b32 s61, s4
	s_mov_b32 s60, s5
.LBB111_291:                            ;   in Loop: Header=BB111_35 Depth=1
	s_mov_b64 s[40:41], exec
.LBB111_292:                            ;   in Loop: Header=BB111_35 Depth=1
	s_or_b64 exec, exec, s[38:39]
	s_mov_b64 s[50:51], s[42:43]
.LBB111_293:                            ;   in Loop: Header=BB111_35 Depth=1
	s_andn2_b64 s[2:3], s[2:3], exec
	s_and_b64 s[0:1], s[0:1], exec
	s_or_b64 s[2:3], s[2:3], s[0:1]
	s_andn2_b64 s[0:1], s[30:31], exec
	s_and_b64 s[4:5], s[26:27], exec
	s_or_b64 s[30:31], s[0:1], s[4:5]
	;; [unrolled: 3-line block ×3, first 2 shown]
	s_and_b64 s[0:1], s[40:41], exec
.LBB111_294:                            ;   in Loop: Header=BB111_35 Depth=1
	s_or_b64 exec, exec, s[34:35]
.LBB111_295:                            ;   in Loop: Header=BB111_35 Depth=1
	s_andn2_b64 s[4:5], s[20:21], exec
	s_and_b64 s[2:3], s[2:3], exec
	s_or_b64 s[20:21], s[4:5], s[2:3]
	s_andn2_b64 s[2:3], s[22:23], exec
	s_and_b64 s[4:5], s[30:31], exec
	s_or_b64 s[22:23], s[2:3], s[4:5]
	;; [unrolled: 3-line block ×3, first 2 shown]
	s_and_b64 s[0:1], s[0:1], exec
.LBB111_296:                            ;   in Loop: Header=BB111_35 Depth=1
	s_or_b64 exec, exec, s[24:25]
	s_and_saveexec_b64 s[2:3], s[0:1]
	s_xor_b64 s[0:1], exec, s[2:3]
	s_cbranch_execz .LBB111_33
.LBB111_297:                            ;   in Loop: Header=BB111_35 Depth=1
	s_and_b32 s2, s45, -9
	s_cmp_eq_u32 s2, 0
	s_cbranch_scc1 .LBB111_31
; %bb.298:                              ;   in Loop: Header=BB111_35 Depth=1
	s_mov_b64 s[2:3], -1
                                        ; implicit-def: $sgpr60
                                        ; implicit-def: $sgpr50_sgpr51
                                        ; implicit-def: $sgpr78
                                        ; implicit-def: $sgpr85
	s_mov_b64 s[6:7], -1
	s_branch .LBB111_32
.LBB111_299:                            ;   in Loop: Header=BB111_35 Depth=1
                                        ; implicit-def: $vgpr2_vgpr3
	s_branch .LBB111_251
.LBB111_300:                            ;   in Loop: Header=BB111_35 Depth=1
                                        ; implicit-def: $vgpr2_vgpr3
	s_branch .LBB111_268
.LBB111_301:
	s_or_b64 exec, exec, s[66:67]
	s_xor_b64 s[6:7], s[88:89], -1
	s_xor_b64 s[0:1], s[62:63], -1
	;; [unrolled: 1-line block ×3, first 2 shown]
	s_mov_b64 s[2:3], 0
	s_and_saveexec_b64 s[8:9], s[0:1]
	s_xor_b64 s[0:1], exec, s[8:9]
	s_cbranch_execnz .LBB111_306
; %bb.302:
	s_andn2_saveexec_b64 s[0:1], s[0:1]
	s_cbranch_execnz .LBB111_319
.LBB111_303:
	s_or_b64 exec, exec, s[0:1]
	s_and_saveexec_b64 s[0:1], s[2:3]
.LBB111_304:
	; divergent unreachable
.LBB111_305:
	s_endpgm
.LBB111_306:
	s_and_saveexec_b64 s[2:3], s[6:7]
	s_xor_b64 s[2:3], exec, s[2:3]
	s_cbranch_execz .LBB111_317
; %bb.307:
	s_and_saveexec_b64 s[6:7], s[4:5]
	s_xor_b64 s[4:5], exec, s[6:7]
; %bb.308:
	v_xor_b32_e32 v49, 0xffff8000, v2
; %bb.309:
	s_or_b64 exec, exec, s[4:5]
	v_readlane_b32 s6, v51, 2
	v_readlane_b32 s7, v51, 3
	;; [unrolled: 1-line block ×4, first 2 shown]
	s_mul_i32 s4, s8, s7
	s_mul_hi_u32 s5, s8, s6
	s_add_i32 s4, s5, s4
	s_mul_i32 s5, s9, s6
	s_add_i32 s5, s4, s5
	s_mul_i32 s4, s8, s6
	s_lshl_b64 s[4:5], s[4:5], 1
	v_readlane_b32 s6, v51, 10
	v_readlane_b32 s7, v51, 11
	s_add_u32 s6, s6, s4
	s_addc_u32 s7, s7, s5
	v_readlane_b32 s4, v51, 0
	v_readlane_b32 s5, v51, 1
	s_lshl_b64 s[4:5], s[4:5], 1
	s_add_u32 s4, s6, s4
	s_addc_u32 s5, s7, s5
	v_mov_b32_e32 v2, 0
	s_nop 0
	global_store_short v2, v49, s[4:5]
	s_mov_b64 s[4:5], exec
	v_readlane_b32 s6, v51, 14
	v_readlane_b32 s7, v51, 15
	s_and_b64 s[6:7], s[4:5], s[6:7]
	s_mov_b64 exec, s[6:7]
	s_cbranch_execz .LBB111_316
; %bb.310:
	s_mov_b64 s[6:7], 0
                                        ; implicit-def: $sgpr8_sgpr9
                                        ; implicit-def: $sgpr12_sgpr13
                                        ; implicit-def: $sgpr10_sgpr11
	s_branch .LBB111_312
.LBB111_311:                            ;   in Loop: Header=BB111_312 Depth=1
	s_or_b64 exec, exec, s[14:15]
	s_and_b64 s[14:15], exec, s[12:13]
	s_or_b64 s[6:7], s[14:15], s[6:7]
	s_andn2_b64 s[8:9], s[8:9], exec
	s_and_b64 s[14:15], s[10:11], exec
	s_or_b64 s[8:9], s[8:9], s[14:15]
	s_andn2_b64 exec, exec, s[6:7]
	s_cbranch_execz .LBB111_314
.LBB111_312:                            ; =>This Inner Loop Header: Depth=1
	global_load_ushort v4, v[12:13], off
	v_pk_mov_b32 v[2:3], v[0:1], v[0:1] op_sel:[0,1]
	s_or_b64 s[10:11], s[10:11], exec
	s_or_b64 s[12:13], s[12:13], exec
                                        ; implicit-def: $vgpr0_vgpr1
	s_waitcnt vmcnt(0)
	v_cmp_ne_u16_e32 vcc, v4, v49
	s_and_saveexec_b64 s[14:15], vcc
	s_cbranch_execz .LBB111_311
; %bb.313:                              ;   in Loop: Header=BB111_312 Depth=1
	v_mov_b32_e32 v1, s86
	v_add_co_u32_e32 v0, vcc, s33, v2
	v_addc_co_u32_e32 v1, vcc, v3, v1, vcc
	v_mov_b32_e32 v4, s75
	v_add_co_u32_e32 v12, vcc, s74, v12
	v_addc_co_u32_e32 v13, vcc, v13, v4, vcc
	v_cmp_le_u64_e32 vcc, s[52:53], v[0:1]
	s_andn2_b64 s[12:13], s[12:13], exec
	s_and_b64 s[16:17], vcc, exec
	s_andn2_b64 s[10:11], s[10:11], exec
	s_or_b64 s[12:13], s[12:13], s[16:17]
	s_branch .LBB111_311
.LBB111_314:
	s_or_b64 exec, exec, s[6:7]
	s_and_saveexec_b64 s[6:7], s[8:9]
	s_xor_b64 s[6:7], exec, s[6:7]
	s_cbranch_execz .LBB111_316
; %bb.315:
	v_readlane_b32 s8, v51, 6
	v_readlane_b32 s9, v51, 7
	s_mul_i32 s6, s8, s65
	s_mul_hi_u32 s7, s8, s64
	s_add_i32 s6, s7, s6
	s_mul_i32 s7, s9, s64
	s_add_i32 s7, s6, s7
	s_mul_i32 s6, s8, s64
	s_lshl_b64 s[6:7], s[6:7], 3
	v_readlane_b32 s8, v51, 12
	v_readlane_b32 s9, v51, 13
	s_add_u32 s8, s8, s6
	s_addc_u32 s9, s9, s7
	s_lshl_b64 s[6:7], s[58:59], 3
	s_add_u32 s6, s8, s6
	s_addc_u32 s7, s9, s7
	v_mov_b32_e32 v0, 0
	global_store_dwordx2 v0, v[2:3], s[6:7]
.LBB111_316:
	s_or_b64 exec, exec, s[4:5]
.LBB111_317:
	s_or_saveexec_b64 s[2:3], s[2:3]
	s_mov_b64 s[4:5], 0
	s_xor_b64 exec, exec, s[2:3]
	s_cbranch_execnz .LBB111_320
.LBB111_318:
	s_or_b64 exec, exec, s[2:3]
	s_and_b64 s[2:3], s[4:5], exec
	s_andn2_saveexec_b64 s[0:1], s[0:1]
	s_cbranch_execz .LBB111_303
.LBB111_319:
	s_or_b64 s[2:3], s[2:3], exec
	s_trap 2
	s_or_b64 exec, exec, s[0:1]
	s_and_saveexec_b64 s[0:1], s[2:3]
	s_cbranch_execnz .LBB111_304
	s_branch .LBB111_305
.LBB111_320:
	s_mov_b64 s[4:5], exec
	s_trap 2
	s_branch .LBB111_318
	.section	.rodata,"a",@progbits
	.p2align	6, 0x0
	.amdhsa_kernel _ZN2at6native12_GLOBAL__N_112gatherMedianIsmLin1EEEvNS_4cuda6detail10TensorInfoIT_T0_EENS5_IlS7_EENS5_IKS6_S7_EES7_S7_S7_b
		.amdhsa_group_segment_fixed_size 5152
		.amdhsa_private_segment_fixed_size 0
		.amdhsa_kernarg_size 1536
		.amdhsa_user_sgpr_count 6
		.amdhsa_user_sgpr_private_segment_buffer 1
		.amdhsa_user_sgpr_dispatch_ptr 0
		.amdhsa_user_sgpr_queue_ptr 0
		.amdhsa_user_sgpr_kernarg_segment_ptr 1
		.amdhsa_user_sgpr_dispatch_id 0
		.amdhsa_user_sgpr_flat_scratch_init 0
		.amdhsa_user_sgpr_kernarg_preload_length 0
		.amdhsa_user_sgpr_kernarg_preload_offset 0
		.amdhsa_user_sgpr_private_segment_size 0
		.amdhsa_uses_dynamic_stack 0
		.amdhsa_system_sgpr_private_segment_wavefront_offset 0
		.amdhsa_system_sgpr_workgroup_id_x 1
		.amdhsa_system_sgpr_workgroup_id_y 1
		.amdhsa_system_sgpr_workgroup_id_z 1
		.amdhsa_system_sgpr_workgroup_info 0
		.amdhsa_system_vgpr_workitem_id 0
		.amdhsa_next_free_vgpr 52
		.amdhsa_next_free_sgpr 96
		.amdhsa_accum_offset 52
		.amdhsa_reserve_vcc 1
		.amdhsa_reserve_flat_scratch 0
		.amdhsa_float_round_mode_32 0
		.amdhsa_float_round_mode_16_64 0
		.amdhsa_float_denorm_mode_32 3
		.amdhsa_float_denorm_mode_16_64 3
		.amdhsa_dx10_clamp 1
		.amdhsa_ieee_mode 1
		.amdhsa_fp16_overflow 0
		.amdhsa_tg_split 0
		.amdhsa_exception_fp_ieee_invalid_op 0
		.amdhsa_exception_fp_denorm_src 0
		.amdhsa_exception_fp_ieee_div_zero 0
		.amdhsa_exception_fp_ieee_overflow 0
		.amdhsa_exception_fp_ieee_underflow 0
		.amdhsa_exception_fp_ieee_inexact 0
		.amdhsa_exception_int_div_zero 0
	.end_amdhsa_kernel
	.section	.text._ZN2at6native12_GLOBAL__N_112gatherMedianIsmLin1EEEvNS_4cuda6detail10TensorInfoIT_T0_EENS5_IlS7_EENS5_IKS6_S7_EES7_S7_S7_b,"axG",@progbits,_ZN2at6native12_GLOBAL__N_112gatherMedianIsmLin1EEEvNS_4cuda6detail10TensorInfoIT_T0_EENS5_IlS7_EENS5_IKS6_S7_EES7_S7_S7_b,comdat
.Lfunc_end111:
	.size	_ZN2at6native12_GLOBAL__N_112gatherMedianIsmLin1EEEvNS_4cuda6detail10TensorInfoIT_T0_EENS5_IlS7_EENS5_IKS6_S7_EES7_S7_S7_b, .Lfunc_end111-_ZN2at6native12_GLOBAL__N_112gatherMedianIsmLin1EEEvNS_4cuda6detail10TensorInfoIT_T0_EENS5_IlS7_EENS5_IKS6_S7_EES7_S7_S7_b
                                        ; -- End function
	.section	.AMDGPU.csdata,"",@progbits
; Kernel info:
; codeLenInByte = 18356
; NumSgprs: 100
; NumVgprs: 52
; NumAgprs: 0
; TotalNumVgprs: 52
; ScratchSize: 0
; MemoryBound: 0
; FloatMode: 240
; IeeeMode: 1
; LDSByteSize: 5152 bytes/workgroup (compile time only)
; SGPRBlocks: 12
; VGPRBlocks: 6
; NumSGPRsForWavesPerEU: 100
; NumVGPRsForWavesPerEU: 52
; AccumOffset: 52
; Occupancy: 8
; WaveLimiterHint : 1
; COMPUTE_PGM_RSRC2:SCRATCH_EN: 0
; COMPUTE_PGM_RSRC2:USER_SGPR: 6
; COMPUTE_PGM_RSRC2:TRAP_HANDLER: 0
; COMPUTE_PGM_RSRC2:TGID_X_EN: 1
; COMPUTE_PGM_RSRC2:TGID_Y_EN: 1
; COMPUTE_PGM_RSRC2:TGID_Z_EN: 1
; COMPUTE_PGM_RSRC2:TIDIG_COMP_CNT: 0
; COMPUTE_PGM_RSRC3_GFX90A:ACCUM_OFFSET: 12
; COMPUTE_PGM_RSRC3_GFX90A:TG_SPLIT: 0
	.section	.text._ZN2at6native12_GLOBAL__N_112gatherMedianIdjLi1EEEvNS_4cuda6detail10TensorInfoIT_T0_EENS5_IlS7_EENS5_IKS6_S7_EES7_S7_S7_b,"axG",@progbits,_ZN2at6native12_GLOBAL__N_112gatherMedianIdjLi1EEEvNS_4cuda6detail10TensorInfoIT_T0_EENS5_IlS7_EENS5_IKS6_S7_EES7_S7_S7_b,comdat
	.globl	_ZN2at6native12_GLOBAL__N_112gatherMedianIdjLi1EEEvNS_4cuda6detail10TensorInfoIT_T0_EENS5_IlS7_EENS5_IKS6_S7_EES7_S7_S7_b ; -- Begin function _ZN2at6native12_GLOBAL__N_112gatherMedianIdjLi1EEEvNS_4cuda6detail10TensorInfoIT_T0_EENS5_IlS7_EENS5_IKS6_S7_EES7_S7_S7_b
	.p2align	8
	.type	_ZN2at6native12_GLOBAL__N_112gatherMedianIdjLi1EEEvNS_4cuda6detail10TensorInfoIT_T0_EENS5_IlS7_EENS5_IKS6_S7_EES7_S7_S7_b,@function
_ZN2at6native12_GLOBAL__N_112gatherMedianIdjLi1EEEvNS_4cuda6detail10TensorInfoIT_T0_EENS5_IlS7_EENS5_IKS6_S7_EES7_S7_S7_b: ; @_ZN2at6native12_GLOBAL__N_112gatherMedianIdjLi1EEEvNS_4cuda6detail10TensorInfoIT_T0_EENS5_IlS7_EENS5_IKS6_S7_EES7_S7_S7_b
; %bb.0:
	s_load_dwordx2 s[12:13], s[4:5], 0x298
	s_load_dwordx4 s[56:59], s[4:5], 0x288
	s_add_u32 s10, s4, 0x298
	s_addc_u32 s11, s5, 0
	s_waitcnt lgkmcnt(0)
	s_mul_i32 s0, s13, s8
	s_add_i32 s0, s0, s7
	s_mul_i32 s0, s0, s12
	s_add_i32 s7, s0, s6
	s_cmp_ge_u32 s7, s57
	s_cbranch_scc1 .LBB112_262
; %bb.1:
	s_load_dword s2, s[4:5], 0x21c
	s_load_dwordx2 s[0:1], s[4:5], 0x1b0
	s_load_dwordx2 s[8:9], s[4:5], 0xd8
                                        ; implicit-def: $vgpr54 : SGPR spill to VGPR lane
	s_mov_b32 s3, 0
	v_mov_b32_e32 v2, 0
	s_waitcnt lgkmcnt(0)
	s_mul_i32 s2, s2, s7
	s_lshl_b64 s[2:3], s[2:3], 3
	v_writelane_b32 v54, s8, 0
	v_writelane_b32 v54, s9, 1
	s_load_dwordx2 s[8:9], s[4:5], 0x0
	s_add_u32 s57, s0, s2
	s_addc_u32 s33, s1, s3
	v_mul_lo_u32 v16, v0, s58
	v_cmp_gt_u32_e64 s[0:1], s56, v0
	s_waitcnt lgkmcnt(0)
	v_writelane_b32 v54, s8, 2
	v_writelane_b32 v54, s9, 3
	;; [unrolled: 1-line block ×3, first 2 shown]
	s_mov_b64 s[2:3], exec
	v_writelane_b32 v54, s0, 5
	v_writelane_b32 v54, s1, 6
	s_and_b64 s[0:1], s[2:3], s[0:1]
	s_mov_b64 exec, s[0:1]
	s_cbranch_execz .LBB112_5
; %bb.2:
	s_load_dword s0, s[10:11], 0xc
	v_mov_b32_e32 v5, 0
	v_mul_lo_u32 v4, v0, s58
	s_mov_b64 s[8:9], 0
	v_mov_b32_e32 v1, s33
	s_waitcnt lgkmcnt(0)
	s_and_b32 s0, s0, 0xffff
	s_mul_i32 s1, s58, s0
	v_mov_b32_e32 v2, v5
	v_mov_b32_e32 v3, v0
.LBB112_3:                              ; =>This Inner Loop Header: Depth=1
	v_lshlrev_b64 v[6:7], 3, v[4:5]
	v_add_co_u32_e32 v6, vcc, s57, v6
	v_addc_co_u32_e32 v7, vcc, v1, v7, vcc
	global_load_dwordx2 v[6:7], v[6:7], off
	v_add_u32_e32 v3, s0, v3
	v_cmp_le_u32_e32 vcc, s56, v3
	s_or_b64 s[8:9], vcc, s[8:9]
	v_add_u32_e32 v4, s1, v4
	s_waitcnt vmcnt(0)
	v_cmp_u_f64_e32 vcc, v[6:7], v[6:7]
	v_addc_co_u32_e32 v2, vcc, 0, v2, vcc
	s_andn2_b64 exec, exec, s[8:9]
	s_cbranch_execnz .LBB112_3
; %bb.4:
	s_or_b64 exec, exec, s[8:9]
.LBB112_5:
	s_or_b64 exec, exec, s[2:3]
	s_load_dword s0, s[4:5], 0x144
                                        ; kill: killed $sgpr4 killed $sgpr5
	s_waitcnt lgkmcnt(0)
	v_writelane_b32 v54, s0, 9
	s_load_dword s0, s[4:5], 0x6c
	s_waitcnt lgkmcnt(0)
	v_writelane_b32 v54, s0, 10
	v_cmp_eq_u32_e64 s[0:1], 0, v0
	s_mov_b64 s[4:5], exec
	v_writelane_b32 v54, s0, 7
	v_writelane_b32 v54, s1, 8
	s_and_b64 s[0:1], s[4:5], s[0:1]
	s_mov_b64 exec, s[0:1]
	s_cbranch_execz .LBB112_7
; %bb.6:
	v_mov_b32_e32 v4, 0
	v_mov_b32_e32 v5, v4
	ds_write_b64 v4, v[4:5] offset:4096
.LBB112_7:
	s_or_b64 exec, exec, s[4:5]
	v_cmp_ne_u32_e32 vcc, 0, v2
	s_waitcnt lgkmcnt(0)
	s_barrier
	s_and_saveexec_b64 s[4:5], vcc
	s_cbranch_execz .LBB112_12
; %bb.8:
	s_mov_b64 s[14:15], exec
	v_mov_b32_e32 v1, 0
	s_mov_b64 s[8:9], 0
.LBB112_9:                              ; =>This Inner Loop Header: Depth=1
	s_ff1_i32_b64 s0, s[14:15]
	v_readlane_b32 s2, v2, s0
	v_readlane_b32 s1, v1, s0
	s_add_u32 s8, s8, s2
	s_addc_u32 s9, s9, s1
	s_lshl_b64 s[0:1], 1, s0
	s_andn2_b64 s[14:15], s[14:15], s[0:1]
	s_cmp_lg_u64 s[14:15], 0
	s_cbranch_scc1 .LBB112_9
; %bb.10:
	v_mbcnt_lo_u32_b32 v1, exec_lo, 0
	v_mbcnt_hi_u32_b32 v1, exec_hi, v1
	v_cmp_eq_u32_e32 vcc, 0, v1
	s_and_saveexec_b64 s[0:1], vcc
	s_xor_b64 s[0:1], exec, s[0:1]
	s_cbranch_execz .LBB112_12
; %bb.11:
	v_mov_b32_e32 v1, 0
	v_pk_mov_b32 v[2:3], s[8:9], s[8:9] op_sel:[0,1]
	ds_add_u64 v1, v[2:3] offset:4096
.LBB112_12:
	s_or_b64 exec, exec, s[4:5]
	v_mov_b32_e32 v1, 0
	s_waitcnt lgkmcnt(0)
	s_barrier
	ds_read_b64 v[2:3], v1 offset:4096
	s_bitcmp1_b32 s59, 0
	s_cselect_b64 s[0:1], -1, 0
	s_mov_b32 s70, s56
	s_waitcnt lgkmcnt(0)
	v_cmp_gt_i64_e32 vcc, 1, v[2:3]
	s_or_b64 s[0:1], s[0:1], vcc
	s_andn2_b64 vcc, exec, s[0:1]
	s_cbranch_vccnz .LBB112_14
; %bb.13:
	v_not_b32_e32 v1, v2
	v_not_b32_e32 v2, v3
	v_add_co_u32_e32 v1, vcc, s56, v1
	v_addc_co_u32_e32 v2, vcc, 0, v2, vcc
	v_lshrrev_b32_e32 v3, 31, v2
	v_add_co_u32_e32 v1, vcc, v1, v3
	v_addc_co_u32_e32 v2, vcc, 0, v2, vcc
	v_alignbit_b32 v1, v2, v1, 1
	v_readfirstlane_b32 s0, v1
	s_add_i32 s70, s0, 1
.LBB112_14:
	s_mov_b64 s[4:5], exec
	v_readlane_b32 s0, v54, 7
	v_readlane_b32 s1, v54, 8
	s_and_b64 s[0:1], s[4:5], s[0:1]
	s_mov_b64 exec, s[0:1]
	s_cbranch_execz .LBB112_16
; %bb.15:
	v_mov_b32_e32 v2, 0
	v_mov_b32_e32 v3, s56
	ds_write_b32 v2, v2 offset:4112
	ds_write_b64 v2, v[2:3] offset:4104
.LBB112_16:
	s_or_b64 exec, exec, s[4:5]
	s_waitcnt lgkmcnt(0)
	s_barrier
	s_load_dword s0, s[10:11], 0xc
	v_mbcnt_lo_u32_b32 v1, -1, 0
	v_mbcnt_hi_u32_b32 v23, -1, v1
	v_cmp_gt_u32_e32 vcc, 64, v0
	v_cmp_gt_i32_e64 s[4:5], 4, v23
	s_waitcnt lgkmcnt(0)
	s_and_b32 s59, s0, 0xffff
	s_bfe_u32 s3, s0, 0xa0006
	s_mov_b32 s0, 0
	v_writelane_b32 v54, s0, 11
	v_writelane_b32 v54, s1, 12
	s_add_i32 s0, s59, -1
	s_lshl_b32 s73, s59, 2
	s_and_b64 s[66:67], vcc, s[4:5]
	v_writelane_b32 v54, s0, 13
	s_add_i32 s0, s0, s56
	s_cmpk_gt_u32 s56, 0x180
	s_cselect_b64 s[4:5], -1, 0
	v_writelane_b32 v54, s4, 14
	s_cmp_gt_u32 s59, 63
	v_writelane_b32 v54, s5, 15
	s_cselect_b64 s[4:5], -1, 0
	s_cmp_lt_u32 s6, s12
	v_writelane_b32 v54, s4, 16
	s_cselect_b32 s1, 12, 18
	v_writelane_b32 v54, s5, 17
	s_add_u32 s4, s10, s1
	v_mov_b32_e32 v19, 0
	s_addc_u32 s5, s11, 0
	s_add_i32 s1, s3, -2
	s_lshr_b32 s2, s1, 1
	v_mov_b32_e32 v17, v19
	s_add_i32 s2, s2, 1
	v_lshlrev_b64 v[2:3], 3, v[16:17]
	v_writelane_b32 v54, s4, 18
	s_cmpk_gt_u32 s59, 0x7f
	v_mov_b32_e32 v17, s33
	v_add_co_u32_e32 v20, vcc, s57, v2
	v_writelane_b32 v54, s5, 19
	s_cselect_b64 s[4:5], -1, 0
	v_addc_co_u32_e32 v21, vcc, v17, v3, vcc
	v_lshlrev_b64 v[2:3], v23, -1
	v_writelane_b32 v54, s4, 20
	v_not_b32_e32 v22, v2
	v_cvt_f32_u32_e32 v2, s73
	v_writelane_b32 v54, s5, 21
	v_cmp_gt_u32_e64 s[6:7], 2, v0
	s_and_b32 s8, s3, 0x3fe
	s_and_b32 s9, s2, 7
	v_writelane_b32 v54, s6, 22
	s_cmp_gt_u32 s1, 13
	v_writelane_b32 v54, s7, 23
	s_cselect_b64 s[10:11], -1, 0
	v_writelane_b32 v54, s10, 24
	v_rcp_iflag_f32_e32 v2, v2
	v_writelane_b32 v54, s11, 25
	s_and_b32 s1, s2, -8
	v_writelane_b32 v54, s1, 26
	s_cmp_lg_u32 s9, 0
	v_writelane_b32 v54, s9, 27
	s_cselect_b64 s[10:11], -1, 0
	v_writelane_b32 v54, s10, 28
	v_mul_f32_e32 v2, 0x4f7ffffe, v2
	v_writelane_b32 v54, s11, 29
	v_cvt_u32_f32_e32 v2, v2
	v_writelane_b32 v54, s3, 30
	s_cmp_lg_u32 s8, s3
	v_writelane_b32 v54, s8, 31
	s_cselect_b64 s[2:3], -1, 0
	v_writelane_b32 v54, s2, 32
	v_writelane_b32 v54, s3, 33
	s_sub_i32 s1, 0, s73
	v_readfirstlane_b32 s2, v2
	s_mul_i32 s1, s1, s2
	s_mul_hi_u32 s1, s2, s1
	s_add_i32 s55, s2, s1
	v_cvt_f32_u32_e32 v2, s59
	s_mul_hi_u32 s1, s56, s55
	s_mul_i32 s1, s1, s73
	s_sub_i32 s1, s56, s1
	s_sub_i32 s2, s1, s73
	v_rcp_iflag_f32_e32 v5, v2
	s_cmp_ge_u32 s1, s73
	s_cselect_b32 s1, s2, s1
	s_sub_i32 s2, s1, s73
	s_cmp_ge_u32 s1, s73
	v_mul_f32_e32 v5, 0x4f7ffffe, v5
	s_cselect_b32 s1, s2, s1
	v_cvt_u32_f32_e32 v5, v5
	v_lshlrev_b32_e32 v30, 2, v0
	s_sub_i32 s12, s56, s1
	v_cmp_gt_u32_e64 s[2:3], s12, v30
	v_writelane_b32 v54, s2, 34
	v_writelane_b32 v54, s3, 35
	s_sub_i32 s2, 0, s59
	v_readfirstlane_b32 s3, v5
	s_mul_i32 s2, s2, s3
	s_mul_hi_u32 s2, s3, s2
	s_add_i32 s2, s3, s2
	v_writelane_b32 v54, s2, 36
	s_mul_hi_u32 s2, s0, s2
	s_mul_i32 s2, s2, s59
	s_sub_i32 s2, s0, s2
	s_sub_i32 s3, s2, s59
	v_add_u32_e32 v35, s12, v0
	s_cmp_ge_u32 s2, s59
	v_lshrrev_b32_e32 v1, 4, v0
	v_mul_lo_u32 v18, v35, s58
	s_cselect_b32 s2, s3, s2
	v_and_b32_e32 v33, 60, v1
	v_not_b32_e32 v1, v3
	v_lshlrev_b64 v[2:3], 3, v[18:19]
	s_sub_i32 s3, s2, s59
	v_add_co_u32_e32 v24, vcc, s57, v2
	s_cmp_ge_u32 s2, s59
	v_mul_lo_u32 v2, s58, v30
	s_cselect_b32 s2, s3, s2
	v_add_u32_e32 v36, s58, v2
	v_or_b32_e32 v2, 2, v30
	s_sub_i32 s68, s0, s2
	v_mul_lo_u32 v37, s58, v2
	v_or_b32_e32 v2, 3, v30
	s_add_i32 s0, s59, s56
	v_cmp_gt_u32_e64 s[2:3], s68, v0
	v_mul_lo_u32 v38, s58, v2
	v_add_u32_e32 v2, s0, v0
	v_lshlrev_b32_e32 v31, 3, v0
	v_lshlrev_b32_e32 v4, 2, v23
	v_mov_b32_e32 v6, s33
	v_writelane_b32 v54, s2, 37
	s_mul_i32 s72, s58, s59
	v_subrev_u32_e32 v2, s1, v2
	v_cmp_eq_u32_e64 s[4:5], 0, v23
	v_add_u32_e32 v32, 0xc00, v31
	v_and_b32_e32 v34, 0x100, v4
	v_cmp_gt_u32_e64 s[10:11], s56, v35
	v_addc_co_u32_e32 v25, vcc, v6, v3, vcc
	v_writelane_b32 v54, s3, 38
	s_lshl_b32 s69, s72, 2
	v_lshlrev_b32_e32 v39, 2, v16
	v_mul_lo_u32 v40, s58, v2
	v_lshlrev_b32_e32 v41, 5, v0
	s_lshl_b32 s2, s59, 5
	s_lshl_b32 s3, s59, 3
	v_or_b32_e32 v42, 0xc00, v4
	s_mov_b32 s74, 62
	s_mov_b64 s[82:83], 0
	v_pk_mov_b32 v[6:7], 0, 0
	v_mov_b32_e32 v3, 0x3ff00000
	v_mov_b32_e32 v43, 0xc00
	s_mov_b32 s13, 0
	s_mov_b64 s[62:63], 0
	s_mov_b64 s[60:61], 0
                                        ; implicit-def: $sgpr84_sgpr85
                                        ; implicit-def: $sgpr88_sgpr89
                                        ; implicit-def: $sgpr86_sgpr87
                                        ; implicit-def: $sgpr90_sgpr91
                                        ; implicit-def: $sgpr92_sgpr93
                                        ; implicit-def: $sgpr94_sgpr95
	s_branch .LBB112_21
.LBB112_17:                             ;   in Loop: Header=BB112_21 Depth=1
	s_xor_b32 s13, s13, 1
	s_add_i32 s0, s74, -2
	s_cmp_eq_u32 s74, 0
	s_mov_b64 s[16:17], 0
	s_cselect_b64 s[20:21], -1, 0
	s_mov_b32 s74, s0
.LBB112_18:                             ;   in Loop: Header=BB112_21 Depth=1
	s_andn2_b64 s[0:1], s[24:25], exec
	s_and_b64 s[8:9], s[16:17], exec
	s_or_b64 s[24:25], s[0:1], s[8:9]
	s_andn2_b64 s[28:29], s[28:29], exec
	s_andn2_b64 s[22:23], s[22:23], exec
	s_orn2_b64 s[20:21], s[20:21], exec
	s_mov_b32 s70, s39
.LBB112_19:                             ;   in Loop: Header=BB112_21 Depth=1
	s_or_b64 exec, exec, s[14:15]
	s_andn2_b64 s[0:1], s[94:95], exec
	s_and_b64 s[8:9], s[24:25], exec
	s_or_b64 s[94:95], s[0:1], s[8:9]
	s_andn2_b64 s[0:1], s[92:93], exec
	s_and_b64 s[8:9], s[28:29], exec
	s_or_b64 s[92:93], s[0:1], s[8:9]
	s_andn2_b64 s[0:1], s[90:91], exec
	s_and_b64 s[8:9], s[22:23], exec
	s_or_b64 s[90:91], s[0:1], s[8:9]
	s_orn2_b64 s[20:21], s[20:21], exec
.LBB112_20:                             ;   in Loop: Header=BB112_21 Depth=1
	s_or_b64 exec, exec, s[18:19]
	s_and_b64 s[0:1], exec, s[20:21]
	s_or_b64 s[82:83], s[0:1], s[82:83]
	s_andn2_b64 s[0:1], s[86:87], exec
	s_and_b64 s[8:9], s[94:95], exec
	s_or_b64 s[86:87], s[0:1], s[8:9]
	s_andn2_b64 s[0:1], s[88:89], exec
	s_and_b64 s[8:9], s[92:93], exec
	;; [unrolled: 3-line block ×3, first 2 shown]
	s_waitcnt vmcnt(0)
	v_pk_mov_b32 v[4:5], s[62:63], s[62:63] op_sel:[0,1]
	s_or_b64 s[84:85], s[0:1], s[8:9]
	s_andn2_b64 exec, exec, s[82:83]
	s_cbranch_execz .LBB112_258
.LBB112_21:                             ; =>This Loop Header: Depth=1
                                        ;     Child Loop BB112_29 Depth 2
                                        ;     Child Loop BB112_47 Depth 2
	;; [unrolled: 1-line block ×17, first 2 shown]
	ds_read_b64 v[4:5], v19 offset:4104
	s_waitcnt lgkmcnt(0)
	v_readfirstlane_b32 s65, v4
	s_cmp_lg_u32 s65, 0
	s_cbranch_scc1 .LBB112_54
; %bb.22:                               ;   in Loop: Header=BB112_21 Depth=1
	v_readlane_b32 s0, v54, 14
	v_readlane_b32 s1, v54, 15
	s_and_b64 vcc, exec, s[0:1]
	s_cbranch_vccz .LBB112_37
; %bb.23:                               ;   in Loop: Header=BB112_21 Depth=1
	s_movk_i32 s0, 0x181
	v_cmp_gt_u32_e32 vcc, s0, v5
	s_mov_b64 s[18:19], 0
	s_mov_b64 s[14:15], 0
	s_cbranch_vccz .LBB112_38
; %bb.24:                               ;   in Loop: Header=BB112_21 Depth=1
	v_pk_mov_b32 v[4:5], 0, 0
	s_mov_b64 s[14:15], exec
	v_readlane_b32 s0, v54, 5
	v_readlane_b32 s1, v54, 6
	s_and_b64 s[0:1], s[14:15], s[0:1]
	s_mov_b64 exec, s[0:1]
	s_cbranch_execz .LBB112_26
; %bb.25:                               ;   in Loop: Header=BB112_21 Depth=1
	global_load_dwordx2 v[4:5], v[20:21], off
.LBB112_26:                             ;   in Loop: Header=BB112_21 Depth=1
	s_or_b64 exec, exec, s[14:15]
	s_mov_b64 s[20:21], exec
	v_readlane_b32 s0, v54, 5
	v_readlane_b32 s1, v54, 6
	s_and_b64 s[0:1], s[20:21], s[0:1]
	s_mov_b64 exec, s[0:1]
	s_cbranch_execz .LBB112_39
; %bb.27:                               ;   in Loop: Header=BB112_21 Depth=1
	v_readlane_b32 s0, v54, 18
	v_readlane_b32 s1, v54, 19
	s_mov_b64 s[22:23], 0
	v_mov_b32_e32 v11, v0
	s_nop 2
	global_load_ushort v2, v19, s[0:1]
	s_waitcnt vmcnt(0)
	v_add_u32_e32 v8, v0, v2
	v_mul_lo_u32 v10, s58, v2
	v_mul_lo_u32 v18, s58, v8
	s_branch .LBB112_29
.LBB112_28:                             ;   in Loop: Header=BB112_29 Depth=2
	s_or_b64 exec, exec, s[16:17]
	v_add_u32_e32 v18, v18, v10
	s_waitcnt vmcnt(0)
	v_pk_mov_b32 v[4:5], v[8:9], v[8:9] op_sel:[0,1]
	s_andn2_b64 exec, exec, s[22:23]
	s_cbranch_execz .LBB112_39
.LBB112_29:                             ;   Parent Loop BB112_21 Depth=1
                                        ; =>  This Inner Loop Header: Depth=2
	v_add_u32_e32 v11, v11, v2
	v_cmp_gt_u32_e64 s[14:15], s56, v11
	v_cmp_le_u32_e32 vcc, s56, v11
	v_pk_mov_b32 v[8:9], 0, 0
	s_and_saveexec_b64 s[16:17], s[14:15]
	s_cbranch_execz .LBB112_31
; %bb.30:                               ;   in Loop: Header=BB112_29 Depth=2
	v_lshlrev_b64 v[8:9], 3, v[18:19]
	v_add_co_u32_e64 v8, s[14:15], s57, v8
	v_addc_co_u32_e64 v9, s[14:15], v17, v9, s[14:15]
	global_load_dwordx2 v[8:9], v[8:9], off
.LBB112_31:                             ;   in Loop: Header=BB112_29 Depth=2
	s_or_b64 exec, exec, s[16:17]
	s_waitcnt lgkmcnt(0)
	v_ashrrev_i32_e32 v12, 31, v5
	v_or_b32_e32 v13, 0x80000000, v12
	v_xor_b32_e32 v13, v13, v5
	v_xor_b32_e32 v12, v12, v4
	v_cmp_o_f64_e64 s[14:15], v[4:5], v[4:5]
	v_cndmask_b32_e64 v13, -1, v13, s[14:15]
	v_cndmask_b32_e64 v12, -1, v12, s[14:15]
	v_and_b32_e32 v13, s61, v13
	v_and_b32_e32 v12, s60, v12
	v_cmp_eq_u64_e64 s[14:15], s[62:63], v[12:13]
	s_cmp_lg_u64 s[14:15], 0
	s_cselect_b64 s[0:1], -1, 0
	s_and_b64 s[0:1], s[4:5], s[0:1]
	v_mov_b32_e32 v12, 0
	s_and_saveexec_b64 s[24:25], s[0:1]
	s_cbranch_execz .LBB112_35
; %bb.32:                               ;   in Loop: Header=BB112_29 Depth=2
	s_mov_b64 s[28:29], exec
	v_mbcnt_lo_u32_b32 v12, s28, 0
	v_mbcnt_hi_u32_b32 v12, s29, v12
	s_bcnt1_i32_b64 s0, s[14:15]
	v_cmp_eq_u32_e64 s[16:17], 0, v12
                                        ; implicit-def: $vgpr13
	s_and_saveexec_b64 s[26:27], s[16:17]
	s_cbranch_execz .LBB112_34
; %bb.33:                               ;   in Loop: Header=BB112_29 Depth=2
	s_bcnt1_i32_b64 s1, s[28:29]
	s_mul_i32 s1, s0, s1
	v_mov_b32_e32 v13, s1
	ds_add_rtn_u32 v13, v19, v13 offset:4112
.LBB112_34:                             ;   in Loop: Header=BB112_29 Depth=2
	s_or_b64 exec, exec, s[26:27]
	s_waitcnt lgkmcnt(0)
	v_readfirstlane_b32 s1, v13
	v_mov_b32_e32 v13, s1
	v_mad_u32_u24 v12, s0, v12, v13
.LBB112_35:                             ;   in Loop: Header=BB112_29 Depth=2
	s_or_b64 exec, exec, s[24:25]
	ds_bpermute_b32 v12, v34, v12
	s_and_b64 s[0:1], exec, vcc
	s_or_b64 s[22:23], s[0:1], s[22:23]
	s_and_saveexec_b64 s[16:17], s[14:15]
	s_cbranch_execz .LBB112_28
; %bb.36:                               ;   in Loop: Header=BB112_29 Depth=2
	v_and_b32_e32 v14, s14, v22
	v_and_b32_e32 v13, s15, v1
	v_bcnt_u32_b32 v14, v14, 0
	v_bcnt_u32_b32 v13, v13, v14
	v_lshlrev_b32_e32 v13, 3, v13
	s_waitcnt lgkmcnt(0)
	v_lshl_add_u32 v12, v12, 3, v13
	ds_write_b64 v12, v[4:5]
	s_branch .LBB112_28
.LBB112_37:                             ;   in Loop: Header=BB112_21 Depth=1
	s_mov_b64 s[14:15], 0
                                        ; implicit-def: $sgpr65
	s_cbranch_execnz .LBB112_42
	s_branch .LBB112_52
.LBB112_38:                             ;   in Loop: Header=BB112_21 Depth=1
	s_mov_b32 s65, 0
	s_and_b64 vcc, exec, s[18:19]
	s_cbranch_vccnz .LBB112_42
	s_branch .LBB112_52
.LBB112_39:                             ;   in Loop: Header=BB112_21 Depth=1
	s_or_b64 exec, exec, s[20:21]
	s_waitcnt lgkmcnt(0)
	s_barrier
	s_mov_b64 s[14:15], exec
	v_readlane_b32 s0, v54, 7
	v_readlane_b32 s1, v54, 8
	s_and_b64 s[0:1], s[14:15], s[0:1]
	s_mov_b64 exec, s[0:1]
	s_cbranch_execz .LBB112_41
; %bb.40:                               ;   in Loop: Header=BB112_21 Depth=1
	ds_read_b32 v2, v19 offset:4112
	s_waitcnt lgkmcnt(0)
	ds_write_b32 v19, v2 offset:4104
.LBB112_41:                             ;   in Loop: Header=BB112_21 Depth=1
	s_or_b64 exec, exec, s[14:15]
	s_waitcnt lgkmcnt(0)
	s_barrier
	s_mov_b64 s[14:15], -1
	s_mov_b32 s65, 0
	s_and_b64 vcc, exec, s[18:19]
	s_cbranch_vccz .LBB112_52
.LBB112_42:                             ;   in Loop: Header=BB112_21 Depth=1
	s_waitcnt vmcnt(0)
	v_pk_mov_b32 v[4:5], 0, 0
	s_mov_b64 s[14:15], exec
	v_readlane_b32 s0, v54, 5
	v_readlane_b32 s1, v54, 6
	s_and_b64 s[0:1], s[14:15], s[0:1]
	s_mov_b64 exec, s[0:1]
	s_cbranch_execz .LBB112_44
; %bb.43:                               ;   in Loop: Header=BB112_21 Depth=1
	global_load_dwordx2 v[4:5], v[20:21], off
.LBB112_44:                             ;   in Loop: Header=BB112_21 Depth=1
	s_or_b64 exec, exec, s[14:15]
	s_mov_b64 s[16:17], exec
	v_readlane_b32 s0, v54, 5
	v_readlane_b32 s1, v54, 6
	s_and_b64 s[0:1], s[16:17], s[0:1]
	s_mov_b64 exec, s[0:1]
	s_cbranch_execz .LBB112_49
; %bb.45:                               ;   in Loop: Header=BB112_21 Depth=1
	v_readlane_b32 s0, v54, 18
	v_readlane_b32 s1, v54, 19
	s_mov_b64 s[18:19], 0
	v_mov_b32_e32 v10, v31
	v_mov_b32_e32 v13, v0
	s_nop 1
	global_load_ushort v2, v19, s[0:1]
	s_waitcnt vmcnt(0)
	v_add_u32_e32 v8, v0, v2
	v_lshlrev_b32_e32 v11, 3, v2
	v_mul_lo_u32 v12, s58, v2
	v_mul_lo_u32 v18, s58, v8
	s_branch .LBB112_47
.LBB112_46:                             ;   in Loop: Header=BB112_47 Depth=2
	s_or_b64 exec, exec, s[20:21]
	s_and_b64 s[0:1], exec, vcc
	s_or_b64 s[18:19], s[0:1], s[18:19]
	ds_write_b64 v10, v[4:5]
	v_add_u32_e32 v10, v10, v11
	v_add_u32_e32 v18, v18, v12
	s_waitcnt vmcnt(0)
	v_pk_mov_b32 v[4:5], v[8:9], v[8:9] op_sel:[0,1]
	s_andn2_b64 exec, exec, s[18:19]
	s_cbranch_execz .LBB112_49
.LBB112_47:                             ;   Parent Loop BB112_21 Depth=1
                                        ; =>  This Inner Loop Header: Depth=2
	v_add_u32_e32 v13, v13, v2
	v_cmp_gt_u32_e64 s[14:15], s56, v13
	v_cmp_le_u32_e32 vcc, s56, v13
	v_pk_mov_b32 v[8:9], 0, 0
	s_and_saveexec_b64 s[20:21], s[14:15]
	s_cbranch_execz .LBB112_46
; %bb.48:                               ;   in Loop: Header=BB112_47 Depth=2
	v_lshlrev_b64 v[8:9], 3, v[18:19]
	v_mov_b32_e32 v14, s33
	v_add_co_u32_e64 v8, s[14:15], s57, v8
	v_addc_co_u32_e64 v9, s[14:15], v14, v9, s[14:15]
	global_load_dwordx2 v[8:9], v[8:9], off
	s_branch .LBB112_46
.LBB112_49:                             ;   in Loop: Header=BB112_21 Depth=1
	s_or_b64 exec, exec, s[16:17]
	s_waitcnt lgkmcnt(0)
	s_barrier
	s_mov_b64 s[14:15], exec
	v_readlane_b32 s0, v54, 7
	v_readlane_b32 s1, v54, 8
	s_and_b64 s[0:1], s[14:15], s[0:1]
	s_mov_b64 exec, s[0:1]
	s_cbranch_execz .LBB112_51
; %bb.50:                               ;   in Loop: Header=BB112_21 Depth=1
	v_mov_b32_e32 v2, s56
	ds_write_b32 v19, v2 offset:4104
.LBB112_51:                             ;   in Loop: Header=BB112_21 Depth=1
	s_or_b64 exec, exec, s[14:15]
	s_mov_b64 s[14:15], -1
	s_waitcnt lgkmcnt(0)
	s_barrier
                                        ; implicit-def: $sgpr65
.LBB112_52:                             ;   in Loop: Header=BB112_21 Depth=1
	s_and_b64 vcc, exec, s[14:15]
	s_cbranch_vccz .LBB112_54
; %bb.53:                               ;   in Loop: Header=BB112_21 Depth=1
	ds_read_b32 v2, v19 offset:4104
	s_waitcnt lgkmcnt(0)
	v_readfirstlane_b32 s65, v2
.LBB112_54:                             ;   in Loop: Header=BB112_21 Depth=1
	s_cmp_lt_i32 s65, 1
	s_cbranch_scc0 .LBB112_66
; %bb.55:                               ;   in Loop: Header=BB112_21 Depth=1
	v_mov_b32_e32 v8, 0
	s_mov_b32 s48, 0
	v_mov_b32_e32 v9, 0
	v_mov_b32_e32 v10, v8
	;; [unrolled: 1-line block ×3, first 2 shown]
	s_mov_b64 s[44:45], exec
	v_readlane_b32 s0, v54, 34
	v_readlane_b32 s1, v54, 35
	s_and_b64 s[0:1], s[44:45], s[0:1]
	s_mov_b64 exec, s[0:1]
	s_cbranch_execz .LBB112_59
; %bb.56:                               ;   in Loop: Header=BB112_21 Depth=1
	s_and_b32 s49, s74, 0xfe
	s_mov_b64 s[46:47], 0
	s_mov_b32 s50, 0
	s_mov_b32 s51, 0
	;; [unrolled: 1-line block ×4, first 2 shown]
	v_mov_b32_e32 v2, v30
.LBB112_57:                             ;   Parent Loop BB112_21 Depth=1
                                        ; =>  This Inner Loop Header: Depth=2
	v_add_u32_e32 v18, s48, v39
	v_lshlrev_b64 v[12:13], 3, v[18:19]
	s_waitcnt vmcnt(0)
	v_mov_b32_e32 v4, s33
	v_add_u32_e32 v18, s48, v36
	v_add_co_u32_e64 v12, s[14:15], s57, v12
	v_lshlrev_b64 v[14:15], 3, v[18:19]
	v_addc_co_u32_e64 v13, s[14:15], v4, v13, s[14:15]
	v_add_u32_e32 v18, s48, v37
	v_add_co_u32_e64 v14, s[14:15], s57, v14
	v_lshlrev_b64 v[26:27], 3, v[18:19]
	v_addc_co_u32_e64 v15, s[14:15], v4, v15, s[14:15]
	v_add_u32_e32 v18, s48, v38
	v_add_co_u32_e64 v26, s[14:15], s57, v26
	global_load_dwordx2 v[12:13], v[12:13], off
	v_lshlrev_b64 v[28:29], 3, v[18:19]
	global_load_dwordx2 v[14:15], v[14:15], off
	v_addc_co_u32_e64 v27, s[14:15], v4, v27, s[14:15]
	global_load_dwordx2 v[26:27], v[26:27], off
	v_add_co_u32_e64 v28, s[14:15], s57, v28
	v_addc_co_u32_e64 v29, s[14:15], v4, v29, s[14:15]
	global_load_dwordx2 v[28:29], v[28:29], off
	v_mov_b32_e32 v11, v19
	v_mov_b32_e32 v9, v19
	;; [unrolled: 1-line block ×3, first 2 shown]
	v_add_u32_e32 v2, s73, v2
	v_cmp_le_u32_e32 vcc, s12, v2
	s_add_i32 s48, s48, s69
	s_waitcnt vmcnt(3)
	v_ashrrev_i32_e32 v4, 31, v13
	v_or_b32_e32 v8, 0x80000000, v4
	s_waitcnt vmcnt(2)
	v_ashrrev_i32_e32 v10, 31, v15
	v_xor_b32_e32 v4, v4, v12
	v_cmp_o_f64_e64 s[14:15], v[12:13], v[12:13]
	v_xor_b32_e32 v8, v8, v13
	v_or_b32_e32 v18, 0x80000000, v10
	s_waitcnt vmcnt(1)
	v_ashrrev_i32_e32 v44, 31, v27
	v_xor_b32_e32 v10, v10, v14
	v_cndmask_b32_e64 v12, -1, v4, s[14:15]
	v_cmp_o_f64_e64 s[16:17], v[14:15], v[14:15]
	v_cndmask_b32_e64 v13, -1, v8, s[14:15]
	v_xor_b32_e32 v4, v18, v15
	v_or_b32_e32 v8, 0x80000000, v44
	s_waitcnt vmcnt(0)
	v_ashrrev_i32_e32 v45, 31, v29
	v_xor_b32_e32 v18, v44, v26
	v_cndmask_b32_e64 v14, -1, v10, s[16:17]
	v_and_b32_e32 v44, s60, v12
	v_cmp_o_f64_e64 s[14:15], v[26:27], v[26:27]
	v_cndmask_b32_e64 v15, -1, v4, s[16:17]
	v_xor_b32_e32 v4, v8, v27
	v_or_b32_e32 v8, 0x80000000, v45
	v_xor_b32_e32 v10, v45, v28
	v_and_b32_e32 v45, s61, v13
	v_lshrrev_b64 v[12:13], s49, v[12:13]
	v_cndmask_b32_e64 v26, -1, v18, s[14:15]
	v_and_b32_e32 v18, 3, v12
	v_cmp_o_f64_e64 s[16:17], v[28:29], v[28:29]
	v_cndmask_b32_e64 v27, -1, v4, s[14:15]
	v_cmp_eq_u64_e64 s[14:15], s[62:63], v[44:45]
	v_lshrrev_b64 v[12:13], s49, v[14:15]
	v_cmp_eq_u64_e64 s[18:19], 0, v[18:19]
	v_and_b32_e32 v46, s60, v14
	v_xor_b32_e32 v4, v8, v29
	v_cndmask_b32_e64 v14, -1, v10, s[16:17]
	v_and_b32_e32 v10, 3, v12
	v_cmp_eq_u64_e64 s[20:21], 1, v[18:19]
	s_and_b64 s[0:1], s[14:15], s[18:19]
	v_and_b32_e32 v47, s61, v15
	v_cndmask_b32_e64 v15, -1, v4, s[16:17]
	v_lshrrev_b64 v[12:13], s49, v[26:27]
	v_cmp_eq_u64_e64 s[22:23], 2, v[18:19]
	v_cmp_eq_u64_e64 s[28:29], 0, v[10:11]
	;; [unrolled: 1-line block ×5, first 2 shown]
	v_cndmask_b32_e64 v10, 0, 1, s[0:1]
	s_and_b64 s[0:1], s[14:15], s[20:21]
	v_cmp_eq_u64_e64 s[24:25], 3, v[18:19]
	v_and_b32_e32 v8, 3, v12
	v_lshrrev_b64 v[12:13], s49, v[14:15]
	v_cndmask_b32_e64 v11, 0, 1, s[0:1]
	s_and_b64 s[0:1], s[14:15], s[22:23]
	v_cmp_eq_u64_e64 s[16:17], s[62:63], v[46:47]
	v_cndmask_b32_e64 v13, 0, 1, s[0:1]
	s_and_b64 s[0:1], s[14:15], s[24:25]
	v_and_b32_e32 v28, s60, v26
	v_and_b32_e32 v26, s60, v14
	v_cndmask_b32_e64 v14, 0, 1, s[0:1]
	s_and_b64 s[0:1], s[16:17], s[28:29]
	v_cmp_eq_u64_e64 s[18:19], 0, v[8:9]
	v_cmp_eq_u64_e64 s[20:21], 1, v[8:9]
	;; [unrolled: 1-line block ×4, first 2 shown]
	v_cndmask_b32_e64 v8, 0, 1, s[0:1]
	s_and_b64 s[0:1], s[16:17], s[30:31]
	v_and_b32_e32 v29, s61, v27
	v_cndmask_b32_e64 v9, 0, 1, s[0:1]
	s_and_b64 s[0:1], s[16:17], s[34:35]
	v_cmp_eq_u64_e64 s[26:27], s[62:63], v[28:29]
	v_cmp_ne_u32_e64 s[38:39], 0, v10
	v_cndmask_b32_e64 v10, 0, 1, s[0:1]
	s_and_b64 s[0:1], s[16:17], s[36:37]
	v_and_b32_e32 v4, 3, v12
	v_cmp_ne_u32_e64 s[28:29], 0, v11
	v_cndmask_b32_e64 v11, 0, 1, s[0:1]
	s_and_b64 s[0:1], s[26:27], s[18:19]
	v_cmp_eq_u64_e64 s[16:17], 0, v[4:5]
	v_cmp_eq_u64_e64 s[36:37], 1, v[4:5]
	;; [unrolled: 1-line block ×4, first 2 shown]
	v_cndmask_b32_e64 v4, 0, 1, s[0:1]
	s_and_b64 s[0:1], s[26:27], s[20:21]
	v_and_b32_e32 v27, s61, v15
	v_cndmask_b32_e64 v5, 0, 1, s[0:1]
	s_and_b64 s[0:1], s[26:27], s[22:23]
	v_cmp_eq_u64_e64 s[14:15], s[62:63], v[26:27]
	s_bcnt1_i32_b64 s8, s[38:39]
	v_cmp_ne_u32_e64 s[38:39], 0, v8
	v_cndmask_b32_e64 v8, 0, 1, s[0:1]
	s_and_b64 s[0:1], s[26:27], s[24:25]
	v_cmp_ne_u32_e64 s[18:19], 0, v9
	v_cndmask_b32_e64 v9, 0, 1, s[0:1]
	s_and_b64 s[0:1], s[14:15], s[16:17]
	;; [unrolled: 3-line block ×3, first 2 shown]
	v_cmp_ne_u32_e64 s[30:31], 0, v13
	v_cmp_ne_u32_e64 s[34:35], 0, v14
	;; [unrolled: 1-line block ×3, first 2 shown]
	v_cndmask_b32_e64 v5, 0, 1, s[0:1]
	s_and_b64 s[0:1], s[14:15], s[40:41]
	s_bcnt1_i32_b64 s9, s[28:29]
	s_bcnt1_i32_b64 s28, s[30:31]
	v_cmp_ne_u32_e64 s[20:21], 0, v10
	s_bcnt1_i32_b64 s29, s[34:35]
	v_cmp_ne_u32_e64 s[22:23], 0, v11
	;; [unrolled: 2-line block ×3, first 2 shown]
	v_cndmask_b32_e64 v8, 0, 1, s[0:1]
	s_and_b64 s[0:1], s[14:15], s[42:43]
	s_bcnt1_i32_b64 s26, s[38:39]
	s_add_i32 s8, s53, s8
	s_add_i32 s9, s52, s9
	s_bcnt1_i32_b64 s30, s[20:21]
	s_add_i32 s28, s51, s28
	s_bcnt1_i32_b64 s22, s[22:23]
	v_cmp_ne_u32_e64 s[20:21], 0, v9
	v_cndmask_b32_e64 v9, 0, 1, s[0:1]
	s_add_i32 s0, s50, s29
	s_bcnt1_i32_b64 s1, s[24:25]
	v_cmp_ne_u32_e64 s[14:15], 0, v4
	s_add_i32 s8, s8, s26
	s_bcnt1_i32_b64 s23, s[16:17]
	v_cmp_ne_u32_e64 s[16:17], 0, v5
	;; [unrolled: 3-line block ×4, first 2 shown]
	s_add_i32 s0, s0, s22
	s_bcnt1_i32_b64 s14, s[14:15]
	s_add_i32 s1, s8, s1
	s_bcnt1_i32_b64 s8, s[16:17]
	;; [unrolled: 2-line block ×4, first 2 shown]
	s_add_i32 s0, s0, s26
	s_add_i32 s53, s1, s14
	;; [unrolled: 1-line block ×5, first 2 shown]
	s_or_b64 s[46:47], vcc, s[46:47]
	v_mov_b32_e32 v8, s53
	v_mov_b32_e32 v9, s52
	;; [unrolled: 1-line block ×4, first 2 shown]
	s_andn2_b64 exec, exec, s[46:47]
	s_cbranch_execnz .LBB112_57
; %bb.58:                               ;   in Loop: Header=BB112_21 Depth=1
	s_or_b64 exec, exec, s[46:47]
.LBB112_59:                             ;   in Loop: Header=BB112_21 Depth=1
	s_or_b64 exec, exec, s[44:45]
	v_pk_mov_b32 v[12:13], 0, 0
	s_and_saveexec_b64 s[14:15], s[10:11]
	s_cbranch_execz .LBB112_61
; %bb.60:                               ;   in Loop: Header=BB112_21 Depth=1
	global_load_dwordx2 v[12:13], v[24:25], off
.LBB112_61:                             ;   in Loop: Header=BB112_21 Depth=1
	s_or_b64 exec, exec, s[14:15]
	s_mov_b64 s[16:17], 0
	s_mov_b64 s[76:77], 0
	s_and_saveexec_b64 s[18:19], s[10:11]
	s_cbranch_execz .LBB112_68
; %bb.62:                               ;   in Loop: Header=BB112_21 Depth=1
	s_and_b32 s0, s74, 0xfe
	s_mov_b64 s[20:21], 0
	s_waitcnt vmcnt(0)
	v_mov_b32_e32 v4, v40
	v_mov_b32_e32 v2, v35
	s_branch .LBB112_64
.LBB112_63:                             ;   in Loop: Header=BB112_64 Depth=2
	s_or_b64 exec, exec, s[22:23]
	v_ashrrev_i32_e32 v5, 31, v13
	v_or_b32_e32 v18, 0x80000000, v5
	s_and_b64 s[8:9], exec, vcc
	v_xor_b32_e32 v18, v18, v13
	v_xor_b32_e32 v5, v5, v12
	v_cmp_o_f64_e32 vcc, v[12:13], v[12:13]
	v_cndmask_b32_e32 v13, -1, v18, vcc
	v_cndmask_b32_e32 v12, -1, v5, vcc
	v_and_b32_e32 v27, s61, v13
	v_and_b32_e32 v26, s60, v12
	v_lshrrev_b64 v[12:13], s0, v[12:13]
	v_and_b32_e32 v18, 3, v12
	s_or_b64 s[20:21], s[8:9], s[20:21]
	v_cmp_eq_u64_e32 vcc, s[62:63], v[26:27]
	v_cmp_eq_u64_e64 s[14:15], 0, v[18:19]
	s_and_b64 s[8:9], vcc, s[14:15]
	v_cndmask_b32_e64 v5, 0, 1, s[8:9]
	v_cmp_ne_u32_e64 s[14:15], 0, v5
	s_bcnt1_i32_b64 s1, s[14:15]
	v_cmp_eq_u64_e64 s[14:15], 1, v[18:19]
	s_and_b64 s[8:9], vcc, s[14:15]
	v_cndmask_b32_e64 v5, 0, 1, s[8:9]
	v_cmp_ne_u32_e64 s[14:15], 0, v5
	v_add_u32_e32 v8, s1, v8
	s_bcnt1_i32_b64 s1, s[14:15]
	v_cmp_eq_u64_e64 s[14:15], 2, v[18:19]
	s_and_b64 s[8:9], vcc, s[14:15]
	v_cndmask_b32_e64 v5, 0, 1, s[8:9]
	v_cmp_ne_u32_e64 s[14:15], 0, v5
	v_add_u32_e32 v9, s1, v9
	s_bcnt1_i32_b64 s1, s[14:15]
	v_cmp_eq_u64_e64 s[14:15], 3, v[18:19]
	s_and_b64 s[8:9], vcc, s[14:15]
	v_cndmask_b32_e64 v5, 0, 1, s[8:9]
	v_cmp_ne_u32_e32 vcc, 0, v5
	v_add_u32_e32 v10, s1, v10
	s_bcnt1_i32_b64 s1, vcc
	v_add_u32_e32 v11, s1, v11
	v_add_u32_e32 v4, s72, v4
	s_waitcnt vmcnt(0)
	v_pk_mov_b32 v[12:13], v[14:15], v[14:15] op_sel:[0,1]
	s_andn2_b64 exec, exec, s[20:21]
	s_cbranch_execz .LBB112_67
.LBB112_64:                             ;   Parent Loop BB112_21 Depth=1
                                        ; =>  This Inner Loop Header: Depth=2
	v_add_u32_e32 v2, s59, v2
	v_cmp_gt_u32_e64 s[14:15], s56, v2
	v_cmp_le_u32_e32 vcc, s56, v2
	v_pk_mov_b32 v[14:15], 0, 0
	s_and_saveexec_b64 s[22:23], s[14:15]
	s_cbranch_execz .LBB112_63
; %bb.65:                               ;   in Loop: Header=BB112_64 Depth=2
	v_mov_b32_e32 v5, v19
	v_lshlrev_b64 v[14:15], 3, v[4:5]
	v_mov_b32_e32 v5, s33
	v_add_co_u32_e64 v14, s[14:15], s57, v14
	v_addc_co_u32_e64 v15, s[14:15], v5, v15, s[14:15]
	global_load_dwordx2 v[14:15], v[14:15], off
	s_branch .LBB112_63
.LBB112_66:                             ;   in Loop: Header=BB112_21 Depth=1
	s_mov_b64 s[76:77], 0
                                        ; implicit-def: $vgpr11
	s_cbranch_execnz .LBB112_69
	s_branch .LBB112_78
.LBB112_67:                             ;   in Loop: Header=BB112_21 Depth=1
	s_or_b64 exec, exec, s[20:21]
	s_mov_b64 s[76:77], exec
.LBB112_68:                             ;   in Loop: Header=BB112_21 Depth=1
	s_or_b64 exec, exec, s[18:19]
	s_and_b64 vcc, exec, s[16:17]
	s_cbranch_vccz .LBB112_78
.LBB112_69:                             ;   in Loop: Header=BB112_21 Depth=1
	s_mul_hi_u32 s0, s65, s55
	s_mul_i32 s0, s0, s73
	s_sub_i32 s0, s65, s0
	s_sub_i32 s1, s0, s73
	s_cmp_ge_u32 s0, s73
	s_cselect_b32 s0, s1, s0
	s_sub_i32 s1, s0, s73
	s_cmp_ge_u32 s0, s73
	s_cselect_b32 s0, s1, s0
	s_sub_i32 s71, s65, s0
	v_cmp_gt_u32_e32 vcc, s71, v30
	s_mov_b32 s8, 0
	v_mov_b32_e32 v8, 0
	v_mov_b32_e32 v9, 0
	;; [unrolled: 1-line block ×4, first 2 shown]
	s_and_saveexec_b64 s[78:79], vcc
	s_cbranch_execz .LBB112_73
; %bb.70:                               ;   in Loop: Header=BB112_21 Depth=1
	s_mov_b32 s6, s55
	s_and_b32 s9, s74, 0xfe
	s_mov_b64 s[80:81], 0
	v_mov_b32_e32 v2, v41
	s_mov_b32 s75, 0
	s_mov_b32 s64, 0
	;; [unrolled: 1-line block ×3, first 2 shown]
	v_mov_b32_e32 v44, v30
.LBB112_71:                             ;   Parent Loop BB112_21 Depth=1
                                        ; =>  This Inner Loop Header: Depth=2
	s_waitcnt vmcnt(0)
	ds_read_b128 v[12:15], v2
	ds_read_b128 v[8:11], v2 offset:16
	v_mov_b32_e32 v5, v19
	v_mov_b32_e32 v27, v19
	;; [unrolled: 1-line block ×3, first 2 shown]
	s_waitcnt lgkmcnt(1)
	v_ashrrev_i32_e32 v4, 31, v13
	v_ashrrev_i32_e32 v18, 31, v15
	s_waitcnt lgkmcnt(0)
	v_ashrrev_i32_e32 v26, 31, v9
	v_ashrrev_i32_e32 v28, 31, v11
	v_xor_b32_e32 v45, v18, v14
	v_cmp_o_f64_e64 s[14:15], v[14:15], v[14:15]
	v_xor_b32_e32 v14, v26, v8
	v_cmp_o_f64_e64 s[16:17], v[8:9], v[8:9]
	v_or_b32_e32 v8, 0x80000000, v4
	v_xor_b32_e32 v46, v28, v10
	v_cmp_o_f64_e64 s[18:19], v[10:11], v[10:11]
	v_xor_b32_e32 v4, v4, v12
	v_or_b32_e32 v10, 0x80000000, v18
	v_or_b32_e32 v18, 0x80000000, v26
	v_cmp_o_f64_e64 s[20:21], v[12:13], v[12:13]
	v_xor_b32_e32 v13, v8, v13
	v_or_b32_e32 v26, 0x80000000, v28
	v_xor_b32_e32 v15, v10, v15
	v_xor_b32_e32 v18, v18, v9
	v_cndmask_b32_e64 v8, -1, v4, s[20:21]
	v_cndmask_b32_e64 v9, -1, v13, s[20:21]
	v_xor_b32_e32 v26, v26, v11
	v_cndmask_b32_e64 v10, -1, v45, s[14:15]
	v_cndmask_b32_e64 v12, -1, v14, s[16:17]
	v_cndmask_b32_e64 v14, -1, v46, s[18:19]
	v_cndmask_b32_e64 v11, -1, v15, s[14:15]
	v_and_b32_e32 v46, s60, v8
	v_and_b32_e32 v47, s61, v9
	v_lshrrev_b64 v[8:9], s9, v[8:9]
	v_cndmask_b32_e64 v13, -1, v18, s[16:17]
	v_and_b32_e32 v48, s60, v10
	v_and_b32_e32 v49, s61, v11
	v_lshrrev_b64 v[10:11], s9, v[10:11]
	v_and_b32_e32 v18, 3, v8
	v_cndmask_b32_e64 v15, -1, v26, s[18:19]
	v_and_b32_e32 v50, s60, v12
	v_and_b32_e32 v51, s61, v13
	v_lshrrev_b64 v[12:13], s9, v[12:13]
	v_cmp_eq_u64_e64 s[14:15], s[62:63], v[46:47]
	v_and_b32_e32 v4, 3, v10
	v_cmp_eq_u64_e64 s[22:23], 0, v[18:19]
	v_and_b32_e32 v52, s60, v14
	v_and_b32_e32 v53, s61, v15
	v_lshrrev_b64 v[14:15], s9, v[14:15]
	v_cmp_eq_u64_e64 s[16:17], s[62:63], v[48:49]
	v_and_b32_e32 v26, 3, v12
	v_cmp_eq_u64_e64 s[24:25], 0, v[4:5]
	s_and_b64 s[22:23], s[14:15], s[22:23]
	v_cmp_eq_u64_e64 s[18:19], s[62:63], v[50:51]
	v_and_b32_e32 v28, 3, v14
	v_cmp_eq_u64_e64 s[26:27], 0, v[26:27]
	v_cmp_eq_u64_e64 s[34:35], 1, v[4:5]
	;; [unrolled: 1-line block ×4, first 2 shown]
	v_cndmask_b32_e64 v4, 0, 1, s[22:23]
	s_and_b64 s[22:23], s[16:17], s[24:25]
	v_cmp_eq_u64_e64 s[20:21], s[62:63], v[52:53]
	v_cmp_eq_u64_e64 s[28:29], 0, v[28:29]
	v_cndmask_b32_e64 v5, 0, 1, s[22:23]
	s_and_b64 s[22:23], s[18:19], s[26:27]
	v_cmp_eq_u64_e64 s[30:31], 1, v[18:19]
	v_cndmask_b32_e64 v8, 0, 1, s[22:23]
	s_and_b64 s[22:23], s[20:21], s[28:29]
	v_cndmask_b32_e64 v9, 0, 1, s[22:23]
	s_and_b64 s[22:23], s[14:15], s[30:31]
	v_cmp_eq_u64_e64 s[36:37], 1, v[26:27]
	v_cndmask_b32_e64 v10, 0, 1, s[22:23]
	s_and_b64 s[22:23], s[16:17], s[34:35]
	v_cmp_eq_u64_e64 s[38:39], 1, v[28:29]
	;; [unrolled: 3-line block ×3, first 2 shown]
	v_cmp_eq_u64_e64 s[48:49], 3, v[18:19]
	v_cndmask_b32_e64 v12, 0, 1, s[22:23]
	s_and_b64 s[22:23], s[20:21], s[38:39]
	v_cndmask_b32_e64 v13, 0, 1, s[22:23]
	s_and_b64 s[22:23], s[14:15], s[40:41]
	s_and_b64 s[14:15], s[14:15], s[48:49]
	v_cmp_eq_u64_e64 s[44:45], 2, v[26:27]
	v_cmp_eq_u64_e64 s[52:53], 3, v[26:27]
	v_cndmask_b32_e64 v14, 0, 1, s[22:23]
	s_and_b64 s[22:23], s[16:17], s[42:43]
	v_cndmask_b32_e64 v27, 0, 1, s[14:15]
	s_and_b64 s[14:15], s[16:17], s[50:51]
	v_cmp_eq_u64_e64 s[46:47], 2, v[28:29]
	v_cmp_eq_u64_e64 s[54:55], 3, v[28:29]
	v_cndmask_b32_e64 v15, 0, 1, s[22:23]
	s_and_b64 s[22:23], s[18:19], s[44:45]
	v_cndmask_b32_e64 v28, 0, 1, s[14:15]
	s_and_b64 s[14:15], s[18:19], s[52:53]
	;; [unrolled: 2-line block ×4, first 2 shown]
	v_cndmask_b32_e64 v26, 0, 1, s[22:23]
	v_cndmask_b32_e64 v45, 0, 1, s[14:15]
	v_cmp_ne_u32_e64 s[14:15], 0, v4
	v_cmp_ne_u32_e64 s[16:17], 0, v5
	v_cmp_ne_u32_e64 s[18:19], 0, v8
	v_cmp_ne_u32_e64 s[20:21], 0, v9
	v_cmp_ne_u32_e64 s[22:23], 0, v10
	v_cmp_ne_u32_e64 s[24:25], 0, v11
	v_cmp_ne_u32_e64 s[30:31], 0, v14
	v_cmp_ne_u32_e64 s[40:41], 0, v27
	v_cmp_ne_u32_e64 s[26:27], 0, v12
	v_cmp_ne_u32_e64 s[34:35], 0, v15
	v_cmp_ne_u32_e64 s[42:43], 0, v28
	s_bcnt1_i32_b64 s1, s[14:15]
	s_bcnt1_i32_b64 s14, s[16:17]
	s_bcnt1_i32_b64 s15, s[18:19]
	s_bcnt1_i32_b64 s16, s[20:21]
	s_bcnt1_i32_b64 s17, s[22:23]
	s_bcnt1_i32_b64 s18, s[24:25]
	s_bcnt1_i32_b64 s21, s[30:31]
	s_bcnt1_i32_b64 s25, s[40:41]
	v_cmp_ne_u32_e64 s[36:37], 0, v18
	v_cmp_ne_u32_e64 s[44:45], 0, v29
	s_bcnt1_i32_b64 s19, s[26:27]
	s_bcnt1_i32_b64 s22, s[34:35]
	;; [unrolled: 1-line block ×3, first 2 shown]
	s_add_i32 s0, s0, s1
	s_add_i32 s1, s64, s17
	;; [unrolled: 1-line block ×4, first 2 shown]
	v_cmp_ne_u32_e64 s[28:29], 0, v13
	v_cmp_ne_u32_e64 s[38:39], 0, v26
	v_cmp_ne_u32_e64 s[46:47], 0, v45
	s_bcnt1_i32_b64 s23, s[36:37]
	s_bcnt1_i32_b64 s27, s[44:45]
	s_add_i32 s0, s0, s14
	s_add_i32 s1, s1, s18
	;; [unrolled: 1-line block ×4, first 2 shown]
	v_add_u32_e32 v44, s73, v44
	s_bcnt1_i32_b64 s20, s[28:29]
	s_bcnt1_i32_b64 s24, s[38:39]
	;; [unrolled: 1-line block ×3, first 2 shown]
	s_add_i32 s0, s0, s15
	s_add_i32 s1, s1, s19
	;; [unrolled: 1-line block ×4, first 2 shown]
	v_cmp_le_u32_e32 vcc, s71, v44
	s_add_i32 s0, s0, s16
	s_add_i32 s64, s1, s20
	;; [unrolled: 1-line block ×4, first 2 shown]
	v_add_u32_e32 v2, s2, v2
	s_or_b64 s[80:81], vcc, s[80:81]
	v_mov_b32_e32 v8, s0
	v_mov_b32_e32 v9, s64
	;; [unrolled: 1-line block ×4, first 2 shown]
	s_andn2_b64 exec, exec, s[80:81]
	s_cbranch_execnz .LBB112_71
; %bb.72:                               ;   in Loop: Header=BB112_21 Depth=1
	s_or_b64 exec, exec, s[80:81]
	s_mov_b32 s55, s6
.LBB112_73:                             ;   in Loop: Header=BB112_21 Depth=1
	s_or_b64 exec, exec, s[78:79]
	v_add_u32_e32 v2, s71, v0
	v_cmp_gt_u32_e32 vcc, s65, v2
	s_and_saveexec_b64 s[24:25], vcc
	s_cbranch_execz .LBB112_77
; %bb.74:                               ;   in Loop: Header=BB112_21 Depth=1
	s_and_b32 s0, s74, 0xfe
	s_waitcnt vmcnt(0)
	v_lshlrev_b32_e32 v4, 3, v2
	s_mov_b64 s[26:27], 0
.LBB112_75:                             ;   Parent Loop BB112_21 Depth=1
                                        ; =>  This Inner Loop Header: Depth=2
	ds_read_b64 v[12:13], v4
	v_add_u32_e32 v2, s59, v2
	v_cmp_le_u32_e32 vcc, s65, v2
	v_add_u32_e32 v4, s3, v4
	s_waitcnt lgkmcnt(0)
	v_ashrrev_i32_e32 v5, 31, v13
	v_or_b32_e32 v14, 0x80000000, v5
	v_xor_b32_e32 v5, v5, v12
	v_xor_b32_e32 v14, v14, v13
	v_cmp_o_f64_e64 s[14:15], v[12:13], v[12:13]
	v_cndmask_b32_e64 v13, -1, v14, s[14:15]
	v_cndmask_b32_e64 v12, -1, v5, s[14:15]
	v_and_b32_e32 v15, s61, v13
	v_and_b32_e32 v14, s60, v12
	v_lshrrev_b64 v[12:13], s0, v[12:13]
	v_and_b32_e32 v18, 3, v12
	v_cmp_eq_u64_e64 s[14:15], s[62:63], v[14:15]
	v_cmp_eq_u64_e64 s[16:17], 0, v[18:19]
	v_cmp_eq_u64_e64 s[18:19], 1, v[18:19]
	s_and_b64 s[8:9], s[14:15], s[16:17]
	v_cmp_eq_u64_e64 s[20:21], 2, v[18:19]
	v_cndmask_b32_e64 v5, 0, 1, s[8:9]
	s_and_b64 s[8:9], s[14:15], s[18:19]
	v_cmp_eq_u64_e64 s[22:23], 3, v[18:19]
	v_cndmask_b32_e64 v12, 0, 1, s[8:9]
	s_and_b64 s[8:9], s[14:15], s[20:21]
	v_cndmask_b32_e64 v13, 0, 1, s[8:9]
	s_and_b64 s[8:9], s[14:15], s[22:23]
	v_cndmask_b32_e64 v14, 0, 1, s[8:9]
	v_cmp_ne_u32_e64 s[14:15], 0, v5
	v_cmp_ne_u32_e64 s[16:17], 0, v12
	;; [unrolled: 1-line block ×4, first 2 shown]
	s_bcnt1_i32_b64 s1, s[14:15]
	s_bcnt1_i32_b64 s8, s[16:17]
	;; [unrolled: 1-line block ×4, first 2 shown]
	v_add_u32_e32 v8, s1, v8
	v_add_u32_e32 v9, s8, v9
	;; [unrolled: 1-line block ×3, first 2 shown]
	s_or_b64 s[26:27], vcc, s[26:27]
	v_add_u32_e32 v11, s14, v11
	s_andn2_b64 exec, exec, s[26:27]
	s_cbranch_execnz .LBB112_75
; %bb.76:                               ;   in Loop: Header=BB112_21 Depth=1
	s_or_b64 exec, exec, s[26:27]
	s_or_b64 s[76:77], s[76:77], exec
.LBB112_77:                             ;   in Loop: Header=BB112_21 Depth=1
	s_or_b64 exec, exec, s[24:25]
.LBB112_78:                             ;   in Loop: Header=BB112_21 Depth=1
	s_and_saveexec_b64 s[14:15], s[76:77]
	s_or_b64 exec, exec, s[14:15]
	s_lshl_b32 s0, s13, 6
	s_and_saveexec_b64 s[14:15], s[4:5]
	s_cbranch_execz .LBB112_80
; %bb.79:                               ;   in Loop: Header=BB112_21 Depth=1
	v_or_b32_e32 v2, s0, v33
	v_lshlrev_b32_e32 v2, 2, v2
	ds_write_b128 v2, v[8:11] offset:3072
.LBB112_80:                             ;   in Loop: Header=BB112_21 Depth=1
	s_or_b64 exec, exec, s[14:15]
	s_waitcnt lgkmcnt(0)
	s_barrier
	s_and_saveexec_b64 s[14:15], s[66:67]
	s_cbranch_execz .LBB112_94
; %bb.81:                               ;   in Loop: Header=BB112_21 Depth=1
	v_readlane_b32 s8, v54, 16
	v_readlane_b32 s9, v54, 17
	v_add_u32_e32 v2, s0, v23
	s_andn2_b64 vcc, exec, s[8:9]
	s_waitcnt vmcnt(0)
	v_mov_b32_e32 v4, 0
	s_cbranch_vccnz .LBB112_93
; %bb.82:                               ;   in Loop: Header=BB112_21 Depth=1
	v_readlane_b32 s8, v54, 20
	v_readlane_b32 s9, v54, 21
	s_mov_b32 s1, 0
	s_and_b64 vcc, exec, s[8:9]
	v_mov_b32_e32 v4, 0
	s_cbranch_vccz .LBB112_86
; %bb.83:                               ;   in Loop: Header=BB112_21 Depth=1
	v_readlane_b32 s16, v54, 24
	v_readlane_b32 s8, v54, 11
	;; [unrolled: 1-line block ×3, first 2 shown]
	v_lshl_add_u32 v8, v2, 2, v43
	v_readlane_b32 s9, v54, 12
	s_andn2_b64 vcc, exec, s[16:17]
	s_cbranch_vccnz .LBB112_87
; %bb.84:                               ;   in Loop: Header=BB112_21 Depth=1
	s_mov_b32 s17, 1
	s_mov_b32 s16, 0
	v_mov_b32_e32 v4, 0
	v_readlane_b32 s1, v54, 26
	v_mov_b32_e32 v5, 0
.LBB112_85:                             ;   Parent Loop BB112_21 Depth=1
                                        ; =>  This Inner Loop Header: Depth=2
	v_lshl_add_u32 v9, s16, 4, v8
	v_lshl_add_u32 v18, s17, 4, v8
	ds_read2_b32 v[10:11], v9 offset1:8
	ds_read2_b32 v[12:13], v18 offset1:8
	ds_read2_b32 v[14:15], v9 offset0:16 offset1:24
	ds_read2_b32 v[26:27], v18 offset0:16 offset1:24
	;; [unrolled: 1-line block ×6, first 2 shown]
	s_waitcnt lgkmcnt(7)
	v_add3_u32 v4, v10, v4, v11
	s_waitcnt lgkmcnt(6)
	v_add3_u32 v5, v12, v5, v13
	;; [unrolled: 2-line block ×3, first 2 shown]
	v_add3_u32 v4, v14, v4, v15
	s_add_i32 s17, s17, 16
	s_add_i32 s16, s16, 16
	s_add_i32 s1, s1, -8
	s_waitcnt lgkmcnt(3)
	v_add3_u32 v4, v28, v4, v29
	s_waitcnt lgkmcnt(2)
	v_add3_u32 v5, v44, v5, v45
	s_cmp_lg_u32 s1, 0
	s_waitcnt lgkmcnt(0)
	v_add3_u32 v5, v48, v5, v49
	v_add3_u32 v4, v46, v4, v47
	s_cbranch_scc1 .LBB112_85
	s_branch .LBB112_88
.LBB112_86:                             ;   in Loop: Header=BB112_21 Depth=1
	s_cbranch_execnz .LBB112_91
	s_branch .LBB112_93
.LBB112_87:                             ;   in Loop: Header=BB112_21 Depth=1
	s_mov_b32 s9, s8
	v_pk_mov_b32 v[4:5], s[8:9], s[8:9] op_sel:[0,1]
	s_mov_b32 s9, 1
	s_mov_b64 s[16:17], s[8:9]
.LBB112_88:                             ;   in Loop: Header=BB112_21 Depth=1
	v_writelane_b32 v54, s8, 11
	v_writelane_b32 v54, s9, 12
	v_readlane_b32 s8, v54, 28
	v_readlane_b32 s9, v54, 29
	s_andn2_b64 vcc, exec, s[8:9]
	v_readlane_b32 s1, v54, 27
	s_cbranch_vccnz .LBB112_90
.LBB112_89:                             ;   Parent Loop BB112_21 Depth=1
                                        ; =>  This Inner Loop Header: Depth=2
	v_lshl_add_u32 v9, s16, 4, v8
	v_lshl_add_u32 v10, s17, 4, v8
	ds_read_b32 v10, v10
	ds_read_b32 v9, v9
	s_add_i32 s17, s17, 2
	s_add_i32 s16, s16, 2
	s_add_i32 s1, s1, -1
	s_cmp_lg_u32 s1, 0
	s_waitcnt lgkmcnt(1)
	v_add_u32_e32 v5, v10, v5
	s_waitcnt lgkmcnt(0)
	v_add_u32_e32 v4, v9, v4
	s_cbranch_scc1 .LBB112_89
.LBB112_90:                             ;   in Loop: Header=BB112_21 Depth=1
	v_readlane_b32 s16, v54, 32
	v_add_u32_e32 v4, v4, v5
	v_readlane_b32 s1, v54, 31
	v_readlane_b32 s17, v54, 33
	s_and_b64 vcc, exec, s[16:17]
	s_cbranch_vccz .LBB112_93
.LBB112_91:                             ;   in Loop: Header=BB112_21 Depth=1
	s_lshl_b32 s8, s13, 8
	s_lshl_b32 s9, s1, 4
	s_add_i32 s8, s8, s9
	v_add_u32_e32 v5, s8, v42
	v_readlane_b32 s8, v54, 30
	s_sub_i32 s1, s8, s1
.LBB112_92:                             ;   Parent Loop BB112_21 Depth=1
                                        ; =>  This Inner Loop Header: Depth=2
	ds_read_b32 v8, v5
	s_add_i32 s1, s1, -1
	v_add_u32_e32 v5, 16, v5
	s_cmp_eq_u32 s1, 0
	s_waitcnt lgkmcnt(0)
	v_add_u32_e32 v4, v8, v4
	s_cbranch_scc0 .LBB112_92
.LBB112_93:                             ;   in Loop: Header=BB112_21 Depth=1
	v_lshlrev_b32_e32 v2, 2, v2
	ds_write_b32 v2, v4 offset:3072
.LBB112_94:                             ;   in Loop: Header=BB112_21 Depth=1
	s_or_b64 exec, exec, s[14:15]
	s_lshl_b32 s0, s0, 2
	v_mov_b32_e32 v2, s0
	s_waitcnt lgkmcnt(0)
	s_barrier
	ds_read_b128 v[8:11], v2 offset:3072
	s_and_b32 s47, s74, 0xfe
	s_lshl_b64 s[16:17], 3, s47
	s_not_b64 s[26:27], s[16:17]
	s_mov_b64 s[20:21], -1
	s_waitcnt lgkmcnt(0)
	v_readfirstlane_b32 s34, v8
	s_cmp_eq_u32 s34, 1
	s_cselect_b64 s[0:1], -1, 0
	s_cmp_eq_u32 s70, 1
	s_cselect_b64 s[8:9], -1, 0
	s_and_b64 s[22:23], s[0:1], s[8:9]
	v_readfirstlane_b32 s38, v9
	v_readfirstlane_b32 s46, v10
	;; [unrolled: 1-line block ×3, first 2 shown]
	s_and_b64 vcc, exec, s[22:23]
	s_cbranch_vccz .LBB112_106
; %bb.95:                               ;   in Loop: Header=BB112_21 Depth=1
	ds_read_b32 v2, v19 offset:4104
	v_readlane_b32 s6, v54, 22
	v_readlane_b32 s7, v54, 23
	s_waitcnt lgkmcnt(0)
	s_barrier
	v_readfirstlane_b32 s0, v2
	s_and_saveexec_b64 s[14:15], s[6:7]
	s_cbranch_execz .LBB112_97
; %bb.96:                               ;   in Loop: Header=BB112_21 Depth=1
	v_mov_b32_e32 v18, v19
	ds_write_b64 v32, v[18:19]
.LBB112_97:                             ;   in Loop: Header=BB112_21 Depth=1
	s_or_b64 exec, exec, s[14:15]
	s_and_b64 s[62:63], s[62:63], s[26:27]
	s_or_b64 s[60:61], s[60:61], s[16:17]
	s_cmp_eq_u32 s0, 0
	s_waitcnt lgkmcnt(0)
	s_barrier
	s_cbranch_scc1 .LBB112_107
; %bb.98:                               ;   in Loop: Header=BB112_21 Depth=1
	v_readlane_b32 s1, v54, 13
	s_add_i32 s1, s0, s1
	v_readlane_b32 s6, v54, 36
	s_mul_hi_u32 s8, s1, s6
	s_mul_i32 s8, s8, s59
	s_sub_i32 s8, s1, s8
	s_sub_i32 s9, s8, s59
	s_cmp_ge_u32 s8, s59
	s_cselect_b32 s8, s9, s8
	s_sub_i32 s9, s8, s59
	s_cmp_ge_u32 s8, s59
	s_cselect_b32 s8, s9, s8
	s_sub_i32 s1, s1, s8
	v_cmp_gt_u32_e32 vcc, s1, v0
	s_mov_b64 s[14:15], 0
                                        ; implicit-def: $vgpr6_vgpr7
	s_and_saveexec_b64 s[18:19], vcc
	s_cbranch_execz .LBB112_109
; %bb.99:                               ;   in Loop: Header=BB112_21 Depth=1
	s_mov_b64 s[28:29], 0
	v_mov_b32_e32 v8, v31
	v_mov_b32_e32 v9, v0
                                        ; implicit-def: $sgpr24_sgpr25
	s_branch .LBB112_101
.LBB112_100:                            ;   in Loop: Header=BB112_101 Depth=2
	s_or_b64 exec, exec, s[14:15]
	s_waitcnt lgkmcnt(0)
	s_barrier
	ds_read_b128 v[4:7], v19 offset:3072
	v_add_u32_e32 v9, s59, v9
	v_cmp_le_u32_e64 s[14:15], s1, v9
	v_add_u32_e32 v8, s3, v8
	s_waitcnt lgkmcnt(0)
	v_cmp_neq_f64_e32 vcc, 0, v[4:5]
	s_or_b64 s[8:9], s[14:15], vcc
	s_and_b64 s[8:9], exec, s[8:9]
	s_or_b64 s[28:29], s[8:9], s[28:29]
	s_andn2_b64 s[8:9], s[24:25], exec
	s_and_b64 s[14:15], vcc, exec
	s_or_b64 s[24:25], s[8:9], s[14:15]
	s_barrier
	s_andn2_b64 exec, exec, s[28:29]
	s_cbranch_execz .LBB112_108
.LBB112_101:                            ;   Parent Loop BB112_21 Depth=1
                                        ; =>  This Inner Loop Header: Depth=2
	v_cmp_gt_u32_e32 vcc, s0, v9
	s_waitcnt vmcnt(0)
	v_pk_mov_b32 v[4:5], 0, 0
	s_and_saveexec_b64 s[14:15], vcc
	s_cbranch_execz .LBB112_103
; %bb.102:                              ;   in Loop: Header=BB112_101 Depth=2
	ds_read_b64 v[4:5], v8
.LBB112_103:                            ;   in Loop: Header=BB112_101 Depth=2
	s_or_b64 exec, exec, s[14:15]
	s_and_saveexec_b64 s[14:15], vcc
	s_cbranch_execz .LBB112_100
; %bb.104:                              ;   in Loop: Header=BB112_101 Depth=2
	s_waitcnt lgkmcnt(0)
	v_ashrrev_i32_e32 v2, 31, v5
	v_or_b32_e32 v6, 0x80000000, v2
	v_xor_b32_e32 v6, v6, v5
	v_xor_b32_e32 v2, v2, v4
	v_cmp_o_f64_e32 vcc, v[4:5], v[4:5]
	v_cndmask_b32_e32 v6, -1, v6, vcc
	v_cndmask_b32_e32 v2, -1, v2, vcc
	v_and_b32_e32 v7, s61, v6
	v_and_b32_e32 v6, s60, v2
	v_cmp_eq_u64_e32 vcc, s[62:63], v[6:7]
	s_and_b64 exec, exec, vcc
	s_cbranch_execz .LBB112_100
; %bb.105:                              ;   in Loop: Header=BB112_101 Depth=2
	v_mov_b32_e32 v2, v19
	ds_write_b128 v19, v[2:5] offset:3072
	s_branch .LBB112_100
.LBB112_106:                            ;   in Loop: Header=BB112_21 Depth=1
	s_mov_b64 s[14:15], -1
                                        ; implicit-def: $sgpr18_sgpr19
                                        ; implicit-def: $sgpr28_sgpr29
                                        ; implicit-def: $sgpr24_sgpr25
	s_branch .LBB112_120
.LBB112_107:                            ;   in Loop: Header=BB112_21 Depth=1
	s_mov_b64 s[18:19], -1
	s_mov_b64 s[14:15], 0
                                        ; implicit-def: $sgpr24_sgpr25
                                        ; implicit-def: $vgpr6_vgpr7
	s_mov_b64 s[28:29], s[18:19]
	s_cbranch_execnz .LBB112_110
	s_branch .LBB112_120
.LBB112_108:                            ;   in Loop: Header=BB112_21 Depth=1
	s_or_b64 exec, exec, s[28:29]
	s_and_b64 s[14:15], s[24:25], exec
.LBB112_109:                            ;   in Loop: Header=BB112_21 Depth=1
	s_or_b64 exec, exec, s[18:19]
	s_mov_b64 s[24:25], -1
	s_mov_b64 s[18:19], 0
	s_mov_b64 s[28:29], s[18:19]
	s_branch .LBB112_120
.LBB112_110:                            ;   in Loop: Header=BB112_21 Depth=1
	s_mov_b64 s[14:15], 0
                                        ; implicit-def: $vgpr6_vgpr7
	s_mov_b64 s[18:19], exec
	v_readlane_b32 s0, v54, 37
	v_readlane_b32 s1, v54, 38
	s_and_b64 s[0:1], s[18:19], s[0:1]
	s_mov_b64 exec, s[0:1]
	s_cbranch_execz .LBB112_119
; %bb.111:                              ;   in Loop: Header=BB112_21 Depth=1
	s_mov_b64 s[28:29], 0
	v_mov_b32_e32 v18, v16
	v_mov_b32_e32 v8, v0
                                        ; implicit-def: $sgpr24_sgpr25
	s_branch .LBB112_113
.LBB112_112:                            ;   in Loop: Header=BB112_113 Depth=2
	s_or_b64 exec, exec, s[14:15]
	s_waitcnt lgkmcnt(0)
	s_barrier
	s_waitcnt vmcnt(0)
	ds_read_b128 v[4:7], v19 offset:3072
	v_add_u32_e32 v8, s59, v8
	v_cmp_le_u32_e64 s[14:15], s68, v8
	v_add_u32_e32 v18, s72, v18
	s_waitcnt lgkmcnt(0)
	v_cmp_neq_f64_e32 vcc, 0, v[4:5]
	s_or_b64 s[0:1], s[14:15], vcc
	s_and_b64 s[0:1], exec, s[0:1]
	s_or_b64 s[28:29], s[0:1], s[28:29]
	s_andn2_b64 s[0:1], s[24:25], exec
	s_and_b64 s[8:9], vcc, exec
	s_or_b64 s[24:25], s[0:1], s[8:9]
	s_barrier
	s_andn2_b64 exec, exec, s[28:29]
	s_cbranch_execz .LBB112_118
.LBB112_113:                            ;   Parent Loop BB112_21 Depth=1
                                        ; =>  This Inner Loop Header: Depth=2
	v_cmp_gt_u32_e32 vcc, s56, v8
	s_waitcnt vmcnt(0)
	v_pk_mov_b32 v[4:5], 0, 0
	s_and_saveexec_b64 s[30:31], vcc
	s_cbranch_execz .LBB112_115
; %bb.114:                              ;   in Loop: Header=BB112_113 Depth=2
	v_lshlrev_b64 v[4:5], 3, v[18:19]
	v_mov_b32_e32 v2, s33
	v_add_co_u32_e64 v4, s[14:15], s57, v4
	v_addc_co_u32_e64 v5, s[14:15], v2, v5, s[14:15]
	global_load_dwordx2 v[4:5], v[4:5], off
.LBB112_115:                            ;   in Loop: Header=BB112_113 Depth=2
	s_or_b64 exec, exec, s[30:31]
	s_and_saveexec_b64 s[14:15], vcc
	s_cbranch_execz .LBB112_112
; %bb.116:                              ;   in Loop: Header=BB112_113 Depth=2
	s_waitcnt vmcnt(0)
	v_ashrrev_i32_e32 v2, 31, v5
	v_or_b32_e32 v6, 0x80000000, v2
	v_xor_b32_e32 v6, v6, v5
	v_xor_b32_e32 v2, v2, v4
	v_cmp_o_f64_e32 vcc, v[4:5], v[4:5]
	v_cndmask_b32_e32 v6, -1, v6, vcc
	v_cndmask_b32_e32 v2, -1, v2, vcc
	v_and_b32_e32 v7, s61, v6
	v_and_b32_e32 v6, s60, v2
	v_cmp_eq_u64_e32 vcc, s[62:63], v[6:7]
	s_and_b64 exec, exec, vcc
	s_cbranch_execz .LBB112_112
; %bb.117:                              ;   in Loop: Header=BB112_113 Depth=2
	v_mov_b32_e32 v2, v19
	ds_write_b128 v19, v[2:5] offset:3072
	s_branch .LBB112_112
.LBB112_118:                            ;   in Loop: Header=BB112_21 Depth=1
	s_or_b64 exec, exec, s[28:29]
	s_and_b64 s[14:15], s[24:25], exec
.LBB112_119:                            ;   in Loop: Header=BB112_21 Depth=1
	s_or_b64 exec, exec, s[18:19]
	s_mov_b64 s[28:29], -1
	s_mov_b64 s[18:19], 0
	s_mov_b64 s[24:25], 0
.LBB112_120:                            ;   in Loop: Header=BB112_21 Depth=1
	s_andn2_b64 s[0:1], s[94:95], exec
	s_and_b64 s[8:9], s[18:19], exec
	s_or_b64 s[94:95], s[0:1], s[8:9]
	s_andn2_b64 s[0:1], s[92:93], exec
	s_and_b64 s[8:9], s[28:29], exec
	s_or_b64 s[92:93], s[0:1], s[8:9]
	;; [unrolled: 3-line block ×3, first 2 shown]
	s_and_saveexec_b64 s[18:19], s[14:15]
	s_cbranch_execz .LBB112_20
; %bb.121:                              ;   in Loop: Header=BB112_21 Depth=1
	s_xor_b64 s[0:1], s[22:23], -1
	s_mov_b64 s[14:15], 0
	s_andn2_b64 vcc, exec, s[0:1]
	s_mov_b32 s39, 1
	s_cbranch_vccnz .LBB112_132
; %bb.122:                              ;   in Loop: Header=BB112_21 Depth=1
	s_cmp_gt_u32 s70, s34
	s_mov_b64 s[14:15], -1
                                        ; implicit-def: $sgpr54
                                        ; implicit-def: $sgpr20_sgpr21
                                        ; implicit-def: $sgpr22_sgpr23
	s_cbranch_scc1 .LBB112_128
; %bb.123:                              ;   in Loop: Header=BB112_21 Depth=1
	ds_read_b32 v2, v19 offset:4104
	s_waitcnt lgkmcnt(0)
	v_cmp_ne_u32_e32 vcc, 0, v2
	s_cbranch_vccnz .LBB112_127
; %bb.124:                              ;   in Loop: Header=BB112_21 Depth=1
	s_mov_b64 s[14:15], exec
	v_readlane_b32 s0, v54, 7
	v_readlane_b32 s1, v54, 8
	s_and_b64 s[0:1], s[14:15], s[0:1]
	s_mov_b64 exec, s[0:1]
	s_cbranch_execz .LBB112_126
; %bb.125:                              ;   in Loop: Header=BB112_21 Depth=1
	v_mov_b32_e32 v2, s34
	ds_write_b32 v19, v2 offset:4108
.LBB112_126:                            ;   in Loop: Header=BB112_21 Depth=1
	s_or_b64 exec, exec, s[14:15]
	s_waitcnt lgkmcnt(0)
	s_barrier
.LBB112_127:                            ;   in Loop: Header=BB112_21 Depth=1
	s_and_b64 s[20:21], s[62:63], s[26:27]
	s_or_b64 s[22:23], s[60:61], s[16:17]
	s_mov_b64 s[14:15], 0
	s_mov_b32 s54, 8
.LBB112_128:                            ;   in Loop: Header=BB112_21 Depth=1
	s_andn2_b64 vcc, exec, s[14:15]
	s_cbranch_vccnz .LBB112_130
; %bb.129:                              ;   in Loop: Header=BB112_21 Depth=1
	s_sub_i32 s70, s70, s34
	s_mov_b64 s[14:15], -1
	s_mov_b32 s54, 0
	s_mov_b64 s[20:21], s[62:63]
	s_mov_b64 s[22:23], s[60:61]
.LBB112_130:                            ;   in Loop: Header=BB112_21 Depth=1
	s_mov_b64 s[60:61], s[22:23]
	s_mov_b64 s[62:63], s[20:21]
	s_mov_b32 s39, s70
	s_mov_b64 s[20:21], -1
	s_and_b64 vcc, exec, s[14:15]
	s_cbranch_vccnz .LBB112_133
.LBB112_131:                            ;   in Loop: Header=BB112_21 Depth=1
	s_mov_b64 s[36:37], -1
                                        ; implicit-def: $sgpr22_sgpr23
                                        ; implicit-def: $sgpr28_sgpr29
                                        ; implicit-def: $sgpr24_sgpr25
                                        ; implicit-def: $sgpr70
	s_and_saveexec_b64 s[0:1], s[36:37]
	s_xor_b64 s[14:15], exec, s[0:1]
	s_cbranch_execz .LBB112_19
	s_branch .LBB112_256
.LBB112_132:                            ;   in Loop: Header=BB112_21 Depth=1
	s_mov_b32 s54, 1
	s_mov_b64 s[20:21], -1
	s_and_b64 vcc, exec, s[14:15]
	s_cbranch_vccz .LBB112_131
.LBB112_133:                            ;   in Loop: Header=BB112_21 Depth=1
	s_cmp_eq_u32 s38, 1
	s_cselect_b64 s[0:1], -1, 0
	s_cmp_eq_u32 s39, 1
	s_cselect_b64 s[8:9], -1, 0
	s_and_b64 s[34:35], s[0:1], s[8:9]
	s_mov_b64 s[14:15], -1
	s_and_b64 vcc, exec, s[34:35]
	s_cbranch_vccz .LBB112_145
; %bb.134:                              ;   in Loop: Header=BB112_21 Depth=1
	ds_read_b32 v2, v19 offset:4104
	v_readlane_b32 s6, v54, 22
	v_readlane_b32 s7, v54, 23
	s_waitcnt lgkmcnt(0)
	s_barrier
	v_readfirstlane_b32 s0, v2
	s_and_saveexec_b64 s[14:15], s[6:7]
	s_cbranch_execz .LBB112_136
; %bb.135:                              ;   in Loop: Header=BB112_21 Depth=1
	v_mov_b32_e32 v18, v19
	ds_write_b64 v32, v[18:19]
.LBB112_136:                            ;   in Loop: Header=BB112_21 Depth=1
	s_or_b64 exec, exec, s[14:15]
	s_lshl_b64 s[8:9], 1, s47
	s_and_b64 s[14:15], s[62:63], s[26:27]
	s_or_b64 s[62:63], s[14:15], s[8:9]
	s_or_b64 s[60:61], s[60:61], s[16:17]
	s_cmp_eq_u32 s0, 0
	s_waitcnt lgkmcnt(0)
	s_barrier
	s_cbranch_scc1 .LBB112_146
; %bb.137:                              ;   in Loop: Header=BB112_21 Depth=1
	v_readlane_b32 s1, v54, 13
	s_add_i32 s1, s0, s1
	v_readlane_b32 s6, v54, 36
	s_mul_hi_u32 s8, s1, s6
	s_mul_i32 s8, s8, s59
	s_sub_i32 s8, s1, s8
	s_sub_i32 s9, s8, s59
	s_cmp_ge_u32 s8, s59
	s_cselect_b32 s8, s9, s8
	s_sub_i32 s9, s8, s59
	s_cmp_ge_u32 s8, s59
	s_cselect_b32 s8, s9, s8
	s_sub_i32 s1, s1, s8
	v_cmp_gt_u32_e32 vcc, s1, v0
	s_mov_b64 s[14:15], 0
                                        ; implicit-def: $vgpr6_vgpr7
	s_and_saveexec_b64 s[22:23], vcc
	s_cbranch_execz .LBB112_148
; %bb.138:                              ;   in Loop: Header=BB112_21 Depth=1
	s_mov_b64 s[28:29], 0
	v_mov_b32_e32 v8, v31
	v_mov_b32_e32 v9, v0
                                        ; implicit-def: $sgpr24_sgpr25
	s_branch .LBB112_140
.LBB112_139:                            ;   in Loop: Header=BB112_140 Depth=2
	s_or_b64 exec, exec, s[14:15]
	s_waitcnt lgkmcnt(0)
	s_barrier
	ds_read_b128 v[4:7], v19 offset:3072
	v_add_u32_e32 v9, s59, v9
	v_cmp_le_u32_e64 s[14:15], s1, v9
	v_add_u32_e32 v8, s3, v8
	s_waitcnt lgkmcnt(0)
	v_cmp_neq_f64_e32 vcc, 0, v[4:5]
	s_or_b64 s[8:9], s[14:15], vcc
	s_and_b64 s[8:9], exec, s[8:9]
	s_or_b64 s[28:29], s[8:9], s[28:29]
	s_andn2_b64 s[8:9], s[24:25], exec
	s_and_b64 s[14:15], vcc, exec
	s_or_b64 s[24:25], s[8:9], s[14:15]
	s_barrier
	s_andn2_b64 exec, exec, s[28:29]
	s_cbranch_execz .LBB112_147
.LBB112_140:                            ;   Parent Loop BB112_21 Depth=1
                                        ; =>  This Inner Loop Header: Depth=2
	v_cmp_gt_u32_e32 vcc, s0, v9
	s_waitcnt vmcnt(0)
	v_pk_mov_b32 v[4:5], 0, 0
	s_and_saveexec_b64 s[14:15], vcc
	s_cbranch_execz .LBB112_142
; %bb.141:                              ;   in Loop: Header=BB112_140 Depth=2
	ds_read_b64 v[4:5], v8
.LBB112_142:                            ;   in Loop: Header=BB112_140 Depth=2
	s_or_b64 exec, exec, s[14:15]
	s_and_saveexec_b64 s[14:15], vcc
	s_cbranch_execz .LBB112_139
; %bb.143:                              ;   in Loop: Header=BB112_140 Depth=2
	s_waitcnt lgkmcnt(0)
	v_ashrrev_i32_e32 v2, 31, v5
	v_or_b32_e32 v6, 0x80000000, v2
	v_xor_b32_e32 v6, v6, v5
	v_xor_b32_e32 v2, v2, v4
	v_cmp_o_f64_e32 vcc, v[4:5], v[4:5]
	v_cndmask_b32_e32 v6, -1, v6, vcc
	v_cndmask_b32_e32 v2, -1, v2, vcc
	v_and_b32_e32 v7, s61, v6
	v_and_b32_e32 v6, s60, v2
	v_cmp_eq_u64_e32 vcc, s[62:63], v[6:7]
	s_and_b64 exec, exec, vcc
	s_cbranch_execz .LBB112_139
; %bb.144:                              ;   in Loop: Header=BB112_140 Depth=2
	v_mov_b32_e32 v2, v19
	ds_write_b128 v19, v[2:5] offset:3072
	s_branch .LBB112_139
.LBB112_145:                            ;   in Loop: Header=BB112_21 Depth=1
                                        ; implicit-def: $sgpr24_sgpr25
                                        ; implicit-def: $sgpr28_sgpr29
                                        ; implicit-def: $sgpr22_sgpr23
	s_branch .LBB112_159
.LBB112_146:                            ;   in Loop: Header=BB112_21 Depth=1
	s_mov_b64 s[24:25], -1
	s_mov_b64 s[14:15], 0
                                        ; implicit-def: $sgpr22_sgpr23
                                        ; implicit-def: $vgpr6_vgpr7
	s_mov_b64 s[28:29], s[24:25]
	s_cbranch_execnz .LBB112_149
	s_branch .LBB112_159
.LBB112_147:                            ;   in Loop: Header=BB112_21 Depth=1
	s_or_b64 exec, exec, s[28:29]
	s_and_b64 s[14:15], s[24:25], exec
.LBB112_148:                            ;   in Loop: Header=BB112_21 Depth=1
	s_or_b64 exec, exec, s[22:23]
	s_mov_b64 s[22:23], -1
	s_mov_b64 s[24:25], 0
	s_mov_b64 s[28:29], s[24:25]
	s_branch .LBB112_159
.LBB112_149:                            ;   in Loop: Header=BB112_21 Depth=1
	s_mov_b64 s[14:15], 0
                                        ; implicit-def: $vgpr6_vgpr7
	s_mov_b64 s[22:23], exec
	v_readlane_b32 s0, v54, 37
	v_readlane_b32 s1, v54, 38
	s_and_b64 s[0:1], s[22:23], s[0:1]
	s_mov_b64 exec, s[0:1]
	s_cbranch_execz .LBB112_158
; %bb.150:                              ;   in Loop: Header=BB112_21 Depth=1
	s_mov_b64 s[28:29], 0
	v_mov_b32_e32 v18, v16
	v_mov_b32_e32 v8, v0
                                        ; implicit-def: $sgpr24_sgpr25
	s_branch .LBB112_152
.LBB112_151:                            ;   in Loop: Header=BB112_152 Depth=2
	s_or_b64 exec, exec, s[14:15]
	s_waitcnt lgkmcnt(0)
	s_barrier
	s_waitcnt vmcnt(0)
	ds_read_b128 v[4:7], v19 offset:3072
	v_add_u32_e32 v8, s59, v8
	v_cmp_le_u32_e64 s[14:15], s68, v8
	v_add_u32_e32 v18, s72, v18
	s_waitcnt lgkmcnt(0)
	v_cmp_neq_f64_e32 vcc, 0, v[4:5]
	s_or_b64 s[0:1], s[14:15], vcc
	s_and_b64 s[0:1], exec, s[0:1]
	s_or_b64 s[28:29], s[0:1], s[28:29]
	s_andn2_b64 s[0:1], s[24:25], exec
	s_and_b64 s[8:9], vcc, exec
	s_or_b64 s[24:25], s[0:1], s[8:9]
	s_barrier
	s_andn2_b64 exec, exec, s[28:29]
	s_cbranch_execz .LBB112_157
.LBB112_152:                            ;   Parent Loop BB112_21 Depth=1
                                        ; =>  This Inner Loop Header: Depth=2
	v_cmp_gt_u32_e32 vcc, s56, v8
	s_waitcnt vmcnt(0)
	v_pk_mov_b32 v[4:5], 0, 0
	s_and_saveexec_b64 s[30:31], vcc
	s_cbranch_execz .LBB112_154
; %bb.153:                              ;   in Loop: Header=BB112_152 Depth=2
	v_lshlrev_b64 v[4:5], 3, v[18:19]
	v_mov_b32_e32 v2, s33
	v_add_co_u32_e64 v4, s[14:15], s57, v4
	v_addc_co_u32_e64 v5, s[14:15], v2, v5, s[14:15]
	global_load_dwordx2 v[4:5], v[4:5], off
.LBB112_154:                            ;   in Loop: Header=BB112_152 Depth=2
	s_or_b64 exec, exec, s[30:31]
	s_and_saveexec_b64 s[14:15], vcc
	s_cbranch_execz .LBB112_151
; %bb.155:                              ;   in Loop: Header=BB112_152 Depth=2
	s_waitcnt vmcnt(0)
	v_ashrrev_i32_e32 v2, 31, v5
	v_or_b32_e32 v6, 0x80000000, v2
	v_xor_b32_e32 v6, v6, v5
	v_xor_b32_e32 v2, v2, v4
	v_cmp_o_f64_e32 vcc, v[4:5], v[4:5]
	v_cndmask_b32_e32 v6, -1, v6, vcc
	v_cndmask_b32_e32 v2, -1, v2, vcc
	v_and_b32_e32 v7, s61, v6
	v_and_b32_e32 v6, s60, v2
	v_cmp_eq_u64_e32 vcc, s[62:63], v[6:7]
	s_and_b64 exec, exec, vcc
	s_cbranch_execz .LBB112_151
; %bb.156:                              ;   in Loop: Header=BB112_152 Depth=2
	v_mov_b32_e32 v2, v19
	ds_write_b128 v19, v[2:5] offset:3072
	s_branch .LBB112_151
.LBB112_157:                            ;   in Loop: Header=BB112_21 Depth=1
	s_or_b64 exec, exec, s[28:29]
	s_and_b64 s[14:15], s[24:25], exec
.LBB112_158:                            ;   in Loop: Header=BB112_21 Depth=1
	s_or_b64 exec, exec, s[22:23]
	s_mov_b64 s[28:29], -1
	s_mov_b64 s[24:25], 0
	s_mov_b64 s[22:23], 0
.LBB112_159:                            ;   in Loop: Header=BB112_21 Depth=1
	s_mov_b64 s[36:37], 0
                                        ; implicit-def: $sgpr54
	s_and_saveexec_b64 s[30:31], s[14:15]
	s_cbranch_execz .LBB112_255
; %bb.160:                              ;   in Loop: Header=BB112_21 Depth=1
	s_xor_b64 s[0:1], s[34:35], -1
	s_mov_b64 s[14:15], 0
	s_andn2_b64 vcc, exec, s[0:1]
	s_mov_b32 s48, 1
	s_cbranch_vccnz .LBB112_171
; %bb.161:                              ;   in Loop: Header=BB112_21 Depth=1
	s_cmp_gt_u32 s39, s38
	s_mov_b64 s[14:15], -1
                                        ; implicit-def: $sgpr54
                                        ; implicit-def: $sgpr34_sgpr35
                                        ; implicit-def: $sgpr36_sgpr37
	s_cbranch_scc1 .LBB112_167
; %bb.162:                              ;   in Loop: Header=BB112_21 Depth=1
	ds_read_b32 v2, v19 offset:4104
	s_waitcnt lgkmcnt(0)
	v_cmp_ne_u32_e32 vcc, 0, v2
	s_cbranch_vccnz .LBB112_166
; %bb.163:                              ;   in Loop: Header=BB112_21 Depth=1
	s_mov_b64 s[14:15], exec
	v_readlane_b32 s0, v54, 7
	v_readlane_b32 s1, v54, 8
	s_and_b64 s[0:1], s[14:15], s[0:1]
	s_mov_b64 exec, s[0:1]
	s_cbranch_execz .LBB112_165
; %bb.164:                              ;   in Loop: Header=BB112_21 Depth=1
	v_mov_b32_e32 v2, s38
	ds_write_b32 v19, v2 offset:4108
.LBB112_165:                            ;   in Loop: Header=BB112_21 Depth=1
	s_or_b64 exec, exec, s[14:15]
	s_waitcnt lgkmcnt(0)
	s_barrier
.LBB112_166:                            ;   in Loop: Header=BB112_21 Depth=1
	s_lshl_b64 s[0:1], 1, s47
	s_and_b64 s[8:9], s[62:63], s[26:27]
	s_or_b64 s[34:35], s[8:9], s[0:1]
	s_or_b64 s[36:37], s[60:61], s[16:17]
	s_mov_b64 s[14:15], 0
	s_mov_b32 s54, 8
.LBB112_167:                            ;   in Loop: Header=BB112_21 Depth=1
	s_andn2_b64 vcc, exec, s[14:15]
	s_cbranch_vccnz .LBB112_169
; %bb.168:                              ;   in Loop: Header=BB112_21 Depth=1
	s_sub_i32 s39, s39, s38
	s_mov_b64 s[14:15], -1
	s_mov_b32 s54, 0
	s_mov_b64 s[34:35], s[62:63]
	s_mov_b64 s[36:37], s[60:61]
.LBB112_169:                            ;   in Loop: Header=BB112_21 Depth=1
	s_mov_b64 s[60:61], s[36:37]
	s_mov_b64 s[62:63], s[34:35]
	s_mov_b32 s48, s39
	s_andn2_b64 vcc, exec, s[14:15]
	s_mov_b64 s[44:45], -1
	s_cbranch_vccz .LBB112_172
.LBB112_170:                            ;   in Loop: Header=BB112_21 Depth=1
                                        ; implicit-def: $sgpr36_sgpr37
                                        ; implicit-def: $sgpr38_sgpr39
                                        ; implicit-def: $sgpr34_sgpr35
	s_branch .LBB112_254
.LBB112_171:                            ;   in Loop: Header=BB112_21 Depth=1
	s_mov_b32 s54, 1
	s_andn2_b64 vcc, exec, s[14:15]
	s_mov_b64 s[44:45], -1
	s_cbranch_vccnz .LBB112_170
.LBB112_172:                            ;   in Loop: Header=BB112_21 Depth=1
	s_cmp_eq_u32 s46, 1
	s_cselect_b64 s[0:1], -1, 0
	s_cmp_eq_u32 s48, 1
	s_cselect_b64 s[8:9], -1, 0
	s_and_b64 s[42:43], s[0:1], s[8:9]
	s_mov_b64 s[14:15], -1
	s_and_b64 vcc, exec, s[42:43]
	s_cbranch_vccz .LBB112_184
; %bb.173:                              ;   in Loop: Header=BB112_21 Depth=1
	ds_read_b32 v2, v19 offset:4104
	v_readlane_b32 s6, v54, 22
	v_readlane_b32 s7, v54, 23
	s_waitcnt lgkmcnt(0)
	s_barrier
	v_readfirstlane_b32 s0, v2
	s_and_saveexec_b64 s[14:15], s[6:7]
	s_cbranch_execz .LBB112_175
; %bb.174:                              ;   in Loop: Header=BB112_21 Depth=1
	v_mov_b32_e32 v18, v19
	ds_write_b64 v32, v[18:19]
.LBB112_175:                            ;   in Loop: Header=BB112_21 Depth=1
	s_or_b64 exec, exec, s[14:15]
	s_lshl_b64 s[8:9], 2, s47
	s_and_b64 s[14:15], s[62:63], s[26:27]
	s_or_b64 s[62:63], s[14:15], s[8:9]
	s_or_b64 s[60:61], s[60:61], s[16:17]
	s_cmp_eq_u32 s0, 0
	s_waitcnt lgkmcnt(0)
	s_barrier
	s_cbranch_scc1 .LBB112_185
; %bb.176:                              ;   in Loop: Header=BB112_21 Depth=1
	v_readlane_b32 s1, v54, 13
	s_add_i32 s1, s0, s1
	v_readlane_b32 s6, v54, 36
	s_mul_hi_u32 s8, s1, s6
	s_mul_i32 s8, s8, s59
	s_sub_i32 s8, s1, s8
	s_sub_i32 s9, s8, s59
	s_cmp_ge_u32 s8, s59
	s_cselect_b32 s8, s9, s8
	s_sub_i32 s9, s8, s59
	s_cmp_ge_u32 s8, s59
	s_cselect_b32 s8, s9, s8
	s_sub_i32 s1, s1, s8
	v_cmp_gt_u32_e32 vcc, s1, v0
	s_mov_b64 s[14:15], 0
                                        ; implicit-def: $vgpr6_vgpr7
	s_and_saveexec_b64 s[34:35], vcc
	s_cbranch_execz .LBB112_187
; %bb.177:                              ;   in Loop: Header=BB112_21 Depth=1
	s_mov_b64 s[38:39], 0
	v_mov_b32_e32 v8, v31
	v_mov_b32_e32 v9, v0
                                        ; implicit-def: $sgpr36_sgpr37
	s_branch .LBB112_179
.LBB112_178:                            ;   in Loop: Header=BB112_179 Depth=2
	s_or_b64 exec, exec, s[14:15]
	s_waitcnt lgkmcnt(0)
	s_barrier
	ds_read_b128 v[4:7], v19 offset:3072
	v_add_u32_e32 v9, s59, v9
	v_cmp_le_u32_e64 s[14:15], s1, v9
	v_add_u32_e32 v8, s3, v8
	s_waitcnt lgkmcnt(0)
	v_cmp_neq_f64_e32 vcc, 0, v[4:5]
	s_or_b64 s[8:9], s[14:15], vcc
	s_and_b64 s[8:9], exec, s[8:9]
	s_or_b64 s[38:39], s[8:9], s[38:39]
	s_andn2_b64 s[8:9], s[36:37], exec
	s_and_b64 s[14:15], vcc, exec
	s_or_b64 s[36:37], s[8:9], s[14:15]
	s_barrier
	s_andn2_b64 exec, exec, s[38:39]
	s_cbranch_execz .LBB112_186
.LBB112_179:                            ;   Parent Loop BB112_21 Depth=1
                                        ; =>  This Inner Loop Header: Depth=2
	v_cmp_gt_u32_e32 vcc, s0, v9
	s_waitcnt vmcnt(0)
	v_pk_mov_b32 v[4:5], 0, 0
	s_and_saveexec_b64 s[14:15], vcc
	s_cbranch_execz .LBB112_181
; %bb.180:                              ;   in Loop: Header=BB112_179 Depth=2
	ds_read_b64 v[4:5], v8
.LBB112_181:                            ;   in Loop: Header=BB112_179 Depth=2
	s_or_b64 exec, exec, s[14:15]
	s_and_saveexec_b64 s[14:15], vcc
	s_cbranch_execz .LBB112_178
; %bb.182:                              ;   in Loop: Header=BB112_179 Depth=2
	s_waitcnt lgkmcnt(0)
	v_ashrrev_i32_e32 v2, 31, v5
	v_or_b32_e32 v6, 0x80000000, v2
	v_xor_b32_e32 v6, v6, v5
	v_xor_b32_e32 v2, v2, v4
	v_cmp_o_f64_e32 vcc, v[4:5], v[4:5]
	v_cndmask_b32_e32 v6, -1, v6, vcc
	v_cndmask_b32_e32 v2, -1, v2, vcc
	v_and_b32_e32 v7, s61, v6
	v_and_b32_e32 v6, s60, v2
	v_cmp_eq_u64_e32 vcc, s[62:63], v[6:7]
	s_and_b64 exec, exec, vcc
	s_cbranch_execz .LBB112_178
; %bb.183:                              ;   in Loop: Header=BB112_179 Depth=2
	v_mov_b32_e32 v2, v19
	ds_write_b128 v19, v[2:5] offset:3072
	s_branch .LBB112_178
.LBB112_184:                            ;   in Loop: Header=BB112_21 Depth=1
                                        ; implicit-def: $sgpr34_sgpr35
                                        ; implicit-def: $sgpr38_sgpr39
                                        ; implicit-def: $sgpr36_sgpr37
	s_branch .LBB112_198
.LBB112_185:                            ;   in Loop: Header=BB112_21 Depth=1
	s_mov_b64 s[34:35], -1
	s_mov_b64 s[14:15], 0
                                        ; implicit-def: $sgpr36_sgpr37
                                        ; implicit-def: $vgpr6_vgpr7
	s_mov_b64 s[38:39], s[34:35]
	s_cbranch_execnz .LBB112_188
	s_branch .LBB112_198
.LBB112_186:                            ;   in Loop: Header=BB112_21 Depth=1
	s_or_b64 exec, exec, s[38:39]
	s_and_b64 s[14:15], s[36:37], exec
.LBB112_187:                            ;   in Loop: Header=BB112_21 Depth=1
	s_or_b64 exec, exec, s[34:35]
	s_mov_b64 s[36:37], -1
	s_mov_b64 s[34:35], 0
	s_mov_b64 s[38:39], s[34:35]
	s_branch .LBB112_198
.LBB112_188:                            ;   in Loop: Header=BB112_21 Depth=1
	s_mov_b64 s[14:15], 0
                                        ; implicit-def: $vgpr6_vgpr7
	s_mov_b64 s[34:35], exec
	v_readlane_b32 s0, v54, 37
	v_readlane_b32 s1, v54, 38
	s_and_b64 s[0:1], s[34:35], s[0:1]
	s_mov_b64 exec, s[0:1]
	s_cbranch_execz .LBB112_197
; %bb.189:                              ;   in Loop: Header=BB112_21 Depth=1
	s_mov_b64 s[38:39], 0
	v_mov_b32_e32 v18, v16
	v_mov_b32_e32 v8, v0
                                        ; implicit-def: $sgpr36_sgpr37
	s_branch .LBB112_191
.LBB112_190:                            ;   in Loop: Header=BB112_191 Depth=2
	s_or_b64 exec, exec, s[14:15]
	s_waitcnt lgkmcnt(0)
	s_barrier
	s_waitcnt vmcnt(0)
	ds_read_b128 v[4:7], v19 offset:3072
	v_add_u32_e32 v8, s59, v8
	v_cmp_le_u32_e64 s[14:15], s68, v8
	v_add_u32_e32 v18, s72, v18
	s_waitcnt lgkmcnt(0)
	v_cmp_neq_f64_e32 vcc, 0, v[4:5]
	s_or_b64 s[0:1], s[14:15], vcc
	s_and_b64 s[0:1], exec, s[0:1]
	s_or_b64 s[38:39], s[0:1], s[38:39]
	s_andn2_b64 s[0:1], s[36:37], exec
	s_and_b64 s[8:9], vcc, exec
	s_or_b64 s[36:37], s[0:1], s[8:9]
	s_barrier
	s_andn2_b64 exec, exec, s[38:39]
	s_cbranch_execz .LBB112_196
.LBB112_191:                            ;   Parent Loop BB112_21 Depth=1
                                        ; =>  This Inner Loop Header: Depth=2
	v_cmp_gt_u32_e32 vcc, s56, v8
	s_waitcnt vmcnt(0)
	v_pk_mov_b32 v[4:5], 0, 0
	s_and_saveexec_b64 s[40:41], vcc
	s_cbranch_execz .LBB112_193
; %bb.192:                              ;   in Loop: Header=BB112_191 Depth=2
	v_lshlrev_b64 v[4:5], 3, v[18:19]
	v_mov_b32_e32 v2, s33
	v_add_co_u32_e64 v4, s[14:15], s57, v4
	v_addc_co_u32_e64 v5, s[14:15], v2, v5, s[14:15]
	global_load_dwordx2 v[4:5], v[4:5], off
.LBB112_193:                            ;   in Loop: Header=BB112_191 Depth=2
	s_or_b64 exec, exec, s[40:41]
	s_and_saveexec_b64 s[14:15], vcc
	s_cbranch_execz .LBB112_190
; %bb.194:                              ;   in Loop: Header=BB112_191 Depth=2
	s_waitcnt vmcnt(0)
	v_ashrrev_i32_e32 v2, 31, v5
	v_or_b32_e32 v6, 0x80000000, v2
	v_xor_b32_e32 v6, v6, v5
	v_xor_b32_e32 v2, v2, v4
	v_cmp_o_f64_e32 vcc, v[4:5], v[4:5]
	v_cndmask_b32_e32 v6, -1, v6, vcc
	v_cndmask_b32_e32 v2, -1, v2, vcc
	v_and_b32_e32 v7, s61, v6
	v_and_b32_e32 v6, s60, v2
	v_cmp_eq_u64_e32 vcc, s[62:63], v[6:7]
	s_and_b64 exec, exec, vcc
	s_cbranch_execz .LBB112_190
; %bb.195:                              ;   in Loop: Header=BB112_191 Depth=2
	v_mov_b32_e32 v2, v19
	ds_write_b128 v19, v[2:5] offset:3072
	s_branch .LBB112_190
.LBB112_196:                            ;   in Loop: Header=BB112_21 Depth=1
	s_or_b64 exec, exec, s[38:39]
	s_and_b64 s[14:15], s[36:37], exec
.LBB112_197:                            ;   in Loop: Header=BB112_21 Depth=1
	s_or_b64 exec, exec, s[34:35]
	s_mov_b64 s[38:39], -1
	s_mov_b64 s[34:35], 0
	s_mov_b64 s[36:37], 0
.LBB112_198:                            ;   in Loop: Header=BB112_21 Depth=1
	s_mov_b64 s[44:45], 0
                                        ; implicit-def: $sgpr54
	s_and_saveexec_b64 s[40:41], s[14:15]
	s_cbranch_execz .LBB112_253
; %bb.199:                              ;   in Loop: Header=BB112_21 Depth=1
	s_xor_b64 s[0:1], s[42:43], -1
	s_mov_b64 s[14:15], 0
	s_andn2_b64 vcc, exec, s[0:1]
	s_mov_b32 s53, 1
	s_cbranch_vccnz .LBB112_210
; %bb.200:                              ;   in Loop: Header=BB112_21 Depth=1
	s_cmp_gt_u32 s48, s46
	s_mov_b64 s[14:15], -1
                                        ; implicit-def: $sgpr54
                                        ; implicit-def: $sgpr42_sgpr43
                                        ; implicit-def: $sgpr44_sgpr45
	s_cbranch_scc1 .LBB112_206
; %bb.201:                              ;   in Loop: Header=BB112_21 Depth=1
	ds_read_b32 v2, v19 offset:4104
	s_waitcnt lgkmcnt(0)
	v_cmp_ne_u32_e32 vcc, 0, v2
	s_cbranch_vccnz .LBB112_205
; %bb.202:                              ;   in Loop: Header=BB112_21 Depth=1
	s_mov_b64 s[14:15], exec
	v_readlane_b32 s0, v54, 7
	v_readlane_b32 s1, v54, 8
	s_and_b64 s[0:1], s[14:15], s[0:1]
	s_mov_b64 exec, s[0:1]
	s_cbranch_execz .LBB112_204
; %bb.203:                              ;   in Loop: Header=BB112_21 Depth=1
	v_mov_b32_e32 v2, s46
	ds_write_b32 v19, v2 offset:4108
.LBB112_204:                            ;   in Loop: Header=BB112_21 Depth=1
	s_or_b64 exec, exec, s[14:15]
	s_waitcnt lgkmcnt(0)
	s_barrier
.LBB112_205:                            ;   in Loop: Header=BB112_21 Depth=1
	s_lshl_b64 s[0:1], 2, s47
	s_and_b64 s[8:9], s[62:63], s[26:27]
	s_or_b64 s[42:43], s[8:9], s[0:1]
	s_or_b64 s[44:45], s[60:61], s[16:17]
	s_mov_b64 s[14:15], 0
	s_mov_b32 s54, 8
.LBB112_206:                            ;   in Loop: Header=BB112_21 Depth=1
	s_andn2_b64 vcc, exec, s[14:15]
	s_cbranch_vccnz .LBB112_208
; %bb.207:                              ;   in Loop: Header=BB112_21 Depth=1
	s_sub_i32 s48, s48, s46
	s_mov_b64 s[14:15], -1
	s_mov_b32 s54, 0
	s_mov_b64 s[42:43], s[62:63]
	s_mov_b64 s[44:45], s[60:61]
.LBB112_208:                            ;   in Loop: Header=BB112_21 Depth=1
	s_mov_b64 s[60:61], s[44:45]
	s_mov_b64 s[62:63], s[42:43]
	s_mov_b32 s53, s48
	s_andn2_b64 vcc, exec, s[14:15]
	s_mov_b64 s[50:51], -1
	s_cbranch_vccz .LBB112_211
.LBB112_209:                            ;   in Loop: Header=BB112_21 Depth=1
                                        ; implicit-def: $sgpr14_sgpr15
                                        ; implicit-def: $sgpr44_sgpr45
                                        ; implicit-def: $sgpr42_sgpr43
	s_branch .LBB112_252
.LBB112_210:                            ;   in Loop: Header=BB112_21 Depth=1
	s_mov_b32 s54, 1
	s_andn2_b64 vcc, exec, s[14:15]
	s_mov_b64 s[50:51], -1
	s_cbranch_vccnz .LBB112_209
.LBB112_211:                            ;   in Loop: Header=BB112_21 Depth=1
	s_cmp_eq_u32 s52, 1
	s_cselect_b64 s[0:1], -1, 0
	s_cmp_eq_u32 s53, 1
	s_cselect_b64 s[8:9], -1, 0
	s_and_b64 s[26:27], s[0:1], s[8:9]
	s_mov_b64 s[46:47], -1
	s_and_b64 vcc, exec, s[26:27]
	s_cbranch_vccz .LBB112_223
; %bb.212:                              ;   in Loop: Header=BB112_21 Depth=1
	ds_read_b32 v2, v19 offset:4104
	v_readlane_b32 s6, v54, 22
	v_readlane_b32 s7, v54, 23
	s_waitcnt lgkmcnt(0)
	s_barrier
	v_readfirstlane_b32 s0, v2
	s_and_saveexec_b64 s[14:15], s[6:7]
	s_cbranch_execz .LBB112_214
; %bb.213:                              ;   in Loop: Header=BB112_21 Depth=1
	v_mov_b32_e32 v18, v19
	ds_write_b64 v32, v[18:19]
.LBB112_214:                            ;   in Loop: Header=BB112_21 Depth=1
	s_or_b64 exec, exec, s[14:15]
	s_or_b64 s[62:63], s[62:63], s[16:17]
	s_or_b64 s[60:61], s[60:61], s[16:17]
	s_cmp_eq_u32 s0, 0
	s_waitcnt lgkmcnt(0)
	s_barrier
	s_cbranch_scc1 .LBB112_224
; %bb.215:                              ;   in Loop: Header=BB112_21 Depth=1
	v_readlane_b32 s1, v54, 13
	s_add_i32 s1, s0, s1
	v_readlane_b32 s6, v54, 36
	s_mul_hi_u32 s8, s1, s6
	s_mul_i32 s8, s8, s59
	s_sub_i32 s8, s1, s8
	s_sub_i32 s9, s8, s59
	s_cmp_ge_u32 s8, s59
	s_cselect_b32 s8, s9, s8
	s_sub_i32 s9, s8, s59
	s_cmp_ge_u32 s8, s59
	s_cselect_b32 s8, s9, s8
	s_sub_i32 s1, s1, s8
	v_cmp_gt_u32_e32 vcc, s1, v0
	s_mov_b64 s[46:47], 0
                                        ; implicit-def: $vgpr6_vgpr7
	s_and_saveexec_b64 s[42:43], vcc
	s_cbranch_execz .LBB112_226
; %bb.216:                              ;   in Loop: Header=BB112_21 Depth=1
	v_mov_b32_e32 v8, v31
	v_mov_b32_e32 v9, v0
                                        ; implicit-def: $sgpr44_sgpr45
	s_branch .LBB112_218
.LBB112_217:                            ;   in Loop: Header=BB112_218 Depth=2
	s_or_b64 exec, exec, s[14:15]
	s_waitcnt lgkmcnt(0)
	s_barrier
	ds_read_b128 v[4:7], v19 offset:3072
	v_add_u32_e32 v9, s59, v9
	v_cmp_le_u32_e64 s[14:15], s1, v9
	v_add_u32_e32 v8, s3, v8
	s_waitcnt lgkmcnt(0)
	v_cmp_neq_f64_e32 vcc, 0, v[4:5]
	s_or_b64 s[8:9], s[14:15], vcc
	s_and_b64 s[8:9], exec, s[8:9]
	s_or_b64 s[46:47], s[8:9], s[46:47]
	s_andn2_b64 s[8:9], s[44:45], exec
	s_and_b64 s[14:15], vcc, exec
	s_or_b64 s[44:45], s[8:9], s[14:15]
	s_barrier
	s_andn2_b64 exec, exec, s[46:47]
	s_cbranch_execz .LBB112_225
.LBB112_218:                            ;   Parent Loop BB112_21 Depth=1
                                        ; =>  This Inner Loop Header: Depth=2
	v_cmp_gt_u32_e32 vcc, s0, v9
	s_waitcnt vmcnt(0)
	v_pk_mov_b32 v[4:5], 0, 0
	s_and_saveexec_b64 s[14:15], vcc
	s_cbranch_execz .LBB112_220
; %bb.219:                              ;   in Loop: Header=BB112_218 Depth=2
	ds_read_b64 v[4:5], v8
.LBB112_220:                            ;   in Loop: Header=BB112_218 Depth=2
	s_or_b64 exec, exec, s[14:15]
	s_and_saveexec_b64 s[14:15], vcc
	s_cbranch_execz .LBB112_217
; %bb.221:                              ;   in Loop: Header=BB112_218 Depth=2
	s_waitcnt lgkmcnt(0)
	v_ashrrev_i32_e32 v2, 31, v5
	v_or_b32_e32 v6, 0x80000000, v2
	v_xor_b32_e32 v6, v6, v5
	v_xor_b32_e32 v2, v2, v4
	v_cmp_o_f64_e32 vcc, v[4:5], v[4:5]
	v_cndmask_b32_e32 v6, -1, v6, vcc
	v_cndmask_b32_e32 v2, -1, v2, vcc
	v_and_b32_e32 v7, s61, v6
	v_and_b32_e32 v6, s60, v2
	v_cmp_eq_u64_e32 vcc, s[62:63], v[6:7]
	s_and_b64 exec, exec, vcc
	s_cbranch_execz .LBB112_217
; %bb.222:                              ;   in Loop: Header=BB112_218 Depth=2
	v_mov_b32_e32 v2, v19
	ds_write_b128 v19, v[2:5] offset:3072
	s_branch .LBB112_217
.LBB112_223:                            ;   in Loop: Header=BB112_21 Depth=1
                                        ; implicit-def: $sgpr14_sgpr15
                                        ; implicit-def: $sgpr44_sgpr45
                                        ; implicit-def: $sgpr42_sgpr43
	s_branch .LBB112_237
.LBB112_224:                            ;   in Loop: Header=BB112_21 Depth=1
	s_mov_b64 s[14:15], -1
	s_mov_b64 s[46:47], 0
                                        ; implicit-def: $sgpr42_sgpr43
                                        ; implicit-def: $vgpr6_vgpr7
	s_mov_b64 s[44:45], s[14:15]
	s_cbranch_execnz .LBB112_227
	s_branch .LBB112_237
.LBB112_225:                            ;   in Loop: Header=BB112_21 Depth=1
	s_or_b64 exec, exec, s[46:47]
	s_and_b64 s[46:47], s[44:45], exec
.LBB112_226:                            ;   in Loop: Header=BB112_21 Depth=1
	s_or_b64 exec, exec, s[42:43]
	s_mov_b64 s[42:43], -1
	s_mov_b64 s[14:15], 0
	s_mov_b64 s[44:45], s[14:15]
	s_branch .LBB112_237
.LBB112_227:                            ;   in Loop: Header=BB112_21 Depth=1
	s_mov_b64 s[46:47], 0
                                        ; implicit-def: $vgpr6_vgpr7
	s_mov_b64 s[42:43], exec
	v_readlane_b32 s0, v54, 37
	v_readlane_b32 s1, v54, 38
	s_and_b64 s[0:1], s[42:43], s[0:1]
	s_mov_b64 exec, s[0:1]
	s_cbranch_execz .LBB112_236
; %bb.228:                              ;   in Loop: Header=BB112_21 Depth=1
	v_mov_b32_e32 v18, v16
	v_mov_b32_e32 v8, v0
                                        ; implicit-def: $sgpr44_sgpr45
	s_branch .LBB112_230
.LBB112_229:                            ;   in Loop: Header=BB112_230 Depth=2
	s_or_b64 exec, exec, s[14:15]
	s_waitcnt lgkmcnt(0)
	s_barrier
	s_waitcnt vmcnt(0)
	ds_read_b128 v[4:7], v19 offset:3072
	v_add_u32_e32 v8, s59, v8
	v_cmp_le_u32_e64 s[14:15], s68, v8
	v_add_u32_e32 v18, s72, v18
	s_waitcnt lgkmcnt(0)
	v_cmp_neq_f64_e32 vcc, 0, v[4:5]
	s_or_b64 s[0:1], s[14:15], vcc
	s_and_b64 s[0:1], exec, s[0:1]
	s_or_b64 s[46:47], s[0:1], s[46:47]
	s_andn2_b64 s[0:1], s[44:45], exec
	s_and_b64 s[8:9], vcc, exec
	s_or_b64 s[44:45], s[0:1], s[8:9]
	s_barrier
	s_andn2_b64 exec, exec, s[46:47]
	s_cbranch_execz .LBB112_235
.LBB112_230:                            ;   Parent Loop BB112_21 Depth=1
                                        ; =>  This Inner Loop Header: Depth=2
	v_cmp_gt_u32_e32 vcc, s56, v8
	s_waitcnt vmcnt(0)
	v_pk_mov_b32 v[4:5], 0, 0
	s_and_saveexec_b64 s[48:49], vcc
	s_cbranch_execz .LBB112_232
; %bb.231:                              ;   in Loop: Header=BB112_230 Depth=2
	v_lshlrev_b64 v[4:5], 3, v[18:19]
	v_mov_b32_e32 v2, s33
	v_add_co_u32_e64 v4, s[14:15], s57, v4
	v_addc_co_u32_e64 v5, s[14:15], v2, v5, s[14:15]
	global_load_dwordx2 v[4:5], v[4:5], off
.LBB112_232:                            ;   in Loop: Header=BB112_230 Depth=2
	s_or_b64 exec, exec, s[48:49]
	s_and_saveexec_b64 s[14:15], vcc
	s_cbranch_execz .LBB112_229
; %bb.233:                              ;   in Loop: Header=BB112_230 Depth=2
	s_waitcnt vmcnt(0)
	v_ashrrev_i32_e32 v2, 31, v5
	v_or_b32_e32 v6, 0x80000000, v2
	v_xor_b32_e32 v6, v6, v5
	v_xor_b32_e32 v2, v2, v4
	v_cmp_o_f64_e32 vcc, v[4:5], v[4:5]
	v_cndmask_b32_e32 v6, -1, v6, vcc
	v_cndmask_b32_e32 v2, -1, v2, vcc
	v_and_b32_e32 v7, s61, v6
	v_and_b32_e32 v6, s60, v2
	v_cmp_eq_u64_e32 vcc, s[62:63], v[6:7]
	s_and_b64 exec, exec, vcc
	s_cbranch_execz .LBB112_229
; %bb.234:                              ;   in Loop: Header=BB112_230 Depth=2
	v_mov_b32_e32 v2, v19
	ds_write_b128 v19, v[2:5] offset:3072
	s_branch .LBB112_229
.LBB112_235:                            ;   in Loop: Header=BB112_21 Depth=1
	s_or_b64 exec, exec, s[46:47]
	s_and_b64 s[46:47], s[44:45], exec
.LBB112_236:                            ;   in Loop: Header=BB112_21 Depth=1
	s_or_b64 exec, exec, s[42:43]
	s_mov_b64 s[44:45], -1
	s_mov_b64 s[14:15], 0
	s_mov_b64 s[42:43], 0
.LBB112_237:                            ;   in Loop: Header=BB112_21 Depth=1
	s_mov_b64 s[50:51], 0
                                        ; implicit-def: $sgpr54
	s_and_saveexec_b64 s[48:49], s[46:47]
	s_cbranch_execz .LBB112_251
; %bb.238:                              ;   in Loop: Header=BB112_21 Depth=1
	s_xor_b64 s[0:1], s[26:27], -1
	s_andn2_b64 vcc, exec, s[0:1]
	s_mov_b32 s54, 1
	s_cbranch_vccnz .LBB112_245
; %bb.239:                              ;   in Loop: Header=BB112_21 Depth=1
	s_cmp_gt_u32 s53, s52
	s_cbranch_scc1 .LBB112_246
; %bb.240:                              ;   in Loop: Header=BB112_21 Depth=1
	ds_read_b32 v2, v19 offset:4104
	s_waitcnt lgkmcnt(0)
	v_cmp_ne_u32_e32 vcc, 0, v2
	s_cbranch_vccnz .LBB112_244
; %bb.241:                              ;   in Loop: Header=BB112_21 Depth=1
	s_mov_b64 s[26:27], exec
	v_readlane_b32 s0, v54, 7
	v_readlane_b32 s1, v54, 8
	s_and_b64 s[0:1], s[26:27], s[0:1]
	s_mov_b64 exec, s[0:1]
	s_cbranch_execz .LBB112_243
; %bb.242:                              ;   in Loop: Header=BB112_21 Depth=1
	v_mov_b32_e32 v2, s52
	ds_write_b32 v19, v2 offset:4108
.LBB112_243:                            ;   in Loop: Header=BB112_21 Depth=1
	s_or_b64 exec, exec, s[26:27]
	s_waitcnt lgkmcnt(0)
	s_barrier
.LBB112_244:                            ;   in Loop: Header=BB112_21 Depth=1
	s_or_b64 s[26:27], s[62:63], s[16:17]
	s_or_b64 s[16:17], s[60:61], s[16:17]
	s_mov_b64 s[46:47], 0
	s_mov_b32 s54, 8
	s_branch .LBB112_247
.LBB112_245:                            ;   in Loop: Header=BB112_21 Depth=1
	s_mov_b32 s53, 1
	s_branch .LBB112_250
.LBB112_246:                            ;   in Loop: Header=BB112_21 Depth=1
	s_mov_b64 s[46:47], -1
                                        ; implicit-def: $sgpr54
                                        ; implicit-def: $sgpr26_sgpr27
                                        ; implicit-def: $sgpr16_sgpr17
.LBB112_247:                            ;   in Loop: Header=BB112_21 Depth=1
	s_andn2_b64 vcc, exec, s[46:47]
	s_cbranch_vccnz .LBB112_249
; %bb.248:                              ;   in Loop: Header=BB112_21 Depth=1
	s_sub_i32 s53, s53, s52
	s_mov_b32 s54, 8
	s_mov_b64 s[26:27], s[62:63]
	s_mov_b64 s[16:17], s[60:61]
.LBB112_249:                            ;   in Loop: Header=BB112_21 Depth=1
	s_mov_b64 s[62:63], s[26:27]
	s_mov_b64 s[60:61], s[16:17]
.LBB112_250:                            ;   in Loop: Header=BB112_21 Depth=1
	s_mov_b64 s[50:51], exec
.LBB112_251:                            ;   in Loop: Header=BB112_21 Depth=1
	s_or_b64 exec, exec, s[48:49]
.LBB112_252:                            ;   in Loop: Header=BB112_21 Depth=1
	s_andn2_b64 s[0:1], s[34:35], exec
	s_and_b64 s[8:9], s[14:15], exec
	s_or_b64 s[34:35], s[0:1], s[8:9]
	s_andn2_b64 s[0:1], s[38:39], exec
	s_and_b64 s[8:9], s[44:45], exec
	s_or_b64 s[38:39], s[0:1], s[8:9]
	;; [unrolled: 3-line block ×3, first 2 shown]
	s_and_b64 s[44:45], s[50:51], exec
	s_mov_b32 s48, s53
.LBB112_253:                            ;   in Loop: Header=BB112_21 Depth=1
	s_or_b64 exec, exec, s[40:41]
.LBB112_254:                            ;   in Loop: Header=BB112_21 Depth=1
	s_andn2_b64 s[0:1], s[24:25], exec
	s_and_b64 s[8:9], s[34:35], exec
	s_or_b64 s[24:25], s[0:1], s[8:9]
	s_andn2_b64 s[0:1], s[28:29], exec
	s_and_b64 s[8:9], s[38:39], exec
	s_or_b64 s[28:29], s[0:1], s[8:9]
	;; [unrolled: 3-line block ×3, first 2 shown]
	s_and_b64 s[36:37], s[44:45], exec
	s_mov_b32 s39, s48
.LBB112_255:                            ;   in Loop: Header=BB112_21 Depth=1
	s_or_b64 exec, exec, s[30:31]
                                        ; implicit-def: $sgpr70
	s_and_saveexec_b64 s[0:1], s[36:37]
	s_xor_b64 s[14:15], exec, s[0:1]
	s_cbranch_execz .LBB112_19
.LBB112_256:                            ;   in Loop: Header=BB112_21 Depth=1
	s_and_b32 s0, s54, -9
	s_cmp_eq_u32 s0, 0
	s_cbranch_scc1 .LBB112_17
; %bb.257:                              ;   in Loop: Header=BB112_21 Depth=1
	s_mov_b64 s[16:17], -1
                                        ; implicit-def: $sgpr60_sgpr61
                                        ; implicit-def: $sgpr39
                                        ; implicit-def: $sgpr74
                                        ; implicit-def: $sgpr13
	s_mov_b64 s[20:21], -1
	s_branch .LBB112_18
.LBB112_258:
	s_or_b64 exec, exec, s[82:83]
	s_xor_b64 s[8:9], s[88:89], -1
	s_xor_b64 s[0:1], s[84:85], -1
	;; [unrolled: 1-line block ×3, first 2 shown]
	s_mov_b64 s[4:5], 0
	s_and_saveexec_b64 s[2:3], s[0:1]
	s_xor_b64 s[2:3], exec, s[2:3]
	s_cbranch_execnz .LBB112_263
; %bb.259:
	s_andn2_saveexec_b64 s[0:1], s[2:3]
	s_cbranch_execnz .LBB112_276
.LBB112_260:
	s_or_b64 exec, exec, s[0:1]
	s_and_saveexec_b64 s[0:1], s[4:5]
.LBB112_261:
	; divergent unreachable
.LBB112_262:
	s_endpgm
.LBB112_263:
	s_and_saveexec_b64 s[0:1], s[8:9]
	s_xor_b64 s[4:5], exec, s[0:1]
	s_cbranch_execz .LBB112_274
; %bb.264:
	s_and_saveexec_b64 s[0:1], s[6:7]
	s_xor_b64 s[6:7], exec, s[0:1]
; %bb.265:
	v_lshrrev_b32_e32 v1, 31, v5
	v_add_co_u32_e32 v1, vcc, -1, v1
	v_addc_co_u32_e64 v2, s[0:1], 0, -1, vcc
	v_or_b32_e32 v2, 0x80000000, v2
	v_xor_b32_e32 v7, v2, v5
	v_xor_b32_e32 v6, v1, v4
; %bb.266:
	s_or_b64 exec, exec, s[6:7]
	v_readlane_b32 s0, v54, 4
	v_readlane_b32 s1, v54, 10
	s_mul_i32 s0, s1, s0
	s_mov_b32 s1, 0
	s_lshl_b64 s[0:1], s[0:1], 3
	v_readlane_b32 s6, v54, 2
	v_readlane_b32 s7, v54, 3
	s_add_u32 s0, s6, s0
	s_addc_u32 s1, s7, s1
	v_mov_b32_e32 v17, 0
	global_store_dwordx2 v17, v[6:7], s[0:1]
	s_mov_b64 s[6:7], exec
	v_readlane_b32 s0, v54, 5
	v_readlane_b32 s1, v54, 6
	s_and_b64 s[0:1], s[6:7], s[0:1]
	s_mov_b64 exec, s[0:1]
	s_cbranch_execz .LBB112_273
; %bb.267:
	v_cmp_u_f64_e32 vcc, v[6:7], v[6:7]
	s_mov_b64 s[8:9], 0
	v_mov_b32_e32 v1, s33
	s_xor_b64 s[12:13], vcc, -1
                                        ; implicit-def: $sgpr10_sgpr11
                                        ; implicit-def: $sgpr16_sgpr17
                                        ; implicit-def: $sgpr14_sgpr15
	s_branch .LBB112_269
.LBB112_268:                            ;   in Loop: Header=BB112_269 Depth=1
	s_or_b64 exec, exec, s[0:1]
	s_and_b64 s[0:1], exec, s[16:17]
	s_or_b64 s[8:9], s[0:1], s[8:9]
	s_andn2_b64 s[0:1], s[10:11], exec
	s_and_b64 s[10:11], s[14:15], exec
	s_or_b64 s[10:11], s[0:1], s[10:11]
	s_andn2_b64 exec, exec, s[8:9]
	s_cbranch_execz .LBB112_271
.LBB112_269:                            ; =>This Inner Loop Header: Depth=1
	v_lshlrev_b64 v[2:3], 3, v[16:17]
	v_add_co_u32_e32 v2, vcc, s57, v2
	v_addc_co_u32_e32 v3, vcc, v1, v3, vcc
	global_load_dwordx2 v[4:5], v[2:3], off
	v_mov_b32_e32 v2, v0
	s_or_b64 s[14:15], s[14:15], exec
	s_or_b64 s[16:17], s[16:17], exec
                                        ; implicit-def: $vgpr0
	s_waitcnt vmcnt(0)
	v_cmp_o_f64_e64 s[0:1], v[4:5], v[4:5]
	v_cmp_neq_f64_e32 vcc, v[4:5], v[6:7]
	s_or_b64 s[0:1], s[0:1], s[12:13]
	s_and_b64 s[18:19], vcc, s[0:1]
	s_and_saveexec_b64 s[0:1], s[18:19]
	s_cbranch_execz .LBB112_268
; %bb.270:                              ;   in Loop: Header=BB112_269 Depth=1
	v_add_u32_e32 v0, s59, v2
	v_cmp_le_u32_e32 vcc, s56, v0
	s_andn2_b64 s[16:17], s[16:17], exec
	s_and_b64 s[18:19], vcc, exec
	v_add_u32_e32 v16, s72, v16
	s_andn2_b64 s[14:15], s[14:15], exec
	s_or_b64 s[16:17], s[16:17], s[18:19]
	s_branch .LBB112_268
.LBB112_271:
	s_or_b64 exec, exec, s[8:9]
	s_and_saveexec_b64 s[0:1], s[10:11]
	s_xor_b64 s[0:1], exec, s[0:1]
	s_cbranch_execz .LBB112_273
; %bb.272:
	v_readlane_b32 s0, v54, 4
	v_readlane_b32 s1, v54, 9
	s_mul_i32 s0, s1, s0
	s_mov_b32 s1, 0
	s_lshl_b64 s[0:1], s[0:1], 3
	v_readlane_b32 s8, v54, 0
	v_readlane_b32 s9, v54, 1
	s_add_u32 s0, s8, s0
	s_addc_u32 s1, s9, s1
	v_mov_b32_e32 v3, 0
	global_store_dwordx2 v3, v[2:3], s[0:1]
.LBB112_273:
	s_or_b64 exec, exec, s[6:7]
.LBB112_274:
	s_or_saveexec_b64 s[0:1], s[4:5]
	s_mov_b64 s[4:5], 0
	s_xor_b64 exec, exec, s[0:1]
	s_cbranch_execnz .LBB112_277
.LBB112_275:
	s_or_b64 exec, exec, s[0:1]
	s_and_b64 s[4:5], s[4:5], exec
	s_andn2_saveexec_b64 s[0:1], s[2:3]
	s_cbranch_execz .LBB112_260
.LBB112_276:
	s_or_b64 s[4:5], s[4:5], exec
	s_trap 2
	s_or_b64 exec, exec, s[0:1]
	s_and_saveexec_b64 s[0:1], s[4:5]
	s_cbranch_execnz .LBB112_261
	s_branch .LBB112_262
.LBB112_277:
	s_mov_b64 s[4:5], exec
	s_trap 2
	s_branch .LBB112_275
	.section	.rodata,"a",@progbits
	.p2align	6, 0x0
	.amdhsa_kernel _ZN2at6native12_GLOBAL__N_112gatherMedianIdjLi1EEEvNS_4cuda6detail10TensorInfoIT_T0_EENS5_IlS7_EENS5_IKS6_S7_EES7_S7_S7_b
		.amdhsa_group_segment_fixed_size 4120
		.amdhsa_private_segment_fixed_size 0
		.amdhsa_kernarg_size 920
		.amdhsa_user_sgpr_count 6
		.amdhsa_user_sgpr_private_segment_buffer 1
		.amdhsa_user_sgpr_dispatch_ptr 0
		.amdhsa_user_sgpr_queue_ptr 0
		.amdhsa_user_sgpr_kernarg_segment_ptr 1
		.amdhsa_user_sgpr_dispatch_id 0
		.amdhsa_user_sgpr_flat_scratch_init 0
		.amdhsa_user_sgpr_kernarg_preload_length 0
		.amdhsa_user_sgpr_kernarg_preload_offset 0
		.amdhsa_user_sgpr_private_segment_size 0
		.amdhsa_uses_dynamic_stack 0
		.amdhsa_system_sgpr_private_segment_wavefront_offset 0
		.amdhsa_system_sgpr_workgroup_id_x 1
		.amdhsa_system_sgpr_workgroup_id_y 1
		.amdhsa_system_sgpr_workgroup_id_z 1
		.amdhsa_system_sgpr_workgroup_info 0
		.amdhsa_system_vgpr_workitem_id 0
		.amdhsa_next_free_vgpr 55
		.amdhsa_next_free_sgpr 96
		.amdhsa_accum_offset 56
		.amdhsa_reserve_vcc 1
		.amdhsa_reserve_flat_scratch 0
		.amdhsa_float_round_mode_32 0
		.amdhsa_float_round_mode_16_64 0
		.amdhsa_float_denorm_mode_32 3
		.amdhsa_float_denorm_mode_16_64 3
		.amdhsa_dx10_clamp 1
		.amdhsa_ieee_mode 1
		.amdhsa_fp16_overflow 0
		.amdhsa_tg_split 0
		.amdhsa_exception_fp_ieee_invalid_op 0
		.amdhsa_exception_fp_denorm_src 0
		.amdhsa_exception_fp_ieee_div_zero 0
		.amdhsa_exception_fp_ieee_overflow 0
		.amdhsa_exception_fp_ieee_underflow 0
		.amdhsa_exception_fp_ieee_inexact 0
		.amdhsa_exception_int_div_zero 0
	.end_amdhsa_kernel
	.section	.text._ZN2at6native12_GLOBAL__N_112gatherMedianIdjLi1EEEvNS_4cuda6detail10TensorInfoIT_T0_EENS5_IlS7_EENS5_IKS6_S7_EES7_S7_S7_b,"axG",@progbits,_ZN2at6native12_GLOBAL__N_112gatherMedianIdjLi1EEEvNS_4cuda6detail10TensorInfoIT_T0_EENS5_IlS7_EENS5_IKS6_S7_EES7_S7_S7_b,comdat
.Lfunc_end112:
	.size	_ZN2at6native12_GLOBAL__N_112gatherMedianIdjLi1EEEvNS_4cuda6detail10TensorInfoIT_T0_EENS5_IlS7_EENS5_IKS6_S7_EES7_S7_S7_b, .Lfunc_end112-_ZN2at6native12_GLOBAL__N_112gatherMedianIdjLi1EEEvNS_4cuda6detail10TensorInfoIT_T0_EENS5_IlS7_EENS5_IKS6_S7_EES7_S7_S7_b
                                        ; -- End function
	.section	.AMDGPU.csdata,"",@progbits
; Kernel info:
; codeLenInByte = 11016
; NumSgprs: 100
; NumVgprs: 55
; NumAgprs: 0
; TotalNumVgprs: 55
; ScratchSize: 0
; MemoryBound: 0
; FloatMode: 240
; IeeeMode: 1
; LDSByteSize: 4120 bytes/workgroup (compile time only)
; SGPRBlocks: 12
; VGPRBlocks: 6
; NumSGPRsForWavesPerEU: 100
; NumVGPRsForWavesPerEU: 55
; AccumOffset: 56
; Occupancy: 8
; WaveLimiterHint : 1
; COMPUTE_PGM_RSRC2:SCRATCH_EN: 0
; COMPUTE_PGM_RSRC2:USER_SGPR: 6
; COMPUTE_PGM_RSRC2:TRAP_HANDLER: 0
; COMPUTE_PGM_RSRC2:TGID_X_EN: 1
; COMPUTE_PGM_RSRC2:TGID_Y_EN: 1
; COMPUTE_PGM_RSRC2:TGID_Z_EN: 1
; COMPUTE_PGM_RSRC2:TIDIG_COMP_CNT: 0
; COMPUTE_PGM_RSRC3_GFX90A:ACCUM_OFFSET: 13
; COMPUTE_PGM_RSRC3_GFX90A:TG_SPLIT: 0
	.section	.text._ZN2at6native12_GLOBAL__N_112gatherMedianIdjLi2EEEvNS_4cuda6detail10TensorInfoIT_T0_EENS5_IlS7_EENS5_IKS6_S7_EES7_S7_S7_b,"axG",@progbits,_ZN2at6native12_GLOBAL__N_112gatherMedianIdjLi2EEEvNS_4cuda6detail10TensorInfoIT_T0_EENS5_IlS7_EENS5_IKS6_S7_EES7_S7_S7_b,comdat
	.globl	_ZN2at6native12_GLOBAL__N_112gatherMedianIdjLi2EEEvNS_4cuda6detail10TensorInfoIT_T0_EENS5_IlS7_EENS5_IKS6_S7_EES7_S7_S7_b ; -- Begin function _ZN2at6native12_GLOBAL__N_112gatherMedianIdjLi2EEEvNS_4cuda6detail10TensorInfoIT_T0_EENS5_IlS7_EENS5_IKS6_S7_EES7_S7_S7_b
	.p2align	8
	.type	_ZN2at6native12_GLOBAL__N_112gatherMedianIdjLi2EEEvNS_4cuda6detail10TensorInfoIT_T0_EENS5_IlS7_EENS5_IKS6_S7_EES7_S7_S7_b,@function
_ZN2at6native12_GLOBAL__N_112gatherMedianIdjLi2EEEvNS_4cuda6detail10TensorInfoIT_T0_EENS5_IlS7_EENS5_IKS6_S7_EES7_S7_S7_b: ; @_ZN2at6native12_GLOBAL__N_112gatherMedianIdjLi2EEEvNS_4cuda6detail10TensorInfoIT_T0_EENS5_IlS7_EENS5_IKS6_S7_EES7_S7_S7_b
; %bb.0:
	s_load_dwordx2 s[12:13], s[4:5], 0x298
	s_load_dwordx4 s[56:59], s[4:5], 0x288
	s_add_u32 s10, s4, 0x298
	s_addc_u32 s11, s5, 0
	s_waitcnt lgkmcnt(0)
	s_mul_i32 s0, s13, s8
	s_add_i32 s0, s0, s7
	s_mul_i32 s0, s0, s12
	s_add_i32 s14, s0, s6
	s_cmp_ge_u32 s14, s57
	s_cbranch_scc1 .LBB113_262
; %bb.1:
	s_load_dword s8, s[4:5], 0xc
	s_load_dword s9, s[4:5], 0xe4
	;; [unrolled: 1-line block ×3, first 2 shown]
	s_load_dwordx2 s[0:1], s[4:5], 0x1b0
	s_load_dwordx2 s[2:3], s[4:5], 0x144
                                        ; implicit-def: $vgpr54 : SGPR spill to VGPR lane
	s_waitcnt lgkmcnt(0)
	v_cvt_f32_u32_e32 v1, s8
	v_cvt_f32_u32_e32 v2, s9
                                        ; kill: killed $sgpr4 killed $sgpr5
	v_mul_lo_u32 v16, v0, s58
	v_writelane_b32 v54, s2, 0
	v_writelane_b32 v54, s3, 1
	s_load_dwordx2 s[2:3], s[4:5], 0xd8
	v_rcp_iflag_f32_e32 v1, v1
	v_rcp_iflag_f32_e32 v2, v2
	v_mul_f32_e32 v1, 0x4f7ffffe, v1
	s_waitcnt lgkmcnt(0)
	v_writelane_b32 v54, s2, 2
	v_writelane_b32 v54, s3, 3
	s_load_dwordx2 s[2:3], s[4:5], 0x6c
	v_cvt_u32_f32_e32 v1, v1
	v_mul_f32_e32 v2, 0x4f7ffffe, v2
	v_cvt_u32_f32_e32 v2, v2
	s_waitcnt lgkmcnt(0)
	v_writelane_b32 v54, s2, 4
	v_writelane_b32 v54, s3, 5
	s_load_dwordx2 s[2:3], s[4:5], 0x0
	s_waitcnt lgkmcnt(0)
	v_writelane_b32 v54, s2, 6
	v_writelane_b32 v54, s3, 7
	s_load_dwordx2 s[2:3], s[4:5], 0x21c
	v_writelane_b32 v54, s8, 8
	s_sub_i32 s4, 0, s8
	v_readfirstlane_b32 s8, v1
	v_cvt_f32_u32_e32 v1, s7
	s_mul_i32 s4, s4, s8
	s_mul_hi_u32 s4, s8, s4
	s_add_i32 s8, s8, s4
	v_rcp_iflag_f32_e32 v1, v1
	s_mul_hi_u32 s4, s14, s8
	v_writelane_b32 v54, s4, 9
	s_sub_i32 s4, 0, s9
	v_readfirstlane_b32 s8, v2
	v_mul_f32_e32 v1, 0x4f7ffffe, v1
	s_mul_i32 s4, s4, s8
	v_cvt_u32_f32_e32 v1, v1
	s_mul_hi_u32 s4, s8, s4
	s_add_i32 s8, s8, s4
	v_writelane_b32 v54, s9, 10
	s_mul_hi_u32 s4, s14, s8
	v_writelane_b32 v54, s4, 11
	s_sub_i32 s4, 0, s7
	v_readfirstlane_b32 s8, v1
	s_mul_i32 s4, s4, s8
	s_mul_hi_u32 s4, s8, s4
	s_add_i32 s8, s8, s4
	s_mul_hi_u32 s4, s14, s8
	s_mul_i32 s8, s4, s7
	s_sub_i32 s8, s14, s8
	s_add_i32 s9, s4, 1
	s_sub_i32 s13, s8, s7
	s_cmp_ge_u32 s8, s7
	s_cselect_b32 s4, s9, s4
	s_cselect_b32 s8, s13, s8
	s_add_i32 s9, s4, 1
	s_cmp_ge_u32 s8, s7
	s_cselect_b32 s4, s9, s4
	s_mul_i32 s7, s4, s7
	s_sub_i32 s7, s14, s7
	s_waitcnt lgkmcnt(0)
	s_mul_i32 s7, s7, s3
	s_mul_i32 s2, s4, s2
	s_mov_b32 s5, 0
	s_add_i32 s4, s2, s7
	s_lshl_b64 s[2:3], s[4:5], 3
	s_add_u32 s57, s0, s2
	s_addc_u32 s76, s1, s3
	v_mov_b32_e32 v2, 0
	v_writelane_b32 v54, s14, 12
	v_cmp_gt_u32_e64 s[0:1], s56, v0
	s_mov_b64 s[2:3], exec
	v_writelane_b32 v54, s0, 13
	v_writelane_b32 v54, s1, 14
	s_and_b64 s[0:1], s[2:3], s[0:1]
	s_mov_b64 exec, s[0:1]
	s_cbranch_execz .LBB113_5
; %bb.2:
	s_load_dword s0, s[10:11], 0xc
	v_mov_b32_e32 v5, 0
	v_mul_lo_u32 v4, v0, s58
	s_mov_b64 s[4:5], 0
	v_mov_b32_e32 v1, s76
	s_waitcnt lgkmcnt(0)
	s_and_b32 s0, s0, 0xffff
	s_mul_i32 s1, s58, s0
	v_mov_b32_e32 v2, v5
	v_mov_b32_e32 v3, v0
.LBB113_3:                              ; =>This Inner Loop Header: Depth=1
	v_lshlrev_b64 v[6:7], 3, v[4:5]
	v_add_co_u32_e32 v6, vcc, s57, v6
	v_addc_co_u32_e32 v7, vcc, v1, v7, vcc
	global_load_dwordx2 v[6:7], v[6:7], off
	v_add_u32_e32 v3, s0, v3
	v_cmp_le_u32_e32 vcc, s56, v3
	s_or_b64 s[4:5], vcc, s[4:5]
	v_add_u32_e32 v4, s1, v4
	s_waitcnt vmcnt(0)
	v_cmp_u_f64_e32 vcc, v[6:7], v[6:7]
	v_addc_co_u32_e32 v2, vcc, 0, v2, vcc
	s_andn2_b64 exec, exec, s[4:5]
	s_cbranch_execnz .LBB113_3
; %bb.4:
	s_or_b64 exec, exec, s[4:5]
.LBB113_5:
	s_or_b64 exec, exec, s[2:3]
	v_cmp_eq_u32_e64 s[0:1], 0, v0
	s_mov_b64 s[4:5], exec
	v_writelane_b32 v54, s0, 15
	v_writelane_b32 v54, s1, 16
	s_and_b64 s[0:1], s[4:5], s[0:1]
	s_mov_b64 exec, s[0:1]
	s_cbranch_execz .LBB113_7
; %bb.6:
	v_mov_b32_e32 v4, 0
	v_mov_b32_e32 v5, v4
	ds_write_b64 v4, v[4:5] offset:4096
.LBB113_7:
	s_or_b64 exec, exec, s[4:5]
	v_cmp_ne_u32_e32 vcc, 0, v2
	s_waitcnt lgkmcnt(0)
	s_barrier
	s_and_saveexec_b64 s[4:5], vcc
	s_cbranch_execz .LBB113_12
; %bb.8:
	s_mov_b64 s[14:15], exec
	v_mov_b32_e32 v1, 0
	s_mov_b64 s[8:9], 0
.LBB113_9:                              ; =>This Inner Loop Header: Depth=1
	s_ff1_i32_b64 s0, s[14:15]
	v_readlane_b32 s2, v2, s0
	v_readlane_b32 s1, v1, s0
	s_add_u32 s8, s8, s2
	s_addc_u32 s9, s9, s1
	s_lshl_b64 s[0:1], 1, s0
	s_andn2_b64 s[14:15], s[14:15], s[0:1]
	s_cmp_lg_u64 s[14:15], 0
	s_cbranch_scc1 .LBB113_9
; %bb.10:
	v_mbcnt_lo_u32_b32 v1, exec_lo, 0
	v_mbcnt_hi_u32_b32 v1, exec_hi, v1
	v_cmp_eq_u32_e32 vcc, 0, v1
	s_and_saveexec_b64 s[0:1], vcc
	s_xor_b64 s[0:1], exec, s[0:1]
	s_cbranch_execz .LBB113_12
; %bb.11:
	v_mov_b32_e32 v1, 0
	v_pk_mov_b32 v[2:3], s[8:9], s[8:9] op_sel:[0,1]
	ds_add_u64 v1, v[2:3] offset:4096
.LBB113_12:
	s_or_b64 exec, exec, s[4:5]
	v_mov_b32_e32 v1, 0
	s_waitcnt lgkmcnt(0)
	s_barrier
	ds_read_b64 v[2:3], v1 offset:4096
	s_bitcmp1_b32 s59, 0
	s_cselect_b64 s[0:1], -1, 0
	s_mov_b32 s74, s56
	s_waitcnt lgkmcnt(0)
	v_cmp_gt_i64_e32 vcc, 1, v[2:3]
	s_or_b64 s[0:1], s[0:1], vcc
	s_andn2_b64 vcc, exec, s[0:1]
	s_cbranch_vccnz .LBB113_14
; %bb.13:
	v_not_b32_e32 v1, v2
	v_not_b32_e32 v2, v3
	v_add_co_u32_e32 v1, vcc, s56, v1
	v_addc_co_u32_e32 v2, vcc, 0, v2, vcc
	v_lshrrev_b32_e32 v3, 31, v2
	v_add_co_u32_e32 v1, vcc, v1, v3
	v_addc_co_u32_e32 v2, vcc, 0, v2, vcc
	v_alignbit_b32 v1, v2, v1, 1
	v_readfirstlane_b32 s0, v1
	s_add_i32 s74, s0, 1
.LBB113_14:
	s_mov_b64 s[4:5], exec
	v_readlane_b32 s0, v54, 15
	v_readlane_b32 s1, v54, 16
	s_and_b64 s[0:1], s[4:5], s[0:1]
	s_mov_b64 exec, s[0:1]
	s_cbranch_execz .LBB113_16
; %bb.15:
	v_mov_b32_e32 v2, 0
	v_mov_b32_e32 v3, s56
	ds_write_b32 v2, v2 offset:4112
	ds_write_b64 v2, v[2:3] offset:4104
.LBB113_16:
	s_or_b64 exec, exec, s[4:5]
	s_waitcnt lgkmcnt(0)
	s_barrier
	s_load_dword s0, s[10:11], 0xc
	v_mbcnt_lo_u32_b32 v1, -1, 0
	v_mbcnt_hi_u32_b32 v23, -1, v1
	v_cmp_gt_u32_e32 vcc, 64, v0
	v_cmp_gt_i32_e64 s[4:5], 4, v23
	s_waitcnt lgkmcnt(0)
	s_and_b32 s59, s0, 0xffff
	s_bfe_u32 s3, s0, 0xa0006
	s_add_i32 s0, s59, -1
	s_lshl_b32 s33, s59, 2
	s_and_b64 s[70:71], vcc, s[4:5]
	v_writelane_b32 v54, s0, 17
	s_add_i32 s0, s0, s56
	s_cmpk_gt_u32 s56, 0x180
	s_cselect_b64 s[4:5], -1, 0
	v_writelane_b32 v54, s4, 18
	s_cmp_gt_u32 s59, 63
	v_writelane_b32 v54, s5, 19
	s_cselect_b64 s[4:5], -1, 0
	s_cmp_lt_u32 s6, s12
	v_writelane_b32 v54, s4, 20
	s_cselect_b32 s1, 12, 18
	v_writelane_b32 v54, s5, 21
	s_add_u32 s4, s10, s1
	v_mov_b32_e32 v19, 0
	s_addc_u32 s5, s11, 0
	s_add_i32 s1, s3, -2
	s_lshr_b32 s2, s1, 1
	v_mov_b32_e32 v17, v19
	s_add_i32 s2, s2, 1
	v_lshlrev_b64 v[2:3], 3, v[16:17]
	v_writelane_b32 v54, s4, 22
	s_cmpk_gt_u32 s59, 0x7f
	v_mov_b32_e32 v17, s76
	v_add_co_u32_e32 v20, vcc, s57, v2
	v_writelane_b32 v54, s5, 23
	s_cselect_b64 s[4:5], -1, 0
	v_addc_co_u32_e32 v21, vcc, v17, v3, vcc
	v_lshlrev_b64 v[2:3], v23, -1
	v_writelane_b32 v54, s4, 24
	v_not_b32_e32 v22, v2
	v_cvt_f32_u32_e32 v2, s33
	v_writelane_b32 v54, s5, 25
	v_cmp_gt_u32_e64 s[6:7], 2, v0
	s_and_b32 s8, s3, 0x3fe
	s_and_b32 s9, s2, 7
	v_writelane_b32 v54, s6, 26
	s_cmp_gt_u32 s1, 13
	v_writelane_b32 v54, s7, 27
	s_cselect_b64 s[10:11], -1, 0
	v_writelane_b32 v54, s10, 28
	v_rcp_iflag_f32_e32 v2, v2
	v_writelane_b32 v54, s11, 29
	s_and_b32 s1, s2, -8
	v_writelane_b32 v54, s1, 30
	s_cmp_lg_u32 s9, 0
	v_writelane_b32 v54, s9, 31
	s_cselect_b64 s[10:11], -1, 0
	v_writelane_b32 v54, s10, 32
	v_mul_f32_e32 v2, 0x4f7ffffe, v2
	v_writelane_b32 v54, s11, 33
	v_cvt_u32_f32_e32 v2, v2
	v_writelane_b32 v54, s3, 34
	s_cmp_lg_u32 s8, s3
	v_writelane_b32 v54, s8, 35
	s_cselect_b64 s[2:3], -1, 0
	v_writelane_b32 v54, s2, 36
	v_writelane_b32 v54, s3, 37
	s_sub_i32 s1, 0, s33
	v_readfirstlane_b32 s2, v2
	s_mul_i32 s1, s1, s2
	s_mul_hi_u32 s1, s2, s1
	s_add_i32 s55, s2, s1
	v_cvt_f32_u32_e32 v2, s59
	s_mul_hi_u32 s1, s56, s55
	s_mul_i32 s1, s1, s33
	s_sub_i32 s1, s56, s1
	s_sub_i32 s2, s1, s33
	v_rcp_iflag_f32_e32 v5, v2
	s_cmp_ge_u32 s1, s33
	s_cselect_b32 s1, s2, s1
	s_sub_i32 s2, s1, s33
	s_cmp_ge_u32 s1, s33
	v_mul_f32_e32 v5, 0x4f7ffffe, v5
	s_cselect_b32 s1, s2, s1
	v_cvt_u32_f32_e32 v5, v5
	v_lshlrev_b32_e32 v30, 2, v0
	s_sub_i32 s12, s56, s1
	v_cmp_gt_u32_e64 s[2:3], s12, v30
	v_writelane_b32 v54, s2, 38
	v_writelane_b32 v54, s3, 39
	s_sub_i32 s2, 0, s59
	v_readfirstlane_b32 s3, v5
	s_mul_i32 s2, s2, s3
	s_mul_hi_u32 s2, s3, s2
	s_add_i32 s2, s3, s2
	v_writelane_b32 v54, s2, 40
	s_mul_hi_u32 s2, s0, s2
	s_mul_i32 s2, s2, s59
	s_sub_i32 s2, s0, s2
	s_sub_i32 s3, s2, s59
	v_add_u32_e32 v35, s12, v0
	s_cmp_ge_u32 s2, s59
	v_lshrrev_b32_e32 v1, 4, v0
	v_mul_lo_u32 v18, v35, s58
	s_cselect_b32 s2, s3, s2
	v_and_b32_e32 v33, 60, v1
	v_not_b32_e32 v1, v3
	v_lshlrev_b64 v[2:3], 3, v[18:19]
	s_sub_i32 s3, s2, s59
	v_add_co_u32_e32 v24, vcc, s57, v2
	s_cmp_ge_u32 s2, s59
	v_mul_lo_u32 v2, s58, v30
	s_cselect_b32 s2, s3, s2
	v_add_u32_e32 v36, s58, v2
	v_or_b32_e32 v2, 2, v30
	s_sub_i32 s72, s0, s2
	v_mul_lo_u32 v37, s58, v2
	v_or_b32_e32 v2, 3, v30
	s_add_i32 s0, s59, s56
	v_cmp_gt_u32_e64 s[2:3], s72, v0
	v_mul_lo_u32 v38, s58, v2
	v_add_u32_e32 v2, s0, v0
	v_lshlrev_b32_e32 v31, 3, v0
	v_lshlrev_b32_e32 v4, 2, v23
	v_mov_b32_e32 v6, s76
	v_writelane_b32 v54, s2, 41
	s_mul_i32 s77, s58, s59
	v_subrev_u32_e32 v2, s1, v2
	s_mov_b32 s50, 0
	v_cmp_eq_u32_e64 s[4:5], 0, v23
	v_add_u32_e32 v32, 0xc00, v31
	v_and_b32_e32 v34, 0x100, v4
	v_cmp_gt_u32_e64 s[10:11], s56, v35
	v_addc_co_u32_e32 v25, vcc, v6, v3, vcc
	v_writelane_b32 v54, s3, 42
	s_lshl_b32 s73, s77, 2
	v_lshlrev_b32_e32 v39, 2, v16
	v_mul_lo_u32 v40, s58, v2
	v_lshlrev_b32_e32 v41, 5, v0
	s_lshl_b32 s2, s59, 5
	s_lshl_b32 s3, s59, 3
	v_or_b32_e32 v42, 0xc00, v4
	s_mov_b32 s78, 62
	s_mov_b64 s[86:87], 0
	v_pk_mov_b32 v[6:7], 0, 0
	v_mov_b32_e32 v3, 0x3ff00000
	v_mov_b32_e32 v43, 0xc00
	s_mov_b32 s13, 0
	s_mov_b64 s[66:67], 0
	s_mov_b64 s[64:65], 0
                                        ; implicit-def: $sgpr88_sgpr89
                                        ; implicit-def: $sgpr92_sgpr93
                                        ; implicit-def: $sgpr90_sgpr91
                                        ; implicit-def: $sgpr94_sgpr95
                                        ; implicit-def: $sgpr60_sgpr61
                                        ; implicit-def: $sgpr62_sgpr63
	s_branch .LBB113_21
.LBB113_17:                             ;   in Loop: Header=BB113_21 Depth=1
	s_xor_b32 s13, s13, 1
	s_add_i32 s0, s78, -2
	s_cmp_eq_u32 s78, 0
	s_mov_b64 s[16:17], 0
	s_cselect_b64 s[20:21], -1, 0
	s_mov_b32 s78, s0
.LBB113_18:                             ;   in Loop: Header=BB113_21 Depth=1
	s_andn2_b64 s[0:1], s[24:25], exec
	s_and_b64 s[8:9], s[16:17], exec
	s_or_b64 s[24:25], s[0:1], s[8:9]
	s_andn2_b64 s[28:29], s[28:29], exec
	s_andn2_b64 s[22:23], s[22:23], exec
	s_orn2_b64 s[20:21], s[20:21], exec
	s_mov_b32 s74, s39
.LBB113_19:                             ;   in Loop: Header=BB113_21 Depth=1
	s_or_b64 exec, exec, s[14:15]
	s_andn2_b64 s[0:1], s[62:63], exec
	s_and_b64 s[8:9], s[24:25], exec
	s_or_b64 s[62:63], s[0:1], s[8:9]
	s_andn2_b64 s[0:1], s[60:61], exec
	s_and_b64 s[8:9], s[28:29], exec
	s_or_b64 s[60:61], s[0:1], s[8:9]
	;; [unrolled: 3-line block ×3, first 2 shown]
	s_orn2_b64 s[20:21], s[20:21], exec
.LBB113_20:                             ;   in Loop: Header=BB113_21 Depth=1
	s_or_b64 exec, exec, s[18:19]
	s_and_b64 s[0:1], exec, s[20:21]
	s_or_b64 s[86:87], s[0:1], s[86:87]
	s_andn2_b64 s[0:1], s[90:91], exec
	s_and_b64 s[8:9], s[62:63], exec
	s_or_b64 s[90:91], s[0:1], s[8:9]
	s_andn2_b64 s[0:1], s[92:93], exec
	s_and_b64 s[8:9], s[60:61], exec
	;; [unrolled: 3-line block ×3, first 2 shown]
	s_waitcnt vmcnt(0)
	v_pk_mov_b32 v[4:5], s[66:67], s[66:67] op_sel:[0,1]
	s_or_b64 s[88:89], s[0:1], s[8:9]
	s_andn2_b64 exec, exec, s[86:87]
	s_cbranch_execz .LBB113_258
.LBB113_21:                             ; =>This Loop Header: Depth=1
                                        ;     Child Loop BB113_29 Depth 2
                                        ;     Child Loop BB113_47 Depth 2
	;; [unrolled: 1-line block ×17, first 2 shown]
	ds_read_b64 v[4:5], v19 offset:4104
	s_waitcnt lgkmcnt(0)
	v_readfirstlane_b32 s69, v4
	s_cmp_lg_u32 s69, 0
	s_cbranch_scc1 .LBB113_54
; %bb.22:                               ;   in Loop: Header=BB113_21 Depth=1
	v_readlane_b32 s0, v54, 18
	v_readlane_b32 s1, v54, 19
	s_and_b64 vcc, exec, s[0:1]
	s_cbranch_vccz .LBB113_37
; %bb.23:                               ;   in Loop: Header=BB113_21 Depth=1
	s_movk_i32 s0, 0x181
	v_cmp_gt_u32_e32 vcc, s0, v5
	s_mov_b64 s[18:19], 0
	s_mov_b64 s[14:15], 0
	s_cbranch_vccz .LBB113_38
; %bb.24:                               ;   in Loop: Header=BB113_21 Depth=1
	v_pk_mov_b32 v[4:5], 0, 0
	s_mov_b64 s[14:15], exec
	v_readlane_b32 s0, v54, 13
	v_readlane_b32 s1, v54, 14
	s_and_b64 s[0:1], s[14:15], s[0:1]
	s_mov_b64 exec, s[0:1]
	s_cbranch_execz .LBB113_26
; %bb.25:                               ;   in Loop: Header=BB113_21 Depth=1
	global_load_dwordx2 v[4:5], v[20:21], off
.LBB113_26:                             ;   in Loop: Header=BB113_21 Depth=1
	s_or_b64 exec, exec, s[14:15]
	s_mov_b64 s[20:21], exec
	v_readlane_b32 s0, v54, 13
	v_readlane_b32 s1, v54, 14
	s_and_b64 s[0:1], s[20:21], s[0:1]
	s_mov_b64 exec, s[0:1]
	s_cbranch_execz .LBB113_39
; %bb.27:                               ;   in Loop: Header=BB113_21 Depth=1
	v_readlane_b32 s0, v54, 22
	v_readlane_b32 s1, v54, 23
	s_mov_b64 s[22:23], 0
	v_mov_b32_e32 v11, v0
	s_nop 2
	global_load_ushort v2, v19, s[0:1]
	s_waitcnt vmcnt(0)
	v_add_u32_e32 v8, v0, v2
	v_mul_lo_u32 v10, s58, v2
	v_mul_lo_u32 v18, s58, v8
	s_branch .LBB113_29
.LBB113_28:                             ;   in Loop: Header=BB113_29 Depth=2
	s_or_b64 exec, exec, s[16:17]
	v_add_u32_e32 v18, v18, v10
	s_waitcnt vmcnt(0)
	v_pk_mov_b32 v[4:5], v[8:9], v[8:9] op_sel:[0,1]
	s_andn2_b64 exec, exec, s[22:23]
	s_cbranch_execz .LBB113_39
.LBB113_29:                             ;   Parent Loop BB113_21 Depth=1
                                        ; =>  This Inner Loop Header: Depth=2
	v_add_u32_e32 v11, v11, v2
	v_cmp_gt_u32_e64 s[14:15], s56, v11
	v_cmp_le_u32_e32 vcc, s56, v11
	v_pk_mov_b32 v[8:9], 0, 0
	s_and_saveexec_b64 s[16:17], s[14:15]
	s_cbranch_execz .LBB113_31
; %bb.30:                               ;   in Loop: Header=BB113_29 Depth=2
	v_lshlrev_b64 v[8:9], 3, v[18:19]
	v_add_co_u32_e64 v8, s[14:15], s57, v8
	v_addc_co_u32_e64 v9, s[14:15], v17, v9, s[14:15]
	global_load_dwordx2 v[8:9], v[8:9], off
.LBB113_31:                             ;   in Loop: Header=BB113_29 Depth=2
	s_or_b64 exec, exec, s[16:17]
	s_waitcnt lgkmcnt(0)
	v_ashrrev_i32_e32 v12, 31, v5
	v_or_b32_e32 v13, 0x80000000, v12
	v_xor_b32_e32 v13, v13, v5
	v_xor_b32_e32 v12, v12, v4
	v_cmp_o_f64_e64 s[14:15], v[4:5], v[4:5]
	v_cndmask_b32_e64 v13, -1, v13, s[14:15]
	v_cndmask_b32_e64 v12, -1, v12, s[14:15]
	v_and_b32_e32 v13, s65, v13
	v_and_b32_e32 v12, s64, v12
	v_cmp_eq_u64_e64 s[14:15], s[66:67], v[12:13]
	s_cmp_lg_u64 s[14:15], 0
	s_cselect_b64 s[0:1], -1, 0
	s_and_b64 s[0:1], s[4:5], s[0:1]
	v_mov_b32_e32 v12, 0
	s_and_saveexec_b64 s[24:25], s[0:1]
	s_cbranch_execz .LBB113_35
; %bb.32:                               ;   in Loop: Header=BB113_29 Depth=2
	s_mov_b64 s[28:29], exec
	v_mbcnt_lo_u32_b32 v12, s28, 0
	v_mbcnt_hi_u32_b32 v12, s29, v12
	s_bcnt1_i32_b64 s0, s[14:15]
	v_cmp_eq_u32_e64 s[16:17], 0, v12
                                        ; implicit-def: $vgpr13
	s_and_saveexec_b64 s[26:27], s[16:17]
	s_cbranch_execz .LBB113_34
; %bb.33:                               ;   in Loop: Header=BB113_29 Depth=2
	s_bcnt1_i32_b64 s1, s[28:29]
	s_mul_i32 s1, s0, s1
	v_mov_b32_e32 v13, s1
	ds_add_rtn_u32 v13, v19, v13 offset:4112
.LBB113_34:                             ;   in Loop: Header=BB113_29 Depth=2
	s_or_b64 exec, exec, s[26:27]
	s_waitcnt lgkmcnt(0)
	v_readfirstlane_b32 s1, v13
	v_mov_b32_e32 v13, s1
	v_mad_u32_u24 v12, s0, v12, v13
.LBB113_35:                             ;   in Loop: Header=BB113_29 Depth=2
	s_or_b64 exec, exec, s[24:25]
	ds_bpermute_b32 v12, v34, v12
	s_and_b64 s[0:1], exec, vcc
	s_or_b64 s[22:23], s[0:1], s[22:23]
	s_and_saveexec_b64 s[16:17], s[14:15]
	s_cbranch_execz .LBB113_28
; %bb.36:                               ;   in Loop: Header=BB113_29 Depth=2
	v_and_b32_e32 v14, s14, v22
	v_and_b32_e32 v13, s15, v1
	v_bcnt_u32_b32 v14, v14, 0
	v_bcnt_u32_b32 v13, v13, v14
	v_lshlrev_b32_e32 v13, 3, v13
	s_waitcnt lgkmcnt(0)
	v_lshl_add_u32 v12, v12, 3, v13
	ds_write_b64 v12, v[4:5]
	s_branch .LBB113_28
.LBB113_37:                             ;   in Loop: Header=BB113_21 Depth=1
	s_mov_b64 s[14:15], 0
                                        ; implicit-def: $sgpr69
	s_cbranch_execnz .LBB113_42
	s_branch .LBB113_52
.LBB113_38:                             ;   in Loop: Header=BB113_21 Depth=1
	s_mov_b32 s69, 0
	s_and_b64 vcc, exec, s[18:19]
	s_cbranch_vccnz .LBB113_42
	s_branch .LBB113_52
.LBB113_39:                             ;   in Loop: Header=BB113_21 Depth=1
	s_or_b64 exec, exec, s[20:21]
	s_waitcnt lgkmcnt(0)
	s_barrier
	s_mov_b64 s[14:15], exec
	v_readlane_b32 s0, v54, 15
	v_readlane_b32 s1, v54, 16
	s_and_b64 s[0:1], s[14:15], s[0:1]
	s_mov_b64 exec, s[0:1]
	s_cbranch_execz .LBB113_41
; %bb.40:                               ;   in Loop: Header=BB113_21 Depth=1
	ds_read_b32 v2, v19 offset:4112
	s_waitcnt lgkmcnt(0)
	ds_write_b32 v19, v2 offset:4104
.LBB113_41:                             ;   in Loop: Header=BB113_21 Depth=1
	s_or_b64 exec, exec, s[14:15]
	s_waitcnt lgkmcnt(0)
	s_barrier
	s_mov_b64 s[14:15], -1
	s_mov_b32 s69, 0
	s_and_b64 vcc, exec, s[18:19]
	s_cbranch_vccz .LBB113_52
.LBB113_42:                             ;   in Loop: Header=BB113_21 Depth=1
	s_waitcnt vmcnt(0)
	v_pk_mov_b32 v[4:5], 0, 0
	s_mov_b64 s[14:15], exec
	v_readlane_b32 s0, v54, 13
	v_readlane_b32 s1, v54, 14
	s_and_b64 s[0:1], s[14:15], s[0:1]
	s_mov_b64 exec, s[0:1]
	s_cbranch_execz .LBB113_44
; %bb.43:                               ;   in Loop: Header=BB113_21 Depth=1
	global_load_dwordx2 v[4:5], v[20:21], off
.LBB113_44:                             ;   in Loop: Header=BB113_21 Depth=1
	s_or_b64 exec, exec, s[14:15]
	s_mov_b64 s[16:17], exec
	v_readlane_b32 s0, v54, 13
	v_readlane_b32 s1, v54, 14
	s_and_b64 s[0:1], s[16:17], s[0:1]
	s_mov_b64 exec, s[0:1]
	s_cbranch_execz .LBB113_49
; %bb.45:                               ;   in Loop: Header=BB113_21 Depth=1
	v_readlane_b32 s0, v54, 22
	v_readlane_b32 s1, v54, 23
	s_mov_b64 s[18:19], 0
	v_mov_b32_e32 v10, v31
	v_mov_b32_e32 v13, v0
	s_nop 1
	global_load_ushort v2, v19, s[0:1]
	s_waitcnt vmcnt(0)
	v_add_u32_e32 v8, v0, v2
	v_lshlrev_b32_e32 v11, 3, v2
	v_mul_lo_u32 v12, s58, v2
	v_mul_lo_u32 v18, s58, v8
	s_branch .LBB113_47
.LBB113_46:                             ;   in Loop: Header=BB113_47 Depth=2
	s_or_b64 exec, exec, s[20:21]
	s_and_b64 s[0:1], exec, vcc
	s_or_b64 s[18:19], s[0:1], s[18:19]
	ds_write_b64 v10, v[4:5]
	v_add_u32_e32 v10, v10, v11
	v_add_u32_e32 v18, v18, v12
	s_waitcnt vmcnt(0)
	v_pk_mov_b32 v[4:5], v[8:9], v[8:9] op_sel:[0,1]
	s_andn2_b64 exec, exec, s[18:19]
	s_cbranch_execz .LBB113_49
.LBB113_47:                             ;   Parent Loop BB113_21 Depth=1
                                        ; =>  This Inner Loop Header: Depth=2
	v_add_u32_e32 v13, v13, v2
	v_cmp_gt_u32_e64 s[14:15], s56, v13
	v_cmp_le_u32_e32 vcc, s56, v13
	v_pk_mov_b32 v[8:9], 0, 0
	s_and_saveexec_b64 s[20:21], s[14:15]
	s_cbranch_execz .LBB113_46
; %bb.48:                               ;   in Loop: Header=BB113_47 Depth=2
	v_lshlrev_b64 v[8:9], 3, v[18:19]
	v_mov_b32_e32 v14, s76
	v_add_co_u32_e64 v8, s[14:15], s57, v8
	v_addc_co_u32_e64 v9, s[14:15], v14, v9, s[14:15]
	global_load_dwordx2 v[8:9], v[8:9], off
	s_branch .LBB113_46
.LBB113_49:                             ;   in Loop: Header=BB113_21 Depth=1
	s_or_b64 exec, exec, s[16:17]
	s_waitcnt lgkmcnt(0)
	s_barrier
	s_mov_b64 s[14:15], exec
	v_readlane_b32 s0, v54, 15
	v_readlane_b32 s1, v54, 16
	s_and_b64 s[0:1], s[14:15], s[0:1]
	s_mov_b64 exec, s[0:1]
	s_cbranch_execz .LBB113_51
; %bb.50:                               ;   in Loop: Header=BB113_21 Depth=1
	v_mov_b32_e32 v2, s56
	ds_write_b32 v19, v2 offset:4104
.LBB113_51:                             ;   in Loop: Header=BB113_21 Depth=1
	s_or_b64 exec, exec, s[14:15]
	s_mov_b64 s[14:15], -1
	s_waitcnt lgkmcnt(0)
	s_barrier
                                        ; implicit-def: $sgpr69
.LBB113_52:                             ;   in Loop: Header=BB113_21 Depth=1
	s_and_b64 vcc, exec, s[14:15]
	s_cbranch_vccz .LBB113_54
; %bb.53:                               ;   in Loop: Header=BB113_21 Depth=1
	ds_read_b32 v2, v19 offset:4104
	s_waitcnt lgkmcnt(0)
	v_readfirstlane_b32 s69, v2
.LBB113_54:                             ;   in Loop: Header=BB113_21 Depth=1
	s_cmp_lt_i32 s69, 1
	s_cbranch_scc0 .LBB113_66
; %bb.55:                               ;   in Loop: Header=BB113_21 Depth=1
	v_mov_b32_e32 v8, 0
	s_mov_b32 s48, 0
	v_mov_b32_e32 v9, 0
	v_mov_b32_e32 v10, v8
	;; [unrolled: 1-line block ×3, first 2 shown]
	s_mov_b64 s[44:45], exec
	v_readlane_b32 s0, v54, 38
	v_readlane_b32 s1, v54, 39
	s_and_b64 s[0:1], s[44:45], s[0:1]
	s_mov_b64 exec, s[0:1]
	s_cbranch_execz .LBB113_59
; %bb.56:                               ;   in Loop: Header=BB113_21 Depth=1
	s_mov_b32 s54, s50
	s_and_b32 s49, s78, 0xfe
	s_mov_b64 s[46:47], 0
	s_mov_b32 s50, 0
	s_mov_b32 s51, 0
	;; [unrolled: 1-line block ×4, first 2 shown]
	v_mov_b32_e32 v2, v30
.LBB113_57:                             ;   Parent Loop BB113_21 Depth=1
                                        ; =>  This Inner Loop Header: Depth=2
	v_add_u32_e32 v18, s48, v39
	v_lshlrev_b64 v[12:13], 3, v[18:19]
	s_waitcnt vmcnt(0)
	v_mov_b32_e32 v4, s76
	v_add_u32_e32 v18, s48, v36
	v_add_co_u32_e64 v12, s[14:15], s57, v12
	v_lshlrev_b64 v[14:15], 3, v[18:19]
	v_addc_co_u32_e64 v13, s[14:15], v4, v13, s[14:15]
	v_add_u32_e32 v18, s48, v37
	v_add_co_u32_e64 v14, s[14:15], s57, v14
	v_lshlrev_b64 v[26:27], 3, v[18:19]
	v_addc_co_u32_e64 v15, s[14:15], v4, v15, s[14:15]
	v_add_u32_e32 v18, s48, v38
	v_add_co_u32_e64 v26, s[14:15], s57, v26
	global_load_dwordx2 v[12:13], v[12:13], off
	v_lshlrev_b64 v[28:29], 3, v[18:19]
	global_load_dwordx2 v[14:15], v[14:15], off
	v_addc_co_u32_e64 v27, s[14:15], v4, v27, s[14:15]
	global_load_dwordx2 v[26:27], v[26:27], off
	v_add_co_u32_e64 v28, s[14:15], s57, v28
	v_addc_co_u32_e64 v29, s[14:15], v4, v29, s[14:15]
	global_load_dwordx2 v[28:29], v[28:29], off
	v_mov_b32_e32 v11, v19
	v_mov_b32_e32 v9, v19
	;; [unrolled: 1-line block ×3, first 2 shown]
	v_add_u32_e32 v2, s33, v2
	v_cmp_le_u32_e32 vcc, s12, v2
	s_add_i32 s48, s48, s73
	s_waitcnt vmcnt(3)
	v_ashrrev_i32_e32 v4, 31, v13
	v_or_b32_e32 v8, 0x80000000, v4
	s_waitcnt vmcnt(2)
	v_ashrrev_i32_e32 v10, 31, v15
	v_xor_b32_e32 v4, v4, v12
	v_cmp_o_f64_e64 s[14:15], v[12:13], v[12:13]
	v_xor_b32_e32 v8, v8, v13
	v_or_b32_e32 v18, 0x80000000, v10
	s_waitcnt vmcnt(1)
	v_ashrrev_i32_e32 v44, 31, v27
	v_xor_b32_e32 v10, v10, v14
	v_cndmask_b32_e64 v12, -1, v4, s[14:15]
	v_cmp_o_f64_e64 s[16:17], v[14:15], v[14:15]
	v_cndmask_b32_e64 v13, -1, v8, s[14:15]
	v_xor_b32_e32 v4, v18, v15
	v_or_b32_e32 v8, 0x80000000, v44
	s_waitcnt vmcnt(0)
	v_ashrrev_i32_e32 v45, 31, v29
	v_xor_b32_e32 v18, v44, v26
	v_cndmask_b32_e64 v14, -1, v10, s[16:17]
	v_and_b32_e32 v44, s64, v12
	v_cmp_o_f64_e64 s[14:15], v[26:27], v[26:27]
	v_cndmask_b32_e64 v15, -1, v4, s[16:17]
	v_xor_b32_e32 v4, v8, v27
	v_or_b32_e32 v8, 0x80000000, v45
	v_xor_b32_e32 v10, v45, v28
	v_and_b32_e32 v45, s65, v13
	v_lshrrev_b64 v[12:13], s49, v[12:13]
	v_cndmask_b32_e64 v26, -1, v18, s[14:15]
	v_and_b32_e32 v18, 3, v12
	v_cmp_o_f64_e64 s[16:17], v[28:29], v[28:29]
	v_cndmask_b32_e64 v27, -1, v4, s[14:15]
	v_cmp_eq_u64_e64 s[14:15], s[66:67], v[44:45]
	v_lshrrev_b64 v[12:13], s49, v[14:15]
	v_cmp_eq_u64_e64 s[18:19], 0, v[18:19]
	v_and_b32_e32 v46, s64, v14
	v_xor_b32_e32 v4, v8, v29
	v_cndmask_b32_e64 v14, -1, v10, s[16:17]
	v_and_b32_e32 v10, 3, v12
	v_cmp_eq_u64_e64 s[20:21], 1, v[18:19]
	s_and_b64 s[0:1], s[14:15], s[18:19]
	v_and_b32_e32 v47, s65, v15
	v_cndmask_b32_e64 v15, -1, v4, s[16:17]
	v_lshrrev_b64 v[12:13], s49, v[26:27]
	v_cmp_eq_u64_e64 s[22:23], 2, v[18:19]
	v_cmp_eq_u64_e64 s[28:29], 0, v[10:11]
	;; [unrolled: 1-line block ×5, first 2 shown]
	v_cndmask_b32_e64 v10, 0, 1, s[0:1]
	s_and_b64 s[0:1], s[14:15], s[20:21]
	v_cmp_eq_u64_e64 s[24:25], 3, v[18:19]
	v_and_b32_e32 v8, 3, v12
	v_lshrrev_b64 v[12:13], s49, v[14:15]
	v_cndmask_b32_e64 v11, 0, 1, s[0:1]
	s_and_b64 s[0:1], s[14:15], s[22:23]
	v_cmp_eq_u64_e64 s[16:17], s[66:67], v[46:47]
	v_cndmask_b32_e64 v13, 0, 1, s[0:1]
	s_and_b64 s[0:1], s[14:15], s[24:25]
	v_and_b32_e32 v28, s64, v26
	v_and_b32_e32 v26, s64, v14
	v_cndmask_b32_e64 v14, 0, 1, s[0:1]
	s_and_b64 s[0:1], s[16:17], s[28:29]
	v_cmp_eq_u64_e64 s[18:19], 0, v[8:9]
	v_cmp_eq_u64_e64 s[20:21], 1, v[8:9]
	v_cmp_eq_u64_e64 s[22:23], 2, v[8:9]
	v_cmp_eq_u64_e64 s[24:25], 3, v[8:9]
	v_cndmask_b32_e64 v8, 0, 1, s[0:1]
	s_and_b64 s[0:1], s[16:17], s[30:31]
	v_and_b32_e32 v29, s65, v27
	v_cndmask_b32_e64 v9, 0, 1, s[0:1]
	s_and_b64 s[0:1], s[16:17], s[34:35]
	v_cmp_eq_u64_e64 s[26:27], s[66:67], v[28:29]
	v_cmp_ne_u32_e64 s[38:39], 0, v10
	v_cndmask_b32_e64 v10, 0, 1, s[0:1]
	s_and_b64 s[0:1], s[16:17], s[36:37]
	v_and_b32_e32 v4, 3, v12
	v_cmp_ne_u32_e64 s[28:29], 0, v11
	v_cndmask_b32_e64 v11, 0, 1, s[0:1]
	s_and_b64 s[0:1], s[26:27], s[18:19]
	v_cmp_eq_u64_e64 s[16:17], 0, v[4:5]
	v_cmp_eq_u64_e64 s[36:37], 1, v[4:5]
	;; [unrolled: 1-line block ×4, first 2 shown]
	v_cndmask_b32_e64 v4, 0, 1, s[0:1]
	s_and_b64 s[0:1], s[26:27], s[20:21]
	v_and_b32_e32 v27, s65, v15
	v_cndmask_b32_e64 v5, 0, 1, s[0:1]
	s_and_b64 s[0:1], s[26:27], s[22:23]
	v_cmp_eq_u64_e64 s[14:15], s[66:67], v[26:27]
	s_bcnt1_i32_b64 s8, s[38:39]
	v_cmp_ne_u32_e64 s[38:39], 0, v8
	v_cndmask_b32_e64 v8, 0, 1, s[0:1]
	s_and_b64 s[0:1], s[26:27], s[24:25]
	v_cmp_ne_u32_e64 s[18:19], 0, v9
	v_cndmask_b32_e64 v9, 0, 1, s[0:1]
	s_and_b64 s[0:1], s[14:15], s[16:17]
	;; [unrolled: 3-line block ×3, first 2 shown]
	v_cmp_ne_u32_e64 s[30:31], 0, v13
	v_cmp_ne_u32_e64 s[34:35], 0, v14
	;; [unrolled: 1-line block ×3, first 2 shown]
	v_cndmask_b32_e64 v5, 0, 1, s[0:1]
	s_and_b64 s[0:1], s[14:15], s[40:41]
	s_bcnt1_i32_b64 s9, s[28:29]
	s_bcnt1_i32_b64 s28, s[30:31]
	v_cmp_ne_u32_e64 s[20:21], 0, v10
	s_bcnt1_i32_b64 s29, s[34:35]
	v_cmp_ne_u32_e64 s[22:23], 0, v11
	;; [unrolled: 2-line block ×3, first 2 shown]
	v_cndmask_b32_e64 v8, 0, 1, s[0:1]
	s_and_b64 s[0:1], s[14:15], s[42:43]
	s_bcnt1_i32_b64 s26, s[38:39]
	s_add_i32 s8, s53, s8
	s_add_i32 s9, s52, s9
	s_bcnt1_i32_b64 s30, s[20:21]
	s_add_i32 s28, s51, s28
	s_bcnt1_i32_b64 s22, s[22:23]
	v_cmp_ne_u32_e64 s[20:21], 0, v9
	v_cndmask_b32_e64 v9, 0, 1, s[0:1]
	s_add_i32 s0, s50, s29
	s_bcnt1_i32_b64 s1, s[24:25]
	v_cmp_ne_u32_e64 s[14:15], 0, v4
	s_add_i32 s8, s8, s26
	s_bcnt1_i32_b64 s23, s[16:17]
	v_cmp_ne_u32_e64 s[16:17], 0, v5
	;; [unrolled: 3-line block ×4, first 2 shown]
	s_add_i32 s0, s0, s22
	s_bcnt1_i32_b64 s14, s[14:15]
	s_add_i32 s1, s8, s1
	s_bcnt1_i32_b64 s8, s[16:17]
	;; [unrolled: 2-line block ×4, first 2 shown]
	s_add_i32 s0, s0, s26
	s_add_i32 s53, s1, s14
	;; [unrolled: 1-line block ×5, first 2 shown]
	s_or_b64 s[46:47], vcc, s[46:47]
	v_mov_b32_e32 v8, s53
	v_mov_b32_e32 v9, s52
	;; [unrolled: 1-line block ×4, first 2 shown]
	s_andn2_b64 exec, exec, s[46:47]
	s_cbranch_execnz .LBB113_57
; %bb.58:                               ;   in Loop: Header=BB113_21 Depth=1
	s_or_b64 exec, exec, s[46:47]
	s_mov_b32 s50, s54
.LBB113_59:                             ;   in Loop: Header=BB113_21 Depth=1
	s_or_b64 exec, exec, s[44:45]
	v_pk_mov_b32 v[12:13], 0, 0
	s_and_saveexec_b64 s[14:15], s[10:11]
	s_cbranch_execz .LBB113_61
; %bb.60:                               ;   in Loop: Header=BB113_21 Depth=1
	global_load_dwordx2 v[12:13], v[24:25], off
.LBB113_61:                             ;   in Loop: Header=BB113_21 Depth=1
	s_or_b64 exec, exec, s[14:15]
	s_mov_b64 s[16:17], 0
	s_mov_b64 s[80:81], 0
	s_and_saveexec_b64 s[18:19], s[10:11]
	s_cbranch_execz .LBB113_68
; %bb.62:                               ;   in Loop: Header=BB113_21 Depth=1
	s_and_b32 s0, s78, 0xfe
	s_mov_b64 s[20:21], 0
	s_waitcnt vmcnt(0)
	v_mov_b32_e32 v4, v40
	v_mov_b32_e32 v2, v35
	s_branch .LBB113_64
.LBB113_63:                             ;   in Loop: Header=BB113_64 Depth=2
	s_or_b64 exec, exec, s[22:23]
	v_ashrrev_i32_e32 v5, 31, v13
	v_or_b32_e32 v18, 0x80000000, v5
	s_and_b64 s[8:9], exec, vcc
	v_xor_b32_e32 v18, v18, v13
	v_xor_b32_e32 v5, v5, v12
	v_cmp_o_f64_e32 vcc, v[12:13], v[12:13]
	v_cndmask_b32_e32 v13, -1, v18, vcc
	v_cndmask_b32_e32 v12, -1, v5, vcc
	v_and_b32_e32 v27, s65, v13
	v_and_b32_e32 v26, s64, v12
	v_lshrrev_b64 v[12:13], s0, v[12:13]
	v_and_b32_e32 v18, 3, v12
	s_or_b64 s[20:21], s[8:9], s[20:21]
	v_cmp_eq_u64_e32 vcc, s[66:67], v[26:27]
	v_cmp_eq_u64_e64 s[14:15], 0, v[18:19]
	s_and_b64 s[8:9], vcc, s[14:15]
	v_cndmask_b32_e64 v5, 0, 1, s[8:9]
	v_cmp_ne_u32_e64 s[14:15], 0, v5
	s_bcnt1_i32_b64 s1, s[14:15]
	v_cmp_eq_u64_e64 s[14:15], 1, v[18:19]
	s_and_b64 s[8:9], vcc, s[14:15]
	v_cndmask_b32_e64 v5, 0, 1, s[8:9]
	v_cmp_ne_u32_e64 s[14:15], 0, v5
	v_add_u32_e32 v8, s1, v8
	s_bcnt1_i32_b64 s1, s[14:15]
	v_cmp_eq_u64_e64 s[14:15], 2, v[18:19]
	s_and_b64 s[8:9], vcc, s[14:15]
	v_cndmask_b32_e64 v5, 0, 1, s[8:9]
	v_cmp_ne_u32_e64 s[14:15], 0, v5
	v_add_u32_e32 v9, s1, v9
	s_bcnt1_i32_b64 s1, s[14:15]
	v_cmp_eq_u64_e64 s[14:15], 3, v[18:19]
	s_and_b64 s[8:9], vcc, s[14:15]
	v_cndmask_b32_e64 v5, 0, 1, s[8:9]
	v_cmp_ne_u32_e32 vcc, 0, v5
	v_add_u32_e32 v10, s1, v10
	s_bcnt1_i32_b64 s1, vcc
	v_add_u32_e32 v11, s1, v11
	v_add_u32_e32 v4, s77, v4
	s_waitcnt vmcnt(0)
	v_pk_mov_b32 v[12:13], v[14:15], v[14:15] op_sel:[0,1]
	s_andn2_b64 exec, exec, s[20:21]
	s_cbranch_execz .LBB113_67
.LBB113_64:                             ;   Parent Loop BB113_21 Depth=1
                                        ; =>  This Inner Loop Header: Depth=2
	v_add_u32_e32 v2, s59, v2
	v_cmp_gt_u32_e64 s[14:15], s56, v2
	v_cmp_le_u32_e32 vcc, s56, v2
	v_pk_mov_b32 v[14:15], 0, 0
	s_and_saveexec_b64 s[22:23], s[14:15]
	s_cbranch_execz .LBB113_63
; %bb.65:                               ;   in Loop: Header=BB113_64 Depth=2
	v_mov_b32_e32 v5, v19
	v_lshlrev_b64 v[14:15], 3, v[4:5]
	v_mov_b32_e32 v5, s76
	v_add_co_u32_e64 v14, s[14:15], s57, v14
	v_addc_co_u32_e64 v15, s[14:15], v5, v15, s[14:15]
	global_load_dwordx2 v[14:15], v[14:15], off
	s_branch .LBB113_63
.LBB113_66:                             ;   in Loop: Header=BB113_21 Depth=1
	s_mov_b64 s[80:81], 0
                                        ; implicit-def: $vgpr11
	s_cbranch_execnz .LBB113_69
	s_branch .LBB113_78
.LBB113_67:                             ;   in Loop: Header=BB113_21 Depth=1
	s_or_b64 exec, exec, s[20:21]
	s_mov_b64 s[80:81], exec
.LBB113_68:                             ;   in Loop: Header=BB113_21 Depth=1
	s_or_b64 exec, exec, s[18:19]
	s_and_b64 vcc, exec, s[16:17]
	s_cbranch_vccz .LBB113_78
.LBB113_69:                             ;   in Loop: Header=BB113_21 Depth=1
	s_mul_hi_u32 s0, s69, s55
	s_mul_i32 s0, s0, s33
	s_sub_i32 s0, s69, s0
	s_sub_i32 s1, s0, s33
	s_cmp_ge_u32 s0, s33
	s_cselect_b32 s0, s1, s0
	s_sub_i32 s1, s0, s33
	s_cmp_ge_u32 s0, s33
	s_cselect_b32 s0, s1, s0
	s_sub_i32 s75, s69, s0
	v_cmp_gt_u32_e32 vcc, s75, v30
	s_mov_b32 s8, 0
	v_mov_b32_e32 v8, 0
	v_mov_b32_e32 v9, 0
	v_mov_b32_e32 v10, 0
	v_mov_b32_e32 v11, 0
	s_and_saveexec_b64 s[82:83], vcc
	s_cbranch_execz .LBB113_73
; %bb.70:                               ;   in Loop: Header=BB113_21 Depth=1
	s_mov_b32 s6, s50
	s_mov_b32 s68, s55
	s_and_b32 s9, s78, 0xfe
	s_mov_b64 s[84:85], 0
	v_mov_b32_e32 v2, v41
	s_mov_b32 s79, 0
	s_mov_b32 s0, 0
	;; [unrolled: 1-line block ×3, first 2 shown]
	v_mov_b32_e32 v44, v30
.LBB113_71:                             ;   Parent Loop BB113_21 Depth=1
                                        ; =>  This Inner Loop Header: Depth=2
	s_waitcnt vmcnt(0)
	ds_read_b128 v[12:15], v2
	ds_read_b128 v[8:11], v2 offset:16
	v_mov_b32_e32 v5, v19
	v_mov_b32_e32 v27, v19
	;; [unrolled: 1-line block ×3, first 2 shown]
	s_waitcnt lgkmcnt(1)
	v_ashrrev_i32_e32 v4, 31, v13
	v_ashrrev_i32_e32 v18, 31, v15
	s_waitcnt lgkmcnt(0)
	v_ashrrev_i32_e32 v26, 31, v9
	v_ashrrev_i32_e32 v28, 31, v11
	v_xor_b32_e32 v45, v18, v14
	v_cmp_o_f64_e64 s[14:15], v[14:15], v[14:15]
	v_xor_b32_e32 v14, v26, v8
	v_cmp_o_f64_e64 s[16:17], v[8:9], v[8:9]
	v_or_b32_e32 v8, 0x80000000, v4
	v_xor_b32_e32 v46, v28, v10
	v_cmp_o_f64_e64 s[18:19], v[10:11], v[10:11]
	v_xor_b32_e32 v4, v4, v12
	v_or_b32_e32 v10, 0x80000000, v18
	v_or_b32_e32 v18, 0x80000000, v26
	v_cmp_o_f64_e64 s[20:21], v[12:13], v[12:13]
	v_xor_b32_e32 v13, v8, v13
	v_or_b32_e32 v26, 0x80000000, v28
	v_xor_b32_e32 v15, v10, v15
	v_xor_b32_e32 v18, v18, v9
	v_cndmask_b32_e64 v8, -1, v4, s[20:21]
	v_cndmask_b32_e64 v9, -1, v13, s[20:21]
	v_xor_b32_e32 v26, v26, v11
	v_cndmask_b32_e64 v10, -1, v45, s[14:15]
	v_cndmask_b32_e64 v12, -1, v14, s[16:17]
	;; [unrolled: 1-line block ×4, first 2 shown]
	v_and_b32_e32 v46, s64, v8
	v_and_b32_e32 v47, s65, v9
	v_lshrrev_b64 v[8:9], s9, v[8:9]
	v_cndmask_b32_e64 v13, -1, v18, s[16:17]
	v_and_b32_e32 v48, s64, v10
	v_and_b32_e32 v49, s65, v11
	v_lshrrev_b64 v[10:11], s9, v[10:11]
	v_and_b32_e32 v18, 3, v8
	v_cndmask_b32_e64 v15, -1, v26, s[18:19]
	v_and_b32_e32 v50, s64, v12
	v_and_b32_e32 v51, s65, v13
	v_lshrrev_b64 v[12:13], s9, v[12:13]
	v_cmp_eq_u64_e64 s[14:15], s[66:67], v[46:47]
	v_and_b32_e32 v4, 3, v10
	v_cmp_eq_u64_e64 s[22:23], 0, v[18:19]
	v_and_b32_e32 v52, s64, v14
	v_and_b32_e32 v53, s65, v15
	v_lshrrev_b64 v[14:15], s9, v[14:15]
	v_cmp_eq_u64_e64 s[16:17], s[66:67], v[48:49]
	v_and_b32_e32 v26, 3, v12
	v_cmp_eq_u64_e64 s[24:25], 0, v[4:5]
	s_and_b64 s[22:23], s[14:15], s[22:23]
	v_cmp_eq_u64_e64 s[18:19], s[66:67], v[50:51]
	v_and_b32_e32 v28, 3, v14
	v_cmp_eq_u64_e64 s[26:27], 0, v[26:27]
	v_cmp_eq_u64_e64 s[34:35], 1, v[4:5]
	;; [unrolled: 1-line block ×4, first 2 shown]
	v_cndmask_b32_e64 v4, 0, 1, s[22:23]
	s_and_b64 s[22:23], s[16:17], s[24:25]
	v_cmp_eq_u64_e64 s[20:21], s[66:67], v[52:53]
	v_cmp_eq_u64_e64 s[28:29], 0, v[28:29]
	v_cndmask_b32_e64 v5, 0, 1, s[22:23]
	s_and_b64 s[22:23], s[18:19], s[26:27]
	v_cmp_eq_u64_e64 s[30:31], 1, v[18:19]
	v_cndmask_b32_e64 v8, 0, 1, s[22:23]
	s_and_b64 s[22:23], s[20:21], s[28:29]
	v_cndmask_b32_e64 v9, 0, 1, s[22:23]
	s_and_b64 s[22:23], s[14:15], s[30:31]
	v_cmp_eq_u64_e64 s[36:37], 1, v[26:27]
	v_cndmask_b32_e64 v10, 0, 1, s[22:23]
	s_and_b64 s[22:23], s[16:17], s[34:35]
	v_cmp_eq_u64_e64 s[38:39], 1, v[28:29]
	;; [unrolled: 3-line block ×3, first 2 shown]
	v_cmp_eq_u64_e64 s[48:49], 3, v[18:19]
	v_cndmask_b32_e64 v12, 0, 1, s[22:23]
	s_and_b64 s[22:23], s[20:21], s[38:39]
	v_cndmask_b32_e64 v13, 0, 1, s[22:23]
	s_and_b64 s[22:23], s[14:15], s[40:41]
	s_and_b64 s[14:15], s[14:15], s[48:49]
	v_cmp_eq_u64_e64 s[44:45], 2, v[26:27]
	v_cmp_eq_u64_e64 s[52:53], 3, v[26:27]
	v_cndmask_b32_e64 v14, 0, 1, s[22:23]
	s_and_b64 s[22:23], s[16:17], s[42:43]
	v_cndmask_b32_e64 v27, 0, 1, s[14:15]
	s_and_b64 s[14:15], s[16:17], s[50:51]
	v_cmp_eq_u64_e64 s[46:47], 2, v[28:29]
	v_cmp_eq_u64_e64 s[54:55], 3, v[28:29]
	v_cndmask_b32_e64 v15, 0, 1, s[22:23]
	s_and_b64 s[22:23], s[18:19], s[44:45]
	v_cndmask_b32_e64 v28, 0, 1, s[14:15]
	s_and_b64 s[14:15], s[18:19], s[52:53]
	v_cndmask_b32_e64 v18, 0, 1, s[22:23]
	s_and_b64 s[22:23], s[20:21], s[46:47]
	v_cndmask_b32_e64 v29, 0, 1, s[14:15]
	s_and_b64 s[14:15], s[20:21], s[54:55]
	v_cndmask_b32_e64 v26, 0, 1, s[22:23]
	v_cndmask_b32_e64 v45, 0, 1, s[14:15]
	v_cmp_ne_u32_e64 s[14:15], 0, v4
	v_cmp_ne_u32_e64 s[16:17], 0, v5
	;; [unrolled: 1-line block ×11, first 2 shown]
	s_bcnt1_i32_b64 s14, s[14:15]
	s_bcnt1_i32_b64 s15, s[16:17]
	;; [unrolled: 1-line block ×8, first 2 shown]
	v_cmp_ne_u32_e64 s[28:29], 0, v13
	v_cmp_ne_u32_e64 s[36:37], 0, v18
	;; [unrolled: 1-line block ×3, first 2 shown]
	s_bcnt1_i32_b64 s19, s[24:25]
	s_bcnt1_i32_b64 s23, s[34:35]
	;; [unrolled: 1-line block ×3, first 2 shown]
	s_add_i32 s1, s1, s14
	s_add_i32 s0, s0, s18
	;; [unrolled: 1-line block ×4, first 2 shown]
	v_cmp_ne_u32_e64 s[38:39], 0, v26
	v_cmp_ne_u32_e64 s[46:47], 0, v45
	s_bcnt1_i32_b64 s21, s[28:29]
	s_bcnt1_i32_b64 s24, s[36:37]
	;; [unrolled: 1-line block ×3, first 2 shown]
	s_add_i32 s1, s1, s15
	s_add_i32 s0, s0, s19
	;; [unrolled: 1-line block ×4, first 2 shown]
	v_add_u32_e32 v44, s33, v44
	s_bcnt1_i32_b64 s25, s[38:39]
	s_bcnt1_i32_b64 s29, s[46:47]
	s_add_i32 s1, s1, s16
	s_add_i32 s0, s0, s20
	s_add_i32 s14, s14, s24
	s_add_i32 s8, s8, s28
	v_cmp_le_u32_e32 vcc, s75, v44
	s_add_i32 s1, s1, s17
	s_add_i32 s0, s0, s21
	s_add_i32 s79, s14, s25
	s_add_i32 s8, s8, s29
	v_add_u32_e32 v2, s2, v2
	s_or_b64 s[84:85], vcc, s[84:85]
	v_mov_b32_e32 v8, s1
	v_mov_b32_e32 v9, s0
	;; [unrolled: 1-line block ×4, first 2 shown]
	s_andn2_b64 exec, exec, s[84:85]
	s_cbranch_execnz .LBB113_71
; %bb.72:                               ;   in Loop: Header=BB113_21 Depth=1
	s_or_b64 exec, exec, s[84:85]
	s_mov_b32 s55, s68
	s_mov_b32 s50, s6
.LBB113_73:                             ;   in Loop: Header=BB113_21 Depth=1
	s_or_b64 exec, exec, s[82:83]
	v_add_u32_e32 v2, s75, v0
	v_cmp_gt_u32_e32 vcc, s69, v2
	s_and_saveexec_b64 s[24:25], vcc
	s_cbranch_execz .LBB113_77
; %bb.74:                               ;   in Loop: Header=BB113_21 Depth=1
	s_and_b32 s0, s78, 0xfe
	s_waitcnt vmcnt(0)
	v_lshlrev_b32_e32 v4, 3, v2
	s_mov_b64 s[26:27], 0
.LBB113_75:                             ;   Parent Loop BB113_21 Depth=1
                                        ; =>  This Inner Loop Header: Depth=2
	ds_read_b64 v[12:13], v4
	v_add_u32_e32 v2, s59, v2
	v_cmp_le_u32_e32 vcc, s69, v2
	v_add_u32_e32 v4, s3, v4
	s_waitcnt lgkmcnt(0)
	v_ashrrev_i32_e32 v5, 31, v13
	v_or_b32_e32 v14, 0x80000000, v5
	v_xor_b32_e32 v5, v5, v12
	v_cmp_o_f64_e64 s[14:15], v[12:13], v[12:13]
	v_xor_b32_e32 v13, v14, v13
	v_cndmask_b32_e64 v12, -1, v5, s[14:15]
	v_cndmask_b32_e64 v13, -1, v13, s[14:15]
	v_and_b32_e32 v14, s64, v12
	v_and_b32_e32 v15, s65, v13
	v_lshrrev_b64 v[12:13], s0, v[12:13]
	v_and_b32_e32 v18, 3, v12
	v_cmp_eq_u64_e64 s[14:15], s[66:67], v[14:15]
	v_cmp_eq_u64_e64 s[16:17], 0, v[18:19]
	;; [unrolled: 1-line block ×3, first 2 shown]
	s_and_b64 s[8:9], s[14:15], s[16:17]
	v_cmp_eq_u64_e64 s[20:21], 2, v[18:19]
	v_cndmask_b32_e64 v5, 0, 1, s[8:9]
	s_and_b64 s[8:9], s[14:15], s[18:19]
	v_cmp_eq_u64_e64 s[22:23], 3, v[18:19]
	v_cndmask_b32_e64 v12, 0, 1, s[8:9]
	s_and_b64 s[8:9], s[14:15], s[20:21]
	v_cndmask_b32_e64 v13, 0, 1, s[8:9]
	s_and_b64 s[8:9], s[14:15], s[22:23]
	v_cndmask_b32_e64 v14, 0, 1, s[8:9]
	v_cmp_ne_u32_e64 s[14:15], 0, v5
	v_cmp_ne_u32_e64 s[16:17], 0, v12
	;; [unrolled: 1-line block ×4, first 2 shown]
	s_bcnt1_i32_b64 s1, s[14:15]
	s_bcnt1_i32_b64 s8, s[16:17]
	;; [unrolled: 1-line block ×4, first 2 shown]
	v_add_u32_e32 v8, s1, v8
	v_add_u32_e32 v9, s8, v9
	;; [unrolled: 1-line block ×3, first 2 shown]
	s_or_b64 s[26:27], vcc, s[26:27]
	v_add_u32_e32 v11, s14, v11
	s_andn2_b64 exec, exec, s[26:27]
	s_cbranch_execnz .LBB113_75
; %bb.76:                               ;   in Loop: Header=BB113_21 Depth=1
	s_or_b64 exec, exec, s[26:27]
	s_or_b64 s[80:81], s[80:81], exec
.LBB113_77:                             ;   in Loop: Header=BB113_21 Depth=1
	s_or_b64 exec, exec, s[24:25]
.LBB113_78:                             ;   in Loop: Header=BB113_21 Depth=1
	s_and_saveexec_b64 s[14:15], s[80:81]
	s_or_b64 exec, exec, s[14:15]
	s_lshl_b32 s0, s13, 6
	s_and_saveexec_b64 s[14:15], s[4:5]
	s_cbranch_execz .LBB113_80
; %bb.79:                               ;   in Loop: Header=BB113_21 Depth=1
	v_or_b32_e32 v2, s0, v33
	v_lshlrev_b32_e32 v2, 2, v2
	ds_write_b128 v2, v[8:11] offset:3072
.LBB113_80:                             ;   in Loop: Header=BB113_21 Depth=1
	s_or_b64 exec, exec, s[14:15]
	s_waitcnt lgkmcnt(0)
	s_barrier
	s_and_saveexec_b64 s[14:15], s[70:71]
	s_cbranch_execz .LBB113_94
; %bb.81:                               ;   in Loop: Header=BB113_21 Depth=1
	v_readlane_b32 s8, v54, 20
	v_readlane_b32 s9, v54, 21
	v_add_u32_e32 v2, s0, v23
	s_andn2_b64 vcc, exec, s[8:9]
	s_waitcnt vmcnt(0)
	v_mov_b32_e32 v4, 0
	s_cbranch_vccnz .LBB113_93
; %bb.82:                               ;   in Loop: Header=BB113_21 Depth=1
	v_readlane_b32 s8, v54, 24
	v_readlane_b32 s9, v54, 25
	s_mov_b32 s1, 0
	s_and_b64 vcc, exec, s[8:9]
	v_mov_b32_e32 v4, 0
	s_cbranch_vccz .LBB113_86
; %bb.83:                               ;   in Loop: Header=BB113_21 Depth=1
	v_readlane_b32 s8, v54, 28
	v_readlane_b32 s9, v54, 29
	v_lshl_add_u32 v8, v2, 2, v43
	s_andn2_b64 vcc, exec, s[8:9]
	s_cbranch_vccnz .LBB113_87
; %bb.84:                               ;   in Loop: Header=BB113_21 Depth=1
	s_mov_b32 s17, 1
	s_mov_b32 s16, 0
	v_mov_b32_e32 v4, 0
	v_readlane_b32 s1, v54, 30
	v_mov_b32_e32 v5, 0
.LBB113_85:                             ;   Parent Loop BB113_21 Depth=1
                                        ; =>  This Inner Loop Header: Depth=2
	v_lshl_add_u32 v9, s16, 4, v8
	v_lshl_add_u32 v18, s17, 4, v8
	ds_read2_b32 v[10:11], v9 offset1:8
	ds_read2_b32 v[12:13], v18 offset1:8
	ds_read2_b32 v[14:15], v9 offset0:16 offset1:24
	ds_read2_b32 v[26:27], v18 offset0:16 offset1:24
	;; [unrolled: 1-line block ×6, first 2 shown]
	s_waitcnt lgkmcnt(7)
	v_add3_u32 v4, v10, v4, v11
	s_waitcnt lgkmcnt(6)
	v_add3_u32 v5, v12, v5, v13
	;; [unrolled: 2-line block ×3, first 2 shown]
	v_add3_u32 v4, v14, v4, v15
	s_add_i32 s17, s17, 16
	s_add_i32 s16, s16, 16
	s_add_i32 s1, s1, -8
	s_waitcnt lgkmcnt(3)
	v_add3_u32 v4, v28, v4, v29
	s_waitcnt lgkmcnt(2)
	v_add3_u32 v5, v44, v5, v45
	s_cmp_lg_u32 s1, 0
	s_waitcnt lgkmcnt(0)
	v_add3_u32 v5, v48, v5, v49
	v_add3_u32 v4, v46, v4, v47
	s_cbranch_scc1 .LBB113_85
	s_branch .LBB113_88
.LBB113_86:                             ;   in Loop: Header=BB113_21 Depth=1
	s_cbranch_execnz .LBB113_91
	s_branch .LBB113_93
.LBB113_87:                             ;   in Loop: Header=BB113_21 Depth=1
	s_mov_b32 s51, s50
	v_pk_mov_b32 v[4:5], s[50:51], s[50:51] op_sel:[0,1]
	s_mov_b32 s51, 1
	s_mov_b64 s[16:17], s[50:51]
.LBB113_88:                             ;   in Loop: Header=BB113_21 Depth=1
	v_readlane_b32 s8, v54, 32
	v_readlane_b32 s9, v54, 33
	s_andn2_b64 vcc, exec, s[8:9]
	v_readlane_b32 s1, v54, 31
	s_cbranch_vccnz .LBB113_90
.LBB113_89:                             ;   Parent Loop BB113_21 Depth=1
                                        ; =>  This Inner Loop Header: Depth=2
	v_lshl_add_u32 v9, s16, 4, v8
	v_lshl_add_u32 v10, s17, 4, v8
	ds_read_b32 v10, v10
	ds_read_b32 v9, v9
	s_add_i32 s17, s17, 2
	s_add_i32 s16, s16, 2
	s_add_i32 s1, s1, -1
	s_cmp_lg_u32 s1, 0
	s_waitcnt lgkmcnt(1)
	v_add_u32_e32 v5, v10, v5
	s_waitcnt lgkmcnt(0)
	v_add_u32_e32 v4, v9, v4
	s_cbranch_scc1 .LBB113_89
.LBB113_90:                             ;   in Loop: Header=BB113_21 Depth=1
	v_readlane_b32 s16, v54, 36
	v_add_u32_e32 v4, v4, v5
	v_readlane_b32 s1, v54, 35
	v_readlane_b32 s17, v54, 37
	s_and_b64 vcc, exec, s[16:17]
	s_cbranch_vccz .LBB113_93
.LBB113_91:                             ;   in Loop: Header=BB113_21 Depth=1
	s_lshl_b32 s8, s13, 8
	s_lshl_b32 s9, s1, 4
	s_add_i32 s8, s8, s9
	v_add_u32_e32 v5, s8, v42
	v_readlane_b32 s8, v54, 34
	s_sub_i32 s1, s8, s1
.LBB113_92:                             ;   Parent Loop BB113_21 Depth=1
                                        ; =>  This Inner Loop Header: Depth=2
	ds_read_b32 v8, v5
	s_add_i32 s1, s1, -1
	v_add_u32_e32 v5, 16, v5
	s_cmp_eq_u32 s1, 0
	s_waitcnt lgkmcnt(0)
	v_add_u32_e32 v4, v8, v4
	s_cbranch_scc0 .LBB113_92
.LBB113_93:                             ;   in Loop: Header=BB113_21 Depth=1
	v_lshlrev_b32_e32 v2, 2, v2
	ds_write_b32 v2, v4 offset:3072
.LBB113_94:                             ;   in Loop: Header=BB113_21 Depth=1
	s_or_b64 exec, exec, s[14:15]
	s_lshl_b32 s0, s0, 2
	v_mov_b32_e32 v2, s0
	s_waitcnt lgkmcnt(0)
	s_barrier
	ds_read_b128 v[8:11], v2 offset:3072
	s_and_b32 s47, s78, 0xfe
	s_lshl_b64 s[16:17], 3, s47
	s_not_b64 s[26:27], s[16:17]
	s_mov_b64 s[20:21], -1
	s_waitcnt lgkmcnt(0)
	v_readfirstlane_b32 s34, v8
	s_cmp_eq_u32 s34, 1
	s_cselect_b64 s[0:1], -1, 0
	s_cmp_eq_u32 s74, 1
	s_cselect_b64 s[8:9], -1, 0
	s_and_b64 s[22:23], s[0:1], s[8:9]
	v_readfirstlane_b32 s38, v9
	v_readfirstlane_b32 s46, v10
	;; [unrolled: 1-line block ×3, first 2 shown]
	s_and_b64 vcc, exec, s[22:23]
	s_cbranch_vccz .LBB113_106
; %bb.95:                               ;   in Loop: Header=BB113_21 Depth=1
	ds_read_b32 v2, v19 offset:4104
	v_readlane_b32 s6, v54, 26
	v_readlane_b32 s7, v54, 27
	s_waitcnt lgkmcnt(0)
	s_barrier
	v_readfirstlane_b32 s0, v2
	s_and_saveexec_b64 s[14:15], s[6:7]
	s_cbranch_execz .LBB113_97
; %bb.96:                               ;   in Loop: Header=BB113_21 Depth=1
	v_mov_b32_e32 v18, v19
	ds_write_b64 v32, v[18:19]
.LBB113_97:                             ;   in Loop: Header=BB113_21 Depth=1
	s_or_b64 exec, exec, s[14:15]
	s_and_b64 s[66:67], s[66:67], s[26:27]
	s_or_b64 s[64:65], s[64:65], s[16:17]
	s_cmp_eq_u32 s0, 0
	s_waitcnt lgkmcnt(0)
	s_barrier
	s_cbranch_scc1 .LBB113_107
; %bb.98:                               ;   in Loop: Header=BB113_21 Depth=1
	v_readlane_b32 s1, v54, 17
	s_add_i32 s1, s0, s1
	v_readlane_b32 s6, v54, 40
	s_mul_hi_u32 s8, s1, s6
	s_mul_i32 s8, s8, s59
	s_sub_i32 s8, s1, s8
	s_sub_i32 s9, s8, s59
	s_cmp_ge_u32 s8, s59
	s_cselect_b32 s8, s9, s8
	s_sub_i32 s9, s8, s59
	s_cmp_ge_u32 s8, s59
	s_cselect_b32 s8, s9, s8
	s_sub_i32 s1, s1, s8
	v_cmp_gt_u32_e32 vcc, s1, v0
	s_mov_b64 s[14:15], 0
                                        ; implicit-def: $vgpr6_vgpr7
	s_and_saveexec_b64 s[18:19], vcc
	s_cbranch_execz .LBB113_109
; %bb.99:                               ;   in Loop: Header=BB113_21 Depth=1
	s_mov_b64 s[28:29], 0
	v_mov_b32_e32 v8, v31
	v_mov_b32_e32 v9, v0
                                        ; implicit-def: $sgpr24_sgpr25
	s_branch .LBB113_101
.LBB113_100:                            ;   in Loop: Header=BB113_101 Depth=2
	s_or_b64 exec, exec, s[14:15]
	s_waitcnt lgkmcnt(0)
	s_barrier
	ds_read_b128 v[4:7], v19 offset:3072
	v_add_u32_e32 v9, s59, v9
	v_cmp_le_u32_e64 s[14:15], s1, v9
	v_add_u32_e32 v8, s3, v8
	s_waitcnt lgkmcnt(0)
	v_cmp_neq_f64_e32 vcc, 0, v[4:5]
	s_or_b64 s[8:9], s[14:15], vcc
	s_and_b64 s[8:9], exec, s[8:9]
	s_or_b64 s[28:29], s[8:9], s[28:29]
	s_andn2_b64 s[8:9], s[24:25], exec
	s_and_b64 s[14:15], vcc, exec
	s_or_b64 s[24:25], s[8:9], s[14:15]
	s_barrier
	s_andn2_b64 exec, exec, s[28:29]
	s_cbranch_execz .LBB113_108
.LBB113_101:                            ;   Parent Loop BB113_21 Depth=1
                                        ; =>  This Inner Loop Header: Depth=2
	v_cmp_gt_u32_e32 vcc, s0, v9
	s_waitcnt vmcnt(0)
	v_pk_mov_b32 v[4:5], 0, 0
	s_and_saveexec_b64 s[14:15], vcc
	s_cbranch_execz .LBB113_103
; %bb.102:                              ;   in Loop: Header=BB113_101 Depth=2
	ds_read_b64 v[4:5], v8
.LBB113_103:                            ;   in Loop: Header=BB113_101 Depth=2
	s_or_b64 exec, exec, s[14:15]
	s_and_saveexec_b64 s[14:15], vcc
	s_cbranch_execz .LBB113_100
; %bb.104:                              ;   in Loop: Header=BB113_101 Depth=2
	s_waitcnt lgkmcnt(0)
	v_ashrrev_i32_e32 v2, 31, v5
	v_or_b32_e32 v6, 0x80000000, v2
	v_xor_b32_e32 v6, v6, v5
	v_xor_b32_e32 v2, v2, v4
	v_cmp_o_f64_e32 vcc, v[4:5], v[4:5]
	v_cndmask_b32_e32 v6, -1, v6, vcc
	v_cndmask_b32_e32 v2, -1, v2, vcc
	v_and_b32_e32 v7, s65, v6
	v_and_b32_e32 v6, s64, v2
	v_cmp_eq_u64_e32 vcc, s[66:67], v[6:7]
	s_and_b64 exec, exec, vcc
	s_cbranch_execz .LBB113_100
; %bb.105:                              ;   in Loop: Header=BB113_101 Depth=2
	v_mov_b32_e32 v2, v19
	ds_write_b128 v19, v[2:5] offset:3072
	s_branch .LBB113_100
.LBB113_106:                            ;   in Loop: Header=BB113_21 Depth=1
	s_mov_b64 s[14:15], -1
                                        ; implicit-def: $sgpr18_sgpr19
                                        ; implicit-def: $sgpr28_sgpr29
                                        ; implicit-def: $sgpr24_sgpr25
	s_branch .LBB113_120
.LBB113_107:                            ;   in Loop: Header=BB113_21 Depth=1
	s_mov_b64 s[18:19], -1
	s_mov_b64 s[14:15], 0
                                        ; implicit-def: $sgpr24_sgpr25
                                        ; implicit-def: $vgpr6_vgpr7
	s_mov_b64 s[28:29], s[18:19]
	s_cbranch_execnz .LBB113_110
	s_branch .LBB113_120
.LBB113_108:                            ;   in Loop: Header=BB113_21 Depth=1
	s_or_b64 exec, exec, s[28:29]
	s_and_b64 s[14:15], s[24:25], exec
.LBB113_109:                            ;   in Loop: Header=BB113_21 Depth=1
	s_or_b64 exec, exec, s[18:19]
	s_mov_b64 s[24:25], -1
	s_mov_b64 s[18:19], 0
	s_mov_b64 s[28:29], s[18:19]
	s_branch .LBB113_120
.LBB113_110:                            ;   in Loop: Header=BB113_21 Depth=1
	s_mov_b64 s[14:15], 0
                                        ; implicit-def: $vgpr6_vgpr7
	s_mov_b64 s[18:19], exec
	v_readlane_b32 s0, v54, 41
	v_readlane_b32 s1, v54, 42
	s_and_b64 s[0:1], s[18:19], s[0:1]
	s_mov_b64 exec, s[0:1]
	s_cbranch_execz .LBB113_119
; %bb.111:                              ;   in Loop: Header=BB113_21 Depth=1
	s_mov_b64 s[28:29], 0
	v_mov_b32_e32 v18, v16
	v_mov_b32_e32 v8, v0
                                        ; implicit-def: $sgpr24_sgpr25
	s_branch .LBB113_113
.LBB113_112:                            ;   in Loop: Header=BB113_113 Depth=2
	s_or_b64 exec, exec, s[14:15]
	s_waitcnt lgkmcnt(0)
	s_barrier
	s_waitcnt vmcnt(0)
	ds_read_b128 v[4:7], v19 offset:3072
	v_add_u32_e32 v8, s59, v8
	v_cmp_le_u32_e64 s[14:15], s72, v8
	v_add_u32_e32 v18, s77, v18
	s_waitcnt lgkmcnt(0)
	v_cmp_neq_f64_e32 vcc, 0, v[4:5]
	s_or_b64 s[0:1], s[14:15], vcc
	s_and_b64 s[0:1], exec, s[0:1]
	s_or_b64 s[28:29], s[0:1], s[28:29]
	s_andn2_b64 s[0:1], s[24:25], exec
	s_and_b64 s[8:9], vcc, exec
	s_or_b64 s[24:25], s[0:1], s[8:9]
	s_barrier
	s_andn2_b64 exec, exec, s[28:29]
	s_cbranch_execz .LBB113_118
.LBB113_113:                            ;   Parent Loop BB113_21 Depth=1
                                        ; =>  This Inner Loop Header: Depth=2
	v_cmp_gt_u32_e32 vcc, s56, v8
	s_waitcnt vmcnt(0)
	v_pk_mov_b32 v[4:5], 0, 0
	s_and_saveexec_b64 s[30:31], vcc
	s_cbranch_execz .LBB113_115
; %bb.114:                              ;   in Loop: Header=BB113_113 Depth=2
	v_lshlrev_b64 v[4:5], 3, v[18:19]
	v_mov_b32_e32 v2, s76
	v_add_co_u32_e64 v4, s[14:15], s57, v4
	v_addc_co_u32_e64 v5, s[14:15], v2, v5, s[14:15]
	global_load_dwordx2 v[4:5], v[4:5], off
.LBB113_115:                            ;   in Loop: Header=BB113_113 Depth=2
	s_or_b64 exec, exec, s[30:31]
	s_and_saveexec_b64 s[14:15], vcc
	s_cbranch_execz .LBB113_112
; %bb.116:                              ;   in Loop: Header=BB113_113 Depth=2
	s_waitcnt vmcnt(0)
	v_ashrrev_i32_e32 v2, 31, v5
	v_or_b32_e32 v6, 0x80000000, v2
	v_xor_b32_e32 v6, v6, v5
	v_xor_b32_e32 v2, v2, v4
	v_cmp_o_f64_e32 vcc, v[4:5], v[4:5]
	v_cndmask_b32_e32 v6, -1, v6, vcc
	v_cndmask_b32_e32 v2, -1, v2, vcc
	v_and_b32_e32 v7, s65, v6
	v_and_b32_e32 v6, s64, v2
	v_cmp_eq_u64_e32 vcc, s[66:67], v[6:7]
	s_and_b64 exec, exec, vcc
	s_cbranch_execz .LBB113_112
; %bb.117:                              ;   in Loop: Header=BB113_113 Depth=2
	v_mov_b32_e32 v2, v19
	ds_write_b128 v19, v[2:5] offset:3072
	s_branch .LBB113_112
.LBB113_118:                            ;   in Loop: Header=BB113_21 Depth=1
	s_or_b64 exec, exec, s[28:29]
	s_and_b64 s[14:15], s[24:25], exec
.LBB113_119:                            ;   in Loop: Header=BB113_21 Depth=1
	s_or_b64 exec, exec, s[18:19]
	s_mov_b64 s[28:29], -1
	s_mov_b64 s[18:19], 0
	s_mov_b64 s[24:25], 0
.LBB113_120:                            ;   in Loop: Header=BB113_21 Depth=1
	s_andn2_b64 s[0:1], s[62:63], exec
	s_and_b64 s[8:9], s[18:19], exec
	s_or_b64 s[62:63], s[0:1], s[8:9]
	s_andn2_b64 s[0:1], s[60:61], exec
	s_and_b64 s[8:9], s[28:29], exec
	s_or_b64 s[60:61], s[0:1], s[8:9]
	;; [unrolled: 3-line block ×3, first 2 shown]
	s_and_saveexec_b64 s[18:19], s[14:15]
	s_cbranch_execz .LBB113_20
; %bb.121:                              ;   in Loop: Header=BB113_21 Depth=1
	s_xor_b64 s[0:1], s[22:23], -1
	s_mov_b64 s[14:15], 0
	s_andn2_b64 vcc, exec, s[0:1]
	s_mov_b32 s39, 1
	s_cbranch_vccnz .LBB113_132
; %bb.122:                              ;   in Loop: Header=BB113_21 Depth=1
	s_cmp_gt_u32 s74, s34
	s_mov_b64 s[14:15], -1
                                        ; implicit-def: $sgpr54
                                        ; implicit-def: $sgpr20_sgpr21
                                        ; implicit-def: $sgpr22_sgpr23
	s_cbranch_scc1 .LBB113_128
; %bb.123:                              ;   in Loop: Header=BB113_21 Depth=1
	ds_read_b32 v2, v19 offset:4104
	s_waitcnt lgkmcnt(0)
	v_cmp_ne_u32_e32 vcc, 0, v2
	s_cbranch_vccnz .LBB113_127
; %bb.124:                              ;   in Loop: Header=BB113_21 Depth=1
	s_mov_b64 s[14:15], exec
	v_readlane_b32 s0, v54, 15
	v_readlane_b32 s1, v54, 16
	s_and_b64 s[0:1], s[14:15], s[0:1]
	s_mov_b64 exec, s[0:1]
	s_cbranch_execz .LBB113_126
; %bb.125:                              ;   in Loop: Header=BB113_21 Depth=1
	v_mov_b32_e32 v2, s34
	ds_write_b32 v19, v2 offset:4108
.LBB113_126:                            ;   in Loop: Header=BB113_21 Depth=1
	s_or_b64 exec, exec, s[14:15]
	s_waitcnt lgkmcnt(0)
	s_barrier
.LBB113_127:                            ;   in Loop: Header=BB113_21 Depth=1
	s_and_b64 s[20:21], s[66:67], s[26:27]
	s_or_b64 s[22:23], s[64:65], s[16:17]
	s_mov_b64 s[14:15], 0
	s_mov_b32 s54, 8
.LBB113_128:                            ;   in Loop: Header=BB113_21 Depth=1
	s_andn2_b64 vcc, exec, s[14:15]
	s_cbranch_vccnz .LBB113_130
; %bb.129:                              ;   in Loop: Header=BB113_21 Depth=1
	s_sub_i32 s74, s74, s34
	s_mov_b64 s[14:15], -1
	s_mov_b32 s54, 0
	s_mov_b64 s[20:21], s[66:67]
	s_mov_b64 s[22:23], s[64:65]
.LBB113_130:                            ;   in Loop: Header=BB113_21 Depth=1
	s_mov_b64 s[64:65], s[22:23]
	s_mov_b64 s[66:67], s[20:21]
	s_mov_b32 s39, s74
	s_mov_b64 s[20:21], -1
	s_and_b64 vcc, exec, s[14:15]
	s_cbranch_vccnz .LBB113_133
.LBB113_131:                            ;   in Loop: Header=BB113_21 Depth=1
	s_mov_b64 s[36:37], -1
                                        ; implicit-def: $sgpr22_sgpr23
                                        ; implicit-def: $sgpr28_sgpr29
                                        ; implicit-def: $sgpr24_sgpr25
                                        ; implicit-def: $sgpr74
	s_and_saveexec_b64 s[0:1], s[36:37]
	s_xor_b64 s[14:15], exec, s[0:1]
	s_cbranch_execz .LBB113_19
	s_branch .LBB113_256
.LBB113_132:                            ;   in Loop: Header=BB113_21 Depth=1
	s_mov_b32 s54, 1
	s_mov_b64 s[20:21], -1
	s_and_b64 vcc, exec, s[14:15]
	s_cbranch_vccz .LBB113_131
.LBB113_133:                            ;   in Loop: Header=BB113_21 Depth=1
	s_cmp_eq_u32 s38, 1
	s_cselect_b64 s[0:1], -1, 0
	s_cmp_eq_u32 s39, 1
	s_cselect_b64 s[8:9], -1, 0
	s_and_b64 s[34:35], s[0:1], s[8:9]
	s_mov_b64 s[14:15], -1
	s_and_b64 vcc, exec, s[34:35]
	s_cbranch_vccz .LBB113_145
; %bb.134:                              ;   in Loop: Header=BB113_21 Depth=1
	ds_read_b32 v2, v19 offset:4104
	v_readlane_b32 s6, v54, 26
	v_readlane_b32 s7, v54, 27
	s_waitcnt lgkmcnt(0)
	s_barrier
	v_readfirstlane_b32 s0, v2
	s_and_saveexec_b64 s[14:15], s[6:7]
	s_cbranch_execz .LBB113_136
; %bb.135:                              ;   in Loop: Header=BB113_21 Depth=1
	v_mov_b32_e32 v18, v19
	ds_write_b64 v32, v[18:19]
.LBB113_136:                            ;   in Loop: Header=BB113_21 Depth=1
	s_or_b64 exec, exec, s[14:15]
	s_lshl_b64 s[8:9], 1, s47
	s_and_b64 s[14:15], s[66:67], s[26:27]
	s_or_b64 s[66:67], s[14:15], s[8:9]
	s_or_b64 s[64:65], s[64:65], s[16:17]
	s_cmp_eq_u32 s0, 0
	s_waitcnt lgkmcnt(0)
	s_barrier
	s_cbranch_scc1 .LBB113_146
; %bb.137:                              ;   in Loop: Header=BB113_21 Depth=1
	v_readlane_b32 s1, v54, 17
	s_add_i32 s1, s0, s1
	v_readlane_b32 s6, v54, 40
	s_mul_hi_u32 s8, s1, s6
	s_mul_i32 s8, s8, s59
	s_sub_i32 s8, s1, s8
	s_sub_i32 s9, s8, s59
	s_cmp_ge_u32 s8, s59
	s_cselect_b32 s8, s9, s8
	s_sub_i32 s9, s8, s59
	s_cmp_ge_u32 s8, s59
	s_cselect_b32 s8, s9, s8
	s_sub_i32 s1, s1, s8
	v_cmp_gt_u32_e32 vcc, s1, v0
	s_mov_b64 s[14:15], 0
                                        ; implicit-def: $vgpr6_vgpr7
	s_and_saveexec_b64 s[22:23], vcc
	s_cbranch_execz .LBB113_148
; %bb.138:                              ;   in Loop: Header=BB113_21 Depth=1
	s_mov_b64 s[28:29], 0
	v_mov_b32_e32 v8, v31
	v_mov_b32_e32 v9, v0
                                        ; implicit-def: $sgpr24_sgpr25
	s_branch .LBB113_140
.LBB113_139:                            ;   in Loop: Header=BB113_140 Depth=2
	s_or_b64 exec, exec, s[14:15]
	s_waitcnt lgkmcnt(0)
	s_barrier
	ds_read_b128 v[4:7], v19 offset:3072
	v_add_u32_e32 v9, s59, v9
	v_cmp_le_u32_e64 s[14:15], s1, v9
	v_add_u32_e32 v8, s3, v8
	s_waitcnt lgkmcnt(0)
	v_cmp_neq_f64_e32 vcc, 0, v[4:5]
	s_or_b64 s[8:9], s[14:15], vcc
	s_and_b64 s[8:9], exec, s[8:9]
	s_or_b64 s[28:29], s[8:9], s[28:29]
	s_andn2_b64 s[8:9], s[24:25], exec
	s_and_b64 s[14:15], vcc, exec
	s_or_b64 s[24:25], s[8:9], s[14:15]
	s_barrier
	s_andn2_b64 exec, exec, s[28:29]
	s_cbranch_execz .LBB113_147
.LBB113_140:                            ;   Parent Loop BB113_21 Depth=1
                                        ; =>  This Inner Loop Header: Depth=2
	v_cmp_gt_u32_e32 vcc, s0, v9
	s_waitcnt vmcnt(0)
	v_pk_mov_b32 v[4:5], 0, 0
	s_and_saveexec_b64 s[14:15], vcc
	s_cbranch_execz .LBB113_142
; %bb.141:                              ;   in Loop: Header=BB113_140 Depth=2
	ds_read_b64 v[4:5], v8
.LBB113_142:                            ;   in Loop: Header=BB113_140 Depth=2
	s_or_b64 exec, exec, s[14:15]
	s_and_saveexec_b64 s[14:15], vcc
	s_cbranch_execz .LBB113_139
; %bb.143:                              ;   in Loop: Header=BB113_140 Depth=2
	s_waitcnt lgkmcnt(0)
	v_ashrrev_i32_e32 v2, 31, v5
	v_or_b32_e32 v6, 0x80000000, v2
	v_xor_b32_e32 v6, v6, v5
	v_xor_b32_e32 v2, v2, v4
	v_cmp_o_f64_e32 vcc, v[4:5], v[4:5]
	v_cndmask_b32_e32 v6, -1, v6, vcc
	v_cndmask_b32_e32 v2, -1, v2, vcc
	v_and_b32_e32 v7, s65, v6
	v_and_b32_e32 v6, s64, v2
	v_cmp_eq_u64_e32 vcc, s[66:67], v[6:7]
	s_and_b64 exec, exec, vcc
	s_cbranch_execz .LBB113_139
; %bb.144:                              ;   in Loop: Header=BB113_140 Depth=2
	v_mov_b32_e32 v2, v19
	ds_write_b128 v19, v[2:5] offset:3072
	s_branch .LBB113_139
.LBB113_145:                            ;   in Loop: Header=BB113_21 Depth=1
                                        ; implicit-def: $sgpr24_sgpr25
                                        ; implicit-def: $sgpr28_sgpr29
                                        ; implicit-def: $sgpr22_sgpr23
	s_branch .LBB113_159
.LBB113_146:                            ;   in Loop: Header=BB113_21 Depth=1
	s_mov_b64 s[24:25], -1
	s_mov_b64 s[14:15], 0
                                        ; implicit-def: $sgpr22_sgpr23
                                        ; implicit-def: $vgpr6_vgpr7
	s_mov_b64 s[28:29], s[24:25]
	s_cbranch_execnz .LBB113_149
	s_branch .LBB113_159
.LBB113_147:                            ;   in Loop: Header=BB113_21 Depth=1
	s_or_b64 exec, exec, s[28:29]
	s_and_b64 s[14:15], s[24:25], exec
.LBB113_148:                            ;   in Loop: Header=BB113_21 Depth=1
	s_or_b64 exec, exec, s[22:23]
	s_mov_b64 s[22:23], -1
	s_mov_b64 s[24:25], 0
	s_mov_b64 s[28:29], s[24:25]
	s_branch .LBB113_159
.LBB113_149:                            ;   in Loop: Header=BB113_21 Depth=1
	s_mov_b64 s[14:15], 0
                                        ; implicit-def: $vgpr6_vgpr7
	s_mov_b64 s[22:23], exec
	v_readlane_b32 s0, v54, 41
	v_readlane_b32 s1, v54, 42
	s_and_b64 s[0:1], s[22:23], s[0:1]
	s_mov_b64 exec, s[0:1]
	s_cbranch_execz .LBB113_158
; %bb.150:                              ;   in Loop: Header=BB113_21 Depth=1
	s_mov_b64 s[28:29], 0
	v_mov_b32_e32 v18, v16
	v_mov_b32_e32 v8, v0
                                        ; implicit-def: $sgpr24_sgpr25
	s_branch .LBB113_152
.LBB113_151:                            ;   in Loop: Header=BB113_152 Depth=2
	s_or_b64 exec, exec, s[14:15]
	s_waitcnt lgkmcnt(0)
	s_barrier
	s_waitcnt vmcnt(0)
	ds_read_b128 v[4:7], v19 offset:3072
	v_add_u32_e32 v8, s59, v8
	v_cmp_le_u32_e64 s[14:15], s72, v8
	v_add_u32_e32 v18, s77, v18
	s_waitcnt lgkmcnt(0)
	v_cmp_neq_f64_e32 vcc, 0, v[4:5]
	s_or_b64 s[0:1], s[14:15], vcc
	s_and_b64 s[0:1], exec, s[0:1]
	s_or_b64 s[28:29], s[0:1], s[28:29]
	s_andn2_b64 s[0:1], s[24:25], exec
	s_and_b64 s[8:9], vcc, exec
	s_or_b64 s[24:25], s[0:1], s[8:9]
	s_barrier
	s_andn2_b64 exec, exec, s[28:29]
	s_cbranch_execz .LBB113_157
.LBB113_152:                            ;   Parent Loop BB113_21 Depth=1
                                        ; =>  This Inner Loop Header: Depth=2
	v_cmp_gt_u32_e32 vcc, s56, v8
	s_waitcnt vmcnt(0)
	v_pk_mov_b32 v[4:5], 0, 0
	s_and_saveexec_b64 s[30:31], vcc
	s_cbranch_execz .LBB113_154
; %bb.153:                              ;   in Loop: Header=BB113_152 Depth=2
	v_lshlrev_b64 v[4:5], 3, v[18:19]
	v_mov_b32_e32 v2, s76
	v_add_co_u32_e64 v4, s[14:15], s57, v4
	v_addc_co_u32_e64 v5, s[14:15], v2, v5, s[14:15]
	global_load_dwordx2 v[4:5], v[4:5], off
.LBB113_154:                            ;   in Loop: Header=BB113_152 Depth=2
	s_or_b64 exec, exec, s[30:31]
	s_and_saveexec_b64 s[14:15], vcc
	s_cbranch_execz .LBB113_151
; %bb.155:                              ;   in Loop: Header=BB113_152 Depth=2
	s_waitcnt vmcnt(0)
	v_ashrrev_i32_e32 v2, 31, v5
	v_or_b32_e32 v6, 0x80000000, v2
	v_xor_b32_e32 v6, v6, v5
	v_xor_b32_e32 v2, v2, v4
	v_cmp_o_f64_e32 vcc, v[4:5], v[4:5]
	v_cndmask_b32_e32 v6, -1, v6, vcc
	v_cndmask_b32_e32 v2, -1, v2, vcc
	v_and_b32_e32 v7, s65, v6
	v_and_b32_e32 v6, s64, v2
	v_cmp_eq_u64_e32 vcc, s[66:67], v[6:7]
	s_and_b64 exec, exec, vcc
	s_cbranch_execz .LBB113_151
; %bb.156:                              ;   in Loop: Header=BB113_152 Depth=2
	v_mov_b32_e32 v2, v19
	ds_write_b128 v19, v[2:5] offset:3072
	s_branch .LBB113_151
.LBB113_157:                            ;   in Loop: Header=BB113_21 Depth=1
	s_or_b64 exec, exec, s[28:29]
	s_and_b64 s[14:15], s[24:25], exec
.LBB113_158:                            ;   in Loop: Header=BB113_21 Depth=1
	s_or_b64 exec, exec, s[22:23]
	s_mov_b64 s[28:29], -1
	s_mov_b64 s[24:25], 0
	s_mov_b64 s[22:23], 0
.LBB113_159:                            ;   in Loop: Header=BB113_21 Depth=1
	s_mov_b64 s[36:37], 0
                                        ; implicit-def: $sgpr54
	s_and_saveexec_b64 s[30:31], s[14:15]
	s_cbranch_execz .LBB113_255
; %bb.160:                              ;   in Loop: Header=BB113_21 Depth=1
	s_xor_b64 s[0:1], s[34:35], -1
	s_mov_b64 s[14:15], 0
	s_andn2_b64 vcc, exec, s[0:1]
	s_mov_b32 s48, 1
	s_cbranch_vccnz .LBB113_171
; %bb.161:                              ;   in Loop: Header=BB113_21 Depth=1
	s_cmp_gt_u32 s39, s38
	s_mov_b64 s[14:15], -1
                                        ; implicit-def: $sgpr54
                                        ; implicit-def: $sgpr34_sgpr35
                                        ; implicit-def: $sgpr36_sgpr37
	s_cbranch_scc1 .LBB113_167
; %bb.162:                              ;   in Loop: Header=BB113_21 Depth=1
	ds_read_b32 v2, v19 offset:4104
	s_waitcnt lgkmcnt(0)
	v_cmp_ne_u32_e32 vcc, 0, v2
	s_cbranch_vccnz .LBB113_166
; %bb.163:                              ;   in Loop: Header=BB113_21 Depth=1
	s_mov_b64 s[14:15], exec
	v_readlane_b32 s0, v54, 15
	v_readlane_b32 s1, v54, 16
	s_and_b64 s[0:1], s[14:15], s[0:1]
	s_mov_b64 exec, s[0:1]
	s_cbranch_execz .LBB113_165
; %bb.164:                              ;   in Loop: Header=BB113_21 Depth=1
	v_mov_b32_e32 v2, s38
	ds_write_b32 v19, v2 offset:4108
.LBB113_165:                            ;   in Loop: Header=BB113_21 Depth=1
	s_or_b64 exec, exec, s[14:15]
	s_waitcnt lgkmcnt(0)
	s_barrier
.LBB113_166:                            ;   in Loop: Header=BB113_21 Depth=1
	s_lshl_b64 s[0:1], 1, s47
	s_and_b64 s[8:9], s[66:67], s[26:27]
	s_or_b64 s[34:35], s[8:9], s[0:1]
	s_or_b64 s[36:37], s[64:65], s[16:17]
	s_mov_b64 s[14:15], 0
	s_mov_b32 s54, 8
.LBB113_167:                            ;   in Loop: Header=BB113_21 Depth=1
	s_andn2_b64 vcc, exec, s[14:15]
	s_cbranch_vccnz .LBB113_169
; %bb.168:                              ;   in Loop: Header=BB113_21 Depth=1
	s_sub_i32 s39, s39, s38
	s_mov_b64 s[14:15], -1
	s_mov_b32 s54, 0
	s_mov_b64 s[34:35], s[66:67]
	s_mov_b64 s[36:37], s[64:65]
.LBB113_169:                            ;   in Loop: Header=BB113_21 Depth=1
	s_mov_b64 s[64:65], s[36:37]
	s_mov_b64 s[66:67], s[34:35]
	s_mov_b32 s48, s39
	s_andn2_b64 vcc, exec, s[14:15]
	s_mov_b64 s[44:45], -1
	s_cbranch_vccz .LBB113_172
.LBB113_170:                            ;   in Loop: Header=BB113_21 Depth=1
                                        ; implicit-def: $sgpr36_sgpr37
                                        ; implicit-def: $sgpr38_sgpr39
                                        ; implicit-def: $sgpr34_sgpr35
	s_branch .LBB113_254
.LBB113_171:                            ;   in Loop: Header=BB113_21 Depth=1
	s_mov_b32 s54, 1
	s_andn2_b64 vcc, exec, s[14:15]
	s_mov_b64 s[44:45], -1
	s_cbranch_vccnz .LBB113_170
.LBB113_172:                            ;   in Loop: Header=BB113_21 Depth=1
	s_cmp_eq_u32 s46, 1
	s_cselect_b64 s[0:1], -1, 0
	s_cmp_eq_u32 s48, 1
	s_cselect_b64 s[8:9], -1, 0
	s_and_b64 s[42:43], s[0:1], s[8:9]
	s_mov_b64 s[14:15], -1
	s_and_b64 vcc, exec, s[42:43]
	s_cbranch_vccz .LBB113_184
; %bb.173:                              ;   in Loop: Header=BB113_21 Depth=1
	ds_read_b32 v2, v19 offset:4104
	v_readlane_b32 s6, v54, 26
	v_readlane_b32 s7, v54, 27
	s_waitcnt lgkmcnt(0)
	s_barrier
	v_readfirstlane_b32 s0, v2
	s_and_saveexec_b64 s[14:15], s[6:7]
	s_cbranch_execz .LBB113_175
; %bb.174:                              ;   in Loop: Header=BB113_21 Depth=1
	v_mov_b32_e32 v18, v19
	ds_write_b64 v32, v[18:19]
.LBB113_175:                            ;   in Loop: Header=BB113_21 Depth=1
	s_or_b64 exec, exec, s[14:15]
	s_lshl_b64 s[8:9], 2, s47
	s_and_b64 s[14:15], s[66:67], s[26:27]
	s_or_b64 s[66:67], s[14:15], s[8:9]
	s_or_b64 s[64:65], s[64:65], s[16:17]
	s_cmp_eq_u32 s0, 0
	s_waitcnt lgkmcnt(0)
	s_barrier
	s_cbranch_scc1 .LBB113_185
; %bb.176:                              ;   in Loop: Header=BB113_21 Depth=1
	v_readlane_b32 s1, v54, 17
	s_add_i32 s1, s0, s1
	v_readlane_b32 s6, v54, 40
	s_mul_hi_u32 s8, s1, s6
	s_mul_i32 s8, s8, s59
	s_sub_i32 s8, s1, s8
	s_sub_i32 s9, s8, s59
	s_cmp_ge_u32 s8, s59
	s_cselect_b32 s8, s9, s8
	s_sub_i32 s9, s8, s59
	s_cmp_ge_u32 s8, s59
	s_cselect_b32 s8, s9, s8
	s_sub_i32 s1, s1, s8
	v_cmp_gt_u32_e32 vcc, s1, v0
	s_mov_b64 s[14:15], 0
                                        ; implicit-def: $vgpr6_vgpr7
	s_and_saveexec_b64 s[34:35], vcc
	s_cbranch_execz .LBB113_187
; %bb.177:                              ;   in Loop: Header=BB113_21 Depth=1
	s_mov_b64 s[38:39], 0
	v_mov_b32_e32 v8, v31
	v_mov_b32_e32 v9, v0
                                        ; implicit-def: $sgpr36_sgpr37
	s_branch .LBB113_179
.LBB113_178:                            ;   in Loop: Header=BB113_179 Depth=2
	s_or_b64 exec, exec, s[14:15]
	s_waitcnt lgkmcnt(0)
	s_barrier
	ds_read_b128 v[4:7], v19 offset:3072
	v_add_u32_e32 v9, s59, v9
	v_cmp_le_u32_e64 s[14:15], s1, v9
	v_add_u32_e32 v8, s3, v8
	s_waitcnt lgkmcnt(0)
	v_cmp_neq_f64_e32 vcc, 0, v[4:5]
	s_or_b64 s[8:9], s[14:15], vcc
	s_and_b64 s[8:9], exec, s[8:9]
	s_or_b64 s[38:39], s[8:9], s[38:39]
	s_andn2_b64 s[8:9], s[36:37], exec
	s_and_b64 s[14:15], vcc, exec
	s_or_b64 s[36:37], s[8:9], s[14:15]
	s_barrier
	s_andn2_b64 exec, exec, s[38:39]
	s_cbranch_execz .LBB113_186
.LBB113_179:                            ;   Parent Loop BB113_21 Depth=1
                                        ; =>  This Inner Loop Header: Depth=2
	v_cmp_gt_u32_e32 vcc, s0, v9
	s_waitcnt vmcnt(0)
	v_pk_mov_b32 v[4:5], 0, 0
	s_and_saveexec_b64 s[14:15], vcc
	s_cbranch_execz .LBB113_181
; %bb.180:                              ;   in Loop: Header=BB113_179 Depth=2
	ds_read_b64 v[4:5], v8
.LBB113_181:                            ;   in Loop: Header=BB113_179 Depth=2
	s_or_b64 exec, exec, s[14:15]
	s_and_saveexec_b64 s[14:15], vcc
	s_cbranch_execz .LBB113_178
; %bb.182:                              ;   in Loop: Header=BB113_179 Depth=2
	s_waitcnt lgkmcnt(0)
	v_ashrrev_i32_e32 v2, 31, v5
	v_or_b32_e32 v6, 0x80000000, v2
	v_xor_b32_e32 v6, v6, v5
	v_xor_b32_e32 v2, v2, v4
	v_cmp_o_f64_e32 vcc, v[4:5], v[4:5]
	v_cndmask_b32_e32 v6, -1, v6, vcc
	v_cndmask_b32_e32 v2, -1, v2, vcc
	v_and_b32_e32 v7, s65, v6
	v_and_b32_e32 v6, s64, v2
	v_cmp_eq_u64_e32 vcc, s[66:67], v[6:7]
	s_and_b64 exec, exec, vcc
	s_cbranch_execz .LBB113_178
; %bb.183:                              ;   in Loop: Header=BB113_179 Depth=2
	v_mov_b32_e32 v2, v19
	ds_write_b128 v19, v[2:5] offset:3072
	s_branch .LBB113_178
.LBB113_184:                            ;   in Loop: Header=BB113_21 Depth=1
                                        ; implicit-def: $sgpr34_sgpr35
                                        ; implicit-def: $sgpr38_sgpr39
                                        ; implicit-def: $sgpr36_sgpr37
	s_branch .LBB113_198
.LBB113_185:                            ;   in Loop: Header=BB113_21 Depth=1
	s_mov_b64 s[34:35], -1
	s_mov_b64 s[14:15], 0
                                        ; implicit-def: $sgpr36_sgpr37
                                        ; implicit-def: $vgpr6_vgpr7
	s_mov_b64 s[38:39], s[34:35]
	s_cbranch_execnz .LBB113_188
	s_branch .LBB113_198
.LBB113_186:                            ;   in Loop: Header=BB113_21 Depth=1
	s_or_b64 exec, exec, s[38:39]
	s_and_b64 s[14:15], s[36:37], exec
.LBB113_187:                            ;   in Loop: Header=BB113_21 Depth=1
	s_or_b64 exec, exec, s[34:35]
	s_mov_b64 s[36:37], -1
	s_mov_b64 s[34:35], 0
	s_mov_b64 s[38:39], s[34:35]
	s_branch .LBB113_198
.LBB113_188:                            ;   in Loop: Header=BB113_21 Depth=1
	s_mov_b64 s[14:15], 0
                                        ; implicit-def: $vgpr6_vgpr7
	s_mov_b64 s[34:35], exec
	v_readlane_b32 s0, v54, 41
	v_readlane_b32 s1, v54, 42
	s_and_b64 s[0:1], s[34:35], s[0:1]
	s_mov_b64 exec, s[0:1]
	s_cbranch_execz .LBB113_197
; %bb.189:                              ;   in Loop: Header=BB113_21 Depth=1
	s_mov_b64 s[38:39], 0
	v_mov_b32_e32 v18, v16
	v_mov_b32_e32 v8, v0
                                        ; implicit-def: $sgpr36_sgpr37
	s_branch .LBB113_191
.LBB113_190:                            ;   in Loop: Header=BB113_191 Depth=2
	s_or_b64 exec, exec, s[14:15]
	s_waitcnt lgkmcnt(0)
	s_barrier
	s_waitcnt vmcnt(0)
	ds_read_b128 v[4:7], v19 offset:3072
	v_add_u32_e32 v8, s59, v8
	v_cmp_le_u32_e64 s[14:15], s72, v8
	v_add_u32_e32 v18, s77, v18
	s_waitcnt lgkmcnt(0)
	v_cmp_neq_f64_e32 vcc, 0, v[4:5]
	s_or_b64 s[0:1], s[14:15], vcc
	s_and_b64 s[0:1], exec, s[0:1]
	s_or_b64 s[38:39], s[0:1], s[38:39]
	s_andn2_b64 s[0:1], s[36:37], exec
	s_and_b64 s[8:9], vcc, exec
	s_or_b64 s[36:37], s[0:1], s[8:9]
	s_barrier
	s_andn2_b64 exec, exec, s[38:39]
	s_cbranch_execz .LBB113_196
.LBB113_191:                            ;   Parent Loop BB113_21 Depth=1
                                        ; =>  This Inner Loop Header: Depth=2
	v_cmp_gt_u32_e32 vcc, s56, v8
	s_waitcnt vmcnt(0)
	v_pk_mov_b32 v[4:5], 0, 0
	s_and_saveexec_b64 s[40:41], vcc
	s_cbranch_execz .LBB113_193
; %bb.192:                              ;   in Loop: Header=BB113_191 Depth=2
	v_lshlrev_b64 v[4:5], 3, v[18:19]
	v_mov_b32_e32 v2, s76
	v_add_co_u32_e64 v4, s[14:15], s57, v4
	v_addc_co_u32_e64 v5, s[14:15], v2, v5, s[14:15]
	global_load_dwordx2 v[4:5], v[4:5], off
.LBB113_193:                            ;   in Loop: Header=BB113_191 Depth=2
	s_or_b64 exec, exec, s[40:41]
	s_and_saveexec_b64 s[14:15], vcc
	s_cbranch_execz .LBB113_190
; %bb.194:                              ;   in Loop: Header=BB113_191 Depth=2
	s_waitcnt vmcnt(0)
	v_ashrrev_i32_e32 v2, 31, v5
	v_or_b32_e32 v6, 0x80000000, v2
	v_xor_b32_e32 v6, v6, v5
	v_xor_b32_e32 v2, v2, v4
	v_cmp_o_f64_e32 vcc, v[4:5], v[4:5]
	v_cndmask_b32_e32 v6, -1, v6, vcc
	v_cndmask_b32_e32 v2, -1, v2, vcc
	v_and_b32_e32 v7, s65, v6
	v_and_b32_e32 v6, s64, v2
	v_cmp_eq_u64_e32 vcc, s[66:67], v[6:7]
	s_and_b64 exec, exec, vcc
	s_cbranch_execz .LBB113_190
; %bb.195:                              ;   in Loop: Header=BB113_191 Depth=2
	v_mov_b32_e32 v2, v19
	ds_write_b128 v19, v[2:5] offset:3072
	s_branch .LBB113_190
.LBB113_196:                            ;   in Loop: Header=BB113_21 Depth=1
	s_or_b64 exec, exec, s[38:39]
	s_and_b64 s[14:15], s[36:37], exec
.LBB113_197:                            ;   in Loop: Header=BB113_21 Depth=1
	s_or_b64 exec, exec, s[34:35]
	s_mov_b64 s[38:39], -1
	s_mov_b64 s[34:35], 0
	s_mov_b64 s[36:37], 0
.LBB113_198:                            ;   in Loop: Header=BB113_21 Depth=1
	s_mov_b64 s[44:45], 0
                                        ; implicit-def: $sgpr54
	s_and_saveexec_b64 s[40:41], s[14:15]
	s_cbranch_execz .LBB113_253
; %bb.199:                              ;   in Loop: Header=BB113_21 Depth=1
	s_xor_b64 s[0:1], s[42:43], -1
	s_mov_b64 s[14:15], 0
	s_andn2_b64 vcc, exec, s[0:1]
	s_mov_b32 s53, 1
	s_cbranch_vccnz .LBB113_210
; %bb.200:                              ;   in Loop: Header=BB113_21 Depth=1
	s_cmp_gt_u32 s48, s46
	s_mov_b64 s[14:15], -1
                                        ; implicit-def: $sgpr54
                                        ; implicit-def: $sgpr42_sgpr43
                                        ; implicit-def: $sgpr44_sgpr45
	s_cbranch_scc1 .LBB113_206
; %bb.201:                              ;   in Loop: Header=BB113_21 Depth=1
	ds_read_b32 v2, v19 offset:4104
	s_waitcnt lgkmcnt(0)
	v_cmp_ne_u32_e32 vcc, 0, v2
	s_cbranch_vccnz .LBB113_205
; %bb.202:                              ;   in Loop: Header=BB113_21 Depth=1
	s_mov_b64 s[14:15], exec
	v_readlane_b32 s0, v54, 15
	v_readlane_b32 s1, v54, 16
	s_and_b64 s[0:1], s[14:15], s[0:1]
	s_mov_b64 exec, s[0:1]
	s_cbranch_execz .LBB113_204
; %bb.203:                              ;   in Loop: Header=BB113_21 Depth=1
	v_mov_b32_e32 v2, s46
	ds_write_b32 v19, v2 offset:4108
.LBB113_204:                            ;   in Loop: Header=BB113_21 Depth=1
	s_or_b64 exec, exec, s[14:15]
	s_waitcnt lgkmcnt(0)
	s_barrier
.LBB113_205:                            ;   in Loop: Header=BB113_21 Depth=1
	s_lshl_b64 s[0:1], 2, s47
	s_and_b64 s[8:9], s[66:67], s[26:27]
	s_or_b64 s[42:43], s[8:9], s[0:1]
	s_or_b64 s[44:45], s[64:65], s[16:17]
	s_mov_b64 s[14:15], 0
	s_mov_b32 s54, 8
.LBB113_206:                            ;   in Loop: Header=BB113_21 Depth=1
	s_andn2_b64 vcc, exec, s[14:15]
	s_cbranch_vccnz .LBB113_208
; %bb.207:                              ;   in Loop: Header=BB113_21 Depth=1
	s_sub_i32 s48, s48, s46
	s_mov_b64 s[14:15], -1
	s_mov_b32 s54, 0
	s_mov_b64 s[42:43], s[66:67]
	s_mov_b64 s[44:45], s[64:65]
.LBB113_208:                            ;   in Loop: Header=BB113_21 Depth=1
	s_mov_b32 s68, s50
	s_mov_b64 s[64:65], s[44:45]
	s_mov_b64 s[66:67], s[42:43]
	s_mov_b32 s53, s48
	s_andn2_b64 vcc, exec, s[14:15]
	s_mov_b64 s[50:51], -1
	s_cbranch_vccz .LBB113_211
.LBB113_209:                            ;   in Loop: Header=BB113_21 Depth=1
                                        ; implicit-def: $sgpr14_sgpr15
                                        ; implicit-def: $sgpr44_sgpr45
                                        ; implicit-def: $sgpr42_sgpr43
	s_branch .LBB113_252
.LBB113_210:                            ;   in Loop: Header=BB113_21 Depth=1
	s_mov_b32 s68, s50
	s_mov_b32 s54, 1
	s_andn2_b64 vcc, exec, s[14:15]
	s_mov_b64 s[50:51], -1
	s_cbranch_vccnz .LBB113_209
.LBB113_211:                            ;   in Loop: Header=BB113_21 Depth=1
	s_cmp_eq_u32 s52, 1
	s_cselect_b64 s[0:1], -1, 0
	s_cmp_eq_u32 s53, 1
	s_cselect_b64 s[8:9], -1, 0
	s_and_b64 s[26:27], s[0:1], s[8:9]
	s_mov_b64 s[46:47], -1
	s_and_b64 vcc, exec, s[26:27]
	s_cbranch_vccz .LBB113_223
; %bb.212:                              ;   in Loop: Header=BB113_21 Depth=1
	ds_read_b32 v2, v19 offset:4104
	v_readlane_b32 s6, v54, 26
	v_readlane_b32 s7, v54, 27
	s_waitcnt lgkmcnt(0)
	s_barrier
	v_readfirstlane_b32 s0, v2
	s_and_saveexec_b64 s[14:15], s[6:7]
	s_cbranch_execz .LBB113_214
; %bb.213:                              ;   in Loop: Header=BB113_21 Depth=1
	v_mov_b32_e32 v18, v19
	ds_write_b64 v32, v[18:19]
.LBB113_214:                            ;   in Loop: Header=BB113_21 Depth=1
	s_or_b64 exec, exec, s[14:15]
	s_or_b64 s[66:67], s[66:67], s[16:17]
	s_or_b64 s[64:65], s[64:65], s[16:17]
	s_cmp_eq_u32 s0, 0
	s_waitcnt lgkmcnt(0)
	s_barrier
	s_cbranch_scc1 .LBB113_224
; %bb.215:                              ;   in Loop: Header=BB113_21 Depth=1
	v_readlane_b32 s1, v54, 17
	s_add_i32 s1, s0, s1
	v_readlane_b32 s6, v54, 40
	s_mul_hi_u32 s8, s1, s6
	s_mul_i32 s8, s8, s59
	s_sub_i32 s8, s1, s8
	s_sub_i32 s9, s8, s59
	s_cmp_ge_u32 s8, s59
	s_cselect_b32 s8, s9, s8
	s_sub_i32 s9, s8, s59
	s_cmp_ge_u32 s8, s59
	s_cselect_b32 s8, s9, s8
	s_sub_i32 s1, s1, s8
	v_cmp_gt_u32_e32 vcc, s1, v0
	s_mov_b64 s[46:47], 0
                                        ; implicit-def: $vgpr6_vgpr7
	s_and_saveexec_b64 s[42:43], vcc
	s_cbranch_execz .LBB113_226
; %bb.216:                              ;   in Loop: Header=BB113_21 Depth=1
	v_mov_b32_e32 v8, v31
	v_mov_b32_e32 v9, v0
                                        ; implicit-def: $sgpr44_sgpr45
	s_branch .LBB113_218
.LBB113_217:                            ;   in Loop: Header=BB113_218 Depth=2
	s_or_b64 exec, exec, s[14:15]
	s_waitcnt lgkmcnt(0)
	s_barrier
	ds_read_b128 v[4:7], v19 offset:3072
	v_add_u32_e32 v9, s59, v9
	v_cmp_le_u32_e64 s[14:15], s1, v9
	v_add_u32_e32 v8, s3, v8
	s_waitcnt lgkmcnt(0)
	v_cmp_neq_f64_e32 vcc, 0, v[4:5]
	s_or_b64 s[8:9], s[14:15], vcc
	s_and_b64 s[8:9], exec, s[8:9]
	s_or_b64 s[46:47], s[8:9], s[46:47]
	s_andn2_b64 s[8:9], s[44:45], exec
	s_and_b64 s[14:15], vcc, exec
	s_or_b64 s[44:45], s[8:9], s[14:15]
	s_barrier
	s_andn2_b64 exec, exec, s[46:47]
	s_cbranch_execz .LBB113_225
.LBB113_218:                            ;   Parent Loop BB113_21 Depth=1
                                        ; =>  This Inner Loop Header: Depth=2
	v_cmp_gt_u32_e32 vcc, s0, v9
	s_waitcnt vmcnt(0)
	v_pk_mov_b32 v[4:5], 0, 0
	s_and_saveexec_b64 s[14:15], vcc
	s_cbranch_execz .LBB113_220
; %bb.219:                              ;   in Loop: Header=BB113_218 Depth=2
	ds_read_b64 v[4:5], v8
.LBB113_220:                            ;   in Loop: Header=BB113_218 Depth=2
	s_or_b64 exec, exec, s[14:15]
	s_and_saveexec_b64 s[14:15], vcc
	s_cbranch_execz .LBB113_217
; %bb.221:                              ;   in Loop: Header=BB113_218 Depth=2
	s_waitcnt lgkmcnt(0)
	v_ashrrev_i32_e32 v2, 31, v5
	v_or_b32_e32 v6, 0x80000000, v2
	v_xor_b32_e32 v6, v6, v5
	v_xor_b32_e32 v2, v2, v4
	v_cmp_o_f64_e32 vcc, v[4:5], v[4:5]
	v_cndmask_b32_e32 v6, -1, v6, vcc
	v_cndmask_b32_e32 v2, -1, v2, vcc
	v_and_b32_e32 v7, s65, v6
	v_and_b32_e32 v6, s64, v2
	v_cmp_eq_u64_e32 vcc, s[66:67], v[6:7]
	s_and_b64 exec, exec, vcc
	s_cbranch_execz .LBB113_217
; %bb.222:                              ;   in Loop: Header=BB113_218 Depth=2
	v_mov_b32_e32 v2, v19
	ds_write_b128 v19, v[2:5] offset:3072
	s_branch .LBB113_217
.LBB113_223:                            ;   in Loop: Header=BB113_21 Depth=1
                                        ; implicit-def: $sgpr14_sgpr15
                                        ; implicit-def: $sgpr44_sgpr45
                                        ; implicit-def: $sgpr42_sgpr43
	s_branch .LBB113_237
.LBB113_224:                            ;   in Loop: Header=BB113_21 Depth=1
	s_mov_b64 s[14:15], -1
	s_mov_b64 s[46:47], 0
                                        ; implicit-def: $sgpr42_sgpr43
                                        ; implicit-def: $vgpr6_vgpr7
	s_mov_b64 s[44:45], s[14:15]
	s_cbranch_execnz .LBB113_227
	s_branch .LBB113_237
.LBB113_225:                            ;   in Loop: Header=BB113_21 Depth=1
	s_or_b64 exec, exec, s[46:47]
	s_and_b64 s[46:47], s[44:45], exec
.LBB113_226:                            ;   in Loop: Header=BB113_21 Depth=1
	s_or_b64 exec, exec, s[42:43]
	s_mov_b64 s[42:43], -1
	s_mov_b64 s[14:15], 0
	s_mov_b64 s[44:45], s[14:15]
	s_branch .LBB113_237
.LBB113_227:                            ;   in Loop: Header=BB113_21 Depth=1
	s_mov_b64 s[46:47], 0
                                        ; implicit-def: $vgpr6_vgpr7
	s_mov_b64 s[42:43], exec
	v_readlane_b32 s0, v54, 41
	v_readlane_b32 s1, v54, 42
	s_and_b64 s[0:1], s[42:43], s[0:1]
	s_mov_b64 exec, s[0:1]
	s_cbranch_execz .LBB113_236
; %bb.228:                              ;   in Loop: Header=BB113_21 Depth=1
	v_mov_b32_e32 v18, v16
	v_mov_b32_e32 v8, v0
                                        ; implicit-def: $sgpr44_sgpr45
	s_branch .LBB113_230
.LBB113_229:                            ;   in Loop: Header=BB113_230 Depth=2
	s_or_b64 exec, exec, s[14:15]
	s_waitcnt lgkmcnt(0)
	s_barrier
	s_waitcnt vmcnt(0)
	ds_read_b128 v[4:7], v19 offset:3072
	v_add_u32_e32 v8, s59, v8
	v_cmp_le_u32_e64 s[14:15], s72, v8
	v_add_u32_e32 v18, s77, v18
	s_waitcnt lgkmcnt(0)
	v_cmp_neq_f64_e32 vcc, 0, v[4:5]
	s_or_b64 s[0:1], s[14:15], vcc
	s_and_b64 s[0:1], exec, s[0:1]
	s_or_b64 s[46:47], s[0:1], s[46:47]
	s_andn2_b64 s[0:1], s[44:45], exec
	s_and_b64 s[8:9], vcc, exec
	s_or_b64 s[44:45], s[0:1], s[8:9]
	s_barrier
	s_andn2_b64 exec, exec, s[46:47]
	s_cbranch_execz .LBB113_235
.LBB113_230:                            ;   Parent Loop BB113_21 Depth=1
                                        ; =>  This Inner Loop Header: Depth=2
	v_cmp_gt_u32_e32 vcc, s56, v8
	s_waitcnt vmcnt(0)
	v_pk_mov_b32 v[4:5], 0, 0
	s_and_saveexec_b64 s[48:49], vcc
	s_cbranch_execz .LBB113_232
; %bb.231:                              ;   in Loop: Header=BB113_230 Depth=2
	v_lshlrev_b64 v[4:5], 3, v[18:19]
	v_mov_b32_e32 v2, s76
	v_add_co_u32_e64 v4, s[14:15], s57, v4
	v_addc_co_u32_e64 v5, s[14:15], v2, v5, s[14:15]
	global_load_dwordx2 v[4:5], v[4:5], off
.LBB113_232:                            ;   in Loop: Header=BB113_230 Depth=2
	s_or_b64 exec, exec, s[48:49]
	s_and_saveexec_b64 s[14:15], vcc
	s_cbranch_execz .LBB113_229
; %bb.233:                              ;   in Loop: Header=BB113_230 Depth=2
	s_waitcnt vmcnt(0)
	v_ashrrev_i32_e32 v2, 31, v5
	v_or_b32_e32 v6, 0x80000000, v2
	v_xor_b32_e32 v6, v6, v5
	v_xor_b32_e32 v2, v2, v4
	v_cmp_o_f64_e32 vcc, v[4:5], v[4:5]
	v_cndmask_b32_e32 v6, -1, v6, vcc
	v_cndmask_b32_e32 v2, -1, v2, vcc
	v_and_b32_e32 v7, s65, v6
	v_and_b32_e32 v6, s64, v2
	v_cmp_eq_u64_e32 vcc, s[66:67], v[6:7]
	s_and_b64 exec, exec, vcc
	s_cbranch_execz .LBB113_229
; %bb.234:                              ;   in Loop: Header=BB113_230 Depth=2
	v_mov_b32_e32 v2, v19
	ds_write_b128 v19, v[2:5] offset:3072
	s_branch .LBB113_229
.LBB113_235:                            ;   in Loop: Header=BB113_21 Depth=1
	s_or_b64 exec, exec, s[46:47]
	s_and_b64 s[46:47], s[44:45], exec
.LBB113_236:                            ;   in Loop: Header=BB113_21 Depth=1
	s_or_b64 exec, exec, s[42:43]
	s_mov_b64 s[44:45], -1
	s_mov_b64 s[14:15], 0
	s_mov_b64 s[42:43], 0
.LBB113_237:                            ;   in Loop: Header=BB113_21 Depth=1
	s_mov_b64 s[50:51], 0
                                        ; implicit-def: $sgpr54
	s_and_saveexec_b64 s[48:49], s[46:47]
	s_cbranch_execz .LBB113_251
; %bb.238:                              ;   in Loop: Header=BB113_21 Depth=1
	s_xor_b64 s[0:1], s[26:27], -1
	s_andn2_b64 vcc, exec, s[0:1]
	s_mov_b32 s54, 1
	s_cbranch_vccnz .LBB113_245
; %bb.239:                              ;   in Loop: Header=BB113_21 Depth=1
	s_cmp_gt_u32 s53, s52
	s_cbranch_scc1 .LBB113_246
; %bb.240:                              ;   in Loop: Header=BB113_21 Depth=1
	ds_read_b32 v2, v19 offset:4104
	s_waitcnt lgkmcnt(0)
	v_cmp_ne_u32_e32 vcc, 0, v2
	s_cbranch_vccnz .LBB113_244
; %bb.241:                              ;   in Loop: Header=BB113_21 Depth=1
	s_mov_b64 s[26:27], exec
	v_readlane_b32 s0, v54, 15
	v_readlane_b32 s1, v54, 16
	s_and_b64 s[0:1], s[26:27], s[0:1]
	s_mov_b64 exec, s[0:1]
	s_cbranch_execz .LBB113_243
; %bb.242:                              ;   in Loop: Header=BB113_21 Depth=1
	v_mov_b32_e32 v2, s52
	ds_write_b32 v19, v2 offset:4108
.LBB113_243:                            ;   in Loop: Header=BB113_21 Depth=1
	s_or_b64 exec, exec, s[26:27]
	s_waitcnt lgkmcnt(0)
	s_barrier
.LBB113_244:                            ;   in Loop: Header=BB113_21 Depth=1
	s_or_b64 s[26:27], s[66:67], s[16:17]
	s_or_b64 s[16:17], s[64:65], s[16:17]
	s_mov_b64 s[46:47], 0
	s_mov_b32 s54, 8
	s_branch .LBB113_247
.LBB113_245:                            ;   in Loop: Header=BB113_21 Depth=1
	s_mov_b32 s53, 1
	s_branch .LBB113_250
.LBB113_246:                            ;   in Loop: Header=BB113_21 Depth=1
	s_mov_b64 s[46:47], -1
                                        ; implicit-def: $sgpr54
                                        ; implicit-def: $sgpr26_sgpr27
                                        ; implicit-def: $sgpr16_sgpr17
.LBB113_247:                            ;   in Loop: Header=BB113_21 Depth=1
	s_andn2_b64 vcc, exec, s[46:47]
	s_cbranch_vccnz .LBB113_249
; %bb.248:                              ;   in Loop: Header=BB113_21 Depth=1
	s_sub_i32 s53, s53, s52
	s_mov_b32 s54, 8
	s_mov_b64 s[26:27], s[66:67]
	s_mov_b64 s[16:17], s[64:65]
.LBB113_249:                            ;   in Loop: Header=BB113_21 Depth=1
	s_mov_b64 s[66:67], s[26:27]
	s_mov_b64 s[64:65], s[16:17]
.LBB113_250:                            ;   in Loop: Header=BB113_21 Depth=1
	s_mov_b64 s[50:51], exec
.LBB113_251:                            ;   in Loop: Header=BB113_21 Depth=1
	s_or_b64 exec, exec, s[48:49]
.LBB113_252:                            ;   in Loop: Header=BB113_21 Depth=1
	s_andn2_b64 s[0:1], s[34:35], exec
	s_and_b64 s[8:9], s[14:15], exec
	s_or_b64 s[34:35], s[0:1], s[8:9]
	s_andn2_b64 s[0:1], s[38:39], exec
	s_and_b64 s[8:9], s[44:45], exec
	s_or_b64 s[38:39], s[0:1], s[8:9]
	s_andn2_b64 s[0:1], s[36:37], exec
	s_and_b64 s[8:9], s[42:43], exec
	s_or_b64 s[36:37], s[0:1], s[8:9]
	s_and_b64 s[44:45], s[50:51], exec
	s_mov_b32 s48, s53
	s_mov_b32 s50, s68
.LBB113_253:                            ;   in Loop: Header=BB113_21 Depth=1
	s_or_b64 exec, exec, s[40:41]
.LBB113_254:                            ;   in Loop: Header=BB113_21 Depth=1
	s_andn2_b64 s[0:1], s[24:25], exec
	s_and_b64 s[8:9], s[34:35], exec
	s_or_b64 s[24:25], s[0:1], s[8:9]
	s_andn2_b64 s[0:1], s[28:29], exec
	s_and_b64 s[8:9], s[38:39], exec
	s_or_b64 s[28:29], s[0:1], s[8:9]
	;; [unrolled: 3-line block ×3, first 2 shown]
	s_and_b64 s[36:37], s[44:45], exec
	s_mov_b32 s39, s48
.LBB113_255:                            ;   in Loop: Header=BB113_21 Depth=1
	s_or_b64 exec, exec, s[30:31]
                                        ; implicit-def: $sgpr74
	s_and_saveexec_b64 s[0:1], s[36:37]
	s_xor_b64 s[14:15], exec, s[0:1]
	s_cbranch_execz .LBB113_19
.LBB113_256:                            ;   in Loop: Header=BB113_21 Depth=1
	s_and_b32 s0, s54, -9
	s_cmp_eq_u32 s0, 0
	s_cbranch_scc1 .LBB113_17
; %bb.257:                              ;   in Loop: Header=BB113_21 Depth=1
	s_mov_b64 s[16:17], -1
                                        ; implicit-def: $sgpr64_sgpr65
                                        ; implicit-def: $sgpr39
                                        ; implicit-def: $sgpr78
                                        ; implicit-def: $sgpr13
	s_mov_b64 s[20:21], -1
	s_branch .LBB113_18
.LBB113_258:
	s_or_b64 exec, exec, s[86:87]
	s_xor_b64 s[8:9], s[92:93], -1
	s_xor_b64 s[0:1], s[88:89], -1
	;; [unrolled: 1-line block ×3, first 2 shown]
	s_mov_b64 s[4:5], 0
	s_and_saveexec_b64 s[2:3], s[0:1]
	s_xor_b64 s[2:3], exec, s[2:3]
	s_cbranch_execnz .LBB113_263
; %bb.259:
	s_andn2_saveexec_b64 s[0:1], s[2:3]
	s_cbranch_execnz .LBB113_276
.LBB113_260:
	s_or_b64 exec, exec, s[0:1]
	s_and_saveexec_b64 s[0:1], s[4:5]
.LBB113_261:
	; divergent unreachable
.LBB113_262:
	s_endpgm
.LBB113_263:
	s_and_saveexec_b64 s[0:1], s[8:9]
	s_xor_b64 s[4:5], exec, s[0:1]
	s_cbranch_execz .LBB113_274
; %bb.264:
	s_and_saveexec_b64 s[0:1], s[6:7]
	s_xor_b64 s[6:7], exec, s[0:1]
; %bb.265:
	v_lshrrev_b32_e32 v1, 31, v5
	v_add_co_u32_e32 v1, vcc, -1, v1
	v_addc_co_u32_e64 v2, s[0:1], 0, -1, vcc
	v_or_b32_e32 v2, 0x80000000, v2
	v_xor_b32_e32 v7, v2, v5
	v_xor_b32_e32 v6, v1, v4
; %bb.266:
	s_or_b64 exec, exec, s[6:7]
	v_readlane_b32 s8, v54, 8
	v_readlane_b32 s9, v54, 9
	s_mul_i32 s0, s9, s8
	v_readlane_b32 s7, v54, 12
	s_sub_i32 s0, s7, s0
	s_add_i32 s1, s9, 1
	s_sub_i32 s6, s0, s8
	s_cmp_ge_u32 s0, s8
	s_cselect_b32 s1, s1, s9
	s_cselect_b32 s0, s6, s0
	s_add_i32 s6, s1, 1
	s_cmp_ge_u32 s0, s8
	s_cselect_b32 s0, s6, s1
	s_mul_i32 s1, s0, s8
	s_sub_i32 s1, s7, s1
	v_readlane_b32 s6, v54, 4
	v_readlane_b32 s7, v54, 5
	s_mul_i32 s1, s1, s7
	s_mul_i32 s0, s0, s6
	s_add_i32 s0, s0, s1
	s_mov_b32 s1, 0
	s_lshl_b64 s[0:1], s[0:1], 3
	v_readlane_b32 s6, v54, 6
	v_readlane_b32 s7, v54, 7
	s_add_u32 s0, s6, s0
	s_addc_u32 s1, s7, s1
	v_mov_b32_e32 v17, 0
	global_store_dwordx2 v17, v[6:7], s[0:1]
	s_mov_b64 s[6:7], exec
	v_readlane_b32 s0, v54, 13
	v_readlane_b32 s1, v54, 14
	s_and_b64 s[0:1], s[6:7], s[0:1]
	s_mov_b64 exec, s[0:1]
	s_cbranch_execz .LBB113_273
; %bb.267:
	v_cmp_u_f64_e32 vcc, v[6:7], v[6:7]
	s_mov_b64 s[8:9], 0
	v_mov_b32_e32 v1, s76
	s_xor_b64 s[12:13], vcc, -1
                                        ; implicit-def: $sgpr10_sgpr11
                                        ; implicit-def: $sgpr16_sgpr17
                                        ; implicit-def: $sgpr14_sgpr15
	s_branch .LBB113_269
.LBB113_268:                            ;   in Loop: Header=BB113_269 Depth=1
	s_or_b64 exec, exec, s[0:1]
	s_and_b64 s[0:1], exec, s[16:17]
	s_or_b64 s[8:9], s[0:1], s[8:9]
	s_andn2_b64 s[0:1], s[10:11], exec
	s_and_b64 s[10:11], s[14:15], exec
	s_or_b64 s[10:11], s[0:1], s[10:11]
	s_andn2_b64 exec, exec, s[8:9]
	s_cbranch_execz .LBB113_271
.LBB113_269:                            ; =>This Inner Loop Header: Depth=1
	v_lshlrev_b64 v[2:3], 3, v[16:17]
	v_add_co_u32_e32 v2, vcc, s57, v2
	v_addc_co_u32_e32 v3, vcc, v1, v3, vcc
	global_load_dwordx2 v[4:5], v[2:3], off
	v_mov_b32_e32 v2, v0
	s_or_b64 s[14:15], s[14:15], exec
	s_or_b64 s[16:17], s[16:17], exec
                                        ; implicit-def: $vgpr0
	s_waitcnt vmcnt(0)
	v_cmp_o_f64_e64 s[0:1], v[4:5], v[4:5]
	v_cmp_neq_f64_e32 vcc, v[4:5], v[6:7]
	s_or_b64 s[0:1], s[0:1], s[12:13]
	s_and_b64 s[18:19], vcc, s[0:1]
	s_and_saveexec_b64 s[0:1], s[18:19]
	s_cbranch_execz .LBB113_268
; %bb.270:                              ;   in Loop: Header=BB113_269 Depth=1
	v_add_u32_e32 v0, s59, v2
	v_cmp_le_u32_e32 vcc, s56, v0
	s_andn2_b64 s[16:17], s[16:17], exec
	s_and_b64 s[18:19], vcc, exec
	v_add_u32_e32 v16, s77, v16
	s_andn2_b64 s[14:15], s[14:15], exec
	s_or_b64 s[16:17], s[16:17], s[18:19]
	s_branch .LBB113_268
.LBB113_271:
	s_or_b64 exec, exec, s[8:9]
	s_and_saveexec_b64 s[0:1], s[10:11]
	s_xor_b64 s[0:1], exec, s[0:1]
	s_cbranch_execz .LBB113_273
; %bb.272:
	v_readlane_b32 s10, v54, 10
	v_readlane_b32 s11, v54, 11
	s_mul_i32 s0, s11, s10
	v_readlane_b32 s9, v54, 12
	s_sub_i32 s0, s9, s0
	s_add_i32 s1, s11, 1
	s_sub_i32 s8, s0, s10
	s_cmp_ge_u32 s0, s10
	s_cselect_b32 s1, s1, s11
	s_cselect_b32 s0, s8, s0
	s_add_i32 s8, s1, 1
	s_cmp_ge_u32 s0, s10
	s_cselect_b32 s0, s8, s1
	s_mul_i32 s1, s0, s10
	s_sub_i32 s1, s9, s1
	v_readlane_b32 s8, v54, 0
	v_readlane_b32 s9, v54, 1
	s_mul_i32 s1, s1, s9
	s_mul_i32 s0, s0, s8
	s_add_i32 s0, s0, s1
	s_mov_b32 s1, 0
	s_lshl_b64 s[0:1], s[0:1], 3
	v_readlane_b32 s8, v54, 2
	v_readlane_b32 s9, v54, 3
	s_add_u32 s0, s8, s0
	s_addc_u32 s1, s9, s1
	v_mov_b32_e32 v3, 0
	global_store_dwordx2 v3, v[2:3], s[0:1]
.LBB113_273:
	s_or_b64 exec, exec, s[6:7]
.LBB113_274:
	s_or_saveexec_b64 s[0:1], s[4:5]
	s_mov_b64 s[4:5], 0
	s_xor_b64 exec, exec, s[0:1]
	s_cbranch_execnz .LBB113_277
.LBB113_275:
	s_or_b64 exec, exec, s[0:1]
	s_and_b64 s[4:5], s[4:5], exec
	s_andn2_saveexec_b64 s[0:1], s[2:3]
	s_cbranch_execz .LBB113_260
.LBB113_276:
	s_or_b64 s[4:5], s[4:5], exec
	s_trap 2
	s_or_b64 exec, exec, s[0:1]
	s_and_saveexec_b64 s[0:1], s[4:5]
	s_cbranch_execnz .LBB113_261
	s_branch .LBB113_262
.LBB113_277:
	s_mov_b64 s[4:5], exec
	s_trap 2
	s_branch .LBB113_275
	.section	.rodata,"a",@progbits
	.p2align	6, 0x0
	.amdhsa_kernel _ZN2at6native12_GLOBAL__N_112gatherMedianIdjLi2EEEvNS_4cuda6detail10TensorInfoIT_T0_EENS5_IlS7_EENS5_IKS6_S7_EES7_S7_S7_b
		.amdhsa_group_segment_fixed_size 4120
		.amdhsa_private_segment_fixed_size 0
		.amdhsa_kernarg_size 920
		.amdhsa_user_sgpr_count 6
		.amdhsa_user_sgpr_private_segment_buffer 1
		.amdhsa_user_sgpr_dispatch_ptr 0
		.amdhsa_user_sgpr_queue_ptr 0
		.amdhsa_user_sgpr_kernarg_segment_ptr 1
		.amdhsa_user_sgpr_dispatch_id 0
		.amdhsa_user_sgpr_flat_scratch_init 0
		.amdhsa_user_sgpr_kernarg_preload_length 0
		.amdhsa_user_sgpr_kernarg_preload_offset 0
		.amdhsa_user_sgpr_private_segment_size 0
		.amdhsa_uses_dynamic_stack 0
		.amdhsa_system_sgpr_private_segment_wavefront_offset 0
		.amdhsa_system_sgpr_workgroup_id_x 1
		.amdhsa_system_sgpr_workgroup_id_y 1
		.amdhsa_system_sgpr_workgroup_id_z 1
		.amdhsa_system_sgpr_workgroup_info 0
		.amdhsa_system_vgpr_workitem_id 0
		.amdhsa_next_free_vgpr 55
		.amdhsa_next_free_sgpr 96
		.amdhsa_accum_offset 56
		.amdhsa_reserve_vcc 1
		.amdhsa_reserve_flat_scratch 0
		.amdhsa_float_round_mode_32 0
		.amdhsa_float_round_mode_16_64 0
		.amdhsa_float_denorm_mode_32 3
		.amdhsa_float_denorm_mode_16_64 3
		.amdhsa_dx10_clamp 1
		.amdhsa_ieee_mode 1
		.amdhsa_fp16_overflow 0
		.amdhsa_tg_split 0
		.amdhsa_exception_fp_ieee_invalid_op 0
		.amdhsa_exception_fp_denorm_src 0
		.amdhsa_exception_fp_ieee_div_zero 0
		.amdhsa_exception_fp_ieee_overflow 0
		.amdhsa_exception_fp_ieee_underflow 0
		.amdhsa_exception_fp_ieee_inexact 0
		.amdhsa_exception_int_div_zero 0
	.end_amdhsa_kernel
	.section	.text._ZN2at6native12_GLOBAL__N_112gatherMedianIdjLi2EEEvNS_4cuda6detail10TensorInfoIT_T0_EENS5_IlS7_EENS5_IKS6_S7_EES7_S7_S7_b,"axG",@progbits,_ZN2at6native12_GLOBAL__N_112gatherMedianIdjLi2EEEvNS_4cuda6detail10TensorInfoIT_T0_EENS5_IlS7_EENS5_IKS6_S7_EES7_S7_S7_b,comdat
.Lfunc_end113:
	.size	_ZN2at6native12_GLOBAL__N_112gatherMedianIdjLi2EEEvNS_4cuda6detail10TensorInfoIT_T0_EENS5_IlS7_EENS5_IKS6_S7_EES7_S7_S7_b, .Lfunc_end113-_ZN2at6native12_GLOBAL__N_112gatherMedianIdjLi2EEEvNS_4cuda6detail10TensorInfoIT_T0_EENS5_IlS7_EENS5_IKS6_S7_EES7_S7_S7_b
                                        ; -- End function
	.section	.AMDGPU.csdata,"",@progbits
; Kernel info:
; codeLenInByte = 11420
; NumSgprs: 100
; NumVgprs: 55
; NumAgprs: 0
; TotalNumVgprs: 55
; ScratchSize: 0
; MemoryBound: 0
; FloatMode: 240
; IeeeMode: 1
; LDSByteSize: 4120 bytes/workgroup (compile time only)
; SGPRBlocks: 12
; VGPRBlocks: 6
; NumSGPRsForWavesPerEU: 100
; NumVGPRsForWavesPerEU: 55
; AccumOffset: 56
; Occupancy: 8
; WaveLimiterHint : 1
; COMPUTE_PGM_RSRC2:SCRATCH_EN: 0
; COMPUTE_PGM_RSRC2:USER_SGPR: 6
; COMPUTE_PGM_RSRC2:TRAP_HANDLER: 0
; COMPUTE_PGM_RSRC2:TGID_X_EN: 1
; COMPUTE_PGM_RSRC2:TGID_Y_EN: 1
; COMPUTE_PGM_RSRC2:TGID_Z_EN: 1
; COMPUTE_PGM_RSRC2:TIDIG_COMP_CNT: 0
; COMPUTE_PGM_RSRC3_GFX90A:ACCUM_OFFSET: 13
; COMPUTE_PGM_RSRC3_GFX90A:TG_SPLIT: 0
	.section	.text._ZN2at6native12_GLOBAL__N_112gatherMedianIdjLi3EEEvNS_4cuda6detail10TensorInfoIT_T0_EENS5_IlS7_EENS5_IKS6_S7_EES7_S7_S7_b,"axG",@progbits,_ZN2at6native12_GLOBAL__N_112gatherMedianIdjLi3EEEvNS_4cuda6detail10TensorInfoIT_T0_EENS5_IlS7_EENS5_IKS6_S7_EES7_S7_S7_b,comdat
	.globl	_ZN2at6native12_GLOBAL__N_112gatherMedianIdjLi3EEEvNS_4cuda6detail10TensorInfoIT_T0_EENS5_IlS7_EENS5_IKS6_S7_EES7_S7_S7_b ; -- Begin function _ZN2at6native12_GLOBAL__N_112gatherMedianIdjLi3EEEvNS_4cuda6detail10TensorInfoIT_T0_EENS5_IlS7_EENS5_IKS6_S7_EES7_S7_S7_b
	.p2align	8
	.type	_ZN2at6native12_GLOBAL__N_112gatherMedianIdjLi3EEEvNS_4cuda6detail10TensorInfoIT_T0_EENS5_IlS7_EENS5_IKS6_S7_EES7_S7_S7_b,@function
_ZN2at6native12_GLOBAL__N_112gatherMedianIdjLi3EEEvNS_4cuda6detail10TensorInfoIT_T0_EENS5_IlS7_EENS5_IKS6_S7_EES7_S7_S7_b: ; @_ZN2at6native12_GLOBAL__N_112gatherMedianIdjLi3EEEvNS_4cuda6detail10TensorInfoIT_T0_EENS5_IlS7_EENS5_IKS6_S7_EES7_S7_S7_b
; %bb.0:
	s_load_dwordx2 s[12:13], s[4:5], 0x298
	s_load_dwordx4 s[56:59], s[4:5], 0x288
	s_add_u32 s10, s4, 0x298
	s_addc_u32 s11, s5, 0
	s_waitcnt lgkmcnt(0)
	s_mul_i32 s0, s13, s8
	s_add_i32 s0, s0, s7
	s_mul_i32 s0, s0, s12
	s_add_i32 s16, s0, s6
	s_cmp_ge_u32 s16, s57
	s_cbranch_scc1 .LBB114_262
; %bb.1:
	s_load_dwordx2 s[24:25], s[4:5], 0xc
	s_load_dwordx2 s[0:1], s[4:5], 0x0
	;; [unrolled: 1-line block ×4, first 2 shown]
	s_load_dwordx4 s[20:23], s[4:5], 0x144
                                        ; implicit-def: $vgpr54 : SGPR spill to VGPR lane
	s_load_dwordx2 s[18:19], s[4:5], 0xd8
	s_load_dwordx4 s[28:31], s[4:5], 0x6c
	s_waitcnt lgkmcnt(0)
	v_cvt_f32_u32_e32 v1, s25
	v_writelane_b32 v54, s0, 0
	v_writelane_b32 v54, s1, 1
	;; [unrolled: 1-line block ×3, first 2 shown]
	v_rcp_iflag_f32_e32 v1, v1
	v_cvt_f32_u32_e32 v2, s24
	v_writelane_b32 v54, s21, 3
	v_writelane_b32 v54, s22, 4
	v_mul_f32_e32 v1, 0x4f7ffffe, v1
	v_cvt_u32_f32_e32 v1, v1
	s_load_dwordx4 s[0:3], s[4:5], 0x21c
	v_writelane_b32 v54, s23, 5
	s_load_dwordx2 s[20:21], s[4:5], 0xe4
	v_rcp_iflag_f32_e32 v2, v2
                                        ; kill: killed $sgpr4 killed $sgpr5
	s_sub_i32 s4, 0, s25
	v_readfirstlane_b32 s5, v1
	s_mul_i32 s4, s4, s5
	s_mul_hi_u32 s4, s5, s4
	s_add_i32 s5, s5, s4
	v_mul_f32_e32 v1, 0x4f7ffffe, v2
	s_waitcnt lgkmcnt(0)
	v_cvt_f32_u32_e32 v2, s21
	s_mul_hi_u32 s4, s16, s5
	s_mul_i32 s5, s4, s25
	v_writelane_b32 v54, s18, 6
	s_sub_i32 s5, s16, s5
	v_writelane_b32 v54, s19, 7
	s_add_i32 s7, s4, 1
	s_sub_i32 s13, s5, s25
	v_cvt_u32_f32_e32 v1, v1
	v_rcp_iflag_f32_e32 v2, v2
	v_writelane_b32 v54, s28, 8
	s_cmp_ge_u32 s5, s25
	v_writelane_b32 v54, s29, 9
	s_cselect_b32 s4, s7, s4
	v_writelane_b32 v54, s30, 10
	s_cselect_b32 s5, s13, s5
	s_add_i32 s7, s4, 1
	v_writelane_b32 v54, s31, 11
	s_cmp_ge_u32 s5, s25
	v_readfirstlane_b32 s5, v1
	v_mul_f32_e32 v1, 0x4f7ffffe, v2
	s_cselect_b32 s7, s7, s4
	v_writelane_b32 v54, s24, 12
	s_sub_i32 s4, 0, s24
	v_cvt_u32_f32_e32 v1, v1
	s_mul_i32 s4, s4, s5
	s_mul_hi_u32 s4, s5, s4
	v_writelane_b32 v54, s25, 13
	s_add_i32 s5, s5, s4
	v_writelane_b32 v54, s7, 14
	s_mul_hi_u32 s4, s7, s5
	v_readfirstlane_b32 s5, v1
	v_cvt_f32_u32_e32 v1, s20
	v_writelane_b32 v54, s4, 15
	s_sub_i32 s4, 0, s21
	s_mul_i32 s4, s4, s5
	s_mul_hi_u32 s4, s5, s4
	s_add_i32 s5, s5, s4
	v_rcp_iflag_f32_e32 v1, v1
	s_mul_hi_u32 s4, s16, s5
	v_cvt_f32_u32_e32 v2, s15
	s_mul_i32 s5, s4, s21
	s_sub_i32 s5, s16, s5
	s_add_i32 s7, s4, 1
	s_sub_i32 s13, s5, s21
	v_mul_f32_e32 v1, 0x4f7ffffe, v1
	s_cmp_ge_u32 s5, s21
	v_cvt_u32_f32_e32 v1, v1
	v_rcp_iflag_f32_e32 v2, v2
	s_cselect_b32 s4, s7, s4
	s_cselect_b32 s5, s13, s5
	s_add_i32 s7, s4, 1
	s_cmp_ge_u32 s5, s21
	s_cselect_b32 s7, s7, s4
	v_writelane_b32 v54, s20, 16
	s_sub_i32 s4, 0, s20
	v_readfirstlane_b32 s5, v1
	v_mul_f32_e32 v1, 0x4f7ffffe, v2
	s_mul_i32 s4, s4, s5
	v_cvt_u32_f32_e32 v1, v1
	s_mul_hi_u32 s4, s5, s4
	v_writelane_b32 v54, s21, 17
	s_add_i32 s5, s5, s4
	v_writelane_b32 v54, s7, 18
	s_mul_hi_u32 s4, s7, s5
	v_writelane_b32 v54, s4, 19
	s_sub_i32 s4, 0, s15
	v_readfirstlane_b32 s5, v1
	s_mul_i32 s4, s4, s5
	s_mul_hi_u32 s4, s5, s4
	v_cvt_f32_u32_e32 v1, s14
	s_add_i32 s5, s5, s4
	s_mul_hi_u32 s4, s16, s5
	s_mul_i32 s5, s4, s15
	s_sub_i32 s5, s16, s5
	v_rcp_iflag_f32_e32 v1, v1
	s_add_i32 s7, s4, 1
	s_sub_i32 s13, s5, s15
	s_cmp_ge_u32 s5, s15
	s_cselect_b32 s4, s7, s4
	s_cselect_b32 s5, s13, s5
	s_add_i32 s7, s4, 1
	v_mul_f32_e32 v1, 0x4f7ffffe, v1
	s_cmp_ge_u32 s5, s15
	v_cvt_u32_f32_e32 v1, v1
	s_cselect_b32 s4, s7, s4
	s_mul_i32 s5, s4, s15
	s_sub_i32 s5, s16, s5
	s_mul_i32 s5, s5, s2
	s_sub_i32 s2, 0, s14
	v_readfirstlane_b32 s7, v1
	s_mul_i32 s2, s2, s7
	s_mul_hi_u32 s2, s7, s2
	s_add_i32 s7, s7, s2
	s_mul_hi_u32 s2, s4, s7
	s_mul_i32 s7, s2, s14
	s_sub_i32 s7, s4, s7
	s_add_i32 s13, s2, 1
	s_sub_i32 s15, s7, s14
	s_cmp_ge_u32 s7, s14
	s_cselect_b32 s2, s13, s2
	s_cselect_b32 s7, s15, s7
	s_add_i32 s13, s2, 1
	s_cmp_ge_u32 s7, s14
	s_cselect_b32 s2, s13, s2
	s_mul_i32 s7, s2, s14
	s_sub_i32 s4, s4, s7
	s_mul_i32 s1, s4, s1
	s_add_i32 s1, s1, s5
	s_mul_i32 s2, s2, s0
	s_mov_b32 s3, 0
	s_add_i32 s2, s1, s2
	s_lshl_b64 s[0:1], s[2:3], 3
	s_add_u32 s57, s8, s0
	s_addc_u32 s84, s9, s1
	v_mov_b32_e32 v2, 0
	v_mul_lo_u32 v16, v0, s58
	v_writelane_b32 v54, s16, 20
	v_cmp_gt_u32_e64 s[0:1], s56, v0
	s_mov_b64 s[2:3], exec
	v_writelane_b32 v54, s0, 21
	v_writelane_b32 v54, s1, 22
	s_and_b64 s[0:1], s[2:3], s[0:1]
	s_mov_b64 exec, s[0:1]
	s_cbranch_execz .LBB114_5
; %bb.2:
	s_load_dword s0, s[10:11], 0xc
	v_mov_b32_e32 v5, 0
	v_mul_lo_u32 v4, v0, s58
	s_mov_b64 s[4:5], 0
	v_mov_b32_e32 v1, s84
	s_waitcnt lgkmcnt(0)
	s_and_b32 s0, s0, 0xffff
	s_mul_i32 s1, s58, s0
	v_mov_b32_e32 v2, v5
	v_mov_b32_e32 v3, v0
.LBB114_3:                              ; =>This Inner Loop Header: Depth=1
	v_lshlrev_b64 v[6:7], 3, v[4:5]
	v_add_co_u32_e32 v6, vcc, s57, v6
	v_addc_co_u32_e32 v7, vcc, v1, v7, vcc
	global_load_dwordx2 v[6:7], v[6:7], off
	v_add_u32_e32 v3, s0, v3
	v_cmp_le_u32_e32 vcc, s56, v3
	s_or_b64 s[4:5], vcc, s[4:5]
	v_add_u32_e32 v4, s1, v4
	s_waitcnt vmcnt(0)
	v_cmp_u_f64_e32 vcc, v[6:7], v[6:7]
	v_addc_co_u32_e32 v2, vcc, 0, v2, vcc
	s_andn2_b64 exec, exec, s[4:5]
	s_cbranch_execnz .LBB114_3
; %bb.4:
	s_or_b64 exec, exec, s[4:5]
.LBB114_5:
	s_or_b64 exec, exec, s[2:3]
	v_cmp_eq_u32_e64 s[0:1], 0, v0
	s_mov_b64 s[4:5], exec
	v_writelane_b32 v54, s0, 23
	v_writelane_b32 v54, s1, 24
	s_and_b64 s[0:1], s[4:5], s[0:1]
	s_mov_b64 exec, s[0:1]
	s_cbranch_execz .LBB114_7
; %bb.6:
	v_mov_b32_e32 v4, 0
	v_mov_b32_e32 v5, v4
	ds_write_b64 v4, v[4:5] offset:4096
.LBB114_7:
	s_or_b64 exec, exec, s[4:5]
	v_cmp_ne_u32_e32 vcc, 0, v2
	s_waitcnt lgkmcnt(0)
	s_barrier
	s_and_saveexec_b64 s[4:5], vcc
	s_cbranch_execz .LBB114_12
; %bb.8:
	s_mov_b64 s[14:15], exec
	v_mov_b32_e32 v1, 0
	s_mov_b64 s[8:9], 0
.LBB114_9:                              ; =>This Inner Loop Header: Depth=1
	s_ff1_i32_b64 s0, s[14:15]
	v_readlane_b32 s2, v2, s0
	v_readlane_b32 s1, v1, s0
	s_add_u32 s8, s8, s2
	s_addc_u32 s9, s9, s1
	s_lshl_b64 s[0:1], 1, s0
	s_andn2_b64 s[14:15], s[14:15], s[0:1]
	s_cmp_lg_u64 s[14:15], 0
	s_cbranch_scc1 .LBB114_9
; %bb.10:
	v_mbcnt_lo_u32_b32 v1, exec_lo, 0
	v_mbcnt_hi_u32_b32 v1, exec_hi, v1
	v_cmp_eq_u32_e32 vcc, 0, v1
	s_and_saveexec_b64 s[0:1], vcc
	s_xor_b64 s[0:1], exec, s[0:1]
	s_cbranch_execz .LBB114_12
; %bb.11:
	v_mov_b32_e32 v1, 0
	v_pk_mov_b32 v[2:3], s[8:9], s[8:9] op_sel:[0,1]
	ds_add_u64 v1, v[2:3] offset:4096
.LBB114_12:
	s_or_b64 exec, exec, s[4:5]
	v_mov_b32_e32 v1, 0
	s_waitcnt lgkmcnt(0)
	s_barrier
	ds_read_b64 v[2:3], v1 offset:4096
	s_bitcmp1_b32 s59, 0
	s_cselect_b64 s[0:1], -1, 0
	s_mov_b32 s82, s56
	s_waitcnt lgkmcnt(0)
	v_cmp_gt_i64_e32 vcc, 1, v[2:3]
	s_or_b64 s[0:1], s[0:1], vcc
	s_andn2_b64 vcc, exec, s[0:1]
	s_cbranch_vccnz .LBB114_14
; %bb.13:
	v_not_b32_e32 v1, v2
	v_not_b32_e32 v2, v3
	v_add_co_u32_e32 v1, vcc, s56, v1
	v_addc_co_u32_e32 v2, vcc, 0, v2, vcc
	v_lshrrev_b32_e32 v3, 31, v2
	v_add_co_u32_e32 v1, vcc, v1, v3
	v_addc_co_u32_e32 v2, vcc, 0, v2, vcc
	v_alignbit_b32 v1, v2, v1, 1
	v_readfirstlane_b32 s0, v1
	s_add_i32 s82, s0, 1
.LBB114_14:
	s_mov_b64 s[4:5], exec
	v_readlane_b32 s0, v54, 23
	v_readlane_b32 s1, v54, 24
	s_and_b64 s[0:1], s[4:5], s[0:1]
	s_mov_b64 exec, s[0:1]
	s_cbranch_execz .LBB114_16
; %bb.15:
	v_mov_b32_e32 v2, 0
	v_mov_b32_e32 v3, s56
	ds_write_b32 v2, v2 offset:4112
	ds_write_b64 v2, v[2:3] offset:4104
.LBB114_16:
	s_or_b64 exec, exec, s[4:5]
	s_waitcnt lgkmcnt(0)
	s_barrier
	s_load_dword s0, s[10:11], 0xc
	v_mbcnt_lo_u32_b32 v1, -1, 0
	v_mbcnt_hi_u32_b32 v23, -1, v1
	v_cmp_gt_u32_e32 vcc, 64, v0
	v_cmp_gt_i32_e64 s[4:5], 4, v23
	s_waitcnt lgkmcnt(0)
	s_and_b32 s59, s0, 0xffff
	s_bfe_u32 s3, s0, 0xa0006
	s_add_i32 s0, s59, -1
	s_lshl_b32 s86, s59, 2
	s_and_b64 s[78:79], vcc, s[4:5]
	v_writelane_b32 v54, s0, 25
	s_add_i32 s0, s0, s56
	s_cmpk_gt_u32 s56, 0x180
	s_cselect_b64 s[4:5], -1, 0
	v_writelane_b32 v54, s4, 26
	s_cmp_gt_u32 s59, 63
	v_writelane_b32 v54, s5, 27
	s_cselect_b64 s[4:5], -1, 0
	s_cmp_lt_u32 s6, s12
	v_writelane_b32 v54, s4, 28
	s_cselect_b32 s1, 12, 18
	v_writelane_b32 v54, s5, 29
	s_add_u32 s4, s10, s1
	v_mov_b32_e32 v19, 0
	s_addc_u32 s5, s11, 0
	s_add_i32 s1, s3, -2
	s_lshr_b32 s2, s1, 1
	v_mov_b32_e32 v17, v19
	s_add_i32 s2, s2, 1
	v_lshlrev_b64 v[2:3], 3, v[16:17]
	v_writelane_b32 v54, s4, 30
	s_cmpk_gt_u32 s59, 0x7f
	v_mov_b32_e32 v17, s84
	v_add_co_u32_e32 v20, vcc, s57, v2
	v_writelane_b32 v54, s5, 31
	s_cselect_b64 s[4:5], -1, 0
	v_addc_co_u32_e32 v21, vcc, v17, v3, vcc
	v_lshlrev_b64 v[2:3], v23, -1
	v_writelane_b32 v54, s4, 32
	v_not_b32_e32 v22, v2
	v_cvt_f32_u32_e32 v2, s86
	v_writelane_b32 v54, s5, 33
	v_cmp_gt_u32_e64 s[6:7], 2, v0
	s_and_b32 s8, s3, 0x3fe
	s_and_b32 s9, s2, 7
	v_writelane_b32 v54, s6, 34
	s_cmp_gt_u32 s1, 13
	v_writelane_b32 v54, s7, 35
	s_cselect_b64 s[10:11], -1, 0
	v_writelane_b32 v54, s10, 36
	v_rcp_iflag_f32_e32 v2, v2
	v_writelane_b32 v54, s11, 37
	s_and_b32 s1, s2, -8
	v_writelane_b32 v54, s1, 38
	s_cmp_lg_u32 s9, 0
	v_writelane_b32 v54, s9, 39
	s_cselect_b64 s[10:11], -1, 0
	v_writelane_b32 v54, s10, 40
	v_mul_f32_e32 v2, 0x4f7ffffe, v2
	v_writelane_b32 v54, s11, 41
	v_cvt_u32_f32_e32 v2, v2
	v_writelane_b32 v54, s3, 42
	s_cmp_lg_u32 s8, s3
	v_writelane_b32 v54, s8, 43
	s_cselect_b64 s[2:3], -1, 0
	v_writelane_b32 v54, s2, 44
	v_writelane_b32 v54, s3, 45
	s_sub_i32 s1, 0, s86
	v_readfirstlane_b32 s2, v2
	s_mul_i32 s1, s1, s2
	s_mul_hi_u32 s1, s2, s1
	s_add_i32 s33, s2, s1
	v_cvt_f32_u32_e32 v2, s59
	s_mul_hi_u32 s1, s56, s33
	s_mul_i32 s1, s1, s86
	s_sub_i32 s1, s56, s1
	s_sub_i32 s2, s1, s86
	v_rcp_iflag_f32_e32 v5, v2
	s_cmp_ge_u32 s1, s86
	s_cselect_b32 s1, s2, s1
	s_sub_i32 s2, s1, s86
	s_cmp_ge_u32 s1, s86
	v_mul_f32_e32 v5, 0x4f7ffffe, v5
	s_cselect_b32 s1, s2, s1
	v_cvt_u32_f32_e32 v5, v5
	v_lshlrev_b32_e32 v30, 2, v0
	s_sub_i32 s12, s56, s1
	v_cmp_gt_u32_e64 s[2:3], s12, v30
	v_writelane_b32 v54, s2, 46
	v_writelane_b32 v54, s3, 47
	s_sub_i32 s2, 0, s59
	v_readfirstlane_b32 s3, v5
	s_mul_i32 s2, s2, s3
	s_mul_hi_u32 s2, s3, s2
	s_add_i32 s2, s3, s2
	v_writelane_b32 v54, s2, 48
	s_mul_hi_u32 s2, s0, s2
	s_mul_i32 s2, s2, s59
	s_sub_i32 s2, s0, s2
	s_sub_i32 s3, s2, s59
	v_add_u32_e32 v35, s12, v0
	s_cmp_ge_u32 s2, s59
	v_lshrrev_b32_e32 v1, 4, v0
	v_mul_lo_u32 v18, v35, s58
	s_cselect_b32 s2, s3, s2
	v_and_b32_e32 v33, 60, v1
	v_not_b32_e32 v1, v3
	v_lshlrev_b64 v[2:3], 3, v[18:19]
	s_sub_i32 s3, s2, s59
	v_add_co_u32_e32 v24, vcc, s57, v2
	s_cmp_ge_u32 s2, s59
	v_mul_lo_u32 v2, s58, v30
	s_cselect_b32 s2, s3, s2
	v_add_u32_e32 v36, s58, v2
	v_or_b32_e32 v2, 2, v30
	s_sub_i32 s80, s0, s2
	v_mul_lo_u32 v37, s58, v2
	v_or_b32_e32 v2, 3, v30
	s_add_i32 s0, s59, s56
	v_cmp_gt_u32_e64 s[2:3], s80, v0
	v_mul_lo_u32 v38, s58, v2
	v_add_u32_e32 v2, s0, v0
	v_lshlrev_b32_e32 v31, 3, v0
	v_lshlrev_b32_e32 v4, 2, v23
	v_mov_b32_e32 v6, s84
	v_writelane_b32 v54, s2, 49
	s_mul_i32 s85, s58, s59
	v_subrev_u32_e32 v2, s1, v2
	s_mov_b32 s50, 0
	v_cmp_eq_u32_e64 s[4:5], 0, v23
	v_add_u32_e32 v32, 0xc00, v31
	v_and_b32_e32 v34, 0x100, v4
	v_cmp_gt_u32_e64 s[10:11], s56, v35
	v_addc_co_u32_e32 v25, vcc, v6, v3, vcc
	v_writelane_b32 v54, s3, 50
	s_lshl_b32 s81, s85, 2
	v_lshlrev_b32_e32 v39, 2, v16
	v_mul_lo_u32 v40, s58, v2
	v_lshlrev_b32_e32 v41, 5, v0
	s_lshl_b32 s2, s59, 5
	s_lshl_b32 s3, s59, 3
	v_or_b32_e32 v42, 0xc00, v4
	s_mov_b32 s87, 62
	s_mov_b64 s[94:95], 0
	v_pk_mov_b32 v[6:7], 0, 0
	v_mov_b32_e32 v3, 0x3ff00000
	v_mov_b32_e32 v43, 0xc00
	s_mov_b32 s13, 0
	s_mov_b64 s[74:75], 0
	s_mov_b64 s[70:71], 0
                                        ; implicit-def: $sgpr68_sgpr69
                                        ; implicit-def: $sgpr62_sgpr63
                                        ; implicit-def: $sgpr60_sgpr61
                                        ; implicit-def: $sgpr72_sgpr73
                                        ; implicit-def: $sgpr64_sgpr65
                                        ; implicit-def: $sgpr66_sgpr67
	s_branch .LBB114_21
.LBB114_17:                             ;   in Loop: Header=BB114_21 Depth=1
	s_xor_b32 s13, s13, 1
	s_add_i32 s0, s87, -2
	s_cmp_eq_u32 s87, 0
	s_mov_b64 s[16:17], 0
	s_cselect_b64 s[20:21], -1, 0
	s_mov_b32 s87, s0
.LBB114_18:                             ;   in Loop: Header=BB114_21 Depth=1
	s_andn2_b64 s[0:1], s[24:25], exec
	s_and_b64 s[8:9], s[16:17], exec
	s_or_b64 s[24:25], s[0:1], s[8:9]
	s_andn2_b64 s[28:29], s[28:29], exec
	s_andn2_b64 s[22:23], s[22:23], exec
	s_orn2_b64 s[20:21], s[20:21], exec
	s_mov_b32 s82, s39
.LBB114_19:                             ;   in Loop: Header=BB114_21 Depth=1
	s_or_b64 exec, exec, s[14:15]
	s_andn2_b64 s[0:1], s[66:67], exec
	s_and_b64 s[8:9], s[24:25], exec
	s_or_b64 s[66:67], s[0:1], s[8:9]
	s_andn2_b64 s[0:1], s[64:65], exec
	s_and_b64 s[8:9], s[28:29], exec
	s_or_b64 s[64:65], s[0:1], s[8:9]
	s_andn2_b64 s[0:1], s[72:73], exec
	s_and_b64 s[8:9], s[22:23], exec
	s_or_b64 s[72:73], s[0:1], s[8:9]
	s_orn2_b64 s[20:21], s[20:21], exec
.LBB114_20:                             ;   in Loop: Header=BB114_21 Depth=1
	s_or_b64 exec, exec, s[18:19]
	s_and_b64 s[0:1], exec, s[20:21]
	s_or_b64 s[94:95], s[0:1], s[94:95]
	s_andn2_b64 s[0:1], s[60:61], exec
	s_and_b64 s[8:9], s[66:67], exec
	s_or_b64 s[60:61], s[0:1], s[8:9]
	s_andn2_b64 s[0:1], s[62:63], exec
	s_and_b64 s[8:9], s[64:65], exec
	;; [unrolled: 3-line block ×3, first 2 shown]
	s_waitcnt vmcnt(0)
	v_pk_mov_b32 v[4:5], s[74:75], s[74:75] op_sel:[0,1]
	s_or_b64 s[68:69], s[0:1], s[8:9]
	s_andn2_b64 exec, exec, s[94:95]
	s_cbranch_execz .LBB114_258
.LBB114_21:                             ; =>This Loop Header: Depth=1
                                        ;     Child Loop BB114_29 Depth 2
                                        ;     Child Loop BB114_47 Depth 2
	;; [unrolled: 1-line block ×17, first 2 shown]
	ds_read_b64 v[4:5], v19 offset:4104
	s_waitcnt lgkmcnt(0)
	v_readfirstlane_b32 s77, v4
	s_cmp_lg_u32 s77, 0
	s_cbranch_scc1 .LBB114_54
; %bb.22:                               ;   in Loop: Header=BB114_21 Depth=1
	v_readlane_b32 s0, v54, 26
	v_readlane_b32 s1, v54, 27
	s_and_b64 vcc, exec, s[0:1]
	s_cbranch_vccz .LBB114_37
; %bb.23:                               ;   in Loop: Header=BB114_21 Depth=1
	s_movk_i32 s0, 0x181
	v_cmp_gt_u32_e32 vcc, s0, v5
	s_mov_b64 s[18:19], 0
	s_mov_b64 s[14:15], 0
	s_cbranch_vccz .LBB114_38
; %bb.24:                               ;   in Loop: Header=BB114_21 Depth=1
	v_pk_mov_b32 v[4:5], 0, 0
	s_mov_b64 s[14:15], exec
	v_readlane_b32 s0, v54, 21
	v_readlane_b32 s1, v54, 22
	s_and_b64 s[0:1], s[14:15], s[0:1]
	s_mov_b64 exec, s[0:1]
	s_cbranch_execz .LBB114_26
; %bb.25:                               ;   in Loop: Header=BB114_21 Depth=1
	global_load_dwordx2 v[4:5], v[20:21], off
.LBB114_26:                             ;   in Loop: Header=BB114_21 Depth=1
	s_or_b64 exec, exec, s[14:15]
	s_mov_b64 s[20:21], exec
	v_readlane_b32 s0, v54, 21
	v_readlane_b32 s1, v54, 22
	s_and_b64 s[0:1], s[20:21], s[0:1]
	s_mov_b64 exec, s[0:1]
	s_cbranch_execz .LBB114_39
; %bb.27:                               ;   in Loop: Header=BB114_21 Depth=1
	v_readlane_b32 s0, v54, 30
	v_readlane_b32 s1, v54, 31
	s_mov_b64 s[22:23], 0
	v_mov_b32_e32 v11, v0
	s_nop 2
	global_load_ushort v2, v19, s[0:1]
	s_waitcnt vmcnt(0)
	v_add_u32_e32 v8, v0, v2
	v_mul_lo_u32 v10, s58, v2
	v_mul_lo_u32 v18, s58, v8
	s_branch .LBB114_29
.LBB114_28:                             ;   in Loop: Header=BB114_29 Depth=2
	s_or_b64 exec, exec, s[16:17]
	v_add_u32_e32 v18, v18, v10
	s_waitcnt vmcnt(0)
	v_pk_mov_b32 v[4:5], v[8:9], v[8:9] op_sel:[0,1]
	s_andn2_b64 exec, exec, s[22:23]
	s_cbranch_execz .LBB114_39
.LBB114_29:                             ;   Parent Loop BB114_21 Depth=1
                                        ; =>  This Inner Loop Header: Depth=2
	v_add_u32_e32 v11, v11, v2
	v_cmp_gt_u32_e64 s[14:15], s56, v11
	v_cmp_le_u32_e32 vcc, s56, v11
	v_pk_mov_b32 v[8:9], 0, 0
	s_and_saveexec_b64 s[16:17], s[14:15]
	s_cbranch_execz .LBB114_31
; %bb.30:                               ;   in Loop: Header=BB114_29 Depth=2
	v_lshlrev_b64 v[8:9], 3, v[18:19]
	v_add_co_u32_e64 v8, s[14:15], s57, v8
	v_addc_co_u32_e64 v9, s[14:15], v17, v9, s[14:15]
	global_load_dwordx2 v[8:9], v[8:9], off
.LBB114_31:                             ;   in Loop: Header=BB114_29 Depth=2
	s_or_b64 exec, exec, s[16:17]
	s_waitcnt lgkmcnt(0)
	v_ashrrev_i32_e32 v12, 31, v5
	v_or_b32_e32 v13, 0x80000000, v12
	v_xor_b32_e32 v13, v13, v5
	v_xor_b32_e32 v12, v12, v4
	v_cmp_o_f64_e64 s[14:15], v[4:5], v[4:5]
	v_cndmask_b32_e64 v13, -1, v13, s[14:15]
	v_cndmask_b32_e64 v12, -1, v12, s[14:15]
	v_and_b32_e32 v13, s71, v13
	v_and_b32_e32 v12, s70, v12
	v_cmp_eq_u64_e64 s[14:15], s[74:75], v[12:13]
	s_cmp_lg_u64 s[14:15], 0
	s_cselect_b64 s[0:1], -1, 0
	s_and_b64 s[0:1], s[4:5], s[0:1]
	v_mov_b32_e32 v12, 0
	s_and_saveexec_b64 s[24:25], s[0:1]
	s_cbranch_execz .LBB114_35
; %bb.32:                               ;   in Loop: Header=BB114_29 Depth=2
	s_mov_b64 s[28:29], exec
	v_mbcnt_lo_u32_b32 v12, s28, 0
	v_mbcnt_hi_u32_b32 v12, s29, v12
	s_bcnt1_i32_b64 s0, s[14:15]
	v_cmp_eq_u32_e64 s[16:17], 0, v12
                                        ; implicit-def: $vgpr13
	s_and_saveexec_b64 s[26:27], s[16:17]
	s_cbranch_execz .LBB114_34
; %bb.33:                               ;   in Loop: Header=BB114_29 Depth=2
	s_bcnt1_i32_b64 s1, s[28:29]
	s_mul_i32 s1, s0, s1
	v_mov_b32_e32 v13, s1
	ds_add_rtn_u32 v13, v19, v13 offset:4112
.LBB114_34:                             ;   in Loop: Header=BB114_29 Depth=2
	s_or_b64 exec, exec, s[26:27]
	s_waitcnt lgkmcnt(0)
	v_readfirstlane_b32 s1, v13
	v_mov_b32_e32 v13, s1
	v_mad_u32_u24 v12, s0, v12, v13
.LBB114_35:                             ;   in Loop: Header=BB114_29 Depth=2
	s_or_b64 exec, exec, s[24:25]
	ds_bpermute_b32 v12, v34, v12
	s_and_b64 s[0:1], exec, vcc
	s_or_b64 s[22:23], s[0:1], s[22:23]
	s_and_saveexec_b64 s[16:17], s[14:15]
	s_cbranch_execz .LBB114_28
; %bb.36:                               ;   in Loop: Header=BB114_29 Depth=2
	v_and_b32_e32 v14, s14, v22
	v_and_b32_e32 v13, s15, v1
	v_bcnt_u32_b32 v14, v14, 0
	v_bcnt_u32_b32 v13, v13, v14
	v_lshlrev_b32_e32 v13, 3, v13
	s_waitcnt lgkmcnt(0)
	v_lshl_add_u32 v12, v12, 3, v13
	ds_write_b64 v12, v[4:5]
	s_branch .LBB114_28
.LBB114_37:                             ;   in Loop: Header=BB114_21 Depth=1
	s_mov_b64 s[14:15], 0
                                        ; implicit-def: $sgpr77
	s_cbranch_execnz .LBB114_42
	s_branch .LBB114_52
.LBB114_38:                             ;   in Loop: Header=BB114_21 Depth=1
	s_mov_b32 s77, 0
	s_and_b64 vcc, exec, s[18:19]
	s_cbranch_vccnz .LBB114_42
	s_branch .LBB114_52
.LBB114_39:                             ;   in Loop: Header=BB114_21 Depth=1
	s_or_b64 exec, exec, s[20:21]
	s_waitcnt lgkmcnt(0)
	s_barrier
	s_mov_b64 s[14:15], exec
	v_readlane_b32 s0, v54, 23
	v_readlane_b32 s1, v54, 24
	s_and_b64 s[0:1], s[14:15], s[0:1]
	s_mov_b64 exec, s[0:1]
	s_cbranch_execz .LBB114_41
; %bb.40:                               ;   in Loop: Header=BB114_21 Depth=1
	ds_read_b32 v2, v19 offset:4112
	s_waitcnt lgkmcnt(0)
	ds_write_b32 v19, v2 offset:4104
.LBB114_41:                             ;   in Loop: Header=BB114_21 Depth=1
	s_or_b64 exec, exec, s[14:15]
	s_waitcnt lgkmcnt(0)
	s_barrier
	s_mov_b64 s[14:15], -1
	s_mov_b32 s77, 0
	s_and_b64 vcc, exec, s[18:19]
	s_cbranch_vccz .LBB114_52
.LBB114_42:                             ;   in Loop: Header=BB114_21 Depth=1
	s_waitcnt vmcnt(0)
	v_pk_mov_b32 v[4:5], 0, 0
	s_mov_b64 s[14:15], exec
	v_readlane_b32 s0, v54, 21
	v_readlane_b32 s1, v54, 22
	s_and_b64 s[0:1], s[14:15], s[0:1]
	s_mov_b64 exec, s[0:1]
	s_cbranch_execz .LBB114_44
; %bb.43:                               ;   in Loop: Header=BB114_21 Depth=1
	global_load_dwordx2 v[4:5], v[20:21], off
.LBB114_44:                             ;   in Loop: Header=BB114_21 Depth=1
	s_or_b64 exec, exec, s[14:15]
	s_mov_b64 s[16:17], exec
	v_readlane_b32 s0, v54, 21
	v_readlane_b32 s1, v54, 22
	s_and_b64 s[0:1], s[16:17], s[0:1]
	s_mov_b64 exec, s[0:1]
	s_cbranch_execz .LBB114_49
; %bb.45:                               ;   in Loop: Header=BB114_21 Depth=1
	v_readlane_b32 s0, v54, 30
	v_readlane_b32 s1, v54, 31
	s_mov_b64 s[18:19], 0
	v_mov_b32_e32 v10, v31
	v_mov_b32_e32 v13, v0
	s_nop 1
	global_load_ushort v2, v19, s[0:1]
	s_waitcnt vmcnt(0)
	v_add_u32_e32 v8, v0, v2
	v_lshlrev_b32_e32 v11, 3, v2
	v_mul_lo_u32 v12, s58, v2
	v_mul_lo_u32 v18, s58, v8
	s_branch .LBB114_47
.LBB114_46:                             ;   in Loop: Header=BB114_47 Depth=2
	s_or_b64 exec, exec, s[20:21]
	s_and_b64 s[0:1], exec, vcc
	s_or_b64 s[18:19], s[0:1], s[18:19]
	ds_write_b64 v10, v[4:5]
	v_add_u32_e32 v10, v10, v11
	v_add_u32_e32 v18, v18, v12
	s_waitcnt vmcnt(0)
	v_pk_mov_b32 v[4:5], v[8:9], v[8:9] op_sel:[0,1]
	s_andn2_b64 exec, exec, s[18:19]
	s_cbranch_execz .LBB114_49
.LBB114_47:                             ;   Parent Loop BB114_21 Depth=1
                                        ; =>  This Inner Loop Header: Depth=2
	v_add_u32_e32 v13, v13, v2
	v_cmp_gt_u32_e64 s[14:15], s56, v13
	v_cmp_le_u32_e32 vcc, s56, v13
	v_pk_mov_b32 v[8:9], 0, 0
	s_and_saveexec_b64 s[20:21], s[14:15]
	s_cbranch_execz .LBB114_46
; %bb.48:                               ;   in Loop: Header=BB114_47 Depth=2
	v_lshlrev_b64 v[8:9], 3, v[18:19]
	v_mov_b32_e32 v14, s84
	v_add_co_u32_e64 v8, s[14:15], s57, v8
	v_addc_co_u32_e64 v9, s[14:15], v14, v9, s[14:15]
	global_load_dwordx2 v[8:9], v[8:9], off
	s_branch .LBB114_46
.LBB114_49:                             ;   in Loop: Header=BB114_21 Depth=1
	s_or_b64 exec, exec, s[16:17]
	s_waitcnt lgkmcnt(0)
	s_barrier
	s_mov_b64 s[14:15], exec
	v_readlane_b32 s0, v54, 23
	v_readlane_b32 s1, v54, 24
	s_and_b64 s[0:1], s[14:15], s[0:1]
	s_mov_b64 exec, s[0:1]
	s_cbranch_execz .LBB114_51
; %bb.50:                               ;   in Loop: Header=BB114_21 Depth=1
	v_mov_b32_e32 v2, s56
	ds_write_b32 v19, v2 offset:4104
.LBB114_51:                             ;   in Loop: Header=BB114_21 Depth=1
	s_or_b64 exec, exec, s[14:15]
	s_mov_b64 s[14:15], -1
	s_waitcnt lgkmcnt(0)
	s_barrier
                                        ; implicit-def: $sgpr77
.LBB114_52:                             ;   in Loop: Header=BB114_21 Depth=1
	s_and_b64 vcc, exec, s[14:15]
	s_cbranch_vccz .LBB114_54
; %bb.53:                               ;   in Loop: Header=BB114_21 Depth=1
	ds_read_b32 v2, v19 offset:4104
	s_waitcnt lgkmcnt(0)
	v_readfirstlane_b32 s77, v2
.LBB114_54:                             ;   in Loop: Header=BB114_21 Depth=1
	s_cmp_lt_i32 s77, 1
	s_cbranch_scc0 .LBB114_66
; %bb.55:                               ;   in Loop: Header=BB114_21 Depth=1
	v_mov_b32_e32 v8, 0
	s_mov_b32 s48, 0
	v_mov_b32_e32 v9, 0
	v_mov_b32_e32 v10, v8
	;; [unrolled: 1-line block ×3, first 2 shown]
	s_mov_b64 s[44:45], exec
	v_readlane_b32 s0, v54, 46
	v_readlane_b32 s1, v54, 47
	s_and_b64 s[0:1], s[44:45], s[0:1]
	s_mov_b64 exec, s[0:1]
	s_cbranch_execz .LBB114_59
; %bb.56:                               ;   in Loop: Header=BB114_21 Depth=1
	s_mov_b32 s54, s50
	s_and_b32 s49, s87, 0xfe
	s_mov_b64 s[46:47], 0
	s_mov_b32 s50, 0
	s_mov_b32 s51, 0
	;; [unrolled: 1-line block ×4, first 2 shown]
	v_mov_b32_e32 v2, v30
.LBB114_57:                             ;   Parent Loop BB114_21 Depth=1
                                        ; =>  This Inner Loop Header: Depth=2
	v_add_u32_e32 v18, s48, v39
	v_lshlrev_b64 v[12:13], 3, v[18:19]
	s_waitcnt vmcnt(0)
	v_mov_b32_e32 v4, s84
	v_add_u32_e32 v18, s48, v36
	v_add_co_u32_e64 v12, s[14:15], s57, v12
	v_lshlrev_b64 v[14:15], 3, v[18:19]
	v_addc_co_u32_e64 v13, s[14:15], v4, v13, s[14:15]
	v_add_u32_e32 v18, s48, v37
	v_add_co_u32_e64 v14, s[14:15], s57, v14
	v_lshlrev_b64 v[26:27], 3, v[18:19]
	v_addc_co_u32_e64 v15, s[14:15], v4, v15, s[14:15]
	v_add_u32_e32 v18, s48, v38
	v_add_co_u32_e64 v26, s[14:15], s57, v26
	global_load_dwordx2 v[12:13], v[12:13], off
	v_lshlrev_b64 v[28:29], 3, v[18:19]
	global_load_dwordx2 v[14:15], v[14:15], off
	v_addc_co_u32_e64 v27, s[14:15], v4, v27, s[14:15]
	global_load_dwordx2 v[26:27], v[26:27], off
	v_add_co_u32_e64 v28, s[14:15], s57, v28
	v_addc_co_u32_e64 v29, s[14:15], v4, v29, s[14:15]
	global_load_dwordx2 v[28:29], v[28:29], off
	v_mov_b32_e32 v11, v19
	v_mov_b32_e32 v9, v19
	;; [unrolled: 1-line block ×3, first 2 shown]
	v_add_u32_e32 v2, s86, v2
	v_cmp_le_u32_e32 vcc, s12, v2
	s_add_i32 s48, s48, s81
	s_waitcnt vmcnt(3)
	v_ashrrev_i32_e32 v4, 31, v13
	v_or_b32_e32 v8, 0x80000000, v4
	s_waitcnt vmcnt(2)
	v_ashrrev_i32_e32 v10, 31, v15
	v_xor_b32_e32 v4, v4, v12
	v_cmp_o_f64_e64 s[14:15], v[12:13], v[12:13]
	v_xor_b32_e32 v8, v8, v13
	v_or_b32_e32 v18, 0x80000000, v10
	s_waitcnt vmcnt(1)
	v_ashrrev_i32_e32 v44, 31, v27
	v_xor_b32_e32 v10, v10, v14
	v_cndmask_b32_e64 v12, -1, v4, s[14:15]
	v_cmp_o_f64_e64 s[16:17], v[14:15], v[14:15]
	v_cndmask_b32_e64 v13, -1, v8, s[14:15]
	v_xor_b32_e32 v4, v18, v15
	v_or_b32_e32 v8, 0x80000000, v44
	s_waitcnt vmcnt(0)
	v_ashrrev_i32_e32 v45, 31, v29
	v_xor_b32_e32 v18, v44, v26
	v_cndmask_b32_e64 v14, -1, v10, s[16:17]
	v_and_b32_e32 v44, s70, v12
	v_cmp_o_f64_e64 s[14:15], v[26:27], v[26:27]
	v_cndmask_b32_e64 v15, -1, v4, s[16:17]
	v_xor_b32_e32 v4, v8, v27
	v_or_b32_e32 v8, 0x80000000, v45
	v_xor_b32_e32 v10, v45, v28
	v_and_b32_e32 v45, s71, v13
	v_lshrrev_b64 v[12:13], s49, v[12:13]
	v_cndmask_b32_e64 v26, -1, v18, s[14:15]
	v_and_b32_e32 v18, 3, v12
	v_cmp_o_f64_e64 s[16:17], v[28:29], v[28:29]
	v_cndmask_b32_e64 v27, -1, v4, s[14:15]
	v_cmp_eq_u64_e64 s[14:15], s[74:75], v[44:45]
	v_lshrrev_b64 v[12:13], s49, v[14:15]
	v_cmp_eq_u64_e64 s[18:19], 0, v[18:19]
	v_and_b32_e32 v46, s70, v14
	v_xor_b32_e32 v4, v8, v29
	v_cndmask_b32_e64 v14, -1, v10, s[16:17]
	v_and_b32_e32 v10, 3, v12
	v_cmp_eq_u64_e64 s[20:21], 1, v[18:19]
	s_and_b64 s[0:1], s[14:15], s[18:19]
	v_and_b32_e32 v47, s71, v15
	v_cndmask_b32_e64 v15, -1, v4, s[16:17]
	v_lshrrev_b64 v[12:13], s49, v[26:27]
	v_cmp_eq_u64_e64 s[22:23], 2, v[18:19]
	v_cmp_eq_u64_e64 s[28:29], 0, v[10:11]
	;; [unrolled: 1-line block ×5, first 2 shown]
	v_cndmask_b32_e64 v10, 0, 1, s[0:1]
	s_and_b64 s[0:1], s[14:15], s[20:21]
	v_cmp_eq_u64_e64 s[24:25], 3, v[18:19]
	v_and_b32_e32 v8, 3, v12
	v_lshrrev_b64 v[12:13], s49, v[14:15]
	v_cndmask_b32_e64 v11, 0, 1, s[0:1]
	s_and_b64 s[0:1], s[14:15], s[22:23]
	v_cmp_eq_u64_e64 s[16:17], s[74:75], v[46:47]
	v_cndmask_b32_e64 v13, 0, 1, s[0:1]
	s_and_b64 s[0:1], s[14:15], s[24:25]
	v_and_b32_e32 v28, s70, v26
	v_and_b32_e32 v26, s70, v14
	v_cndmask_b32_e64 v14, 0, 1, s[0:1]
	s_and_b64 s[0:1], s[16:17], s[28:29]
	v_cmp_eq_u64_e64 s[18:19], 0, v[8:9]
	v_cmp_eq_u64_e64 s[20:21], 1, v[8:9]
	;; [unrolled: 1-line block ×4, first 2 shown]
	v_cndmask_b32_e64 v8, 0, 1, s[0:1]
	s_and_b64 s[0:1], s[16:17], s[30:31]
	v_and_b32_e32 v29, s71, v27
	v_cndmask_b32_e64 v9, 0, 1, s[0:1]
	s_and_b64 s[0:1], s[16:17], s[34:35]
	v_cmp_eq_u64_e64 s[26:27], s[74:75], v[28:29]
	v_cmp_ne_u32_e64 s[38:39], 0, v10
	v_cndmask_b32_e64 v10, 0, 1, s[0:1]
	s_and_b64 s[0:1], s[16:17], s[36:37]
	v_and_b32_e32 v4, 3, v12
	v_cmp_ne_u32_e64 s[28:29], 0, v11
	v_cndmask_b32_e64 v11, 0, 1, s[0:1]
	s_and_b64 s[0:1], s[26:27], s[18:19]
	v_cmp_eq_u64_e64 s[16:17], 0, v[4:5]
	v_cmp_eq_u64_e64 s[36:37], 1, v[4:5]
	;; [unrolled: 1-line block ×4, first 2 shown]
	v_cndmask_b32_e64 v4, 0, 1, s[0:1]
	s_and_b64 s[0:1], s[26:27], s[20:21]
	v_and_b32_e32 v27, s71, v15
	v_cndmask_b32_e64 v5, 0, 1, s[0:1]
	s_and_b64 s[0:1], s[26:27], s[22:23]
	v_cmp_eq_u64_e64 s[14:15], s[74:75], v[26:27]
	s_bcnt1_i32_b64 s8, s[38:39]
	v_cmp_ne_u32_e64 s[38:39], 0, v8
	v_cndmask_b32_e64 v8, 0, 1, s[0:1]
	s_and_b64 s[0:1], s[26:27], s[24:25]
	v_cmp_ne_u32_e64 s[18:19], 0, v9
	v_cndmask_b32_e64 v9, 0, 1, s[0:1]
	s_and_b64 s[0:1], s[14:15], s[16:17]
	v_cmp_ne_u32_e64 s[24:25], 0, v4
	v_cndmask_b32_e64 v4, 0, 1, s[0:1]
	s_and_b64 s[0:1], s[14:15], s[36:37]
	v_cmp_ne_u32_e64 s[30:31], 0, v13
	v_cmp_ne_u32_e64 s[34:35], 0, v14
	;; [unrolled: 1-line block ×3, first 2 shown]
	v_cndmask_b32_e64 v5, 0, 1, s[0:1]
	s_and_b64 s[0:1], s[14:15], s[40:41]
	s_bcnt1_i32_b64 s9, s[28:29]
	s_bcnt1_i32_b64 s28, s[30:31]
	v_cmp_ne_u32_e64 s[20:21], 0, v10
	s_bcnt1_i32_b64 s29, s[34:35]
	v_cmp_ne_u32_e64 s[22:23], 0, v11
	;; [unrolled: 2-line block ×3, first 2 shown]
	v_cndmask_b32_e64 v8, 0, 1, s[0:1]
	s_and_b64 s[0:1], s[14:15], s[42:43]
	s_bcnt1_i32_b64 s26, s[38:39]
	s_add_i32 s8, s53, s8
	s_add_i32 s9, s52, s9
	s_bcnt1_i32_b64 s30, s[20:21]
	s_add_i32 s28, s51, s28
	s_bcnt1_i32_b64 s22, s[22:23]
	v_cmp_ne_u32_e64 s[20:21], 0, v9
	v_cndmask_b32_e64 v9, 0, 1, s[0:1]
	s_add_i32 s0, s50, s29
	s_bcnt1_i32_b64 s1, s[24:25]
	v_cmp_ne_u32_e64 s[14:15], 0, v4
	s_add_i32 s8, s8, s26
	s_bcnt1_i32_b64 s23, s[16:17]
	v_cmp_ne_u32_e64 s[16:17], 0, v5
	;; [unrolled: 3-line block ×4, first 2 shown]
	s_add_i32 s0, s0, s22
	s_bcnt1_i32_b64 s14, s[14:15]
	s_add_i32 s1, s8, s1
	s_bcnt1_i32_b64 s8, s[16:17]
	;; [unrolled: 2-line block ×4, first 2 shown]
	s_add_i32 s0, s0, s26
	s_add_i32 s53, s1, s14
	;; [unrolled: 1-line block ×5, first 2 shown]
	s_or_b64 s[46:47], vcc, s[46:47]
	v_mov_b32_e32 v8, s53
	v_mov_b32_e32 v9, s52
	;; [unrolled: 1-line block ×4, first 2 shown]
	s_andn2_b64 exec, exec, s[46:47]
	s_cbranch_execnz .LBB114_57
; %bb.58:                               ;   in Loop: Header=BB114_21 Depth=1
	s_or_b64 exec, exec, s[46:47]
	s_mov_b32 s50, s54
.LBB114_59:                             ;   in Loop: Header=BB114_21 Depth=1
	s_or_b64 exec, exec, s[44:45]
	v_pk_mov_b32 v[12:13], 0, 0
	s_and_saveexec_b64 s[14:15], s[10:11]
	s_cbranch_execz .LBB114_61
; %bb.60:                               ;   in Loop: Header=BB114_21 Depth=1
	global_load_dwordx2 v[12:13], v[24:25], off
.LBB114_61:                             ;   in Loop: Header=BB114_21 Depth=1
	s_or_b64 exec, exec, s[14:15]
	s_mov_b64 s[16:17], 0
	s_mov_b64 s[88:89], 0
	s_and_saveexec_b64 s[18:19], s[10:11]
	s_cbranch_execz .LBB114_68
; %bb.62:                               ;   in Loop: Header=BB114_21 Depth=1
	s_and_b32 s0, s87, 0xfe
	s_mov_b64 s[20:21], 0
	s_waitcnt vmcnt(0)
	v_mov_b32_e32 v4, v40
	v_mov_b32_e32 v2, v35
	s_branch .LBB114_64
.LBB114_63:                             ;   in Loop: Header=BB114_64 Depth=2
	s_or_b64 exec, exec, s[22:23]
	v_ashrrev_i32_e32 v5, 31, v13
	v_or_b32_e32 v18, 0x80000000, v5
	s_and_b64 s[8:9], exec, vcc
	v_xor_b32_e32 v18, v18, v13
	v_xor_b32_e32 v5, v5, v12
	v_cmp_o_f64_e32 vcc, v[12:13], v[12:13]
	v_cndmask_b32_e32 v13, -1, v18, vcc
	v_cndmask_b32_e32 v12, -1, v5, vcc
	v_and_b32_e32 v27, s71, v13
	v_and_b32_e32 v26, s70, v12
	v_lshrrev_b64 v[12:13], s0, v[12:13]
	v_and_b32_e32 v18, 3, v12
	s_or_b64 s[20:21], s[8:9], s[20:21]
	v_cmp_eq_u64_e32 vcc, s[74:75], v[26:27]
	v_cmp_eq_u64_e64 s[14:15], 0, v[18:19]
	s_and_b64 s[8:9], vcc, s[14:15]
	v_cndmask_b32_e64 v5, 0, 1, s[8:9]
	v_cmp_ne_u32_e64 s[14:15], 0, v5
	s_bcnt1_i32_b64 s1, s[14:15]
	v_cmp_eq_u64_e64 s[14:15], 1, v[18:19]
	s_and_b64 s[8:9], vcc, s[14:15]
	v_cndmask_b32_e64 v5, 0, 1, s[8:9]
	v_cmp_ne_u32_e64 s[14:15], 0, v5
	v_add_u32_e32 v8, s1, v8
	s_bcnt1_i32_b64 s1, s[14:15]
	v_cmp_eq_u64_e64 s[14:15], 2, v[18:19]
	s_and_b64 s[8:9], vcc, s[14:15]
	v_cndmask_b32_e64 v5, 0, 1, s[8:9]
	v_cmp_ne_u32_e64 s[14:15], 0, v5
	v_add_u32_e32 v9, s1, v9
	s_bcnt1_i32_b64 s1, s[14:15]
	v_cmp_eq_u64_e64 s[14:15], 3, v[18:19]
	s_and_b64 s[8:9], vcc, s[14:15]
	v_cndmask_b32_e64 v5, 0, 1, s[8:9]
	v_cmp_ne_u32_e32 vcc, 0, v5
	v_add_u32_e32 v10, s1, v10
	s_bcnt1_i32_b64 s1, vcc
	v_add_u32_e32 v11, s1, v11
	v_add_u32_e32 v4, s85, v4
	s_waitcnt vmcnt(0)
	v_pk_mov_b32 v[12:13], v[14:15], v[14:15] op_sel:[0,1]
	s_andn2_b64 exec, exec, s[20:21]
	s_cbranch_execz .LBB114_67
.LBB114_64:                             ;   Parent Loop BB114_21 Depth=1
                                        ; =>  This Inner Loop Header: Depth=2
	v_add_u32_e32 v2, s59, v2
	v_cmp_gt_u32_e64 s[14:15], s56, v2
	v_cmp_le_u32_e32 vcc, s56, v2
	v_pk_mov_b32 v[14:15], 0, 0
	s_and_saveexec_b64 s[22:23], s[14:15]
	s_cbranch_execz .LBB114_63
; %bb.65:                               ;   in Loop: Header=BB114_64 Depth=2
	v_mov_b32_e32 v5, v19
	v_lshlrev_b64 v[14:15], 3, v[4:5]
	v_mov_b32_e32 v5, s84
	v_add_co_u32_e64 v14, s[14:15], s57, v14
	v_addc_co_u32_e64 v15, s[14:15], v5, v15, s[14:15]
	global_load_dwordx2 v[14:15], v[14:15], off
	s_branch .LBB114_63
.LBB114_66:                             ;   in Loop: Header=BB114_21 Depth=1
	s_mov_b64 s[88:89], 0
                                        ; implicit-def: $vgpr11
	s_cbranch_execnz .LBB114_69
	s_branch .LBB114_78
.LBB114_67:                             ;   in Loop: Header=BB114_21 Depth=1
	s_or_b64 exec, exec, s[20:21]
	s_mov_b64 s[88:89], exec
.LBB114_68:                             ;   in Loop: Header=BB114_21 Depth=1
	s_or_b64 exec, exec, s[18:19]
	s_and_b64 vcc, exec, s[16:17]
	s_cbranch_vccz .LBB114_78
.LBB114_69:                             ;   in Loop: Header=BB114_21 Depth=1
	s_mul_hi_u32 s0, s77, s33
	s_mul_i32 s0, s0, s86
	s_sub_i32 s0, s77, s0
	s_sub_i32 s1, s0, s86
	s_cmp_ge_u32 s0, s86
	s_cselect_b32 s0, s1, s0
	s_sub_i32 s1, s0, s86
	s_cmp_ge_u32 s0, s86
	s_cselect_b32 s0, s1, s0
	s_sub_i32 s83, s77, s0
	v_cmp_gt_u32_e32 vcc, s83, v30
	s_mov_b32 s8, 0
	v_mov_b32_e32 v8, 0
	v_mov_b32_e32 v9, 0
	;; [unrolled: 1-line block ×4, first 2 shown]
	s_and_saveexec_b64 s[90:91], vcc
	s_cbranch_execz .LBB114_73
; %bb.70:                               ;   in Loop: Header=BB114_21 Depth=1
	s_mov_b32 s6, s50
	s_mov_b32 s76, s33
	s_and_b32 s9, s87, 0xfe
	s_mov_b64 s[92:93], 0
	v_mov_b32_e32 v2, v41
	s_mov_b32 s33, 0
	s_mov_b32 s0, 0
	s_mov_b32 s1, 0
	v_mov_b32_e32 v44, v30
.LBB114_71:                             ;   Parent Loop BB114_21 Depth=1
                                        ; =>  This Inner Loop Header: Depth=2
	s_waitcnt vmcnt(0)
	ds_read_b128 v[12:15], v2
	ds_read_b128 v[8:11], v2 offset:16
	v_mov_b32_e32 v5, v19
	v_mov_b32_e32 v27, v19
	;; [unrolled: 1-line block ×3, first 2 shown]
	s_waitcnt lgkmcnt(1)
	v_ashrrev_i32_e32 v4, 31, v13
	v_ashrrev_i32_e32 v18, 31, v15
	s_waitcnt lgkmcnt(0)
	v_ashrrev_i32_e32 v26, 31, v9
	v_ashrrev_i32_e32 v28, 31, v11
	v_xor_b32_e32 v45, v18, v14
	v_cmp_o_f64_e64 s[14:15], v[14:15], v[14:15]
	v_xor_b32_e32 v14, v26, v8
	v_cmp_o_f64_e64 s[16:17], v[8:9], v[8:9]
	v_or_b32_e32 v8, 0x80000000, v4
	v_xor_b32_e32 v46, v28, v10
	v_cmp_o_f64_e64 s[18:19], v[10:11], v[10:11]
	v_xor_b32_e32 v4, v4, v12
	v_or_b32_e32 v10, 0x80000000, v18
	v_or_b32_e32 v18, 0x80000000, v26
	v_cmp_o_f64_e64 s[20:21], v[12:13], v[12:13]
	v_xor_b32_e32 v13, v8, v13
	v_or_b32_e32 v26, 0x80000000, v28
	v_xor_b32_e32 v15, v10, v15
	v_xor_b32_e32 v18, v18, v9
	v_cndmask_b32_e64 v8, -1, v4, s[20:21]
	v_cndmask_b32_e64 v9, -1, v13, s[20:21]
	v_xor_b32_e32 v26, v26, v11
	v_cndmask_b32_e64 v10, -1, v45, s[14:15]
	v_cndmask_b32_e64 v12, -1, v14, s[16:17]
	v_cndmask_b32_e64 v14, -1, v46, s[18:19]
	v_cndmask_b32_e64 v11, -1, v15, s[14:15]
	v_and_b32_e32 v46, s70, v8
	v_and_b32_e32 v47, s71, v9
	v_lshrrev_b64 v[8:9], s9, v[8:9]
	v_cndmask_b32_e64 v13, -1, v18, s[16:17]
	v_and_b32_e32 v48, s70, v10
	v_and_b32_e32 v49, s71, v11
	v_lshrrev_b64 v[10:11], s9, v[10:11]
	v_and_b32_e32 v18, 3, v8
	v_cndmask_b32_e64 v15, -1, v26, s[18:19]
	v_and_b32_e32 v50, s70, v12
	v_and_b32_e32 v51, s71, v13
	v_lshrrev_b64 v[12:13], s9, v[12:13]
	v_cmp_eq_u64_e64 s[14:15], s[74:75], v[46:47]
	v_and_b32_e32 v4, 3, v10
	v_cmp_eq_u64_e64 s[22:23], 0, v[18:19]
	v_and_b32_e32 v52, s70, v14
	v_and_b32_e32 v53, s71, v15
	v_lshrrev_b64 v[14:15], s9, v[14:15]
	v_cmp_eq_u64_e64 s[16:17], s[74:75], v[48:49]
	v_and_b32_e32 v26, 3, v12
	v_cmp_eq_u64_e64 s[24:25], 0, v[4:5]
	s_and_b64 s[22:23], s[14:15], s[22:23]
	v_cmp_eq_u64_e64 s[18:19], s[74:75], v[50:51]
	v_and_b32_e32 v28, 3, v14
	v_cmp_eq_u64_e64 s[26:27], 0, v[26:27]
	v_cmp_eq_u64_e64 s[34:35], 1, v[4:5]
	;; [unrolled: 1-line block ×4, first 2 shown]
	v_cndmask_b32_e64 v4, 0, 1, s[22:23]
	s_and_b64 s[22:23], s[16:17], s[24:25]
	v_cmp_eq_u64_e64 s[20:21], s[74:75], v[52:53]
	v_cmp_eq_u64_e64 s[28:29], 0, v[28:29]
	v_cndmask_b32_e64 v5, 0, 1, s[22:23]
	s_and_b64 s[22:23], s[18:19], s[26:27]
	v_cmp_eq_u64_e64 s[30:31], 1, v[18:19]
	v_cndmask_b32_e64 v8, 0, 1, s[22:23]
	s_and_b64 s[22:23], s[20:21], s[28:29]
	v_cndmask_b32_e64 v9, 0, 1, s[22:23]
	s_and_b64 s[22:23], s[14:15], s[30:31]
	v_cmp_eq_u64_e64 s[36:37], 1, v[26:27]
	v_cndmask_b32_e64 v10, 0, 1, s[22:23]
	s_and_b64 s[22:23], s[16:17], s[34:35]
	v_cmp_eq_u64_e64 s[38:39], 1, v[28:29]
	;; [unrolled: 3-line block ×3, first 2 shown]
	v_cmp_eq_u64_e64 s[48:49], 3, v[18:19]
	v_cndmask_b32_e64 v12, 0, 1, s[22:23]
	s_and_b64 s[22:23], s[20:21], s[38:39]
	v_cndmask_b32_e64 v13, 0, 1, s[22:23]
	s_and_b64 s[22:23], s[14:15], s[40:41]
	s_and_b64 s[14:15], s[14:15], s[48:49]
	v_cmp_eq_u64_e64 s[44:45], 2, v[26:27]
	v_cmp_eq_u64_e64 s[52:53], 3, v[26:27]
	v_cndmask_b32_e64 v14, 0, 1, s[22:23]
	s_and_b64 s[22:23], s[16:17], s[42:43]
	v_cndmask_b32_e64 v27, 0, 1, s[14:15]
	s_and_b64 s[14:15], s[16:17], s[50:51]
	v_cmp_eq_u64_e64 s[46:47], 2, v[28:29]
	v_cmp_eq_u64_e64 s[54:55], 3, v[28:29]
	v_cndmask_b32_e64 v15, 0, 1, s[22:23]
	s_and_b64 s[22:23], s[18:19], s[44:45]
	v_cndmask_b32_e64 v28, 0, 1, s[14:15]
	s_and_b64 s[14:15], s[18:19], s[52:53]
	;; [unrolled: 2-line block ×4, first 2 shown]
	v_cndmask_b32_e64 v26, 0, 1, s[22:23]
	v_cndmask_b32_e64 v45, 0, 1, s[14:15]
	v_cmp_ne_u32_e64 s[14:15], 0, v4
	v_cmp_ne_u32_e64 s[16:17], 0, v5
	;; [unrolled: 1-line block ×11, first 2 shown]
	s_bcnt1_i32_b64 s14, s[14:15]
	s_bcnt1_i32_b64 s15, s[16:17]
	;; [unrolled: 1-line block ×8, first 2 shown]
	v_cmp_ne_u32_e64 s[28:29], 0, v13
	v_cmp_ne_u32_e64 s[36:37], 0, v18
	;; [unrolled: 1-line block ×3, first 2 shown]
	s_bcnt1_i32_b64 s19, s[24:25]
	s_bcnt1_i32_b64 s23, s[34:35]
	;; [unrolled: 1-line block ×3, first 2 shown]
	s_add_i32 s1, s1, s14
	s_add_i32 s0, s0, s18
	;; [unrolled: 1-line block ×4, first 2 shown]
	v_cmp_ne_u32_e64 s[38:39], 0, v26
	v_cmp_ne_u32_e64 s[46:47], 0, v45
	s_bcnt1_i32_b64 s21, s[28:29]
	s_bcnt1_i32_b64 s24, s[36:37]
	;; [unrolled: 1-line block ×3, first 2 shown]
	s_add_i32 s1, s1, s15
	s_add_i32 s0, s0, s19
	;; [unrolled: 1-line block ×4, first 2 shown]
	v_add_u32_e32 v44, s86, v44
	s_bcnt1_i32_b64 s25, s[38:39]
	s_bcnt1_i32_b64 s29, s[46:47]
	s_add_i32 s1, s1, s16
	s_add_i32 s0, s0, s20
	;; [unrolled: 1-line block ×4, first 2 shown]
	v_cmp_le_u32_e32 vcc, s83, v44
	s_add_i32 s1, s1, s17
	s_add_i32 s0, s0, s21
	;; [unrolled: 1-line block ×4, first 2 shown]
	v_add_u32_e32 v2, s2, v2
	s_or_b64 s[92:93], vcc, s[92:93]
	v_mov_b32_e32 v8, s1
	v_mov_b32_e32 v9, s0
	;; [unrolled: 1-line block ×4, first 2 shown]
	s_andn2_b64 exec, exec, s[92:93]
	s_cbranch_execnz .LBB114_71
; %bb.72:                               ;   in Loop: Header=BB114_21 Depth=1
	s_or_b64 exec, exec, s[92:93]
	s_mov_b32 s33, s76
	s_mov_b32 s50, s6
.LBB114_73:                             ;   in Loop: Header=BB114_21 Depth=1
	s_or_b64 exec, exec, s[90:91]
	v_add_u32_e32 v2, s83, v0
	v_cmp_gt_u32_e32 vcc, s77, v2
	s_and_saveexec_b64 s[24:25], vcc
	s_cbranch_execz .LBB114_77
; %bb.74:                               ;   in Loop: Header=BB114_21 Depth=1
	s_and_b32 s0, s87, 0xfe
	s_waitcnt vmcnt(0)
	v_lshlrev_b32_e32 v4, 3, v2
	s_mov_b64 s[26:27], 0
.LBB114_75:                             ;   Parent Loop BB114_21 Depth=1
                                        ; =>  This Inner Loop Header: Depth=2
	ds_read_b64 v[12:13], v4
	v_add_u32_e32 v2, s59, v2
	v_cmp_le_u32_e32 vcc, s77, v2
	v_add_u32_e32 v4, s3, v4
	s_waitcnt lgkmcnt(0)
	v_ashrrev_i32_e32 v5, 31, v13
	v_or_b32_e32 v14, 0x80000000, v5
	v_xor_b32_e32 v5, v5, v12
	v_cmp_o_f64_e64 s[14:15], v[12:13], v[12:13]
	v_xor_b32_e32 v13, v14, v13
	v_cndmask_b32_e64 v12, -1, v5, s[14:15]
	v_cndmask_b32_e64 v13, -1, v13, s[14:15]
	v_and_b32_e32 v14, s70, v12
	v_and_b32_e32 v15, s71, v13
	v_lshrrev_b64 v[12:13], s0, v[12:13]
	v_and_b32_e32 v18, 3, v12
	v_cmp_eq_u64_e64 s[14:15], s[74:75], v[14:15]
	v_cmp_eq_u64_e64 s[16:17], 0, v[18:19]
	;; [unrolled: 1-line block ×3, first 2 shown]
	s_and_b64 s[8:9], s[14:15], s[16:17]
	v_cmp_eq_u64_e64 s[20:21], 2, v[18:19]
	v_cndmask_b32_e64 v5, 0, 1, s[8:9]
	s_and_b64 s[8:9], s[14:15], s[18:19]
	v_cmp_eq_u64_e64 s[22:23], 3, v[18:19]
	v_cndmask_b32_e64 v12, 0, 1, s[8:9]
	s_and_b64 s[8:9], s[14:15], s[20:21]
	v_cndmask_b32_e64 v13, 0, 1, s[8:9]
	s_and_b64 s[8:9], s[14:15], s[22:23]
	v_cndmask_b32_e64 v14, 0, 1, s[8:9]
	v_cmp_ne_u32_e64 s[14:15], 0, v5
	v_cmp_ne_u32_e64 s[16:17], 0, v12
	;; [unrolled: 1-line block ×4, first 2 shown]
	s_bcnt1_i32_b64 s1, s[14:15]
	s_bcnt1_i32_b64 s8, s[16:17]
	;; [unrolled: 1-line block ×4, first 2 shown]
	v_add_u32_e32 v8, s1, v8
	v_add_u32_e32 v9, s8, v9
	;; [unrolled: 1-line block ×3, first 2 shown]
	s_or_b64 s[26:27], vcc, s[26:27]
	v_add_u32_e32 v11, s14, v11
	s_andn2_b64 exec, exec, s[26:27]
	s_cbranch_execnz .LBB114_75
; %bb.76:                               ;   in Loop: Header=BB114_21 Depth=1
	s_or_b64 exec, exec, s[26:27]
	s_or_b64 s[88:89], s[88:89], exec
.LBB114_77:                             ;   in Loop: Header=BB114_21 Depth=1
	s_or_b64 exec, exec, s[24:25]
.LBB114_78:                             ;   in Loop: Header=BB114_21 Depth=1
	s_and_saveexec_b64 s[14:15], s[88:89]
	s_or_b64 exec, exec, s[14:15]
	s_lshl_b32 s0, s13, 6
	s_and_saveexec_b64 s[14:15], s[4:5]
	s_cbranch_execz .LBB114_80
; %bb.79:                               ;   in Loop: Header=BB114_21 Depth=1
	v_or_b32_e32 v2, s0, v33
	v_lshlrev_b32_e32 v2, 2, v2
	ds_write_b128 v2, v[8:11] offset:3072
.LBB114_80:                             ;   in Loop: Header=BB114_21 Depth=1
	s_or_b64 exec, exec, s[14:15]
	s_waitcnt lgkmcnt(0)
	s_barrier
	s_and_saveexec_b64 s[14:15], s[78:79]
	s_cbranch_execz .LBB114_94
; %bb.81:                               ;   in Loop: Header=BB114_21 Depth=1
	v_readlane_b32 s8, v54, 28
	v_readlane_b32 s9, v54, 29
	v_add_u32_e32 v2, s0, v23
	s_andn2_b64 vcc, exec, s[8:9]
	s_waitcnt vmcnt(0)
	v_mov_b32_e32 v4, 0
	s_cbranch_vccnz .LBB114_93
; %bb.82:                               ;   in Loop: Header=BB114_21 Depth=1
	v_readlane_b32 s8, v54, 32
	v_readlane_b32 s9, v54, 33
	s_mov_b32 s1, 0
	s_and_b64 vcc, exec, s[8:9]
	v_mov_b32_e32 v4, 0
	s_cbranch_vccz .LBB114_86
; %bb.83:                               ;   in Loop: Header=BB114_21 Depth=1
	v_readlane_b32 s8, v54, 36
	v_readlane_b32 s9, v54, 37
	v_lshl_add_u32 v8, v2, 2, v43
	s_andn2_b64 vcc, exec, s[8:9]
	s_cbranch_vccnz .LBB114_87
; %bb.84:                               ;   in Loop: Header=BB114_21 Depth=1
	s_mov_b32 s17, 1
	s_mov_b32 s16, 0
	v_mov_b32_e32 v4, 0
	v_readlane_b32 s1, v54, 38
	v_mov_b32_e32 v5, 0
.LBB114_85:                             ;   Parent Loop BB114_21 Depth=1
                                        ; =>  This Inner Loop Header: Depth=2
	v_lshl_add_u32 v9, s16, 4, v8
	v_lshl_add_u32 v18, s17, 4, v8
	ds_read2_b32 v[10:11], v9 offset1:8
	ds_read2_b32 v[12:13], v18 offset1:8
	ds_read2_b32 v[14:15], v9 offset0:16 offset1:24
	ds_read2_b32 v[26:27], v18 offset0:16 offset1:24
	;; [unrolled: 1-line block ×6, first 2 shown]
	s_waitcnt lgkmcnt(7)
	v_add3_u32 v4, v10, v4, v11
	s_waitcnt lgkmcnt(6)
	v_add3_u32 v5, v12, v5, v13
	;; [unrolled: 2-line block ×3, first 2 shown]
	v_add3_u32 v4, v14, v4, v15
	s_add_i32 s17, s17, 16
	s_add_i32 s16, s16, 16
	s_add_i32 s1, s1, -8
	s_waitcnt lgkmcnt(3)
	v_add3_u32 v4, v28, v4, v29
	s_waitcnt lgkmcnt(2)
	v_add3_u32 v5, v44, v5, v45
	s_cmp_lg_u32 s1, 0
	s_waitcnt lgkmcnt(0)
	v_add3_u32 v5, v48, v5, v49
	v_add3_u32 v4, v46, v4, v47
	s_cbranch_scc1 .LBB114_85
	s_branch .LBB114_88
.LBB114_86:                             ;   in Loop: Header=BB114_21 Depth=1
	s_cbranch_execnz .LBB114_91
	s_branch .LBB114_93
.LBB114_87:                             ;   in Loop: Header=BB114_21 Depth=1
	s_mov_b32 s51, s50
	v_pk_mov_b32 v[4:5], s[50:51], s[50:51] op_sel:[0,1]
	s_mov_b32 s51, 1
	s_mov_b64 s[16:17], s[50:51]
.LBB114_88:                             ;   in Loop: Header=BB114_21 Depth=1
	v_readlane_b32 s8, v54, 40
	v_readlane_b32 s9, v54, 41
	s_andn2_b64 vcc, exec, s[8:9]
	v_readlane_b32 s1, v54, 39
	s_cbranch_vccnz .LBB114_90
.LBB114_89:                             ;   Parent Loop BB114_21 Depth=1
                                        ; =>  This Inner Loop Header: Depth=2
	v_lshl_add_u32 v9, s16, 4, v8
	v_lshl_add_u32 v10, s17, 4, v8
	ds_read_b32 v10, v10
	ds_read_b32 v9, v9
	s_add_i32 s17, s17, 2
	s_add_i32 s16, s16, 2
	s_add_i32 s1, s1, -1
	s_cmp_lg_u32 s1, 0
	s_waitcnt lgkmcnt(1)
	v_add_u32_e32 v5, v10, v5
	s_waitcnt lgkmcnt(0)
	v_add_u32_e32 v4, v9, v4
	s_cbranch_scc1 .LBB114_89
.LBB114_90:                             ;   in Loop: Header=BB114_21 Depth=1
	v_readlane_b32 s16, v54, 44
	v_add_u32_e32 v4, v4, v5
	v_readlane_b32 s1, v54, 43
	v_readlane_b32 s17, v54, 45
	s_and_b64 vcc, exec, s[16:17]
	s_cbranch_vccz .LBB114_93
.LBB114_91:                             ;   in Loop: Header=BB114_21 Depth=1
	s_lshl_b32 s8, s13, 8
	s_lshl_b32 s9, s1, 4
	s_add_i32 s8, s8, s9
	v_add_u32_e32 v5, s8, v42
	v_readlane_b32 s8, v54, 42
	s_sub_i32 s1, s8, s1
.LBB114_92:                             ;   Parent Loop BB114_21 Depth=1
                                        ; =>  This Inner Loop Header: Depth=2
	ds_read_b32 v8, v5
	s_add_i32 s1, s1, -1
	v_add_u32_e32 v5, 16, v5
	s_cmp_eq_u32 s1, 0
	s_waitcnt lgkmcnt(0)
	v_add_u32_e32 v4, v8, v4
	s_cbranch_scc0 .LBB114_92
.LBB114_93:                             ;   in Loop: Header=BB114_21 Depth=1
	v_lshlrev_b32_e32 v2, 2, v2
	ds_write_b32 v2, v4 offset:3072
.LBB114_94:                             ;   in Loop: Header=BB114_21 Depth=1
	s_or_b64 exec, exec, s[14:15]
	s_lshl_b32 s0, s0, 2
	v_mov_b32_e32 v2, s0
	s_waitcnt lgkmcnt(0)
	s_barrier
	ds_read_b128 v[8:11], v2 offset:3072
	s_and_b32 s47, s87, 0xfe
	s_lshl_b64 s[16:17], 3, s47
	s_not_b64 s[26:27], s[16:17]
	s_mov_b64 s[20:21], -1
	s_waitcnt lgkmcnt(0)
	v_readfirstlane_b32 s34, v8
	s_cmp_eq_u32 s34, 1
	s_cselect_b64 s[0:1], -1, 0
	s_cmp_eq_u32 s82, 1
	s_cselect_b64 s[8:9], -1, 0
	s_and_b64 s[22:23], s[0:1], s[8:9]
	v_readfirstlane_b32 s38, v9
	v_readfirstlane_b32 s46, v10
	v_readfirstlane_b32 s52, v11
	s_and_b64 vcc, exec, s[22:23]
	s_cbranch_vccz .LBB114_106
; %bb.95:                               ;   in Loop: Header=BB114_21 Depth=1
	ds_read_b32 v2, v19 offset:4104
	v_readlane_b32 s6, v54, 34
	v_readlane_b32 s7, v54, 35
	s_waitcnt lgkmcnt(0)
	s_barrier
	v_readfirstlane_b32 s0, v2
	s_and_saveexec_b64 s[14:15], s[6:7]
	s_cbranch_execz .LBB114_97
; %bb.96:                               ;   in Loop: Header=BB114_21 Depth=1
	v_mov_b32_e32 v18, v19
	ds_write_b64 v32, v[18:19]
.LBB114_97:                             ;   in Loop: Header=BB114_21 Depth=1
	s_or_b64 exec, exec, s[14:15]
	s_and_b64 s[74:75], s[74:75], s[26:27]
	s_or_b64 s[70:71], s[70:71], s[16:17]
	s_cmp_eq_u32 s0, 0
	s_waitcnt lgkmcnt(0)
	s_barrier
	s_cbranch_scc1 .LBB114_107
; %bb.98:                               ;   in Loop: Header=BB114_21 Depth=1
	v_readlane_b32 s1, v54, 25
	s_add_i32 s1, s0, s1
	v_readlane_b32 s6, v54, 48
	s_mul_hi_u32 s8, s1, s6
	s_mul_i32 s8, s8, s59
	s_sub_i32 s8, s1, s8
	s_sub_i32 s9, s8, s59
	s_cmp_ge_u32 s8, s59
	s_cselect_b32 s8, s9, s8
	s_sub_i32 s9, s8, s59
	s_cmp_ge_u32 s8, s59
	s_cselect_b32 s8, s9, s8
	s_sub_i32 s1, s1, s8
	v_cmp_gt_u32_e32 vcc, s1, v0
	s_mov_b64 s[14:15], 0
                                        ; implicit-def: $vgpr6_vgpr7
	s_and_saveexec_b64 s[18:19], vcc
	s_cbranch_execz .LBB114_109
; %bb.99:                               ;   in Loop: Header=BB114_21 Depth=1
	s_mov_b64 s[28:29], 0
	v_mov_b32_e32 v8, v31
	v_mov_b32_e32 v9, v0
                                        ; implicit-def: $sgpr24_sgpr25
	s_branch .LBB114_101
.LBB114_100:                            ;   in Loop: Header=BB114_101 Depth=2
	s_or_b64 exec, exec, s[14:15]
	s_waitcnt lgkmcnt(0)
	s_barrier
	ds_read_b128 v[4:7], v19 offset:3072
	v_add_u32_e32 v9, s59, v9
	v_cmp_le_u32_e64 s[14:15], s1, v9
	v_add_u32_e32 v8, s3, v8
	s_waitcnt lgkmcnt(0)
	v_cmp_neq_f64_e32 vcc, 0, v[4:5]
	s_or_b64 s[8:9], s[14:15], vcc
	s_and_b64 s[8:9], exec, s[8:9]
	s_or_b64 s[28:29], s[8:9], s[28:29]
	s_andn2_b64 s[8:9], s[24:25], exec
	s_and_b64 s[14:15], vcc, exec
	s_or_b64 s[24:25], s[8:9], s[14:15]
	s_barrier
	s_andn2_b64 exec, exec, s[28:29]
	s_cbranch_execz .LBB114_108
.LBB114_101:                            ;   Parent Loop BB114_21 Depth=1
                                        ; =>  This Inner Loop Header: Depth=2
	v_cmp_gt_u32_e32 vcc, s0, v9
	s_waitcnt vmcnt(0)
	v_pk_mov_b32 v[4:5], 0, 0
	s_and_saveexec_b64 s[14:15], vcc
	s_cbranch_execz .LBB114_103
; %bb.102:                              ;   in Loop: Header=BB114_101 Depth=2
	ds_read_b64 v[4:5], v8
.LBB114_103:                            ;   in Loop: Header=BB114_101 Depth=2
	s_or_b64 exec, exec, s[14:15]
	s_and_saveexec_b64 s[14:15], vcc
	s_cbranch_execz .LBB114_100
; %bb.104:                              ;   in Loop: Header=BB114_101 Depth=2
	s_waitcnt lgkmcnt(0)
	v_ashrrev_i32_e32 v2, 31, v5
	v_or_b32_e32 v6, 0x80000000, v2
	v_xor_b32_e32 v6, v6, v5
	v_xor_b32_e32 v2, v2, v4
	v_cmp_o_f64_e32 vcc, v[4:5], v[4:5]
	v_cndmask_b32_e32 v6, -1, v6, vcc
	v_cndmask_b32_e32 v2, -1, v2, vcc
	v_and_b32_e32 v7, s71, v6
	v_and_b32_e32 v6, s70, v2
	v_cmp_eq_u64_e32 vcc, s[74:75], v[6:7]
	s_and_b64 exec, exec, vcc
	s_cbranch_execz .LBB114_100
; %bb.105:                              ;   in Loop: Header=BB114_101 Depth=2
	v_mov_b32_e32 v2, v19
	ds_write_b128 v19, v[2:5] offset:3072
	s_branch .LBB114_100
.LBB114_106:                            ;   in Loop: Header=BB114_21 Depth=1
	s_mov_b64 s[14:15], -1
                                        ; implicit-def: $sgpr18_sgpr19
                                        ; implicit-def: $sgpr28_sgpr29
                                        ; implicit-def: $sgpr24_sgpr25
	s_branch .LBB114_120
.LBB114_107:                            ;   in Loop: Header=BB114_21 Depth=1
	s_mov_b64 s[18:19], -1
	s_mov_b64 s[14:15], 0
                                        ; implicit-def: $sgpr24_sgpr25
                                        ; implicit-def: $vgpr6_vgpr7
	s_mov_b64 s[28:29], s[18:19]
	s_cbranch_execnz .LBB114_110
	s_branch .LBB114_120
.LBB114_108:                            ;   in Loop: Header=BB114_21 Depth=1
	s_or_b64 exec, exec, s[28:29]
	s_and_b64 s[14:15], s[24:25], exec
.LBB114_109:                            ;   in Loop: Header=BB114_21 Depth=1
	s_or_b64 exec, exec, s[18:19]
	s_mov_b64 s[24:25], -1
	s_mov_b64 s[18:19], 0
	s_mov_b64 s[28:29], s[18:19]
	s_branch .LBB114_120
.LBB114_110:                            ;   in Loop: Header=BB114_21 Depth=1
	s_mov_b64 s[14:15], 0
                                        ; implicit-def: $vgpr6_vgpr7
	s_mov_b64 s[18:19], exec
	v_readlane_b32 s0, v54, 49
	v_readlane_b32 s1, v54, 50
	s_and_b64 s[0:1], s[18:19], s[0:1]
	s_mov_b64 exec, s[0:1]
	s_cbranch_execz .LBB114_119
; %bb.111:                              ;   in Loop: Header=BB114_21 Depth=1
	s_mov_b64 s[28:29], 0
	v_mov_b32_e32 v18, v16
	v_mov_b32_e32 v8, v0
                                        ; implicit-def: $sgpr24_sgpr25
	s_branch .LBB114_113
.LBB114_112:                            ;   in Loop: Header=BB114_113 Depth=2
	s_or_b64 exec, exec, s[14:15]
	s_waitcnt lgkmcnt(0)
	s_barrier
	s_waitcnt vmcnt(0)
	ds_read_b128 v[4:7], v19 offset:3072
	v_add_u32_e32 v8, s59, v8
	v_cmp_le_u32_e64 s[14:15], s80, v8
	v_add_u32_e32 v18, s85, v18
	s_waitcnt lgkmcnt(0)
	v_cmp_neq_f64_e32 vcc, 0, v[4:5]
	s_or_b64 s[0:1], s[14:15], vcc
	s_and_b64 s[0:1], exec, s[0:1]
	s_or_b64 s[28:29], s[0:1], s[28:29]
	s_andn2_b64 s[0:1], s[24:25], exec
	s_and_b64 s[8:9], vcc, exec
	s_or_b64 s[24:25], s[0:1], s[8:9]
	s_barrier
	s_andn2_b64 exec, exec, s[28:29]
	s_cbranch_execz .LBB114_118
.LBB114_113:                            ;   Parent Loop BB114_21 Depth=1
                                        ; =>  This Inner Loop Header: Depth=2
	v_cmp_gt_u32_e32 vcc, s56, v8
	s_waitcnt vmcnt(0)
	v_pk_mov_b32 v[4:5], 0, 0
	s_and_saveexec_b64 s[30:31], vcc
	s_cbranch_execz .LBB114_115
; %bb.114:                              ;   in Loop: Header=BB114_113 Depth=2
	v_lshlrev_b64 v[4:5], 3, v[18:19]
	v_mov_b32_e32 v2, s84
	v_add_co_u32_e64 v4, s[14:15], s57, v4
	v_addc_co_u32_e64 v5, s[14:15], v2, v5, s[14:15]
	global_load_dwordx2 v[4:5], v[4:5], off
.LBB114_115:                            ;   in Loop: Header=BB114_113 Depth=2
	s_or_b64 exec, exec, s[30:31]
	s_and_saveexec_b64 s[14:15], vcc
	s_cbranch_execz .LBB114_112
; %bb.116:                              ;   in Loop: Header=BB114_113 Depth=2
	s_waitcnt vmcnt(0)
	v_ashrrev_i32_e32 v2, 31, v5
	v_or_b32_e32 v6, 0x80000000, v2
	v_xor_b32_e32 v6, v6, v5
	v_xor_b32_e32 v2, v2, v4
	v_cmp_o_f64_e32 vcc, v[4:5], v[4:5]
	v_cndmask_b32_e32 v6, -1, v6, vcc
	v_cndmask_b32_e32 v2, -1, v2, vcc
	v_and_b32_e32 v7, s71, v6
	v_and_b32_e32 v6, s70, v2
	v_cmp_eq_u64_e32 vcc, s[74:75], v[6:7]
	s_and_b64 exec, exec, vcc
	s_cbranch_execz .LBB114_112
; %bb.117:                              ;   in Loop: Header=BB114_113 Depth=2
	v_mov_b32_e32 v2, v19
	ds_write_b128 v19, v[2:5] offset:3072
	s_branch .LBB114_112
.LBB114_118:                            ;   in Loop: Header=BB114_21 Depth=1
	s_or_b64 exec, exec, s[28:29]
	s_and_b64 s[14:15], s[24:25], exec
.LBB114_119:                            ;   in Loop: Header=BB114_21 Depth=1
	s_or_b64 exec, exec, s[18:19]
	s_mov_b64 s[28:29], -1
	s_mov_b64 s[18:19], 0
	s_mov_b64 s[24:25], 0
.LBB114_120:                            ;   in Loop: Header=BB114_21 Depth=1
	s_andn2_b64 s[0:1], s[66:67], exec
	s_and_b64 s[8:9], s[18:19], exec
	s_or_b64 s[66:67], s[0:1], s[8:9]
	s_andn2_b64 s[0:1], s[64:65], exec
	s_and_b64 s[8:9], s[28:29], exec
	s_or_b64 s[64:65], s[0:1], s[8:9]
	s_andn2_b64 s[0:1], s[72:73], exec
	s_and_b64 s[8:9], s[24:25], exec
	s_or_b64 s[72:73], s[0:1], s[8:9]
	s_and_saveexec_b64 s[18:19], s[14:15]
	s_cbranch_execz .LBB114_20
; %bb.121:                              ;   in Loop: Header=BB114_21 Depth=1
	s_xor_b64 s[0:1], s[22:23], -1
	s_mov_b64 s[14:15], 0
	s_andn2_b64 vcc, exec, s[0:1]
	s_mov_b32 s39, 1
	s_cbranch_vccnz .LBB114_132
; %bb.122:                              ;   in Loop: Header=BB114_21 Depth=1
	s_cmp_gt_u32 s82, s34
	s_mov_b64 s[14:15], -1
                                        ; implicit-def: $sgpr54
                                        ; implicit-def: $sgpr20_sgpr21
                                        ; implicit-def: $sgpr22_sgpr23
	s_cbranch_scc1 .LBB114_128
; %bb.123:                              ;   in Loop: Header=BB114_21 Depth=1
	ds_read_b32 v2, v19 offset:4104
	s_waitcnt lgkmcnt(0)
	v_cmp_ne_u32_e32 vcc, 0, v2
	s_cbranch_vccnz .LBB114_127
; %bb.124:                              ;   in Loop: Header=BB114_21 Depth=1
	s_mov_b64 s[14:15], exec
	v_readlane_b32 s0, v54, 23
	v_readlane_b32 s1, v54, 24
	s_and_b64 s[0:1], s[14:15], s[0:1]
	s_mov_b64 exec, s[0:1]
	s_cbranch_execz .LBB114_126
; %bb.125:                              ;   in Loop: Header=BB114_21 Depth=1
	v_mov_b32_e32 v2, s34
	ds_write_b32 v19, v2 offset:4108
.LBB114_126:                            ;   in Loop: Header=BB114_21 Depth=1
	s_or_b64 exec, exec, s[14:15]
	s_waitcnt lgkmcnt(0)
	s_barrier
.LBB114_127:                            ;   in Loop: Header=BB114_21 Depth=1
	s_and_b64 s[20:21], s[74:75], s[26:27]
	s_or_b64 s[22:23], s[70:71], s[16:17]
	s_mov_b64 s[14:15], 0
	s_mov_b32 s54, 8
.LBB114_128:                            ;   in Loop: Header=BB114_21 Depth=1
	s_andn2_b64 vcc, exec, s[14:15]
	s_cbranch_vccnz .LBB114_130
; %bb.129:                              ;   in Loop: Header=BB114_21 Depth=1
	s_sub_i32 s82, s82, s34
	s_mov_b64 s[14:15], -1
	s_mov_b32 s54, 0
	s_mov_b64 s[20:21], s[74:75]
	s_mov_b64 s[22:23], s[70:71]
.LBB114_130:                            ;   in Loop: Header=BB114_21 Depth=1
	s_mov_b64 s[70:71], s[22:23]
	s_mov_b64 s[74:75], s[20:21]
	s_mov_b32 s39, s82
	s_mov_b64 s[20:21], -1
	s_and_b64 vcc, exec, s[14:15]
	s_cbranch_vccnz .LBB114_133
.LBB114_131:                            ;   in Loop: Header=BB114_21 Depth=1
	s_mov_b64 s[36:37], -1
                                        ; implicit-def: $sgpr22_sgpr23
                                        ; implicit-def: $sgpr28_sgpr29
                                        ; implicit-def: $sgpr24_sgpr25
                                        ; implicit-def: $sgpr82
	s_and_saveexec_b64 s[0:1], s[36:37]
	s_xor_b64 s[14:15], exec, s[0:1]
	s_cbranch_execz .LBB114_19
	s_branch .LBB114_256
.LBB114_132:                            ;   in Loop: Header=BB114_21 Depth=1
	s_mov_b32 s54, 1
	s_mov_b64 s[20:21], -1
	s_and_b64 vcc, exec, s[14:15]
	s_cbranch_vccz .LBB114_131
.LBB114_133:                            ;   in Loop: Header=BB114_21 Depth=1
	s_cmp_eq_u32 s38, 1
	s_cselect_b64 s[0:1], -1, 0
	s_cmp_eq_u32 s39, 1
	s_cselect_b64 s[8:9], -1, 0
	s_and_b64 s[34:35], s[0:1], s[8:9]
	s_mov_b64 s[14:15], -1
	s_and_b64 vcc, exec, s[34:35]
	s_cbranch_vccz .LBB114_145
; %bb.134:                              ;   in Loop: Header=BB114_21 Depth=1
	ds_read_b32 v2, v19 offset:4104
	v_readlane_b32 s6, v54, 34
	v_readlane_b32 s7, v54, 35
	s_waitcnt lgkmcnt(0)
	s_barrier
	v_readfirstlane_b32 s0, v2
	s_and_saveexec_b64 s[14:15], s[6:7]
	s_cbranch_execz .LBB114_136
; %bb.135:                              ;   in Loop: Header=BB114_21 Depth=1
	v_mov_b32_e32 v18, v19
	ds_write_b64 v32, v[18:19]
.LBB114_136:                            ;   in Loop: Header=BB114_21 Depth=1
	s_or_b64 exec, exec, s[14:15]
	s_lshl_b64 s[8:9], 1, s47
	s_and_b64 s[14:15], s[74:75], s[26:27]
	s_or_b64 s[74:75], s[14:15], s[8:9]
	s_or_b64 s[70:71], s[70:71], s[16:17]
	s_cmp_eq_u32 s0, 0
	s_waitcnt lgkmcnt(0)
	s_barrier
	s_cbranch_scc1 .LBB114_146
; %bb.137:                              ;   in Loop: Header=BB114_21 Depth=1
	v_readlane_b32 s1, v54, 25
	s_add_i32 s1, s0, s1
	v_readlane_b32 s6, v54, 48
	s_mul_hi_u32 s8, s1, s6
	s_mul_i32 s8, s8, s59
	s_sub_i32 s8, s1, s8
	s_sub_i32 s9, s8, s59
	s_cmp_ge_u32 s8, s59
	s_cselect_b32 s8, s9, s8
	s_sub_i32 s9, s8, s59
	s_cmp_ge_u32 s8, s59
	s_cselect_b32 s8, s9, s8
	s_sub_i32 s1, s1, s8
	v_cmp_gt_u32_e32 vcc, s1, v0
	s_mov_b64 s[14:15], 0
                                        ; implicit-def: $vgpr6_vgpr7
	s_and_saveexec_b64 s[22:23], vcc
	s_cbranch_execz .LBB114_148
; %bb.138:                              ;   in Loop: Header=BB114_21 Depth=1
	s_mov_b64 s[28:29], 0
	v_mov_b32_e32 v8, v31
	v_mov_b32_e32 v9, v0
                                        ; implicit-def: $sgpr24_sgpr25
	s_branch .LBB114_140
.LBB114_139:                            ;   in Loop: Header=BB114_140 Depth=2
	s_or_b64 exec, exec, s[14:15]
	s_waitcnt lgkmcnt(0)
	s_barrier
	ds_read_b128 v[4:7], v19 offset:3072
	v_add_u32_e32 v9, s59, v9
	v_cmp_le_u32_e64 s[14:15], s1, v9
	v_add_u32_e32 v8, s3, v8
	s_waitcnt lgkmcnt(0)
	v_cmp_neq_f64_e32 vcc, 0, v[4:5]
	s_or_b64 s[8:9], s[14:15], vcc
	s_and_b64 s[8:9], exec, s[8:9]
	s_or_b64 s[28:29], s[8:9], s[28:29]
	s_andn2_b64 s[8:9], s[24:25], exec
	s_and_b64 s[14:15], vcc, exec
	s_or_b64 s[24:25], s[8:9], s[14:15]
	s_barrier
	s_andn2_b64 exec, exec, s[28:29]
	s_cbranch_execz .LBB114_147
.LBB114_140:                            ;   Parent Loop BB114_21 Depth=1
                                        ; =>  This Inner Loop Header: Depth=2
	v_cmp_gt_u32_e32 vcc, s0, v9
	s_waitcnt vmcnt(0)
	v_pk_mov_b32 v[4:5], 0, 0
	s_and_saveexec_b64 s[14:15], vcc
	s_cbranch_execz .LBB114_142
; %bb.141:                              ;   in Loop: Header=BB114_140 Depth=2
	ds_read_b64 v[4:5], v8
.LBB114_142:                            ;   in Loop: Header=BB114_140 Depth=2
	s_or_b64 exec, exec, s[14:15]
	s_and_saveexec_b64 s[14:15], vcc
	s_cbranch_execz .LBB114_139
; %bb.143:                              ;   in Loop: Header=BB114_140 Depth=2
	s_waitcnt lgkmcnt(0)
	v_ashrrev_i32_e32 v2, 31, v5
	v_or_b32_e32 v6, 0x80000000, v2
	v_xor_b32_e32 v6, v6, v5
	v_xor_b32_e32 v2, v2, v4
	v_cmp_o_f64_e32 vcc, v[4:5], v[4:5]
	v_cndmask_b32_e32 v6, -1, v6, vcc
	v_cndmask_b32_e32 v2, -1, v2, vcc
	v_and_b32_e32 v7, s71, v6
	v_and_b32_e32 v6, s70, v2
	v_cmp_eq_u64_e32 vcc, s[74:75], v[6:7]
	s_and_b64 exec, exec, vcc
	s_cbranch_execz .LBB114_139
; %bb.144:                              ;   in Loop: Header=BB114_140 Depth=2
	v_mov_b32_e32 v2, v19
	ds_write_b128 v19, v[2:5] offset:3072
	s_branch .LBB114_139
.LBB114_145:                            ;   in Loop: Header=BB114_21 Depth=1
                                        ; implicit-def: $sgpr24_sgpr25
                                        ; implicit-def: $sgpr28_sgpr29
                                        ; implicit-def: $sgpr22_sgpr23
	s_branch .LBB114_159
.LBB114_146:                            ;   in Loop: Header=BB114_21 Depth=1
	s_mov_b64 s[24:25], -1
	s_mov_b64 s[14:15], 0
                                        ; implicit-def: $sgpr22_sgpr23
                                        ; implicit-def: $vgpr6_vgpr7
	s_mov_b64 s[28:29], s[24:25]
	s_cbranch_execnz .LBB114_149
	s_branch .LBB114_159
.LBB114_147:                            ;   in Loop: Header=BB114_21 Depth=1
	s_or_b64 exec, exec, s[28:29]
	s_and_b64 s[14:15], s[24:25], exec
.LBB114_148:                            ;   in Loop: Header=BB114_21 Depth=1
	s_or_b64 exec, exec, s[22:23]
	s_mov_b64 s[22:23], -1
	s_mov_b64 s[24:25], 0
	s_mov_b64 s[28:29], s[24:25]
	s_branch .LBB114_159
.LBB114_149:                            ;   in Loop: Header=BB114_21 Depth=1
	s_mov_b64 s[14:15], 0
                                        ; implicit-def: $vgpr6_vgpr7
	s_mov_b64 s[22:23], exec
	v_readlane_b32 s0, v54, 49
	v_readlane_b32 s1, v54, 50
	s_and_b64 s[0:1], s[22:23], s[0:1]
	s_mov_b64 exec, s[0:1]
	s_cbranch_execz .LBB114_158
; %bb.150:                              ;   in Loop: Header=BB114_21 Depth=1
	s_mov_b64 s[28:29], 0
	v_mov_b32_e32 v18, v16
	v_mov_b32_e32 v8, v0
                                        ; implicit-def: $sgpr24_sgpr25
	s_branch .LBB114_152
.LBB114_151:                            ;   in Loop: Header=BB114_152 Depth=2
	s_or_b64 exec, exec, s[14:15]
	s_waitcnt lgkmcnt(0)
	s_barrier
	s_waitcnt vmcnt(0)
	ds_read_b128 v[4:7], v19 offset:3072
	v_add_u32_e32 v8, s59, v8
	v_cmp_le_u32_e64 s[14:15], s80, v8
	v_add_u32_e32 v18, s85, v18
	s_waitcnt lgkmcnt(0)
	v_cmp_neq_f64_e32 vcc, 0, v[4:5]
	s_or_b64 s[0:1], s[14:15], vcc
	s_and_b64 s[0:1], exec, s[0:1]
	s_or_b64 s[28:29], s[0:1], s[28:29]
	s_andn2_b64 s[0:1], s[24:25], exec
	s_and_b64 s[8:9], vcc, exec
	s_or_b64 s[24:25], s[0:1], s[8:9]
	s_barrier
	s_andn2_b64 exec, exec, s[28:29]
	s_cbranch_execz .LBB114_157
.LBB114_152:                            ;   Parent Loop BB114_21 Depth=1
                                        ; =>  This Inner Loop Header: Depth=2
	v_cmp_gt_u32_e32 vcc, s56, v8
	s_waitcnt vmcnt(0)
	v_pk_mov_b32 v[4:5], 0, 0
	s_and_saveexec_b64 s[30:31], vcc
	s_cbranch_execz .LBB114_154
; %bb.153:                              ;   in Loop: Header=BB114_152 Depth=2
	v_lshlrev_b64 v[4:5], 3, v[18:19]
	v_mov_b32_e32 v2, s84
	v_add_co_u32_e64 v4, s[14:15], s57, v4
	v_addc_co_u32_e64 v5, s[14:15], v2, v5, s[14:15]
	global_load_dwordx2 v[4:5], v[4:5], off
.LBB114_154:                            ;   in Loop: Header=BB114_152 Depth=2
	s_or_b64 exec, exec, s[30:31]
	s_and_saveexec_b64 s[14:15], vcc
	s_cbranch_execz .LBB114_151
; %bb.155:                              ;   in Loop: Header=BB114_152 Depth=2
	s_waitcnt vmcnt(0)
	v_ashrrev_i32_e32 v2, 31, v5
	v_or_b32_e32 v6, 0x80000000, v2
	v_xor_b32_e32 v6, v6, v5
	v_xor_b32_e32 v2, v2, v4
	v_cmp_o_f64_e32 vcc, v[4:5], v[4:5]
	v_cndmask_b32_e32 v6, -1, v6, vcc
	v_cndmask_b32_e32 v2, -1, v2, vcc
	v_and_b32_e32 v7, s71, v6
	v_and_b32_e32 v6, s70, v2
	v_cmp_eq_u64_e32 vcc, s[74:75], v[6:7]
	s_and_b64 exec, exec, vcc
	s_cbranch_execz .LBB114_151
; %bb.156:                              ;   in Loop: Header=BB114_152 Depth=2
	v_mov_b32_e32 v2, v19
	ds_write_b128 v19, v[2:5] offset:3072
	s_branch .LBB114_151
.LBB114_157:                            ;   in Loop: Header=BB114_21 Depth=1
	s_or_b64 exec, exec, s[28:29]
	s_and_b64 s[14:15], s[24:25], exec
.LBB114_158:                            ;   in Loop: Header=BB114_21 Depth=1
	s_or_b64 exec, exec, s[22:23]
	s_mov_b64 s[28:29], -1
	s_mov_b64 s[24:25], 0
	s_mov_b64 s[22:23], 0
.LBB114_159:                            ;   in Loop: Header=BB114_21 Depth=1
	s_mov_b64 s[36:37], 0
                                        ; implicit-def: $sgpr54
	s_and_saveexec_b64 s[30:31], s[14:15]
	s_cbranch_execz .LBB114_255
; %bb.160:                              ;   in Loop: Header=BB114_21 Depth=1
	s_xor_b64 s[0:1], s[34:35], -1
	s_mov_b64 s[14:15], 0
	s_andn2_b64 vcc, exec, s[0:1]
	s_mov_b32 s48, 1
	s_cbranch_vccnz .LBB114_171
; %bb.161:                              ;   in Loop: Header=BB114_21 Depth=1
	s_cmp_gt_u32 s39, s38
	s_mov_b64 s[14:15], -1
                                        ; implicit-def: $sgpr54
                                        ; implicit-def: $sgpr34_sgpr35
                                        ; implicit-def: $sgpr36_sgpr37
	s_cbranch_scc1 .LBB114_167
; %bb.162:                              ;   in Loop: Header=BB114_21 Depth=1
	ds_read_b32 v2, v19 offset:4104
	s_waitcnt lgkmcnt(0)
	v_cmp_ne_u32_e32 vcc, 0, v2
	s_cbranch_vccnz .LBB114_166
; %bb.163:                              ;   in Loop: Header=BB114_21 Depth=1
	s_mov_b64 s[14:15], exec
	v_readlane_b32 s0, v54, 23
	v_readlane_b32 s1, v54, 24
	s_and_b64 s[0:1], s[14:15], s[0:1]
	s_mov_b64 exec, s[0:1]
	s_cbranch_execz .LBB114_165
; %bb.164:                              ;   in Loop: Header=BB114_21 Depth=1
	v_mov_b32_e32 v2, s38
	ds_write_b32 v19, v2 offset:4108
.LBB114_165:                            ;   in Loop: Header=BB114_21 Depth=1
	s_or_b64 exec, exec, s[14:15]
	s_waitcnt lgkmcnt(0)
	s_barrier
.LBB114_166:                            ;   in Loop: Header=BB114_21 Depth=1
	s_lshl_b64 s[0:1], 1, s47
	s_and_b64 s[8:9], s[74:75], s[26:27]
	s_or_b64 s[34:35], s[8:9], s[0:1]
	s_or_b64 s[36:37], s[70:71], s[16:17]
	s_mov_b64 s[14:15], 0
	s_mov_b32 s54, 8
.LBB114_167:                            ;   in Loop: Header=BB114_21 Depth=1
	s_andn2_b64 vcc, exec, s[14:15]
	s_cbranch_vccnz .LBB114_169
; %bb.168:                              ;   in Loop: Header=BB114_21 Depth=1
	s_sub_i32 s39, s39, s38
	s_mov_b64 s[14:15], -1
	s_mov_b32 s54, 0
	s_mov_b64 s[34:35], s[74:75]
	s_mov_b64 s[36:37], s[70:71]
.LBB114_169:                            ;   in Loop: Header=BB114_21 Depth=1
	s_mov_b64 s[70:71], s[36:37]
	s_mov_b64 s[74:75], s[34:35]
	s_mov_b32 s48, s39
	s_andn2_b64 vcc, exec, s[14:15]
	s_mov_b64 s[44:45], -1
	s_cbranch_vccz .LBB114_172
.LBB114_170:                            ;   in Loop: Header=BB114_21 Depth=1
                                        ; implicit-def: $sgpr36_sgpr37
                                        ; implicit-def: $sgpr38_sgpr39
                                        ; implicit-def: $sgpr34_sgpr35
	s_branch .LBB114_254
.LBB114_171:                            ;   in Loop: Header=BB114_21 Depth=1
	s_mov_b32 s54, 1
	s_andn2_b64 vcc, exec, s[14:15]
	s_mov_b64 s[44:45], -1
	s_cbranch_vccnz .LBB114_170
.LBB114_172:                            ;   in Loop: Header=BB114_21 Depth=1
	s_cmp_eq_u32 s46, 1
	s_cselect_b64 s[0:1], -1, 0
	s_cmp_eq_u32 s48, 1
	s_cselect_b64 s[8:9], -1, 0
	s_and_b64 s[42:43], s[0:1], s[8:9]
	s_mov_b64 s[14:15], -1
	s_and_b64 vcc, exec, s[42:43]
	s_cbranch_vccz .LBB114_184
; %bb.173:                              ;   in Loop: Header=BB114_21 Depth=1
	ds_read_b32 v2, v19 offset:4104
	v_readlane_b32 s6, v54, 34
	v_readlane_b32 s7, v54, 35
	s_waitcnt lgkmcnt(0)
	s_barrier
	v_readfirstlane_b32 s0, v2
	s_and_saveexec_b64 s[14:15], s[6:7]
	s_cbranch_execz .LBB114_175
; %bb.174:                              ;   in Loop: Header=BB114_21 Depth=1
	v_mov_b32_e32 v18, v19
	ds_write_b64 v32, v[18:19]
.LBB114_175:                            ;   in Loop: Header=BB114_21 Depth=1
	s_or_b64 exec, exec, s[14:15]
	s_lshl_b64 s[8:9], 2, s47
	s_and_b64 s[14:15], s[74:75], s[26:27]
	s_or_b64 s[74:75], s[14:15], s[8:9]
	s_or_b64 s[70:71], s[70:71], s[16:17]
	s_cmp_eq_u32 s0, 0
	s_waitcnt lgkmcnt(0)
	s_barrier
	s_cbranch_scc1 .LBB114_185
; %bb.176:                              ;   in Loop: Header=BB114_21 Depth=1
	v_readlane_b32 s1, v54, 25
	s_add_i32 s1, s0, s1
	v_readlane_b32 s6, v54, 48
	s_mul_hi_u32 s8, s1, s6
	s_mul_i32 s8, s8, s59
	s_sub_i32 s8, s1, s8
	s_sub_i32 s9, s8, s59
	s_cmp_ge_u32 s8, s59
	s_cselect_b32 s8, s9, s8
	s_sub_i32 s9, s8, s59
	s_cmp_ge_u32 s8, s59
	s_cselect_b32 s8, s9, s8
	s_sub_i32 s1, s1, s8
	v_cmp_gt_u32_e32 vcc, s1, v0
	s_mov_b64 s[14:15], 0
                                        ; implicit-def: $vgpr6_vgpr7
	s_and_saveexec_b64 s[34:35], vcc
	s_cbranch_execz .LBB114_187
; %bb.177:                              ;   in Loop: Header=BB114_21 Depth=1
	s_mov_b64 s[38:39], 0
	v_mov_b32_e32 v8, v31
	v_mov_b32_e32 v9, v0
                                        ; implicit-def: $sgpr36_sgpr37
	s_branch .LBB114_179
.LBB114_178:                            ;   in Loop: Header=BB114_179 Depth=2
	s_or_b64 exec, exec, s[14:15]
	s_waitcnt lgkmcnt(0)
	s_barrier
	ds_read_b128 v[4:7], v19 offset:3072
	v_add_u32_e32 v9, s59, v9
	v_cmp_le_u32_e64 s[14:15], s1, v9
	v_add_u32_e32 v8, s3, v8
	s_waitcnt lgkmcnt(0)
	v_cmp_neq_f64_e32 vcc, 0, v[4:5]
	s_or_b64 s[8:9], s[14:15], vcc
	s_and_b64 s[8:9], exec, s[8:9]
	s_or_b64 s[38:39], s[8:9], s[38:39]
	s_andn2_b64 s[8:9], s[36:37], exec
	s_and_b64 s[14:15], vcc, exec
	s_or_b64 s[36:37], s[8:9], s[14:15]
	s_barrier
	s_andn2_b64 exec, exec, s[38:39]
	s_cbranch_execz .LBB114_186
.LBB114_179:                            ;   Parent Loop BB114_21 Depth=1
                                        ; =>  This Inner Loop Header: Depth=2
	v_cmp_gt_u32_e32 vcc, s0, v9
	s_waitcnt vmcnt(0)
	v_pk_mov_b32 v[4:5], 0, 0
	s_and_saveexec_b64 s[14:15], vcc
	s_cbranch_execz .LBB114_181
; %bb.180:                              ;   in Loop: Header=BB114_179 Depth=2
	ds_read_b64 v[4:5], v8
.LBB114_181:                            ;   in Loop: Header=BB114_179 Depth=2
	s_or_b64 exec, exec, s[14:15]
	s_and_saveexec_b64 s[14:15], vcc
	s_cbranch_execz .LBB114_178
; %bb.182:                              ;   in Loop: Header=BB114_179 Depth=2
	s_waitcnt lgkmcnt(0)
	v_ashrrev_i32_e32 v2, 31, v5
	v_or_b32_e32 v6, 0x80000000, v2
	v_xor_b32_e32 v6, v6, v5
	v_xor_b32_e32 v2, v2, v4
	v_cmp_o_f64_e32 vcc, v[4:5], v[4:5]
	v_cndmask_b32_e32 v6, -1, v6, vcc
	v_cndmask_b32_e32 v2, -1, v2, vcc
	v_and_b32_e32 v7, s71, v6
	v_and_b32_e32 v6, s70, v2
	v_cmp_eq_u64_e32 vcc, s[74:75], v[6:7]
	s_and_b64 exec, exec, vcc
	s_cbranch_execz .LBB114_178
; %bb.183:                              ;   in Loop: Header=BB114_179 Depth=2
	v_mov_b32_e32 v2, v19
	ds_write_b128 v19, v[2:5] offset:3072
	s_branch .LBB114_178
.LBB114_184:                            ;   in Loop: Header=BB114_21 Depth=1
                                        ; implicit-def: $sgpr34_sgpr35
                                        ; implicit-def: $sgpr38_sgpr39
                                        ; implicit-def: $sgpr36_sgpr37
	s_branch .LBB114_198
.LBB114_185:                            ;   in Loop: Header=BB114_21 Depth=1
	s_mov_b64 s[34:35], -1
	s_mov_b64 s[14:15], 0
                                        ; implicit-def: $sgpr36_sgpr37
                                        ; implicit-def: $vgpr6_vgpr7
	s_mov_b64 s[38:39], s[34:35]
	s_cbranch_execnz .LBB114_188
	s_branch .LBB114_198
.LBB114_186:                            ;   in Loop: Header=BB114_21 Depth=1
	s_or_b64 exec, exec, s[38:39]
	s_and_b64 s[14:15], s[36:37], exec
.LBB114_187:                            ;   in Loop: Header=BB114_21 Depth=1
	s_or_b64 exec, exec, s[34:35]
	s_mov_b64 s[36:37], -1
	s_mov_b64 s[34:35], 0
	s_mov_b64 s[38:39], s[34:35]
	s_branch .LBB114_198
.LBB114_188:                            ;   in Loop: Header=BB114_21 Depth=1
	s_mov_b64 s[14:15], 0
                                        ; implicit-def: $vgpr6_vgpr7
	s_mov_b64 s[34:35], exec
	v_readlane_b32 s0, v54, 49
	v_readlane_b32 s1, v54, 50
	s_and_b64 s[0:1], s[34:35], s[0:1]
	s_mov_b64 exec, s[0:1]
	s_cbranch_execz .LBB114_197
; %bb.189:                              ;   in Loop: Header=BB114_21 Depth=1
	s_mov_b64 s[38:39], 0
	v_mov_b32_e32 v18, v16
	v_mov_b32_e32 v8, v0
                                        ; implicit-def: $sgpr36_sgpr37
	s_branch .LBB114_191
.LBB114_190:                            ;   in Loop: Header=BB114_191 Depth=2
	s_or_b64 exec, exec, s[14:15]
	s_waitcnt lgkmcnt(0)
	s_barrier
	s_waitcnt vmcnt(0)
	ds_read_b128 v[4:7], v19 offset:3072
	v_add_u32_e32 v8, s59, v8
	v_cmp_le_u32_e64 s[14:15], s80, v8
	v_add_u32_e32 v18, s85, v18
	s_waitcnt lgkmcnt(0)
	v_cmp_neq_f64_e32 vcc, 0, v[4:5]
	s_or_b64 s[0:1], s[14:15], vcc
	s_and_b64 s[0:1], exec, s[0:1]
	s_or_b64 s[38:39], s[0:1], s[38:39]
	s_andn2_b64 s[0:1], s[36:37], exec
	s_and_b64 s[8:9], vcc, exec
	s_or_b64 s[36:37], s[0:1], s[8:9]
	s_barrier
	s_andn2_b64 exec, exec, s[38:39]
	s_cbranch_execz .LBB114_196
.LBB114_191:                            ;   Parent Loop BB114_21 Depth=1
                                        ; =>  This Inner Loop Header: Depth=2
	v_cmp_gt_u32_e32 vcc, s56, v8
	s_waitcnt vmcnt(0)
	v_pk_mov_b32 v[4:5], 0, 0
	s_and_saveexec_b64 s[40:41], vcc
	s_cbranch_execz .LBB114_193
; %bb.192:                              ;   in Loop: Header=BB114_191 Depth=2
	v_lshlrev_b64 v[4:5], 3, v[18:19]
	v_mov_b32_e32 v2, s84
	v_add_co_u32_e64 v4, s[14:15], s57, v4
	v_addc_co_u32_e64 v5, s[14:15], v2, v5, s[14:15]
	global_load_dwordx2 v[4:5], v[4:5], off
.LBB114_193:                            ;   in Loop: Header=BB114_191 Depth=2
	s_or_b64 exec, exec, s[40:41]
	s_and_saveexec_b64 s[14:15], vcc
	s_cbranch_execz .LBB114_190
; %bb.194:                              ;   in Loop: Header=BB114_191 Depth=2
	s_waitcnt vmcnt(0)
	v_ashrrev_i32_e32 v2, 31, v5
	v_or_b32_e32 v6, 0x80000000, v2
	v_xor_b32_e32 v6, v6, v5
	v_xor_b32_e32 v2, v2, v4
	v_cmp_o_f64_e32 vcc, v[4:5], v[4:5]
	v_cndmask_b32_e32 v6, -1, v6, vcc
	v_cndmask_b32_e32 v2, -1, v2, vcc
	v_and_b32_e32 v7, s71, v6
	v_and_b32_e32 v6, s70, v2
	v_cmp_eq_u64_e32 vcc, s[74:75], v[6:7]
	s_and_b64 exec, exec, vcc
	s_cbranch_execz .LBB114_190
; %bb.195:                              ;   in Loop: Header=BB114_191 Depth=2
	v_mov_b32_e32 v2, v19
	ds_write_b128 v19, v[2:5] offset:3072
	s_branch .LBB114_190
.LBB114_196:                            ;   in Loop: Header=BB114_21 Depth=1
	s_or_b64 exec, exec, s[38:39]
	s_and_b64 s[14:15], s[36:37], exec
.LBB114_197:                            ;   in Loop: Header=BB114_21 Depth=1
	s_or_b64 exec, exec, s[34:35]
	s_mov_b64 s[38:39], -1
	s_mov_b64 s[34:35], 0
	s_mov_b64 s[36:37], 0
.LBB114_198:                            ;   in Loop: Header=BB114_21 Depth=1
	s_mov_b64 s[44:45], 0
                                        ; implicit-def: $sgpr54
	s_and_saveexec_b64 s[40:41], s[14:15]
	s_cbranch_execz .LBB114_253
; %bb.199:                              ;   in Loop: Header=BB114_21 Depth=1
	s_xor_b64 s[0:1], s[42:43], -1
	s_mov_b64 s[14:15], 0
	s_andn2_b64 vcc, exec, s[0:1]
	s_mov_b32 s53, 1
	s_cbranch_vccnz .LBB114_210
; %bb.200:                              ;   in Loop: Header=BB114_21 Depth=1
	s_cmp_gt_u32 s48, s46
	s_mov_b64 s[14:15], -1
                                        ; implicit-def: $sgpr54
                                        ; implicit-def: $sgpr42_sgpr43
                                        ; implicit-def: $sgpr44_sgpr45
	s_cbranch_scc1 .LBB114_206
; %bb.201:                              ;   in Loop: Header=BB114_21 Depth=1
	ds_read_b32 v2, v19 offset:4104
	s_waitcnt lgkmcnt(0)
	v_cmp_ne_u32_e32 vcc, 0, v2
	s_cbranch_vccnz .LBB114_205
; %bb.202:                              ;   in Loop: Header=BB114_21 Depth=1
	s_mov_b64 s[14:15], exec
	v_readlane_b32 s0, v54, 23
	v_readlane_b32 s1, v54, 24
	s_and_b64 s[0:1], s[14:15], s[0:1]
	s_mov_b64 exec, s[0:1]
	s_cbranch_execz .LBB114_204
; %bb.203:                              ;   in Loop: Header=BB114_21 Depth=1
	v_mov_b32_e32 v2, s46
	ds_write_b32 v19, v2 offset:4108
.LBB114_204:                            ;   in Loop: Header=BB114_21 Depth=1
	s_or_b64 exec, exec, s[14:15]
	s_waitcnt lgkmcnt(0)
	s_barrier
.LBB114_205:                            ;   in Loop: Header=BB114_21 Depth=1
	s_lshl_b64 s[0:1], 2, s47
	s_and_b64 s[8:9], s[74:75], s[26:27]
	s_or_b64 s[42:43], s[8:9], s[0:1]
	s_or_b64 s[44:45], s[70:71], s[16:17]
	s_mov_b64 s[14:15], 0
	s_mov_b32 s54, 8
.LBB114_206:                            ;   in Loop: Header=BB114_21 Depth=1
	s_andn2_b64 vcc, exec, s[14:15]
	s_cbranch_vccnz .LBB114_208
; %bb.207:                              ;   in Loop: Header=BB114_21 Depth=1
	s_sub_i32 s48, s48, s46
	s_mov_b64 s[14:15], -1
	s_mov_b32 s54, 0
	s_mov_b64 s[42:43], s[74:75]
	s_mov_b64 s[44:45], s[70:71]
.LBB114_208:                            ;   in Loop: Header=BB114_21 Depth=1
	s_mov_b32 s76, s50
	s_mov_b64 s[70:71], s[44:45]
	s_mov_b64 s[74:75], s[42:43]
	s_mov_b32 s53, s48
	s_andn2_b64 vcc, exec, s[14:15]
	s_mov_b64 s[50:51], -1
	s_cbranch_vccz .LBB114_211
.LBB114_209:                            ;   in Loop: Header=BB114_21 Depth=1
                                        ; implicit-def: $sgpr14_sgpr15
                                        ; implicit-def: $sgpr44_sgpr45
                                        ; implicit-def: $sgpr42_sgpr43
	s_branch .LBB114_252
.LBB114_210:                            ;   in Loop: Header=BB114_21 Depth=1
	s_mov_b32 s76, s50
	s_mov_b32 s54, 1
	s_andn2_b64 vcc, exec, s[14:15]
	s_mov_b64 s[50:51], -1
	s_cbranch_vccnz .LBB114_209
.LBB114_211:                            ;   in Loop: Header=BB114_21 Depth=1
	s_cmp_eq_u32 s52, 1
	s_cselect_b64 s[0:1], -1, 0
	s_cmp_eq_u32 s53, 1
	s_cselect_b64 s[8:9], -1, 0
	s_and_b64 s[26:27], s[0:1], s[8:9]
	s_mov_b64 s[46:47], -1
	s_and_b64 vcc, exec, s[26:27]
	s_cbranch_vccz .LBB114_223
; %bb.212:                              ;   in Loop: Header=BB114_21 Depth=1
	ds_read_b32 v2, v19 offset:4104
	v_readlane_b32 s6, v54, 34
	v_readlane_b32 s7, v54, 35
	s_waitcnt lgkmcnt(0)
	s_barrier
	v_readfirstlane_b32 s0, v2
	s_and_saveexec_b64 s[14:15], s[6:7]
	s_cbranch_execz .LBB114_214
; %bb.213:                              ;   in Loop: Header=BB114_21 Depth=1
	v_mov_b32_e32 v18, v19
	ds_write_b64 v32, v[18:19]
.LBB114_214:                            ;   in Loop: Header=BB114_21 Depth=1
	s_or_b64 exec, exec, s[14:15]
	s_or_b64 s[74:75], s[74:75], s[16:17]
	s_or_b64 s[70:71], s[70:71], s[16:17]
	s_cmp_eq_u32 s0, 0
	s_waitcnt lgkmcnt(0)
	s_barrier
	s_cbranch_scc1 .LBB114_224
; %bb.215:                              ;   in Loop: Header=BB114_21 Depth=1
	v_readlane_b32 s1, v54, 25
	s_add_i32 s1, s0, s1
	v_readlane_b32 s6, v54, 48
	s_mul_hi_u32 s8, s1, s6
	s_mul_i32 s8, s8, s59
	s_sub_i32 s8, s1, s8
	s_sub_i32 s9, s8, s59
	s_cmp_ge_u32 s8, s59
	s_cselect_b32 s8, s9, s8
	s_sub_i32 s9, s8, s59
	s_cmp_ge_u32 s8, s59
	s_cselect_b32 s8, s9, s8
	s_sub_i32 s1, s1, s8
	v_cmp_gt_u32_e32 vcc, s1, v0
	s_mov_b64 s[46:47], 0
                                        ; implicit-def: $vgpr6_vgpr7
	s_and_saveexec_b64 s[42:43], vcc
	s_cbranch_execz .LBB114_226
; %bb.216:                              ;   in Loop: Header=BB114_21 Depth=1
	v_mov_b32_e32 v8, v31
	v_mov_b32_e32 v9, v0
                                        ; implicit-def: $sgpr44_sgpr45
	s_branch .LBB114_218
.LBB114_217:                            ;   in Loop: Header=BB114_218 Depth=2
	s_or_b64 exec, exec, s[14:15]
	s_waitcnt lgkmcnt(0)
	s_barrier
	ds_read_b128 v[4:7], v19 offset:3072
	v_add_u32_e32 v9, s59, v9
	v_cmp_le_u32_e64 s[14:15], s1, v9
	v_add_u32_e32 v8, s3, v8
	s_waitcnt lgkmcnt(0)
	v_cmp_neq_f64_e32 vcc, 0, v[4:5]
	s_or_b64 s[8:9], s[14:15], vcc
	s_and_b64 s[8:9], exec, s[8:9]
	s_or_b64 s[46:47], s[8:9], s[46:47]
	s_andn2_b64 s[8:9], s[44:45], exec
	s_and_b64 s[14:15], vcc, exec
	s_or_b64 s[44:45], s[8:9], s[14:15]
	s_barrier
	s_andn2_b64 exec, exec, s[46:47]
	s_cbranch_execz .LBB114_225
.LBB114_218:                            ;   Parent Loop BB114_21 Depth=1
                                        ; =>  This Inner Loop Header: Depth=2
	v_cmp_gt_u32_e32 vcc, s0, v9
	s_waitcnt vmcnt(0)
	v_pk_mov_b32 v[4:5], 0, 0
	s_and_saveexec_b64 s[14:15], vcc
	s_cbranch_execz .LBB114_220
; %bb.219:                              ;   in Loop: Header=BB114_218 Depth=2
	ds_read_b64 v[4:5], v8
.LBB114_220:                            ;   in Loop: Header=BB114_218 Depth=2
	s_or_b64 exec, exec, s[14:15]
	s_and_saveexec_b64 s[14:15], vcc
	s_cbranch_execz .LBB114_217
; %bb.221:                              ;   in Loop: Header=BB114_218 Depth=2
	s_waitcnt lgkmcnt(0)
	v_ashrrev_i32_e32 v2, 31, v5
	v_or_b32_e32 v6, 0x80000000, v2
	v_xor_b32_e32 v6, v6, v5
	v_xor_b32_e32 v2, v2, v4
	v_cmp_o_f64_e32 vcc, v[4:5], v[4:5]
	v_cndmask_b32_e32 v6, -1, v6, vcc
	v_cndmask_b32_e32 v2, -1, v2, vcc
	v_and_b32_e32 v7, s71, v6
	v_and_b32_e32 v6, s70, v2
	v_cmp_eq_u64_e32 vcc, s[74:75], v[6:7]
	s_and_b64 exec, exec, vcc
	s_cbranch_execz .LBB114_217
; %bb.222:                              ;   in Loop: Header=BB114_218 Depth=2
	v_mov_b32_e32 v2, v19
	ds_write_b128 v19, v[2:5] offset:3072
	s_branch .LBB114_217
.LBB114_223:                            ;   in Loop: Header=BB114_21 Depth=1
                                        ; implicit-def: $sgpr14_sgpr15
                                        ; implicit-def: $sgpr44_sgpr45
                                        ; implicit-def: $sgpr42_sgpr43
	s_branch .LBB114_237
.LBB114_224:                            ;   in Loop: Header=BB114_21 Depth=1
	s_mov_b64 s[14:15], -1
	s_mov_b64 s[46:47], 0
                                        ; implicit-def: $sgpr42_sgpr43
                                        ; implicit-def: $vgpr6_vgpr7
	s_mov_b64 s[44:45], s[14:15]
	s_cbranch_execnz .LBB114_227
	s_branch .LBB114_237
.LBB114_225:                            ;   in Loop: Header=BB114_21 Depth=1
	s_or_b64 exec, exec, s[46:47]
	s_and_b64 s[46:47], s[44:45], exec
.LBB114_226:                            ;   in Loop: Header=BB114_21 Depth=1
	s_or_b64 exec, exec, s[42:43]
	s_mov_b64 s[42:43], -1
	s_mov_b64 s[14:15], 0
	s_mov_b64 s[44:45], s[14:15]
	s_branch .LBB114_237
.LBB114_227:                            ;   in Loop: Header=BB114_21 Depth=1
	s_mov_b64 s[46:47], 0
                                        ; implicit-def: $vgpr6_vgpr7
	s_mov_b64 s[42:43], exec
	v_readlane_b32 s0, v54, 49
	v_readlane_b32 s1, v54, 50
	s_and_b64 s[0:1], s[42:43], s[0:1]
	s_mov_b64 exec, s[0:1]
	s_cbranch_execz .LBB114_236
; %bb.228:                              ;   in Loop: Header=BB114_21 Depth=1
	v_mov_b32_e32 v18, v16
	v_mov_b32_e32 v8, v0
                                        ; implicit-def: $sgpr44_sgpr45
	s_branch .LBB114_230
.LBB114_229:                            ;   in Loop: Header=BB114_230 Depth=2
	s_or_b64 exec, exec, s[14:15]
	s_waitcnt lgkmcnt(0)
	s_barrier
	s_waitcnt vmcnt(0)
	ds_read_b128 v[4:7], v19 offset:3072
	v_add_u32_e32 v8, s59, v8
	v_cmp_le_u32_e64 s[14:15], s80, v8
	v_add_u32_e32 v18, s85, v18
	s_waitcnt lgkmcnt(0)
	v_cmp_neq_f64_e32 vcc, 0, v[4:5]
	s_or_b64 s[0:1], s[14:15], vcc
	s_and_b64 s[0:1], exec, s[0:1]
	s_or_b64 s[46:47], s[0:1], s[46:47]
	s_andn2_b64 s[0:1], s[44:45], exec
	s_and_b64 s[8:9], vcc, exec
	s_or_b64 s[44:45], s[0:1], s[8:9]
	s_barrier
	s_andn2_b64 exec, exec, s[46:47]
	s_cbranch_execz .LBB114_235
.LBB114_230:                            ;   Parent Loop BB114_21 Depth=1
                                        ; =>  This Inner Loop Header: Depth=2
	v_cmp_gt_u32_e32 vcc, s56, v8
	s_waitcnt vmcnt(0)
	v_pk_mov_b32 v[4:5], 0, 0
	s_and_saveexec_b64 s[48:49], vcc
	s_cbranch_execz .LBB114_232
; %bb.231:                              ;   in Loop: Header=BB114_230 Depth=2
	v_lshlrev_b64 v[4:5], 3, v[18:19]
	v_mov_b32_e32 v2, s84
	v_add_co_u32_e64 v4, s[14:15], s57, v4
	v_addc_co_u32_e64 v5, s[14:15], v2, v5, s[14:15]
	global_load_dwordx2 v[4:5], v[4:5], off
.LBB114_232:                            ;   in Loop: Header=BB114_230 Depth=2
	s_or_b64 exec, exec, s[48:49]
	s_and_saveexec_b64 s[14:15], vcc
	s_cbranch_execz .LBB114_229
; %bb.233:                              ;   in Loop: Header=BB114_230 Depth=2
	s_waitcnt vmcnt(0)
	v_ashrrev_i32_e32 v2, 31, v5
	v_or_b32_e32 v6, 0x80000000, v2
	v_xor_b32_e32 v6, v6, v5
	v_xor_b32_e32 v2, v2, v4
	v_cmp_o_f64_e32 vcc, v[4:5], v[4:5]
	v_cndmask_b32_e32 v6, -1, v6, vcc
	v_cndmask_b32_e32 v2, -1, v2, vcc
	v_and_b32_e32 v7, s71, v6
	v_and_b32_e32 v6, s70, v2
	v_cmp_eq_u64_e32 vcc, s[74:75], v[6:7]
	s_and_b64 exec, exec, vcc
	s_cbranch_execz .LBB114_229
; %bb.234:                              ;   in Loop: Header=BB114_230 Depth=2
	v_mov_b32_e32 v2, v19
	ds_write_b128 v19, v[2:5] offset:3072
	s_branch .LBB114_229
.LBB114_235:                            ;   in Loop: Header=BB114_21 Depth=1
	s_or_b64 exec, exec, s[46:47]
	s_and_b64 s[46:47], s[44:45], exec
.LBB114_236:                            ;   in Loop: Header=BB114_21 Depth=1
	s_or_b64 exec, exec, s[42:43]
	s_mov_b64 s[44:45], -1
	s_mov_b64 s[14:15], 0
	s_mov_b64 s[42:43], 0
.LBB114_237:                            ;   in Loop: Header=BB114_21 Depth=1
	s_mov_b64 s[50:51], 0
                                        ; implicit-def: $sgpr54
	s_and_saveexec_b64 s[48:49], s[46:47]
	s_cbranch_execz .LBB114_251
; %bb.238:                              ;   in Loop: Header=BB114_21 Depth=1
	s_xor_b64 s[0:1], s[26:27], -1
	s_andn2_b64 vcc, exec, s[0:1]
	s_mov_b32 s54, 1
	s_cbranch_vccnz .LBB114_245
; %bb.239:                              ;   in Loop: Header=BB114_21 Depth=1
	s_cmp_gt_u32 s53, s52
	s_cbranch_scc1 .LBB114_246
; %bb.240:                              ;   in Loop: Header=BB114_21 Depth=1
	ds_read_b32 v2, v19 offset:4104
	s_waitcnt lgkmcnt(0)
	v_cmp_ne_u32_e32 vcc, 0, v2
	s_cbranch_vccnz .LBB114_244
; %bb.241:                              ;   in Loop: Header=BB114_21 Depth=1
	s_mov_b64 s[26:27], exec
	v_readlane_b32 s0, v54, 23
	v_readlane_b32 s1, v54, 24
	s_and_b64 s[0:1], s[26:27], s[0:1]
	s_mov_b64 exec, s[0:1]
	s_cbranch_execz .LBB114_243
; %bb.242:                              ;   in Loop: Header=BB114_21 Depth=1
	v_mov_b32_e32 v2, s52
	ds_write_b32 v19, v2 offset:4108
.LBB114_243:                            ;   in Loop: Header=BB114_21 Depth=1
	s_or_b64 exec, exec, s[26:27]
	s_waitcnt lgkmcnt(0)
	s_barrier
.LBB114_244:                            ;   in Loop: Header=BB114_21 Depth=1
	s_or_b64 s[26:27], s[74:75], s[16:17]
	s_or_b64 s[16:17], s[70:71], s[16:17]
	s_mov_b64 s[46:47], 0
	s_mov_b32 s54, 8
	s_branch .LBB114_247
.LBB114_245:                            ;   in Loop: Header=BB114_21 Depth=1
	s_mov_b32 s53, 1
	s_branch .LBB114_250
.LBB114_246:                            ;   in Loop: Header=BB114_21 Depth=1
	s_mov_b64 s[46:47], -1
                                        ; implicit-def: $sgpr54
                                        ; implicit-def: $sgpr26_sgpr27
                                        ; implicit-def: $sgpr16_sgpr17
.LBB114_247:                            ;   in Loop: Header=BB114_21 Depth=1
	s_andn2_b64 vcc, exec, s[46:47]
	s_cbranch_vccnz .LBB114_249
; %bb.248:                              ;   in Loop: Header=BB114_21 Depth=1
	s_sub_i32 s53, s53, s52
	s_mov_b32 s54, 8
	s_mov_b64 s[26:27], s[74:75]
	s_mov_b64 s[16:17], s[70:71]
.LBB114_249:                            ;   in Loop: Header=BB114_21 Depth=1
	s_mov_b64 s[74:75], s[26:27]
	s_mov_b64 s[70:71], s[16:17]
.LBB114_250:                            ;   in Loop: Header=BB114_21 Depth=1
	s_mov_b64 s[50:51], exec
.LBB114_251:                            ;   in Loop: Header=BB114_21 Depth=1
	s_or_b64 exec, exec, s[48:49]
.LBB114_252:                            ;   in Loop: Header=BB114_21 Depth=1
	s_andn2_b64 s[0:1], s[34:35], exec
	s_and_b64 s[8:9], s[14:15], exec
	s_or_b64 s[34:35], s[0:1], s[8:9]
	s_andn2_b64 s[0:1], s[38:39], exec
	s_and_b64 s[8:9], s[44:45], exec
	s_or_b64 s[38:39], s[0:1], s[8:9]
	;; [unrolled: 3-line block ×3, first 2 shown]
	s_and_b64 s[44:45], s[50:51], exec
	s_mov_b32 s48, s53
	s_mov_b32 s50, s76
.LBB114_253:                            ;   in Loop: Header=BB114_21 Depth=1
	s_or_b64 exec, exec, s[40:41]
.LBB114_254:                            ;   in Loop: Header=BB114_21 Depth=1
	s_andn2_b64 s[0:1], s[24:25], exec
	s_and_b64 s[8:9], s[34:35], exec
	s_or_b64 s[24:25], s[0:1], s[8:9]
	s_andn2_b64 s[0:1], s[28:29], exec
	s_and_b64 s[8:9], s[38:39], exec
	s_or_b64 s[28:29], s[0:1], s[8:9]
	;; [unrolled: 3-line block ×3, first 2 shown]
	s_and_b64 s[36:37], s[44:45], exec
	s_mov_b32 s39, s48
.LBB114_255:                            ;   in Loop: Header=BB114_21 Depth=1
	s_or_b64 exec, exec, s[30:31]
                                        ; implicit-def: $sgpr82
	s_and_saveexec_b64 s[0:1], s[36:37]
	s_xor_b64 s[14:15], exec, s[0:1]
	s_cbranch_execz .LBB114_19
.LBB114_256:                            ;   in Loop: Header=BB114_21 Depth=1
	s_and_b32 s0, s54, -9
	s_cmp_eq_u32 s0, 0
	s_cbranch_scc1 .LBB114_17
; %bb.257:                              ;   in Loop: Header=BB114_21 Depth=1
	s_mov_b64 s[16:17], -1
                                        ; implicit-def: $sgpr70_sgpr71
                                        ; implicit-def: $sgpr39
                                        ; implicit-def: $sgpr87
                                        ; implicit-def: $sgpr13
	s_mov_b64 s[20:21], -1
	s_branch .LBB114_18
.LBB114_258:
	s_or_b64 exec, exec, s[94:95]
	s_xor_b64 s[8:9], s[62:63], -1
	s_xor_b64 s[0:1], s[68:69], -1
	;; [unrolled: 1-line block ×3, first 2 shown]
	s_mov_b64 s[4:5], 0
	s_and_saveexec_b64 s[2:3], s[0:1]
	s_xor_b64 s[2:3], exec, s[2:3]
	s_cbranch_execnz .LBB114_263
; %bb.259:
	s_andn2_saveexec_b64 s[0:1], s[2:3]
	s_cbranch_execnz .LBB114_276
.LBB114_260:
	s_or_b64 exec, exec, s[0:1]
	s_and_saveexec_b64 s[0:1], s[4:5]
.LBB114_261:
	; divergent unreachable
.LBB114_262:
	s_endpgm
.LBB114_263:
	s_and_saveexec_b64 s[0:1], s[8:9]
	s_xor_b64 s[4:5], exec, s[0:1]
	s_cbranch_execz .LBB114_274
; %bb.264:
	s_and_saveexec_b64 s[0:1], s[6:7]
	s_xor_b64 s[6:7], exec, s[0:1]
; %bb.265:
	v_lshrrev_b32_e32 v1, 31, v5
	v_add_co_u32_e32 v1, vcc, -1, v1
	v_addc_co_u32_e64 v2, s[0:1], 0, -1, vcc
	v_or_b32_e32 v2, 0x80000000, v2
	v_xor_b32_e32 v7, v2, v5
	v_xor_b32_e32 v6, v1, v4
; %bb.266:
	s_or_b64 exec, exec, s[6:7]
	v_readlane_b32 s8, v54, 12
	v_readlane_b32 s9, v54, 13
	;; [unrolled: 1-line block ×3, first 2 shown]
	s_mul_i32 s0, s10, s9
	v_readlane_b32 s1, v54, 20
	v_readlane_b32 s9, v54, 15
	s_sub_i32 s0, s1, s0
	s_mul_i32 s1, s9, s8
	s_sub_i32 s1, s10, s1
	s_add_i32 s6, s9, 1
	s_sub_i32 s7, s1, s8
	s_cmp_ge_u32 s1, s8
	s_cselect_b32 s6, s6, s9
	s_cselect_b32 s1, s7, s1
	s_add_i32 s7, s6, 1
	s_cmp_ge_u32 s1, s8
	s_cselect_b32 s1, s7, s6
	v_readlane_b32 s12, v54, 8
	s_mul_i32 s6, s1, s8
	v_readlane_b32 s13, v54, 9
	v_readlane_b32 s14, v54, 10
	s_sub_i32 s6, s10, s6
	s_mul_i32 s0, s0, s14
	s_mul_i32 s6, s6, s13
	s_add_i32 s0, s6, s0
	s_mul_i32 s1, s1, s12
	s_add_i32 s0, s0, s1
	s_mov_b32 s1, 0
	s_lshl_b64 s[0:1], s[0:1], 3
	v_readlane_b32 s6, v54, 0
	v_readlane_b32 s7, v54, 1
	s_add_u32 s0, s6, s0
	s_addc_u32 s1, s7, s1
	v_mov_b32_e32 v17, 0
	v_readlane_b32 s15, v54, 11
	global_store_dwordx2 v17, v[6:7], s[0:1]
	s_mov_b64 s[6:7], exec
	v_readlane_b32 s0, v54, 21
	v_readlane_b32 s1, v54, 22
	s_and_b64 s[0:1], s[6:7], s[0:1]
	s_mov_b64 exec, s[0:1]
	s_cbranch_execz .LBB114_273
; %bb.267:
	v_cmp_u_f64_e32 vcc, v[6:7], v[6:7]
	s_mov_b64 s[8:9], 0
	v_mov_b32_e32 v1, s84
	s_xor_b64 s[12:13], vcc, -1
                                        ; implicit-def: $sgpr10_sgpr11
                                        ; implicit-def: $sgpr16_sgpr17
                                        ; implicit-def: $sgpr14_sgpr15
	s_branch .LBB114_269
.LBB114_268:                            ;   in Loop: Header=BB114_269 Depth=1
	s_or_b64 exec, exec, s[0:1]
	s_and_b64 s[0:1], exec, s[16:17]
	s_or_b64 s[8:9], s[0:1], s[8:9]
	s_andn2_b64 s[0:1], s[10:11], exec
	s_and_b64 s[10:11], s[14:15], exec
	s_or_b64 s[10:11], s[0:1], s[10:11]
	s_andn2_b64 exec, exec, s[8:9]
	s_cbranch_execz .LBB114_271
.LBB114_269:                            ; =>This Inner Loop Header: Depth=1
	v_lshlrev_b64 v[2:3], 3, v[16:17]
	v_add_co_u32_e32 v2, vcc, s57, v2
	v_addc_co_u32_e32 v3, vcc, v1, v3, vcc
	global_load_dwordx2 v[4:5], v[2:3], off
	v_mov_b32_e32 v2, v0
	s_or_b64 s[14:15], s[14:15], exec
	s_or_b64 s[16:17], s[16:17], exec
                                        ; implicit-def: $vgpr0
	s_waitcnt vmcnt(0)
	v_cmp_o_f64_e64 s[0:1], v[4:5], v[4:5]
	v_cmp_neq_f64_e32 vcc, v[4:5], v[6:7]
	s_or_b64 s[0:1], s[0:1], s[12:13]
	s_and_b64 s[18:19], vcc, s[0:1]
	s_and_saveexec_b64 s[0:1], s[18:19]
	s_cbranch_execz .LBB114_268
; %bb.270:                              ;   in Loop: Header=BB114_269 Depth=1
	v_add_u32_e32 v0, s59, v2
	v_cmp_le_u32_e32 vcc, s56, v0
	s_andn2_b64 s[16:17], s[16:17], exec
	s_and_b64 s[18:19], vcc, exec
	v_add_u32_e32 v16, s85, v16
	s_andn2_b64 s[14:15], s[14:15], exec
	s_or_b64 s[16:17], s[16:17], s[18:19]
	s_branch .LBB114_268
.LBB114_271:
	s_or_b64 exec, exec, s[8:9]
	s_and_saveexec_b64 s[0:1], s[10:11]
	s_xor_b64 s[0:1], exec, s[0:1]
	s_cbranch_execz .LBB114_273
; %bb.272:
	v_readlane_b32 s8, v54, 2
	v_readlane_b32 s16, v54, 16
	;; [unrolled: 1-line block ×6, first 2 shown]
	s_mov_b32 s14, s10
	s_mul_i32 s0, s15, s17
	v_readlane_b32 s1, v54, 20
	s_mov_b64 s[12:13], s[8:9]
	v_readlane_b32 s10, v54, 19
	s_sub_i32 s0, s1, s0
	s_mul_i32 s1, s10, s16
	s_sub_i32 s1, s15, s1
	s_add_i32 s8, s10, 1
	s_sub_i32 s9, s1, s16
	s_cmp_ge_u32 s1, s16
	s_cselect_b32 s8, s8, s10
	s_cselect_b32 s1, s9, s1
	s_add_i32 s9, s8, 1
	s_cmp_ge_u32 s1, s16
	s_cselect_b32 s1, s9, s8
	s_mul_i32 s8, s1, s16
	s_sub_i32 s8, s15, s8
	s_mul_i32 s0, s0, s14
	s_mul_i32 s8, s8, s13
	s_add_i32 s0, s8, s0
	s_mul_i32 s1, s1, s12
	s_add_i32 s0, s0, s1
	s_mov_b32 s1, 0
	s_lshl_b64 s[0:1], s[0:1], 3
	v_readlane_b32 s8, v54, 6
	v_readlane_b32 s9, v54, 7
	s_add_u32 s0, s8, s0
	s_addc_u32 s1, s9, s1
	v_mov_b32_e32 v3, 0
	v_readlane_b32 s11, v54, 5
	global_store_dwordx2 v3, v[2:3], s[0:1]
.LBB114_273:
	s_or_b64 exec, exec, s[6:7]
.LBB114_274:
	s_or_saveexec_b64 s[0:1], s[4:5]
	s_mov_b64 s[4:5], 0
	s_xor_b64 exec, exec, s[0:1]
	s_cbranch_execnz .LBB114_277
.LBB114_275:
	s_or_b64 exec, exec, s[0:1]
	s_and_b64 s[4:5], s[4:5], exec
	s_andn2_saveexec_b64 s[0:1], s[2:3]
	s_cbranch_execz .LBB114_260
.LBB114_276:
	s_or_b64 s[4:5], s[4:5], exec
	s_trap 2
	s_or_b64 exec, exec, s[0:1]
	s_and_saveexec_b64 s[0:1], s[4:5]
	s_cbranch_execnz .LBB114_261
	s_branch .LBB114_262
.LBB114_277:
	s_mov_b64 s[4:5], exec
	s_trap 2
	s_branch .LBB114_275
	.section	.rodata,"a",@progbits
	.p2align	6, 0x0
	.amdhsa_kernel _ZN2at6native12_GLOBAL__N_112gatherMedianIdjLi3EEEvNS_4cuda6detail10TensorInfoIT_T0_EENS5_IlS7_EENS5_IKS6_S7_EES7_S7_S7_b
		.amdhsa_group_segment_fixed_size 4120
		.amdhsa_private_segment_fixed_size 0
		.amdhsa_kernarg_size 920
		.amdhsa_user_sgpr_count 6
		.amdhsa_user_sgpr_private_segment_buffer 1
		.amdhsa_user_sgpr_dispatch_ptr 0
		.amdhsa_user_sgpr_queue_ptr 0
		.amdhsa_user_sgpr_kernarg_segment_ptr 1
		.amdhsa_user_sgpr_dispatch_id 0
		.amdhsa_user_sgpr_flat_scratch_init 0
		.amdhsa_user_sgpr_kernarg_preload_length 0
		.amdhsa_user_sgpr_kernarg_preload_offset 0
		.amdhsa_user_sgpr_private_segment_size 0
		.amdhsa_uses_dynamic_stack 0
		.amdhsa_system_sgpr_private_segment_wavefront_offset 0
		.amdhsa_system_sgpr_workgroup_id_x 1
		.amdhsa_system_sgpr_workgroup_id_y 1
		.amdhsa_system_sgpr_workgroup_id_z 1
		.amdhsa_system_sgpr_workgroup_info 0
		.amdhsa_system_vgpr_workitem_id 0
		.amdhsa_next_free_vgpr 55
		.amdhsa_next_free_sgpr 96
		.amdhsa_accum_offset 56
		.amdhsa_reserve_vcc 1
		.amdhsa_reserve_flat_scratch 0
		.amdhsa_float_round_mode_32 0
		.amdhsa_float_round_mode_16_64 0
		.amdhsa_float_denorm_mode_32 3
		.amdhsa_float_denorm_mode_16_64 3
		.amdhsa_dx10_clamp 1
		.amdhsa_ieee_mode 1
		.amdhsa_fp16_overflow 0
		.amdhsa_tg_split 0
		.amdhsa_exception_fp_ieee_invalid_op 0
		.amdhsa_exception_fp_denorm_src 0
		.amdhsa_exception_fp_ieee_div_zero 0
		.amdhsa_exception_fp_ieee_overflow 0
		.amdhsa_exception_fp_ieee_underflow 0
		.amdhsa_exception_fp_ieee_inexact 0
		.amdhsa_exception_int_div_zero 0
	.end_amdhsa_kernel
	.section	.text._ZN2at6native12_GLOBAL__N_112gatherMedianIdjLi3EEEvNS_4cuda6detail10TensorInfoIT_T0_EENS5_IlS7_EENS5_IKS6_S7_EES7_S7_S7_b,"axG",@progbits,_ZN2at6native12_GLOBAL__N_112gatherMedianIdjLi3EEEvNS_4cuda6detail10TensorInfoIT_T0_EENS5_IlS7_EENS5_IKS6_S7_EES7_S7_S7_b,comdat
.Lfunc_end114:
	.size	_ZN2at6native12_GLOBAL__N_112gatherMedianIdjLi3EEEvNS_4cuda6detail10TensorInfoIT_T0_EENS5_IlS7_EENS5_IKS6_S7_EES7_S7_S7_b, .Lfunc_end114-_ZN2at6native12_GLOBAL__N_112gatherMedianIdjLi3EEEvNS_4cuda6detail10TensorInfoIT_T0_EENS5_IlS7_EENS5_IKS6_S7_EES7_S7_S7_b
                                        ; -- End function
	.section	.AMDGPU.csdata,"",@progbits
; Kernel info:
; codeLenInByte = 11844
; NumSgprs: 100
; NumVgprs: 55
; NumAgprs: 0
; TotalNumVgprs: 55
; ScratchSize: 0
; MemoryBound: 0
; FloatMode: 240
; IeeeMode: 1
; LDSByteSize: 4120 bytes/workgroup (compile time only)
; SGPRBlocks: 12
; VGPRBlocks: 6
; NumSGPRsForWavesPerEU: 100
; NumVGPRsForWavesPerEU: 55
; AccumOffset: 56
; Occupancy: 8
; WaveLimiterHint : 1
; COMPUTE_PGM_RSRC2:SCRATCH_EN: 0
; COMPUTE_PGM_RSRC2:USER_SGPR: 6
; COMPUTE_PGM_RSRC2:TRAP_HANDLER: 0
; COMPUTE_PGM_RSRC2:TGID_X_EN: 1
; COMPUTE_PGM_RSRC2:TGID_Y_EN: 1
; COMPUTE_PGM_RSRC2:TGID_Z_EN: 1
; COMPUTE_PGM_RSRC2:TIDIG_COMP_CNT: 0
; COMPUTE_PGM_RSRC3_GFX90A:ACCUM_OFFSET: 13
; COMPUTE_PGM_RSRC3_GFX90A:TG_SPLIT: 0
	.section	.text._ZN2at6native12_GLOBAL__N_112gatherMedianIdjLin1EEEvNS_4cuda6detail10TensorInfoIT_T0_EENS5_IlS7_EENS5_IKS6_S7_EES7_S7_S7_b,"axG",@progbits,_ZN2at6native12_GLOBAL__N_112gatherMedianIdjLin1EEEvNS_4cuda6detail10TensorInfoIT_T0_EENS5_IlS7_EENS5_IKS6_S7_EES7_S7_S7_b,comdat
	.globl	_ZN2at6native12_GLOBAL__N_112gatherMedianIdjLin1EEEvNS_4cuda6detail10TensorInfoIT_T0_EENS5_IlS7_EENS5_IKS6_S7_EES7_S7_S7_b ; -- Begin function _ZN2at6native12_GLOBAL__N_112gatherMedianIdjLin1EEEvNS_4cuda6detail10TensorInfoIT_T0_EENS5_IlS7_EENS5_IKS6_S7_EES7_S7_S7_b
	.p2align	8
	.type	_ZN2at6native12_GLOBAL__N_112gatherMedianIdjLin1EEEvNS_4cuda6detail10TensorInfoIT_T0_EENS5_IlS7_EENS5_IKS6_S7_EES7_S7_S7_b,@function
_ZN2at6native12_GLOBAL__N_112gatherMedianIdjLin1EEEvNS_4cuda6detail10TensorInfoIT_T0_EENS5_IlS7_EENS5_IKS6_S7_EES7_S7_S7_b: ; @_ZN2at6native12_GLOBAL__N_112gatherMedianIdjLin1EEEvNS_4cuda6detail10TensorInfoIT_T0_EENS5_IlS7_EENS5_IKS6_S7_EES7_S7_S7_b
; %bb.0:
	s_load_dwordx2 s[12:13], s[4:5], 0x298
	s_load_dwordx4 s[56:59], s[4:5], 0x288
	s_add_u32 s10, s4, 0x298
	s_addc_u32 s11, s5, 0
	s_waitcnt lgkmcnt(0)
	s_mul_i32 s0, s13, s8
	s_add_i32 s0, s0, s7
	s_mul_i32 s0, s0, s12
	s_add_i32 s7, s0, s6
	s_cmp_ge_u32 s7, s57
	s_cbranch_scc1 .LBB115_271
; %bb.1:
	s_load_dword s0, s[4:5], 0xd0
	s_mov_b32 s61, 0
	s_mov_b32 s33, s7
	s_waitcnt lgkmcnt(0)
	s_cmp_lt_i32 s0, 2
	s_cbranch_scc1 .LBB115_4
; %bb.2:
	s_add_i32 s60, s0, -1
	s_add_i32 s2, s0, 1
	s_lshl_b64 s[0:1], s[60:61], 2
	s_add_u32 s0, s0, s4
	s_addc_u32 s1, s1, s5
	s_add_u32 s0, s0, 8
	s_addc_u32 s1, s1, 0
	s_mov_b32 s33, s7
.LBB115_3:                              ; =>This Inner Loop Header: Depth=1
	s_load_dword s3, s[0:1], 0x0
	s_load_dword s9, s[0:1], 0x64
	s_mov_b32 s8, s33
	s_waitcnt lgkmcnt(0)
	v_cvt_f32_u32_e32 v1, s3
	s_sub_i32 s13, 0, s3
	v_rcp_iflag_f32_e32 v1, v1
	v_mul_f32_e32 v1, 0x4f7ffffe, v1
	v_cvt_u32_f32_e32 v1, v1
	v_readfirstlane_b32 s14, v1
	s_mul_i32 s13, s13, s14
	s_mul_hi_u32 s13, s14, s13
	s_add_i32 s14, s14, s13
	s_mul_hi_u32 s13, s33, s14
	s_mul_i32 s14, s13, s3
	s_sub_i32 s14, s33, s14
	s_add_i32 s15, s13, 1
	s_sub_i32 s16, s14, s3
	s_cmp_ge_u32 s14, s3
	s_cselect_b32 s13, s15, s13
	s_cselect_b32 s14, s16, s14
	s_add_i32 s15, s13, 1
	s_cmp_ge_u32 s14, s3
	s_cselect_b32 s33, s15, s13
	s_mul_i32 s3, s33, s3
	s_sub_i32 s3, s8, s3
	s_mul_i32 s3, s9, s3
	s_add_i32 s2, s2, -1
	s_add_i32 s61, s3, s61
	s_add_u32 s0, s0, -4
	s_addc_u32 s1, s1, -1
	s_cmp_gt_u32 s2, 2
	s_cbranch_scc1 .LBB115_3
.LBB115_4:
	s_load_dword s2, s[4:5], 0x1a8
	s_add_u32 s0, s4, 0xd8
	s_addc_u32 s1, s5, 0
	s_mov_b32 s63, 0
	s_mov_b32 s57, s7
	s_waitcnt lgkmcnt(0)
	s_cmp_lt_i32 s2, 2
	s_cbranch_scc1 .LBB115_7
; %bb.5:
	s_add_i32 s62, s2, -1
	s_add_i32 s8, s2, 1
	s_lshl_b64 s[2:3], s[62:63], 2
	s_add_u32 s2, s2, s0
	s_addc_u32 s3, s3, s1
	s_add_u32 s2, s2, 8
	s_addc_u32 s3, s3, 0
	s_mov_b32 s57, s7
.LBB115_6:                              ; =>This Inner Loop Header: Depth=1
	s_load_dword s9, s[2:3], 0x0
	s_load_dword s14, s[2:3], 0x64
	s_mov_b32 s13, s57
	s_waitcnt lgkmcnt(0)
	v_cvt_f32_u32_e32 v1, s9
	s_sub_i32 s15, 0, s9
	v_rcp_iflag_f32_e32 v1, v1
	v_mul_f32_e32 v1, 0x4f7ffffe, v1
	v_cvt_u32_f32_e32 v1, v1
	v_readfirstlane_b32 s16, v1
	s_mul_i32 s15, s15, s16
	s_mul_hi_u32 s15, s16, s15
	s_add_i32 s16, s16, s15
	s_mul_hi_u32 s15, s57, s16
	s_mul_i32 s16, s15, s9
	s_sub_i32 s16, s57, s16
	s_add_i32 s17, s15, 1
	s_sub_i32 s18, s16, s9
	s_cmp_ge_u32 s16, s9
	s_cselect_b32 s15, s17, s15
	s_cselect_b32 s16, s18, s16
	s_add_i32 s17, s15, 1
	s_cmp_ge_u32 s16, s9
	s_cselect_b32 s57, s17, s15
	s_mul_i32 s9, s57, s9
	s_sub_i32 s9, s13, s9
	s_mul_i32 s9, s14, s9
	s_add_i32 s8, s8, -1
	s_add_i32 s63, s9, s63
	s_add_u32 s2, s2, -4
	s_addc_u32 s3, s3, -1
	s_cmp_gt_u32 s8, 2
	s_cbranch_scc1 .LBB115_6
.LBB115_7:
	s_load_dword s2, s[4:5], 0x6c
                                        ; implicit-def: $vgpr54 : SGPR spill to VGPR lane
	s_add_u32 s8, s4, 0x1b0
	s_addc_u32 s9, s5, 0
	s_mov_b32 s3, 0
	s_waitcnt lgkmcnt(0)
	v_writelane_b32 v54, s2, 0
	s_load_dword s2, s[4:5], 0x280
	s_waitcnt lgkmcnt(0)
	s_cmp_lt_i32 s2, 2
	s_cbranch_scc1 .LBB115_10
; %bb.8:
	s_add_i32 s13, s2, 1
	s_add_i32 s2, s2, -1
	s_lshl_b64 s[14:15], s[2:3], 2
	s_add_u32 s2, s14, s8
	s_addc_u32 s9, s15, s9
	s_add_u32 s8, s2, 8
	s_addc_u32 s9, s9, 0
.LBB115_9:                              ; =>This Inner Loop Header: Depth=1
	s_load_dword s2, s[8:9], 0x0
	s_load_dword s15, s[8:9], 0x64
	s_mov_b32 s14, s7
	s_waitcnt lgkmcnt(0)
	v_cvt_f32_u32_e32 v1, s2
	s_sub_i32 s7, 0, s2
	v_rcp_iflag_f32_e32 v1, v1
	v_mul_f32_e32 v1, 0x4f7ffffe, v1
	v_cvt_u32_f32_e32 v1, v1
	v_readfirstlane_b32 s16, v1
	s_mul_i32 s7, s7, s16
	s_mul_hi_u32 s7, s16, s7
	s_add_i32 s16, s16, s7
	s_mul_hi_u32 s7, s14, s16
	s_mul_i32 s16, s7, s2
	s_sub_i32 s16, s14, s16
	s_add_i32 s17, s7, 1
	s_sub_i32 s18, s16, s2
	s_cmp_ge_u32 s16, s2
	s_cselect_b32 s7, s17, s7
	s_cselect_b32 s16, s18, s16
	s_add_i32 s17, s7, 1
	s_cmp_ge_u32 s16, s2
	s_cselect_b32 s7, s17, s7
	s_mul_i32 s2, s7, s2
	s_sub_i32 s2, s14, s2
	s_mul_i32 s2, s15, s2
	s_add_i32 s13, s13, -1
	s_add_i32 s3, s2, s3
	s_add_u32 s8, s8, -4
	s_addc_u32 s9, s9, -1
	s_cmp_gt_u32 s13, 2
	s_cbranch_scc1 .LBB115_9
.LBB115_10:
	s_load_dword s0, s[0:1], 0x6c
                                        ; kill: killed $sgpr4 killed $sgpr5
	v_mov_b32_e32 v2, 0
	v_mul_lo_u32 v16, v0, s58
	s_waitcnt lgkmcnt(0)
	v_writelane_b32 v54, s0, 1
	s_load_dword s2, s[4:5], 0x21c
	s_load_dwordx2 s[0:1], s[4:5], 0x0
	s_waitcnt lgkmcnt(0)
	s_mul_i32 s2, s2, s7
	v_writelane_b32 v54, s0, 2
	v_writelane_b32 v54, s1, 3
	s_load_dwordx2 s[0:1], s[4:5], 0xd8
	s_waitcnt lgkmcnt(0)
	v_writelane_b32 v54, s0, 4
	v_writelane_b32 v54, s1, 5
	s_load_dwordx2 s[0:1], s[4:5], 0x1b0
	s_mov_b32 s5, 0
	s_add_i32 s4, s2, s3
	s_lshl_b64 s[2:3], s[4:5], 3
	s_waitcnt lgkmcnt(0)
	s_add_u32 s62, s0, s2
	s_addc_u32 s60, s1, s3
	v_cmp_gt_u32_e64 s[0:1], s56, v0
	s_mov_b64 s[2:3], exec
	v_writelane_b32 v54, s0, 6
	v_writelane_b32 v54, s1, 7
	s_and_b64 s[0:1], s[2:3], s[0:1]
	s_mov_b64 exec, s[0:1]
	s_cbranch_execz .LBB115_14
; %bb.11:
	s_load_dword s0, s[10:11], 0xc
	v_mov_b32_e32 v5, 0
	v_mul_lo_u32 v4, v0, s58
	s_mov_b64 s[4:5], 0
	v_mov_b32_e32 v1, s60
	s_waitcnt lgkmcnt(0)
	s_and_b32 s0, s0, 0xffff
	s_mul_i32 s1, s58, s0
	v_mov_b32_e32 v2, v5
	v_mov_b32_e32 v3, v0
.LBB115_12:                             ; =>This Inner Loop Header: Depth=1
	v_lshlrev_b64 v[6:7], 3, v[4:5]
	v_add_co_u32_e32 v6, vcc, s62, v6
	v_addc_co_u32_e32 v7, vcc, v1, v7, vcc
	global_load_dwordx2 v[6:7], v[6:7], off
	v_add_u32_e32 v3, s0, v3
	v_cmp_le_u32_e32 vcc, s56, v3
	s_or_b64 s[4:5], vcc, s[4:5]
	v_add_u32_e32 v4, s1, v4
	s_waitcnt vmcnt(0)
	v_cmp_u_f64_e32 vcc, v[6:7], v[6:7]
	v_addc_co_u32_e32 v2, vcc, 0, v2, vcc
	s_andn2_b64 exec, exec, s[4:5]
	s_cbranch_execnz .LBB115_12
; %bb.13:
	s_or_b64 exec, exec, s[4:5]
.LBB115_14:
	s_or_b64 exec, exec, s[2:3]
	v_cmp_eq_u32_e64 s[0:1], 0, v0
	s_mov_b64 s[4:5], exec
	v_writelane_b32 v54, s0, 8
	v_writelane_b32 v54, s1, 9
	s_and_b64 s[0:1], s[4:5], s[0:1]
	s_mov_b64 exec, s[0:1]
	s_cbranch_execz .LBB115_16
; %bb.15:
	v_mov_b32_e32 v4, 0
	v_mov_b32_e32 v5, v4
	ds_write_b64 v4, v[4:5] offset:4096
.LBB115_16:
	s_or_b64 exec, exec, s[4:5]
	v_cmp_ne_u32_e32 vcc, 0, v2
	s_waitcnt lgkmcnt(0)
	s_barrier
	s_and_saveexec_b64 s[4:5], vcc
	s_cbranch_execz .LBB115_21
; %bb.17:
	s_mov_b64 s[14:15], exec
	v_mov_b32_e32 v1, 0
	s_mov_b64 s[8:9], 0
.LBB115_18:                             ; =>This Inner Loop Header: Depth=1
	s_ff1_i32_b64 s0, s[14:15]
	v_readlane_b32 s2, v2, s0
	v_readlane_b32 s1, v1, s0
	s_add_u32 s8, s8, s2
	s_addc_u32 s9, s9, s1
	s_lshl_b64 s[0:1], 1, s0
	s_andn2_b64 s[14:15], s[14:15], s[0:1]
	s_cmp_lg_u64 s[14:15], 0
	s_cbranch_scc1 .LBB115_18
; %bb.19:
	v_mbcnt_lo_u32_b32 v1, exec_lo, 0
	v_mbcnt_hi_u32_b32 v1, exec_hi, v1
	v_cmp_eq_u32_e32 vcc, 0, v1
	s_and_saveexec_b64 s[0:1], vcc
	s_xor_b64 s[0:1], exec, s[0:1]
	s_cbranch_execz .LBB115_21
; %bb.20:
	v_mov_b32_e32 v1, 0
	v_pk_mov_b32 v[2:3], s[8:9], s[8:9] op_sel:[0,1]
	ds_add_u64 v1, v[2:3] offset:4096
.LBB115_21:
	s_or_b64 exec, exec, s[4:5]
	v_mov_b32_e32 v1, 0
	s_waitcnt lgkmcnt(0)
	s_barrier
	ds_read_b64 v[2:3], v1 offset:4096
	s_bitcmp1_b32 s59, 0
	s_cselect_b64 s[0:1], -1, 0
	s_mov_b32 s68, s56
	s_waitcnt lgkmcnt(0)
	v_cmp_gt_i64_e32 vcc, 1, v[2:3]
	s_or_b64 s[0:1], s[0:1], vcc
	s_andn2_b64 vcc, exec, s[0:1]
	s_cbranch_vccnz .LBB115_23
; %bb.22:
	v_not_b32_e32 v1, v2
	v_not_b32_e32 v2, v3
	v_add_co_u32_e32 v1, vcc, s56, v1
	v_addc_co_u32_e32 v2, vcc, 0, v2, vcc
	v_lshrrev_b32_e32 v3, 31, v2
	v_add_co_u32_e32 v1, vcc, v1, v3
	v_addc_co_u32_e32 v2, vcc, 0, v2, vcc
	v_alignbit_b32 v1, v2, v1, 1
	v_readfirstlane_b32 s0, v1
	s_add_i32 s68, s0, 1
.LBB115_23:
	s_mov_b64 s[4:5], exec
	v_readlane_b32 s0, v54, 8
	v_readlane_b32 s1, v54, 9
	s_and_b64 s[0:1], s[4:5], s[0:1]
	s_mov_b64 exec, s[0:1]
	s_cbranch_execz .LBB115_25
; %bb.24:
	v_mov_b32_e32 v2, 0
	v_mov_b32_e32 v3, s56
	ds_write_b32 v2, v2 offset:4112
	ds_write_b64 v2, v[2:3] offset:4104
.LBB115_25:
	s_or_b64 exec, exec, s[4:5]
	s_waitcnt lgkmcnt(0)
	s_barrier
	s_load_dword s0, s[10:11], 0xc
	v_mbcnt_lo_u32_b32 v1, -1, 0
	v_mbcnt_hi_u32_b32 v23, -1, v1
	v_cmp_gt_u32_e32 vcc, 64, v0
	v_cmp_gt_i32_e64 s[4:5], 4, v23
	s_waitcnt lgkmcnt(0)
	s_and_b32 s59, s0, 0xffff
	s_bfe_u32 s3, s0, 0xa0006
	s_mov_b32 s0, 0
	v_writelane_b32 v54, s0, 10
	v_writelane_b32 v54, s1, 11
	s_and_b64 s[0:1], vcc, s[4:5]
	v_writelane_b32 v54, s0, 12
	v_writelane_b32 v54, s1, 13
	s_add_i32 s0, s59, -1
	s_lshl_b32 s73, s59, 2
	v_writelane_b32 v54, s0, 14
	s_add_i32 s0, s0, s56
	s_cmpk_gt_u32 s56, 0x180
	s_cselect_b64 s[4:5], -1, 0
	v_writelane_b32 v54, s4, 15
	s_cmp_gt_u32 s59, 63
	v_writelane_b32 v54, s5, 16
	s_cselect_b64 s[4:5], -1, 0
	s_cmp_lt_u32 s6, s12
	v_writelane_b32 v54, s4, 17
	s_cselect_b32 s1, 12, 18
	v_writelane_b32 v54, s5, 18
	s_add_u32 s4, s10, s1
	s_addc_u32 s5, s11, 0
	s_add_i32 s1, s3, -2
	s_lshr_b32 s2, s1, 1
	v_mov_b32_e32 v19, 0
	s_add_i32 s2, s2, 1
	v_writelane_b32 v54, s4, 19
	s_cmpk_gt_u32 s59, 0x7f
	v_mov_b32_e32 v17, v19
	v_writelane_b32 v54, s5, 20
	s_cselect_b64 s[4:5], -1, 0
	v_lshlrev_b64 v[2:3], 3, v[16:17]
	v_writelane_b32 v54, s4, 21
	v_mov_b32_e32 v17, s60
	v_add_co_u32_e32 v20, vcc, s62, v2
	v_writelane_b32 v54, s5, 22
	v_cmp_gt_u32_e64 s[6:7], 2, v0
	v_addc_co_u32_e32 v21, vcc, v17, v3, vcc
	v_lshlrev_b64 v[2:3], v23, -1
	v_writelane_b32 v54, s6, 23
	v_not_b32_e32 v22, v2
	v_cvt_f32_u32_e32 v2, s73
	v_writelane_b32 v54, s7, 24
	s_and_b32 s6, s3, 0x3fe
	s_and_b32 s7, s2, 7
	s_cmp_gt_u32 s1, 13
	s_cselect_b64 s[8:9], -1, 0
	v_writelane_b32 v54, s8, 25
	v_rcp_iflag_f32_e32 v2, v2
	v_writelane_b32 v54, s9, 26
	s_and_b32 s1, s2, -8
	v_writelane_b32 v54, s1, 27
	s_cmp_lg_u32 s7, 0
	v_writelane_b32 v54, s7, 28
	s_cselect_b64 s[8:9], -1, 0
	v_writelane_b32 v54, s8, 29
	v_mul_f32_e32 v2, 0x4f7ffffe, v2
	v_writelane_b32 v54, s9, 30
	v_cvt_u32_f32_e32 v2, v2
	v_writelane_b32 v54, s3, 31
	s_cmp_lg_u32 s6, s3
	v_writelane_b32 v54, s6, 32
	s_cselect_b64 s[2:3], -1, 0
	v_writelane_b32 v54, s2, 33
	v_writelane_b32 v54, s3, 34
	s_sub_i32 s1, 0, s73
	v_readfirstlane_b32 s2, v2
	s_mul_i32 s1, s1, s2
	s_mul_hi_u32 s1, s2, s1
	s_add_i32 s71, s2, s1
	v_cvt_f32_u32_e32 v2, s59
	s_mul_hi_u32 s1, s56, s71
	s_mul_i32 s1, s1, s73
	s_sub_i32 s1, s56, s1
	s_sub_i32 s2, s1, s73
	v_rcp_iflag_f32_e32 v5, v2
	s_cmp_ge_u32 s1, s73
	s_cselect_b32 s1, s2, s1
	s_sub_i32 s2, s1, s73
	s_cmp_ge_u32 s1, s73
	v_mul_f32_e32 v5, 0x4f7ffffe, v5
	s_cselect_b32 s1, s2, s1
	v_cvt_u32_f32_e32 v5, v5
	v_lshlrev_b32_e32 v30, 2, v0
	s_sub_i32 s2, s56, s1
	v_cmp_gt_u32_e64 s[6:7], s2, v30
	v_writelane_b32 v54, s6, 35
	v_writelane_b32 v54, s7, 36
	s_sub_i32 s3, 0, s59
	v_readfirstlane_b32 s6, v5
	s_mul_i32 s3, s3, s6
	s_mul_hi_u32 s3, s6, s3
	s_add_i32 s3, s6, s3
	v_writelane_b32 v54, s3, 37
	s_mul_hi_u32 s3, s0, s3
	s_mul_i32 s3, s3, s59
	s_sub_i32 s3, s0, s3
	s_sub_i32 s6, s3, s59
	v_add_u32_e32 v35, s2, v0
	s_cmp_ge_u32 s3, s59
	v_lshrrev_b32_e32 v1, 4, v0
	v_mul_lo_u32 v18, v35, s58
	s_cselect_b32 s3, s6, s3
	v_and_b32_e32 v33, 60, v1
	v_not_b32_e32 v1, v3
	v_lshlrev_b64 v[2:3], 3, v[18:19]
	s_sub_i32 s6, s3, s59
	v_add_co_u32_e32 v24, vcc, s62, v2
	s_cmp_ge_u32 s3, s59
	v_mul_lo_u32 v2, s58, v30
	s_cselect_b32 s3, s6, s3
	v_add_u32_e32 v36, s58, v2
	v_or_b32_e32 v2, 2, v30
	s_sub_i32 s13, s0, s3
	v_mul_lo_u32 v37, s58, v2
	v_or_b32_e32 v2, 3, v30
	s_add_i32 s0, s59, s56
	v_mul_lo_u32 v38, s58, v2
	v_add_u32_e32 v2, s0, v0
	v_lshlrev_b32_e32 v31, 3, v0
	v_lshlrev_b32_e32 v4, 2, v23
	v_mov_b32_e32 v6, s60
	v_cmp_gt_u32_e64 s[6:7], s13, v0
	s_mul_i32 s72, s58, s59
	v_subrev_u32_e32 v2, s1, v2
	v_cmp_eq_u32_e64 s[4:5], 0, v23
	v_add_u32_e32 v32, 0xc00, v31
	v_and_b32_e32 v34, 0x100, v4
	v_cmp_gt_u32_e64 s[10:11], s56, v35
	v_addc_co_u32_e32 v25, vcc, v6, v3, vcc
	v_writelane_b32 v54, s6, 38
	s_lshl_b32 s3, s72, 2
	v_lshlrev_b32_e32 v39, 2, v16
	v_mul_lo_u32 v40, s58, v2
	v_lshlrev_b32_e32 v41, 5, v0
	s_lshl_b32 s74, s59, 5
	s_lshl_b32 s75, s59, 3
	v_or_b32_e32 v42, 0xc00, v4
	s_mov_b32 s8, 62
	s_mov_b64 s[86:87], 0
	v_pk_mov_b32 v[6:7], 0, 0
	v_mov_b32_e32 v3, 0x3ff00000
	v_mov_b32_e32 v43, 0xc00
	s_mov_b32 s9, 0
	s_mov_b64 s[82:83], 0
	s_mov_b64 s[80:81], 0
	v_writelane_b32 v54, s7, 39
                                        ; implicit-def: $sgpr88_sgpr89
                                        ; implicit-def: $sgpr92_sgpr93
                                        ; implicit-def: $sgpr90_sgpr91
                                        ; implicit-def: $sgpr94_sgpr95
                                        ; implicit-def: $sgpr64_sgpr65
                                        ; implicit-def: $sgpr66_sgpr67
	s_branch .LBB115_30
.LBB115_26:                             ;   in Loop: Header=BB115_30 Depth=1
	s_xor_b32 s9, s9, 1
	s_add_i32 s0, s8, -2
	s_cmp_eq_u32 s8, 0
	s_mov_b64 s[16:17], 0
	s_cselect_b64 s[20:21], -1, 0
	s_mov_b32 s8, s0
.LBB115_27:                             ;   in Loop: Header=BB115_30 Depth=1
	s_andn2_b64 s[0:1], s[24:25], exec
	s_and_b64 s[6:7], s[16:17], exec
	s_or_b64 s[24:25], s[0:1], s[6:7]
	s_andn2_b64 s[28:29], s[28:29], exec
	s_andn2_b64 s[22:23], s[22:23], exec
	s_orn2_b64 s[20:21], s[20:21], exec
	s_mov_b32 s68, s39
.LBB115_28:                             ;   in Loop: Header=BB115_30 Depth=1
	s_or_b64 exec, exec, s[14:15]
	s_andn2_b64 s[0:1], s[66:67], exec
	s_and_b64 s[6:7], s[24:25], exec
	s_or_b64 s[66:67], s[0:1], s[6:7]
	s_andn2_b64 s[0:1], s[64:65], exec
	s_and_b64 s[6:7], s[28:29], exec
	s_or_b64 s[64:65], s[0:1], s[6:7]
	;; [unrolled: 3-line block ×3, first 2 shown]
	s_orn2_b64 s[20:21], s[20:21], exec
.LBB115_29:                             ;   in Loop: Header=BB115_30 Depth=1
	s_or_b64 exec, exec, s[18:19]
	s_and_b64 s[0:1], exec, s[20:21]
	s_or_b64 s[86:87], s[0:1], s[86:87]
	s_andn2_b64 s[0:1], s[90:91], exec
	s_and_b64 s[6:7], s[66:67], exec
	s_or_b64 s[90:91], s[0:1], s[6:7]
	s_andn2_b64 s[0:1], s[92:93], exec
	s_and_b64 s[6:7], s[64:65], exec
	;; [unrolled: 3-line block ×3, first 2 shown]
	s_waitcnt vmcnt(0)
	v_pk_mov_b32 v[4:5], s[82:83], s[82:83] op_sel:[0,1]
	s_or_b64 s[88:89], s[0:1], s[6:7]
	s_andn2_b64 exec, exec, s[86:87]
	s_cbranch_execz .LBB115_267
.LBB115_30:                             ; =>This Loop Header: Depth=1
                                        ;     Child Loop BB115_38 Depth 2
                                        ;     Child Loop BB115_56 Depth 2
	;; [unrolled: 1-line block ×17, first 2 shown]
	ds_read_b64 v[4:5], v19 offset:4104
	s_waitcnt lgkmcnt(0)
	v_readfirstlane_b32 s69, v4
	s_cmp_lg_u32 s69, 0
	s_cbranch_scc1 .LBB115_63
; %bb.31:                               ;   in Loop: Header=BB115_30 Depth=1
	v_readlane_b32 s0, v54, 15
	v_readlane_b32 s1, v54, 16
	s_and_b64 vcc, exec, s[0:1]
	s_cbranch_vccz .LBB115_46
; %bb.32:                               ;   in Loop: Header=BB115_30 Depth=1
	s_movk_i32 s0, 0x181
	v_cmp_gt_u32_e32 vcc, s0, v5
	s_mov_b64 s[18:19], 0
	s_mov_b64 s[14:15], 0
	s_cbranch_vccz .LBB115_47
; %bb.33:                               ;   in Loop: Header=BB115_30 Depth=1
	v_pk_mov_b32 v[4:5], 0, 0
	s_mov_b64 s[14:15], exec
	v_readlane_b32 s0, v54, 6
	v_readlane_b32 s1, v54, 7
	s_and_b64 s[0:1], s[14:15], s[0:1]
	s_mov_b64 exec, s[0:1]
	s_cbranch_execz .LBB115_35
; %bb.34:                               ;   in Loop: Header=BB115_30 Depth=1
	global_load_dwordx2 v[4:5], v[20:21], off
.LBB115_35:                             ;   in Loop: Header=BB115_30 Depth=1
	s_or_b64 exec, exec, s[14:15]
	s_mov_b64 s[20:21], exec
	v_readlane_b32 s0, v54, 6
	v_readlane_b32 s1, v54, 7
	s_and_b64 s[0:1], s[20:21], s[0:1]
	s_mov_b64 exec, s[0:1]
	s_cbranch_execz .LBB115_48
; %bb.36:                               ;   in Loop: Header=BB115_30 Depth=1
	v_readlane_b32 s0, v54, 19
	v_readlane_b32 s1, v54, 20
	s_mov_b64 s[22:23], 0
	v_mov_b32_e32 v11, v0
	s_nop 2
	global_load_ushort v2, v19, s[0:1]
	s_waitcnt vmcnt(0)
	v_add_u32_e32 v8, v0, v2
	v_mul_lo_u32 v10, s58, v2
	v_mul_lo_u32 v18, s58, v8
	s_branch .LBB115_38
.LBB115_37:                             ;   in Loop: Header=BB115_38 Depth=2
	s_or_b64 exec, exec, s[16:17]
	v_add_u32_e32 v18, v18, v10
	s_waitcnt vmcnt(0)
	v_pk_mov_b32 v[4:5], v[8:9], v[8:9] op_sel:[0,1]
	s_andn2_b64 exec, exec, s[22:23]
	s_cbranch_execz .LBB115_48
.LBB115_38:                             ;   Parent Loop BB115_30 Depth=1
                                        ; =>  This Inner Loop Header: Depth=2
	v_add_u32_e32 v11, v11, v2
	v_cmp_gt_u32_e64 s[14:15], s56, v11
	v_cmp_le_u32_e32 vcc, s56, v11
	v_pk_mov_b32 v[8:9], 0, 0
	s_and_saveexec_b64 s[16:17], s[14:15]
	s_cbranch_execz .LBB115_40
; %bb.39:                               ;   in Loop: Header=BB115_38 Depth=2
	v_lshlrev_b64 v[8:9], 3, v[18:19]
	v_add_co_u32_e64 v8, s[14:15], s62, v8
	v_addc_co_u32_e64 v9, s[14:15], v17, v9, s[14:15]
	global_load_dwordx2 v[8:9], v[8:9], off
.LBB115_40:                             ;   in Loop: Header=BB115_38 Depth=2
	s_or_b64 exec, exec, s[16:17]
	s_waitcnt lgkmcnt(0)
	v_ashrrev_i32_e32 v12, 31, v5
	v_or_b32_e32 v13, 0x80000000, v12
	v_xor_b32_e32 v13, v13, v5
	v_xor_b32_e32 v12, v12, v4
	v_cmp_o_f64_e64 s[14:15], v[4:5], v[4:5]
	v_cndmask_b32_e64 v13, -1, v13, s[14:15]
	v_cndmask_b32_e64 v12, -1, v12, s[14:15]
	v_and_b32_e32 v13, s81, v13
	v_and_b32_e32 v12, s80, v12
	v_cmp_eq_u64_e64 s[14:15], s[82:83], v[12:13]
	s_cmp_lg_u64 s[14:15], 0
	s_cselect_b64 s[0:1], -1, 0
	s_and_b64 s[0:1], s[4:5], s[0:1]
	v_mov_b32_e32 v12, 0
	s_and_saveexec_b64 s[24:25], s[0:1]
	s_cbranch_execz .LBB115_44
; %bb.41:                               ;   in Loop: Header=BB115_38 Depth=2
	s_mov_b64 s[28:29], exec
	v_mbcnt_lo_u32_b32 v12, s28, 0
	v_mbcnt_hi_u32_b32 v12, s29, v12
	s_bcnt1_i32_b64 s0, s[14:15]
	v_cmp_eq_u32_e64 s[16:17], 0, v12
                                        ; implicit-def: $vgpr13
	s_and_saveexec_b64 s[26:27], s[16:17]
	s_cbranch_execz .LBB115_43
; %bb.42:                               ;   in Loop: Header=BB115_38 Depth=2
	s_bcnt1_i32_b64 s1, s[28:29]
	s_mul_i32 s1, s0, s1
	v_mov_b32_e32 v13, s1
	ds_add_rtn_u32 v13, v19, v13 offset:4112
.LBB115_43:                             ;   in Loop: Header=BB115_38 Depth=2
	s_or_b64 exec, exec, s[26:27]
	s_waitcnt lgkmcnt(0)
	v_readfirstlane_b32 s1, v13
	v_mov_b32_e32 v13, s1
	v_mad_u32_u24 v12, s0, v12, v13
.LBB115_44:                             ;   in Loop: Header=BB115_38 Depth=2
	s_or_b64 exec, exec, s[24:25]
	ds_bpermute_b32 v12, v34, v12
	s_and_b64 s[0:1], exec, vcc
	s_or_b64 s[22:23], s[0:1], s[22:23]
	s_and_saveexec_b64 s[16:17], s[14:15]
	s_cbranch_execz .LBB115_37
; %bb.45:                               ;   in Loop: Header=BB115_38 Depth=2
	v_and_b32_e32 v14, s14, v22
	v_and_b32_e32 v13, s15, v1
	v_bcnt_u32_b32 v14, v14, 0
	v_bcnt_u32_b32 v13, v13, v14
	v_lshlrev_b32_e32 v13, 3, v13
	s_waitcnt lgkmcnt(0)
	v_lshl_add_u32 v12, v12, 3, v13
	ds_write_b64 v12, v[4:5]
	s_branch .LBB115_37
.LBB115_46:                             ;   in Loop: Header=BB115_30 Depth=1
	s_mov_b64 s[14:15], 0
                                        ; implicit-def: $sgpr69
	s_cbranch_execnz .LBB115_51
	s_branch .LBB115_61
.LBB115_47:                             ;   in Loop: Header=BB115_30 Depth=1
	s_mov_b32 s69, 0
	s_and_b64 vcc, exec, s[18:19]
	s_cbranch_vccnz .LBB115_51
	s_branch .LBB115_61
.LBB115_48:                             ;   in Loop: Header=BB115_30 Depth=1
	s_or_b64 exec, exec, s[20:21]
	s_waitcnt lgkmcnt(0)
	s_barrier
	s_mov_b64 s[14:15], exec
	v_readlane_b32 s0, v54, 8
	v_readlane_b32 s1, v54, 9
	s_and_b64 s[0:1], s[14:15], s[0:1]
	s_mov_b64 exec, s[0:1]
	s_cbranch_execz .LBB115_50
; %bb.49:                               ;   in Loop: Header=BB115_30 Depth=1
	ds_read_b32 v2, v19 offset:4112
	s_waitcnt lgkmcnt(0)
	ds_write_b32 v19, v2 offset:4104
.LBB115_50:                             ;   in Loop: Header=BB115_30 Depth=1
	s_or_b64 exec, exec, s[14:15]
	s_waitcnt lgkmcnt(0)
	s_barrier
	s_mov_b64 s[14:15], -1
	s_mov_b32 s69, 0
	s_and_b64 vcc, exec, s[18:19]
	s_cbranch_vccz .LBB115_61
.LBB115_51:                             ;   in Loop: Header=BB115_30 Depth=1
	s_waitcnt vmcnt(0)
	v_pk_mov_b32 v[4:5], 0, 0
	s_mov_b64 s[14:15], exec
	v_readlane_b32 s0, v54, 6
	v_readlane_b32 s1, v54, 7
	s_and_b64 s[0:1], s[14:15], s[0:1]
	s_mov_b64 exec, s[0:1]
	s_cbranch_execz .LBB115_53
; %bb.52:                               ;   in Loop: Header=BB115_30 Depth=1
	global_load_dwordx2 v[4:5], v[20:21], off
.LBB115_53:                             ;   in Loop: Header=BB115_30 Depth=1
	s_or_b64 exec, exec, s[14:15]
	s_mov_b64 s[16:17], exec
	v_readlane_b32 s0, v54, 6
	v_readlane_b32 s1, v54, 7
	s_and_b64 s[0:1], s[16:17], s[0:1]
	s_mov_b64 exec, s[0:1]
	s_cbranch_execz .LBB115_58
; %bb.54:                               ;   in Loop: Header=BB115_30 Depth=1
	v_readlane_b32 s0, v54, 19
	v_readlane_b32 s1, v54, 20
	s_mov_b64 s[18:19], 0
	v_mov_b32_e32 v10, v31
	v_mov_b32_e32 v13, v0
	s_nop 1
	global_load_ushort v2, v19, s[0:1]
	s_waitcnt vmcnt(0)
	v_add_u32_e32 v8, v0, v2
	v_lshlrev_b32_e32 v11, 3, v2
	v_mul_lo_u32 v12, s58, v2
	v_mul_lo_u32 v18, s58, v8
	s_branch .LBB115_56
.LBB115_55:                             ;   in Loop: Header=BB115_56 Depth=2
	s_or_b64 exec, exec, s[20:21]
	s_and_b64 s[0:1], exec, vcc
	s_or_b64 s[18:19], s[0:1], s[18:19]
	ds_write_b64 v10, v[4:5]
	v_add_u32_e32 v10, v10, v11
	v_add_u32_e32 v18, v18, v12
	s_waitcnt vmcnt(0)
	v_pk_mov_b32 v[4:5], v[8:9], v[8:9] op_sel:[0,1]
	s_andn2_b64 exec, exec, s[18:19]
	s_cbranch_execz .LBB115_58
.LBB115_56:                             ;   Parent Loop BB115_30 Depth=1
                                        ; =>  This Inner Loop Header: Depth=2
	v_add_u32_e32 v13, v13, v2
	v_cmp_gt_u32_e64 s[14:15], s56, v13
	v_cmp_le_u32_e32 vcc, s56, v13
	v_pk_mov_b32 v[8:9], 0, 0
	s_and_saveexec_b64 s[20:21], s[14:15]
	s_cbranch_execz .LBB115_55
; %bb.57:                               ;   in Loop: Header=BB115_56 Depth=2
	v_lshlrev_b64 v[8:9], 3, v[18:19]
	v_mov_b32_e32 v14, s60
	v_add_co_u32_e64 v8, s[14:15], s62, v8
	v_addc_co_u32_e64 v9, s[14:15], v14, v9, s[14:15]
	global_load_dwordx2 v[8:9], v[8:9], off
	s_branch .LBB115_55
.LBB115_58:                             ;   in Loop: Header=BB115_30 Depth=1
	s_or_b64 exec, exec, s[16:17]
	s_waitcnt lgkmcnt(0)
	s_barrier
	s_mov_b64 s[14:15], exec
	v_readlane_b32 s0, v54, 8
	v_readlane_b32 s1, v54, 9
	s_and_b64 s[0:1], s[14:15], s[0:1]
	s_mov_b64 exec, s[0:1]
	s_cbranch_execz .LBB115_60
; %bb.59:                               ;   in Loop: Header=BB115_30 Depth=1
	v_mov_b32_e32 v2, s56
	ds_write_b32 v19, v2 offset:4104
.LBB115_60:                             ;   in Loop: Header=BB115_30 Depth=1
	s_or_b64 exec, exec, s[14:15]
	s_mov_b64 s[14:15], -1
	s_waitcnt lgkmcnt(0)
	s_barrier
                                        ; implicit-def: $sgpr69
.LBB115_61:                             ;   in Loop: Header=BB115_30 Depth=1
	s_and_b64 vcc, exec, s[14:15]
	s_cbranch_vccz .LBB115_63
; %bb.62:                               ;   in Loop: Header=BB115_30 Depth=1
	ds_read_b32 v2, v19 offset:4104
	s_waitcnt lgkmcnt(0)
	v_readfirstlane_b32 s69, v2
.LBB115_63:                             ;   in Loop: Header=BB115_30 Depth=1
	s_cmp_lt_i32 s69, 1
	s_cbranch_scc0 .LBB115_75
; %bb.64:                               ;   in Loop: Header=BB115_30 Depth=1
	v_mov_b32_e32 v8, 0
	s_mov_b32 s48, 0
	v_mov_b32_e32 v9, 0
	v_mov_b32_e32 v10, v8
	;; [unrolled: 1-line block ×3, first 2 shown]
	s_mov_b64 s[44:45], exec
	v_readlane_b32 s0, v54, 35
	v_readlane_b32 s1, v54, 36
	s_and_b64 s[0:1], s[44:45], s[0:1]
	s_mov_b64 exec, s[0:1]
	s_cbranch_execz .LBB115_68
; %bb.65:                               ;   in Loop: Header=BB115_30 Depth=1
	s_and_b32 s49, s8, 0xfe
	s_mov_b64 s[46:47], 0
	s_mov_b32 s50, 0
	s_mov_b32 s51, 0
	;; [unrolled: 1-line block ×4, first 2 shown]
	v_mov_b32_e32 v2, v30
.LBB115_66:                             ;   Parent Loop BB115_30 Depth=1
                                        ; =>  This Inner Loop Header: Depth=2
	v_add_u32_e32 v18, s48, v39
	v_lshlrev_b64 v[12:13], 3, v[18:19]
	s_waitcnt vmcnt(0)
	v_mov_b32_e32 v4, s60
	v_add_u32_e32 v18, s48, v36
	v_add_co_u32_e64 v12, s[14:15], s62, v12
	v_lshlrev_b64 v[14:15], 3, v[18:19]
	v_addc_co_u32_e64 v13, s[14:15], v4, v13, s[14:15]
	v_add_u32_e32 v18, s48, v37
	v_add_co_u32_e64 v14, s[14:15], s62, v14
	v_lshlrev_b64 v[26:27], 3, v[18:19]
	v_addc_co_u32_e64 v15, s[14:15], v4, v15, s[14:15]
	v_add_u32_e32 v18, s48, v38
	v_add_co_u32_e64 v26, s[14:15], s62, v26
	global_load_dwordx2 v[12:13], v[12:13], off
	v_lshlrev_b64 v[28:29], 3, v[18:19]
	global_load_dwordx2 v[14:15], v[14:15], off
	v_addc_co_u32_e64 v27, s[14:15], v4, v27, s[14:15]
	global_load_dwordx2 v[26:27], v[26:27], off
	v_add_co_u32_e64 v28, s[14:15], s62, v28
	v_addc_co_u32_e64 v29, s[14:15], v4, v29, s[14:15]
	global_load_dwordx2 v[28:29], v[28:29], off
	v_mov_b32_e32 v11, v19
	v_mov_b32_e32 v9, v19
	;; [unrolled: 1-line block ×3, first 2 shown]
	v_add_u32_e32 v2, s73, v2
	v_cmp_le_u32_e32 vcc, s2, v2
	s_add_i32 s48, s48, s3
	s_waitcnt vmcnt(3)
	v_ashrrev_i32_e32 v4, 31, v13
	v_or_b32_e32 v8, 0x80000000, v4
	s_waitcnt vmcnt(2)
	v_ashrrev_i32_e32 v10, 31, v15
	v_xor_b32_e32 v4, v4, v12
	v_cmp_o_f64_e64 s[14:15], v[12:13], v[12:13]
	v_xor_b32_e32 v8, v8, v13
	v_or_b32_e32 v18, 0x80000000, v10
	s_waitcnt vmcnt(1)
	v_ashrrev_i32_e32 v44, 31, v27
	v_xor_b32_e32 v10, v10, v14
	v_cndmask_b32_e64 v12, -1, v4, s[14:15]
	v_cmp_o_f64_e64 s[16:17], v[14:15], v[14:15]
	v_cndmask_b32_e64 v13, -1, v8, s[14:15]
	v_xor_b32_e32 v4, v18, v15
	v_or_b32_e32 v8, 0x80000000, v44
	s_waitcnt vmcnt(0)
	v_ashrrev_i32_e32 v45, 31, v29
	v_xor_b32_e32 v18, v44, v26
	v_cndmask_b32_e64 v14, -1, v10, s[16:17]
	v_and_b32_e32 v44, s80, v12
	v_cmp_o_f64_e64 s[14:15], v[26:27], v[26:27]
	v_cndmask_b32_e64 v15, -1, v4, s[16:17]
	v_xor_b32_e32 v4, v8, v27
	v_or_b32_e32 v8, 0x80000000, v45
	v_xor_b32_e32 v10, v45, v28
	v_and_b32_e32 v45, s81, v13
	v_lshrrev_b64 v[12:13], s49, v[12:13]
	v_cndmask_b32_e64 v26, -1, v18, s[14:15]
	v_and_b32_e32 v18, 3, v12
	v_cmp_o_f64_e64 s[16:17], v[28:29], v[28:29]
	v_cndmask_b32_e64 v27, -1, v4, s[14:15]
	v_cmp_eq_u64_e64 s[14:15], s[82:83], v[44:45]
	v_lshrrev_b64 v[12:13], s49, v[14:15]
	v_cmp_eq_u64_e64 s[18:19], 0, v[18:19]
	v_and_b32_e32 v46, s80, v14
	v_xor_b32_e32 v4, v8, v29
	v_cndmask_b32_e64 v14, -1, v10, s[16:17]
	v_and_b32_e32 v10, 3, v12
	v_cmp_eq_u64_e64 s[20:21], 1, v[18:19]
	s_and_b64 s[0:1], s[14:15], s[18:19]
	v_and_b32_e32 v47, s81, v15
	v_cndmask_b32_e64 v15, -1, v4, s[16:17]
	v_lshrrev_b64 v[12:13], s49, v[26:27]
	v_cmp_eq_u64_e64 s[22:23], 2, v[18:19]
	v_cmp_eq_u64_e64 s[28:29], 0, v[10:11]
	v_cmp_eq_u64_e64 s[30:31], 1, v[10:11]
	v_cmp_eq_u64_e64 s[34:35], 2, v[10:11]
	v_cmp_eq_u64_e64 s[36:37], 3, v[10:11]
	v_cndmask_b32_e64 v10, 0, 1, s[0:1]
	s_and_b64 s[0:1], s[14:15], s[20:21]
	v_cmp_eq_u64_e64 s[24:25], 3, v[18:19]
	v_and_b32_e32 v8, 3, v12
	v_lshrrev_b64 v[12:13], s49, v[14:15]
	v_cndmask_b32_e64 v11, 0, 1, s[0:1]
	s_and_b64 s[0:1], s[14:15], s[22:23]
	v_cmp_eq_u64_e64 s[16:17], s[82:83], v[46:47]
	v_cndmask_b32_e64 v13, 0, 1, s[0:1]
	s_and_b64 s[0:1], s[14:15], s[24:25]
	v_and_b32_e32 v28, s80, v26
	v_and_b32_e32 v26, s80, v14
	v_cndmask_b32_e64 v14, 0, 1, s[0:1]
	s_and_b64 s[0:1], s[16:17], s[28:29]
	v_cmp_eq_u64_e64 s[18:19], 0, v[8:9]
	v_cmp_eq_u64_e64 s[20:21], 1, v[8:9]
	;; [unrolled: 1-line block ×4, first 2 shown]
	v_cndmask_b32_e64 v8, 0, 1, s[0:1]
	s_and_b64 s[0:1], s[16:17], s[30:31]
	v_and_b32_e32 v29, s81, v27
	v_cndmask_b32_e64 v9, 0, 1, s[0:1]
	s_and_b64 s[0:1], s[16:17], s[34:35]
	v_cmp_eq_u64_e64 s[26:27], s[82:83], v[28:29]
	v_cmp_ne_u32_e64 s[38:39], 0, v10
	v_cndmask_b32_e64 v10, 0, 1, s[0:1]
	s_and_b64 s[0:1], s[16:17], s[36:37]
	v_and_b32_e32 v4, 3, v12
	v_cmp_ne_u32_e64 s[28:29], 0, v11
	v_cndmask_b32_e64 v11, 0, 1, s[0:1]
	s_and_b64 s[0:1], s[26:27], s[18:19]
	v_cmp_eq_u64_e64 s[16:17], 0, v[4:5]
	v_cmp_eq_u64_e64 s[36:37], 1, v[4:5]
	;; [unrolled: 1-line block ×4, first 2 shown]
	v_cndmask_b32_e64 v4, 0, 1, s[0:1]
	s_and_b64 s[0:1], s[26:27], s[20:21]
	v_and_b32_e32 v27, s81, v15
	v_cndmask_b32_e64 v5, 0, 1, s[0:1]
	s_and_b64 s[0:1], s[26:27], s[22:23]
	v_cmp_eq_u64_e64 s[14:15], s[82:83], v[26:27]
	s_bcnt1_i32_b64 s6, s[38:39]
	v_cmp_ne_u32_e64 s[38:39], 0, v8
	v_cndmask_b32_e64 v8, 0, 1, s[0:1]
	s_and_b64 s[0:1], s[26:27], s[24:25]
	v_cmp_ne_u32_e64 s[18:19], 0, v9
	v_cndmask_b32_e64 v9, 0, 1, s[0:1]
	s_and_b64 s[0:1], s[14:15], s[16:17]
	;; [unrolled: 3-line block ×3, first 2 shown]
	v_cmp_ne_u32_e64 s[30:31], 0, v13
	v_cmp_ne_u32_e64 s[34:35], 0, v14
	;; [unrolled: 1-line block ×3, first 2 shown]
	v_cndmask_b32_e64 v5, 0, 1, s[0:1]
	s_and_b64 s[0:1], s[14:15], s[40:41]
	s_bcnt1_i32_b64 s7, s[28:29]
	s_bcnt1_i32_b64 s12, s[30:31]
	v_cmp_ne_u32_e64 s[20:21], 0, v10
	s_bcnt1_i32_b64 s28, s[34:35]
	v_cmp_ne_u32_e64 s[22:23], 0, v11
	;; [unrolled: 2-line block ×3, first 2 shown]
	v_cndmask_b32_e64 v8, 0, 1, s[0:1]
	s_and_b64 s[0:1], s[14:15], s[42:43]
	s_bcnt1_i32_b64 s26, s[38:39]
	s_add_i32 s6, s53, s6
	s_add_i32 s7, s52, s7
	s_bcnt1_i32_b64 s29, s[20:21]
	s_add_i32 s12, s51, s12
	s_bcnt1_i32_b64 s22, s[22:23]
	v_cmp_ne_u32_e64 s[20:21], 0, v9
	v_cndmask_b32_e64 v9, 0, 1, s[0:1]
	s_add_i32 s0, s50, s28
	s_bcnt1_i32_b64 s1, s[24:25]
	v_cmp_ne_u32_e64 s[14:15], 0, v4
	s_add_i32 s6, s6, s26
	s_bcnt1_i32_b64 s23, s[16:17]
	v_cmp_ne_u32_e64 s[16:17], 0, v5
	;; [unrolled: 3-line block ×4, first 2 shown]
	s_add_i32 s0, s0, s22
	s_bcnt1_i32_b64 s14, s[14:15]
	s_add_i32 s1, s6, s1
	s_bcnt1_i32_b64 s6, s[16:17]
	;; [unrolled: 2-line block ×4, first 2 shown]
	s_add_i32 s0, s0, s25
	s_add_i32 s53, s1, s14
	s_add_i32 s52, s7, s6
	s_add_i32 s51, s12, s15
	s_add_i32 s50, s0, s16
	s_or_b64 s[46:47], vcc, s[46:47]
	v_mov_b32_e32 v8, s53
	v_mov_b32_e32 v9, s52
	;; [unrolled: 1-line block ×4, first 2 shown]
	s_andn2_b64 exec, exec, s[46:47]
	s_cbranch_execnz .LBB115_66
; %bb.67:                               ;   in Loop: Header=BB115_30 Depth=1
	s_or_b64 exec, exec, s[46:47]
.LBB115_68:                             ;   in Loop: Header=BB115_30 Depth=1
	s_or_b64 exec, exec, s[44:45]
	v_pk_mov_b32 v[12:13], 0, 0
	s_and_saveexec_b64 s[14:15], s[10:11]
	s_cbranch_execz .LBB115_70
; %bb.69:                               ;   in Loop: Header=BB115_30 Depth=1
	global_load_dwordx2 v[12:13], v[24:25], off
.LBB115_70:                             ;   in Loop: Header=BB115_30 Depth=1
	s_or_b64 exec, exec, s[14:15]
	s_mov_b64 s[16:17], 0
	s_mov_b64 s[84:85], 0
	s_and_saveexec_b64 s[18:19], s[10:11]
	s_cbranch_execz .LBB115_77
; %bb.71:                               ;   in Loop: Header=BB115_30 Depth=1
	s_and_b32 s0, s8, 0xfe
	s_mov_b64 s[20:21], 0
	s_waitcnt vmcnt(0)
	v_mov_b32_e32 v4, v40
	v_mov_b32_e32 v2, v35
	s_branch .LBB115_73
.LBB115_72:                             ;   in Loop: Header=BB115_73 Depth=2
	s_or_b64 exec, exec, s[22:23]
	v_ashrrev_i32_e32 v5, 31, v13
	v_or_b32_e32 v18, 0x80000000, v5
	s_and_b64 s[6:7], exec, vcc
	v_xor_b32_e32 v18, v18, v13
	v_xor_b32_e32 v5, v5, v12
	v_cmp_o_f64_e32 vcc, v[12:13], v[12:13]
	v_cndmask_b32_e32 v13, -1, v18, vcc
	v_cndmask_b32_e32 v12, -1, v5, vcc
	v_and_b32_e32 v27, s81, v13
	v_and_b32_e32 v26, s80, v12
	v_lshrrev_b64 v[12:13], s0, v[12:13]
	v_and_b32_e32 v18, 3, v12
	s_or_b64 s[20:21], s[6:7], s[20:21]
	v_cmp_eq_u64_e32 vcc, s[82:83], v[26:27]
	v_cmp_eq_u64_e64 s[14:15], 0, v[18:19]
	s_and_b64 s[6:7], vcc, s[14:15]
	v_cndmask_b32_e64 v5, 0, 1, s[6:7]
	v_cmp_ne_u32_e64 s[14:15], 0, v5
	s_bcnt1_i32_b64 s1, s[14:15]
	v_cmp_eq_u64_e64 s[14:15], 1, v[18:19]
	s_and_b64 s[6:7], vcc, s[14:15]
	v_cndmask_b32_e64 v5, 0, 1, s[6:7]
	v_cmp_ne_u32_e64 s[14:15], 0, v5
	v_add_u32_e32 v8, s1, v8
	s_bcnt1_i32_b64 s1, s[14:15]
	v_cmp_eq_u64_e64 s[14:15], 2, v[18:19]
	s_and_b64 s[6:7], vcc, s[14:15]
	v_cndmask_b32_e64 v5, 0, 1, s[6:7]
	v_cmp_ne_u32_e64 s[14:15], 0, v5
	v_add_u32_e32 v9, s1, v9
	s_bcnt1_i32_b64 s1, s[14:15]
	v_cmp_eq_u64_e64 s[14:15], 3, v[18:19]
	s_and_b64 s[6:7], vcc, s[14:15]
	v_cndmask_b32_e64 v5, 0, 1, s[6:7]
	v_cmp_ne_u32_e32 vcc, 0, v5
	v_add_u32_e32 v10, s1, v10
	s_bcnt1_i32_b64 s1, vcc
	v_add_u32_e32 v11, s1, v11
	v_add_u32_e32 v4, s72, v4
	s_waitcnt vmcnt(0)
	v_pk_mov_b32 v[12:13], v[14:15], v[14:15] op_sel:[0,1]
	s_andn2_b64 exec, exec, s[20:21]
	s_cbranch_execz .LBB115_76
.LBB115_73:                             ;   Parent Loop BB115_30 Depth=1
                                        ; =>  This Inner Loop Header: Depth=2
	v_add_u32_e32 v2, s59, v2
	v_cmp_gt_u32_e64 s[14:15], s56, v2
	v_cmp_le_u32_e32 vcc, s56, v2
	v_pk_mov_b32 v[14:15], 0, 0
	s_and_saveexec_b64 s[22:23], s[14:15]
	s_cbranch_execz .LBB115_72
; %bb.74:                               ;   in Loop: Header=BB115_73 Depth=2
	v_mov_b32_e32 v5, v19
	v_lshlrev_b64 v[14:15], 3, v[4:5]
	v_mov_b32_e32 v5, s60
	v_add_co_u32_e64 v14, s[14:15], s62, v14
	v_addc_co_u32_e64 v15, s[14:15], v5, v15, s[14:15]
	global_load_dwordx2 v[14:15], v[14:15], off
	s_branch .LBB115_72
.LBB115_75:                             ;   in Loop: Header=BB115_30 Depth=1
	s_mov_b64 s[84:85], 0
                                        ; implicit-def: $vgpr11
	s_cbranch_execnz .LBB115_78
	s_branch .LBB115_87
.LBB115_76:                             ;   in Loop: Header=BB115_30 Depth=1
	s_or_b64 exec, exec, s[20:21]
	s_mov_b64 s[84:85], exec
.LBB115_77:                             ;   in Loop: Header=BB115_30 Depth=1
	s_or_b64 exec, exec, s[18:19]
	s_and_b64 vcc, exec, s[16:17]
	s_cbranch_vccz .LBB115_87
.LBB115_78:                             ;   in Loop: Header=BB115_30 Depth=1
	s_mul_hi_u32 s0, s69, s71
	s_mul_i32 s0, s0, s73
	s_sub_i32 s0, s69, s0
	s_sub_i32 s1, s0, s73
	s_cmp_ge_u32 s0, s73
	s_cselect_b32 s0, s1, s0
	s_sub_i32 s1, s0, s73
	s_cmp_ge_u32 s0, s73
	s_cselect_b32 s0, s1, s0
	s_sub_i32 s12, s69, s0
	v_cmp_gt_u32_e32 vcc, s12, v30
	s_mov_b32 s0, 0
	v_mov_b32_e32 v8, 0
	v_mov_b32_e32 v9, 0
	;; [unrolled: 1-line block ×4, first 2 shown]
	s_and_saveexec_b64 s[76:77], vcc
	s_cbranch_execz .LBB115_82
; %bb.79:                               ;   in Loop: Header=BB115_30 Depth=1
	s_and_b32 s1, s8, 0xfe
	s_mov_b64 s[78:79], 0
	v_mov_b32_e32 v2, v41
	s_mov_b32 s6, 0
	s_mov_b32 s7, 0
	;; [unrolled: 1-line block ×3, first 2 shown]
	v_mov_b32_e32 v44, v30
.LBB115_80:                             ;   Parent Loop BB115_30 Depth=1
                                        ; =>  This Inner Loop Header: Depth=2
	s_waitcnt vmcnt(0)
	ds_read_b128 v[12:15], v2
	ds_read_b128 v[8:11], v2 offset:16
	v_mov_b32_e32 v5, v19
	v_mov_b32_e32 v27, v19
	;; [unrolled: 1-line block ×3, first 2 shown]
	s_waitcnt lgkmcnt(1)
	v_ashrrev_i32_e32 v4, 31, v13
	v_ashrrev_i32_e32 v18, 31, v15
	s_waitcnt lgkmcnt(0)
	v_ashrrev_i32_e32 v26, 31, v9
	v_ashrrev_i32_e32 v28, 31, v11
	v_xor_b32_e32 v45, v18, v14
	v_cmp_o_f64_e64 s[14:15], v[14:15], v[14:15]
	v_xor_b32_e32 v14, v26, v8
	v_cmp_o_f64_e64 s[16:17], v[8:9], v[8:9]
	v_or_b32_e32 v8, 0x80000000, v4
	v_xor_b32_e32 v46, v28, v10
	v_cmp_o_f64_e64 s[18:19], v[10:11], v[10:11]
	v_xor_b32_e32 v4, v4, v12
	v_or_b32_e32 v10, 0x80000000, v18
	v_or_b32_e32 v18, 0x80000000, v26
	v_cmp_o_f64_e64 s[20:21], v[12:13], v[12:13]
	v_xor_b32_e32 v13, v8, v13
	v_or_b32_e32 v26, 0x80000000, v28
	v_xor_b32_e32 v15, v10, v15
	v_xor_b32_e32 v18, v18, v9
	v_cndmask_b32_e64 v8, -1, v4, s[20:21]
	v_cndmask_b32_e64 v9, -1, v13, s[20:21]
	v_xor_b32_e32 v26, v26, v11
	v_cndmask_b32_e64 v10, -1, v45, s[14:15]
	v_cndmask_b32_e64 v12, -1, v14, s[16:17]
	v_cndmask_b32_e64 v14, -1, v46, s[18:19]
	v_cndmask_b32_e64 v11, -1, v15, s[14:15]
	v_and_b32_e32 v46, s80, v8
	v_and_b32_e32 v47, s81, v9
	v_lshrrev_b64 v[8:9], s1, v[8:9]
	v_cndmask_b32_e64 v13, -1, v18, s[16:17]
	v_and_b32_e32 v48, s80, v10
	v_and_b32_e32 v49, s81, v11
	v_lshrrev_b64 v[10:11], s1, v[10:11]
	v_and_b32_e32 v18, 3, v8
	v_cndmask_b32_e64 v15, -1, v26, s[18:19]
	v_and_b32_e32 v50, s80, v12
	v_and_b32_e32 v51, s81, v13
	v_lshrrev_b64 v[12:13], s1, v[12:13]
	v_cmp_eq_u64_e64 s[14:15], s[82:83], v[46:47]
	v_and_b32_e32 v4, 3, v10
	v_cmp_eq_u64_e64 s[22:23], 0, v[18:19]
	v_and_b32_e32 v52, s80, v14
	v_and_b32_e32 v53, s81, v15
	v_lshrrev_b64 v[14:15], s1, v[14:15]
	v_cmp_eq_u64_e64 s[16:17], s[82:83], v[48:49]
	v_and_b32_e32 v26, 3, v12
	v_cmp_eq_u64_e64 s[24:25], 0, v[4:5]
	s_and_b64 s[22:23], s[14:15], s[22:23]
	v_cmp_eq_u64_e64 s[18:19], s[82:83], v[50:51]
	v_and_b32_e32 v28, 3, v14
	v_cmp_eq_u64_e64 s[26:27], 0, v[26:27]
	v_cmp_eq_u64_e64 s[34:35], 1, v[4:5]
	;; [unrolled: 1-line block ×4, first 2 shown]
	v_cndmask_b32_e64 v4, 0, 1, s[22:23]
	s_and_b64 s[22:23], s[16:17], s[24:25]
	v_cmp_eq_u64_e64 s[20:21], s[82:83], v[52:53]
	v_cmp_eq_u64_e64 s[28:29], 0, v[28:29]
	v_cndmask_b32_e64 v5, 0, 1, s[22:23]
	s_and_b64 s[22:23], s[18:19], s[26:27]
	v_cmp_eq_u64_e64 s[30:31], 1, v[18:19]
	v_cndmask_b32_e64 v8, 0, 1, s[22:23]
	s_and_b64 s[22:23], s[20:21], s[28:29]
	v_cndmask_b32_e64 v9, 0, 1, s[22:23]
	s_and_b64 s[22:23], s[14:15], s[30:31]
	v_cmp_eq_u64_e64 s[36:37], 1, v[26:27]
	v_cndmask_b32_e64 v10, 0, 1, s[22:23]
	s_and_b64 s[22:23], s[16:17], s[34:35]
	v_cmp_eq_u64_e64 s[38:39], 1, v[28:29]
	;; [unrolled: 3-line block ×3, first 2 shown]
	v_cmp_eq_u64_e64 s[48:49], 3, v[18:19]
	v_cndmask_b32_e64 v12, 0, 1, s[22:23]
	s_and_b64 s[22:23], s[20:21], s[38:39]
	v_cndmask_b32_e64 v13, 0, 1, s[22:23]
	s_and_b64 s[22:23], s[14:15], s[40:41]
	s_and_b64 s[14:15], s[14:15], s[48:49]
	v_cmp_eq_u64_e64 s[44:45], 2, v[26:27]
	v_cmp_eq_u64_e64 s[52:53], 3, v[26:27]
	v_cndmask_b32_e64 v14, 0, 1, s[22:23]
	s_and_b64 s[22:23], s[16:17], s[42:43]
	v_cndmask_b32_e64 v27, 0, 1, s[14:15]
	s_and_b64 s[14:15], s[16:17], s[50:51]
	v_cmp_eq_u64_e64 s[46:47], 2, v[28:29]
	v_cmp_eq_u64_e64 s[54:55], 3, v[28:29]
	v_cndmask_b32_e64 v15, 0, 1, s[22:23]
	s_and_b64 s[22:23], s[18:19], s[44:45]
	v_cndmask_b32_e64 v28, 0, 1, s[14:15]
	s_and_b64 s[14:15], s[18:19], s[52:53]
	;; [unrolled: 2-line block ×4, first 2 shown]
	v_cndmask_b32_e64 v26, 0, 1, s[22:23]
	v_cndmask_b32_e64 v45, 0, 1, s[14:15]
	v_cmp_ne_u32_e64 s[14:15], 0, v4
	v_cmp_ne_u32_e64 s[16:17], 0, v5
	;; [unrolled: 1-line block ×11, first 2 shown]
	s_bcnt1_i32_b64 s14, s[14:15]
	s_bcnt1_i32_b64 s15, s[16:17]
	;; [unrolled: 1-line block ×8, first 2 shown]
	v_cmp_ne_u32_e64 s[28:29], 0, v13
	v_cmp_ne_u32_e64 s[36:37], 0, v18
	;; [unrolled: 1-line block ×3, first 2 shown]
	s_bcnt1_i32_b64 s19, s[24:25]
	s_bcnt1_i32_b64 s23, s[34:35]
	;; [unrolled: 1-line block ×3, first 2 shown]
	s_add_i32 s14, s70, s14
	s_add_i32 s7, s7, s18
	;; [unrolled: 1-line block ×4, first 2 shown]
	v_cmp_ne_u32_e64 s[38:39], 0, v26
	v_cmp_ne_u32_e64 s[46:47], 0, v45
	s_bcnt1_i32_b64 s21, s[28:29]
	s_bcnt1_i32_b64 s24, s[36:37]
	;; [unrolled: 1-line block ×3, first 2 shown]
	s_add_i32 s14, s14, s15
	s_add_i32 s7, s7, s19
	;; [unrolled: 1-line block ×4, first 2 shown]
	v_add_u32_e32 v44, s73, v44
	s_bcnt1_i32_b64 s25, s[38:39]
	s_bcnt1_i32_b64 s29, s[46:47]
	s_add_i32 s14, s14, s16
	s_add_i32 s7, s7, s20
	;; [unrolled: 1-line block ×4, first 2 shown]
	v_cmp_le_u32_e32 vcc, s12, v44
	s_add_i32 s70, s14, s17
	s_add_i32 s7, s7, s21
	;; [unrolled: 1-line block ×4, first 2 shown]
	v_add_u32_e32 v2, s74, v2
	s_or_b64 s[78:79], vcc, s[78:79]
	v_mov_b32_e32 v8, s70
	v_mov_b32_e32 v9, s7
	;; [unrolled: 1-line block ×4, first 2 shown]
	s_andn2_b64 exec, exec, s[78:79]
	s_cbranch_execnz .LBB115_80
; %bb.81:                               ;   in Loop: Header=BB115_30 Depth=1
	s_or_b64 exec, exec, s[78:79]
.LBB115_82:                             ;   in Loop: Header=BB115_30 Depth=1
	s_or_b64 exec, exec, s[76:77]
	v_add_u32_e32 v2, s12, v0
	v_cmp_gt_u32_e32 vcc, s69, v2
	s_and_saveexec_b64 s[24:25], vcc
	s_cbranch_execz .LBB115_86
; %bb.83:                               ;   in Loop: Header=BB115_30 Depth=1
	s_and_b32 s0, s8, 0xfe
	s_waitcnt vmcnt(0)
	v_lshlrev_b32_e32 v4, 3, v2
	s_mov_b64 s[26:27], 0
.LBB115_84:                             ;   Parent Loop BB115_30 Depth=1
                                        ; =>  This Inner Loop Header: Depth=2
	ds_read_b64 v[12:13], v4
	v_add_u32_e32 v2, s59, v2
	v_cmp_le_u32_e32 vcc, s69, v2
	v_add_u32_e32 v4, s75, v4
	s_waitcnt lgkmcnt(0)
	v_ashrrev_i32_e32 v5, 31, v13
	v_or_b32_e32 v14, 0x80000000, v5
	v_xor_b32_e32 v5, v5, v12
	v_cmp_o_f64_e64 s[14:15], v[12:13], v[12:13]
	v_xor_b32_e32 v13, v14, v13
	v_cndmask_b32_e64 v12, -1, v5, s[14:15]
	v_cndmask_b32_e64 v13, -1, v13, s[14:15]
	v_and_b32_e32 v14, s80, v12
	v_and_b32_e32 v15, s81, v13
	v_lshrrev_b64 v[12:13], s0, v[12:13]
	v_and_b32_e32 v18, 3, v12
	v_cmp_eq_u64_e64 s[14:15], s[82:83], v[14:15]
	v_cmp_eq_u64_e64 s[16:17], 0, v[18:19]
	;; [unrolled: 1-line block ×3, first 2 shown]
	s_and_b64 s[6:7], s[14:15], s[16:17]
	v_cmp_eq_u64_e64 s[20:21], 2, v[18:19]
	v_cndmask_b32_e64 v5, 0, 1, s[6:7]
	s_and_b64 s[6:7], s[14:15], s[18:19]
	v_cmp_eq_u64_e64 s[22:23], 3, v[18:19]
	v_cndmask_b32_e64 v12, 0, 1, s[6:7]
	s_and_b64 s[6:7], s[14:15], s[20:21]
	v_cndmask_b32_e64 v13, 0, 1, s[6:7]
	s_and_b64 s[6:7], s[14:15], s[22:23]
	v_cndmask_b32_e64 v14, 0, 1, s[6:7]
	v_cmp_ne_u32_e64 s[14:15], 0, v5
	v_cmp_ne_u32_e64 s[16:17], 0, v12
	;; [unrolled: 1-line block ×4, first 2 shown]
	s_bcnt1_i32_b64 s1, s[14:15]
	s_bcnt1_i32_b64 s6, s[16:17]
	;; [unrolled: 1-line block ×4, first 2 shown]
	v_add_u32_e32 v8, s1, v8
	v_add_u32_e32 v9, s6, v9
	;; [unrolled: 1-line block ×3, first 2 shown]
	s_or_b64 s[26:27], vcc, s[26:27]
	v_add_u32_e32 v11, s12, v11
	s_andn2_b64 exec, exec, s[26:27]
	s_cbranch_execnz .LBB115_84
; %bb.85:                               ;   in Loop: Header=BB115_30 Depth=1
	s_or_b64 exec, exec, s[26:27]
	s_or_b64 s[84:85], s[84:85], exec
.LBB115_86:                             ;   in Loop: Header=BB115_30 Depth=1
	s_or_b64 exec, exec, s[24:25]
.LBB115_87:                             ;   in Loop: Header=BB115_30 Depth=1
	s_and_saveexec_b64 s[14:15], s[84:85]
	s_or_b64 exec, exec, s[14:15]
	s_lshl_b32 s0, s9, 6
	s_and_saveexec_b64 s[14:15], s[4:5]
	s_cbranch_execz .LBB115_89
; %bb.88:                               ;   in Loop: Header=BB115_30 Depth=1
	v_or_b32_e32 v2, s0, v33
	v_lshlrev_b32_e32 v2, 2, v2
	ds_write_b128 v2, v[8:11] offset:3072
.LBB115_89:                             ;   in Loop: Header=BB115_30 Depth=1
	s_or_b64 exec, exec, s[14:15]
	s_waitcnt lgkmcnt(0)
	s_barrier
	s_mov_b64 s[14:15], exec
	v_readlane_b32 s6, v54, 12
	v_readlane_b32 s7, v54, 13
	s_and_b64 s[6:7], s[14:15], s[6:7]
	s_mov_b64 exec, s[6:7]
	s_cbranch_execz .LBB115_103
; %bb.90:                               ;   in Loop: Header=BB115_30 Depth=1
	v_readlane_b32 s6, v54, 17
	v_readlane_b32 s7, v54, 18
	v_add_u32_e32 v2, s0, v23
	s_andn2_b64 vcc, exec, s[6:7]
	s_waitcnt vmcnt(0)
	v_mov_b32_e32 v4, 0
	s_cbranch_vccnz .LBB115_102
; %bb.91:                               ;   in Loop: Header=BB115_30 Depth=1
	v_readlane_b32 s6, v54, 21
	v_readlane_b32 s7, v54, 22
	s_mov_b32 s1, 0
	s_and_b64 vcc, exec, s[6:7]
	v_mov_b32_e32 v4, 0
	s_cbranch_vccz .LBB115_95
; %bb.92:                               ;   in Loop: Header=BB115_30 Depth=1
	v_readlane_b32 s16, v54, 25
	v_readlane_b32 s6, v54, 10
	;; [unrolled: 1-line block ×3, first 2 shown]
	v_lshl_add_u32 v8, v2, 2, v43
	v_readlane_b32 s7, v54, 11
	s_andn2_b64 vcc, exec, s[16:17]
	s_cbranch_vccnz .LBB115_96
; %bb.93:                               ;   in Loop: Header=BB115_30 Depth=1
	s_mov_b32 s17, 1
	s_mov_b32 s16, 0
	v_mov_b32_e32 v4, 0
	v_readlane_b32 s1, v54, 27
	v_mov_b32_e32 v5, 0
.LBB115_94:                             ;   Parent Loop BB115_30 Depth=1
                                        ; =>  This Inner Loop Header: Depth=2
	v_lshl_add_u32 v9, s16, 4, v8
	v_lshl_add_u32 v18, s17, 4, v8
	ds_read2_b32 v[10:11], v9 offset1:8
	ds_read2_b32 v[12:13], v18 offset1:8
	ds_read2_b32 v[14:15], v9 offset0:16 offset1:24
	ds_read2_b32 v[26:27], v18 offset0:16 offset1:24
	;; [unrolled: 1-line block ×6, first 2 shown]
	s_waitcnt lgkmcnt(7)
	v_add3_u32 v4, v10, v4, v11
	s_waitcnt lgkmcnt(6)
	v_add3_u32 v5, v12, v5, v13
	s_waitcnt lgkmcnt(4)
	v_add3_u32 v5, v26, v5, v27
	v_add3_u32 v4, v14, v4, v15
	s_add_i32 s17, s17, 16
	s_add_i32 s16, s16, 16
	s_add_i32 s1, s1, -8
	s_waitcnt lgkmcnt(3)
	v_add3_u32 v4, v28, v4, v29
	s_waitcnt lgkmcnt(2)
	v_add3_u32 v5, v44, v5, v45
	s_cmp_lg_u32 s1, 0
	s_waitcnt lgkmcnt(0)
	v_add3_u32 v5, v48, v5, v49
	v_add3_u32 v4, v46, v4, v47
	s_cbranch_scc1 .LBB115_94
	s_branch .LBB115_97
.LBB115_95:                             ;   in Loop: Header=BB115_30 Depth=1
	s_cbranch_execnz .LBB115_100
	s_branch .LBB115_102
.LBB115_96:                             ;   in Loop: Header=BB115_30 Depth=1
	s_mov_b32 s7, s6
	v_pk_mov_b32 v[4:5], s[6:7], s[6:7] op_sel:[0,1]
	s_mov_b32 s7, 1
	s_mov_b64 s[16:17], s[6:7]
.LBB115_97:                             ;   in Loop: Header=BB115_30 Depth=1
	v_writelane_b32 v54, s6, 10
	v_writelane_b32 v54, s7, 11
	v_readlane_b32 s6, v54, 29
	v_readlane_b32 s7, v54, 30
	s_andn2_b64 vcc, exec, s[6:7]
	v_readlane_b32 s1, v54, 28
	s_cbranch_vccnz .LBB115_99
.LBB115_98:                             ;   Parent Loop BB115_30 Depth=1
                                        ; =>  This Inner Loop Header: Depth=2
	v_lshl_add_u32 v9, s16, 4, v8
	v_lshl_add_u32 v10, s17, 4, v8
	ds_read_b32 v10, v10
	ds_read_b32 v9, v9
	s_add_i32 s17, s17, 2
	s_add_i32 s16, s16, 2
	s_add_i32 s1, s1, -1
	s_cmp_lg_u32 s1, 0
	s_waitcnt lgkmcnt(1)
	v_add_u32_e32 v5, v10, v5
	s_waitcnt lgkmcnt(0)
	v_add_u32_e32 v4, v9, v4
	s_cbranch_scc1 .LBB115_98
.LBB115_99:                             ;   in Loop: Header=BB115_30 Depth=1
	v_readlane_b32 s16, v54, 33
	v_add_u32_e32 v4, v4, v5
	v_readlane_b32 s1, v54, 32
	v_readlane_b32 s17, v54, 34
	s_and_b64 vcc, exec, s[16:17]
	s_cbranch_vccz .LBB115_102
.LBB115_100:                            ;   in Loop: Header=BB115_30 Depth=1
	s_lshl_b32 s6, s9, 8
	s_lshl_b32 s7, s1, 4
	s_add_i32 s6, s6, s7
	v_add_u32_e32 v5, s6, v42
	v_readlane_b32 s6, v54, 31
	s_sub_i32 s1, s6, s1
.LBB115_101:                            ;   Parent Loop BB115_30 Depth=1
                                        ; =>  This Inner Loop Header: Depth=2
	ds_read_b32 v8, v5
	s_add_i32 s1, s1, -1
	v_add_u32_e32 v5, 16, v5
	s_cmp_eq_u32 s1, 0
	s_waitcnt lgkmcnt(0)
	v_add_u32_e32 v4, v8, v4
	s_cbranch_scc0 .LBB115_101
.LBB115_102:                            ;   in Loop: Header=BB115_30 Depth=1
	v_lshlrev_b32_e32 v2, 2, v2
	ds_write_b32 v2, v4 offset:3072
.LBB115_103:                            ;   in Loop: Header=BB115_30 Depth=1
	s_or_b64 exec, exec, s[14:15]
	s_lshl_b32 s0, s0, 2
	v_mov_b32_e32 v2, s0
	s_waitcnt lgkmcnt(0)
	s_barrier
	ds_read_b128 v[8:11], v2 offset:3072
	s_and_b32 s47, s8, 0xfe
	s_lshl_b64 s[16:17], 3, s47
	s_not_b64 s[26:27], s[16:17]
	s_mov_b64 s[20:21], -1
	s_waitcnt lgkmcnt(0)
	v_readfirstlane_b32 s34, v8
	s_cmp_eq_u32 s34, 1
	s_cselect_b64 s[0:1], -1, 0
	s_cmp_eq_u32 s68, 1
	s_cselect_b64 s[6:7], -1, 0
	s_and_b64 s[22:23], s[0:1], s[6:7]
	v_readfirstlane_b32 s38, v9
	v_readfirstlane_b32 s46, v10
	;; [unrolled: 1-line block ×3, first 2 shown]
	s_and_b64 vcc, exec, s[22:23]
	s_cbranch_vccz .LBB115_115
; %bb.104:                              ;   in Loop: Header=BB115_30 Depth=1
	ds_read_b32 v2, v19 offset:4104
	s_waitcnt lgkmcnt(0)
	s_barrier
	v_readfirstlane_b32 s0, v2
	s_mov_b64 s[14:15], exec
	v_readlane_b32 s6, v54, 23
	v_readlane_b32 s7, v54, 24
	s_and_b64 s[6:7], s[14:15], s[6:7]
	s_mov_b64 exec, s[6:7]
	s_cbranch_execz .LBB115_106
; %bb.105:                              ;   in Loop: Header=BB115_30 Depth=1
	v_mov_b32_e32 v18, v19
	ds_write_b64 v32, v[18:19]
.LBB115_106:                            ;   in Loop: Header=BB115_30 Depth=1
	s_or_b64 exec, exec, s[14:15]
	s_and_b64 s[82:83], s[82:83], s[26:27]
	s_or_b64 s[80:81], s[80:81], s[16:17]
	s_cmp_eq_u32 s0, 0
	s_waitcnt lgkmcnt(0)
	s_barrier
	s_cbranch_scc1 .LBB115_116
; %bb.107:                              ;   in Loop: Header=BB115_30 Depth=1
	v_readlane_b32 s1, v54, 14
	s_add_i32 s1, s0, s1
	v_readlane_b32 s6, v54, 37
	s_mul_hi_u32 s6, s1, s6
	s_mul_i32 s6, s6, s59
	s_sub_i32 s6, s1, s6
	s_sub_i32 s7, s6, s59
	s_cmp_ge_u32 s6, s59
	s_cselect_b32 s6, s7, s6
	s_sub_i32 s7, s6, s59
	s_cmp_ge_u32 s6, s59
	s_cselect_b32 s6, s7, s6
	s_sub_i32 s1, s1, s6
	v_cmp_gt_u32_e32 vcc, s1, v0
	s_mov_b64 s[14:15], 0
                                        ; implicit-def: $vgpr6_vgpr7
	s_and_saveexec_b64 s[18:19], vcc
	s_cbranch_execz .LBB115_118
; %bb.108:                              ;   in Loop: Header=BB115_30 Depth=1
	s_mov_b64 s[28:29], 0
	v_mov_b32_e32 v8, v31
	v_mov_b32_e32 v9, v0
                                        ; implicit-def: $sgpr24_sgpr25
	s_branch .LBB115_110
.LBB115_109:                            ;   in Loop: Header=BB115_110 Depth=2
	s_or_b64 exec, exec, s[14:15]
	s_waitcnt lgkmcnt(0)
	s_barrier
	ds_read_b128 v[4:7], v19 offset:3072
	v_add_u32_e32 v9, s59, v9
	v_cmp_le_u32_e64 s[14:15], s1, v9
	v_add_u32_e32 v8, s75, v8
	s_waitcnt lgkmcnt(0)
	v_cmp_neq_f64_e32 vcc, 0, v[4:5]
	s_or_b64 s[6:7], s[14:15], vcc
	s_and_b64 s[6:7], exec, s[6:7]
	s_or_b64 s[28:29], s[6:7], s[28:29]
	s_andn2_b64 s[6:7], s[24:25], exec
	s_and_b64 s[14:15], vcc, exec
	s_or_b64 s[24:25], s[6:7], s[14:15]
	s_barrier
	s_andn2_b64 exec, exec, s[28:29]
	s_cbranch_execz .LBB115_117
.LBB115_110:                            ;   Parent Loop BB115_30 Depth=1
                                        ; =>  This Inner Loop Header: Depth=2
	v_cmp_gt_u32_e32 vcc, s0, v9
	s_waitcnt vmcnt(0)
	v_pk_mov_b32 v[4:5], 0, 0
	s_and_saveexec_b64 s[14:15], vcc
	s_cbranch_execz .LBB115_112
; %bb.111:                              ;   in Loop: Header=BB115_110 Depth=2
	ds_read_b64 v[4:5], v8
.LBB115_112:                            ;   in Loop: Header=BB115_110 Depth=2
	s_or_b64 exec, exec, s[14:15]
	s_and_saveexec_b64 s[14:15], vcc
	s_cbranch_execz .LBB115_109
; %bb.113:                              ;   in Loop: Header=BB115_110 Depth=2
	s_waitcnt lgkmcnt(0)
	v_ashrrev_i32_e32 v2, 31, v5
	v_or_b32_e32 v6, 0x80000000, v2
	v_xor_b32_e32 v6, v6, v5
	v_xor_b32_e32 v2, v2, v4
	v_cmp_o_f64_e32 vcc, v[4:5], v[4:5]
	v_cndmask_b32_e32 v6, -1, v6, vcc
	v_cndmask_b32_e32 v2, -1, v2, vcc
	v_and_b32_e32 v7, s81, v6
	v_and_b32_e32 v6, s80, v2
	v_cmp_eq_u64_e32 vcc, s[82:83], v[6:7]
	s_and_b64 exec, exec, vcc
	s_cbranch_execz .LBB115_109
; %bb.114:                              ;   in Loop: Header=BB115_110 Depth=2
	v_mov_b32_e32 v2, v19
	ds_write_b128 v19, v[2:5] offset:3072
	s_branch .LBB115_109
.LBB115_115:                            ;   in Loop: Header=BB115_30 Depth=1
	s_mov_b64 s[14:15], -1
                                        ; implicit-def: $sgpr18_sgpr19
                                        ; implicit-def: $sgpr28_sgpr29
                                        ; implicit-def: $sgpr24_sgpr25
	s_branch .LBB115_129
.LBB115_116:                            ;   in Loop: Header=BB115_30 Depth=1
	s_mov_b64 s[18:19], -1
	s_mov_b64 s[14:15], 0
                                        ; implicit-def: $sgpr24_sgpr25
                                        ; implicit-def: $vgpr6_vgpr7
	s_mov_b64 s[28:29], s[18:19]
	s_cbranch_execnz .LBB115_119
	s_branch .LBB115_129
.LBB115_117:                            ;   in Loop: Header=BB115_30 Depth=1
	s_or_b64 exec, exec, s[28:29]
	s_and_b64 s[14:15], s[24:25], exec
.LBB115_118:                            ;   in Loop: Header=BB115_30 Depth=1
	s_or_b64 exec, exec, s[18:19]
	s_mov_b64 s[24:25], -1
	s_mov_b64 s[18:19], 0
	s_mov_b64 s[28:29], s[18:19]
	s_branch .LBB115_129
.LBB115_119:                            ;   in Loop: Header=BB115_30 Depth=1
	s_mov_b64 s[14:15], 0
                                        ; implicit-def: $vgpr6_vgpr7
	s_mov_b64 s[18:19], exec
	v_readlane_b32 s0, v54, 38
	v_readlane_b32 s1, v54, 39
	s_and_b64 s[0:1], s[18:19], s[0:1]
	s_mov_b64 exec, s[0:1]
	s_cbranch_execz .LBB115_128
; %bb.120:                              ;   in Loop: Header=BB115_30 Depth=1
	s_mov_b64 s[28:29], 0
	v_mov_b32_e32 v18, v16
	v_mov_b32_e32 v8, v0
                                        ; implicit-def: $sgpr24_sgpr25
	s_branch .LBB115_122
.LBB115_121:                            ;   in Loop: Header=BB115_122 Depth=2
	s_or_b64 exec, exec, s[14:15]
	s_waitcnt lgkmcnt(0)
	s_barrier
	s_waitcnt vmcnt(0)
	ds_read_b128 v[4:7], v19 offset:3072
	v_add_u32_e32 v8, s59, v8
	v_cmp_le_u32_e64 s[14:15], s13, v8
	v_add_u32_e32 v18, s72, v18
	s_waitcnt lgkmcnt(0)
	v_cmp_neq_f64_e32 vcc, 0, v[4:5]
	s_or_b64 s[0:1], s[14:15], vcc
	s_and_b64 s[0:1], exec, s[0:1]
	s_or_b64 s[28:29], s[0:1], s[28:29]
	s_andn2_b64 s[0:1], s[24:25], exec
	s_and_b64 s[6:7], vcc, exec
	s_or_b64 s[24:25], s[0:1], s[6:7]
	s_barrier
	s_andn2_b64 exec, exec, s[28:29]
	s_cbranch_execz .LBB115_127
.LBB115_122:                            ;   Parent Loop BB115_30 Depth=1
                                        ; =>  This Inner Loop Header: Depth=2
	v_cmp_gt_u32_e32 vcc, s56, v8
	s_waitcnt vmcnt(0)
	v_pk_mov_b32 v[4:5], 0, 0
	s_and_saveexec_b64 s[30:31], vcc
	s_cbranch_execz .LBB115_124
; %bb.123:                              ;   in Loop: Header=BB115_122 Depth=2
	v_lshlrev_b64 v[4:5], 3, v[18:19]
	v_mov_b32_e32 v2, s60
	v_add_co_u32_e64 v4, s[14:15], s62, v4
	v_addc_co_u32_e64 v5, s[14:15], v2, v5, s[14:15]
	global_load_dwordx2 v[4:5], v[4:5], off
.LBB115_124:                            ;   in Loop: Header=BB115_122 Depth=2
	s_or_b64 exec, exec, s[30:31]
	s_and_saveexec_b64 s[14:15], vcc
	s_cbranch_execz .LBB115_121
; %bb.125:                              ;   in Loop: Header=BB115_122 Depth=2
	s_waitcnt vmcnt(0)
	v_ashrrev_i32_e32 v2, 31, v5
	v_or_b32_e32 v6, 0x80000000, v2
	v_xor_b32_e32 v6, v6, v5
	v_xor_b32_e32 v2, v2, v4
	v_cmp_o_f64_e32 vcc, v[4:5], v[4:5]
	v_cndmask_b32_e32 v6, -1, v6, vcc
	v_cndmask_b32_e32 v2, -1, v2, vcc
	v_and_b32_e32 v7, s81, v6
	v_and_b32_e32 v6, s80, v2
	v_cmp_eq_u64_e32 vcc, s[82:83], v[6:7]
	s_and_b64 exec, exec, vcc
	s_cbranch_execz .LBB115_121
; %bb.126:                              ;   in Loop: Header=BB115_122 Depth=2
	v_mov_b32_e32 v2, v19
	ds_write_b128 v19, v[2:5] offset:3072
	s_branch .LBB115_121
.LBB115_127:                            ;   in Loop: Header=BB115_30 Depth=1
	s_or_b64 exec, exec, s[28:29]
	s_and_b64 s[14:15], s[24:25], exec
.LBB115_128:                            ;   in Loop: Header=BB115_30 Depth=1
	s_or_b64 exec, exec, s[18:19]
	s_mov_b64 s[28:29], -1
	s_mov_b64 s[18:19], 0
	s_mov_b64 s[24:25], 0
.LBB115_129:                            ;   in Loop: Header=BB115_30 Depth=1
	s_andn2_b64 s[0:1], s[66:67], exec
	s_and_b64 s[6:7], s[18:19], exec
	s_or_b64 s[66:67], s[0:1], s[6:7]
	s_andn2_b64 s[0:1], s[64:65], exec
	s_and_b64 s[6:7], s[28:29], exec
	s_or_b64 s[64:65], s[0:1], s[6:7]
	s_andn2_b64 s[0:1], s[94:95], exec
	s_and_b64 s[6:7], s[24:25], exec
	s_or_b64 s[94:95], s[0:1], s[6:7]
	s_and_saveexec_b64 s[18:19], s[14:15]
	s_cbranch_execz .LBB115_29
; %bb.130:                              ;   in Loop: Header=BB115_30 Depth=1
	s_xor_b64 s[0:1], s[22:23], -1
	s_mov_b64 s[14:15], 0
	s_andn2_b64 vcc, exec, s[0:1]
	s_mov_b32 s39, 1
	s_cbranch_vccnz .LBB115_141
; %bb.131:                              ;   in Loop: Header=BB115_30 Depth=1
	s_cmp_gt_u32 s68, s34
	s_mov_b64 s[14:15], -1
                                        ; implicit-def: $sgpr54
                                        ; implicit-def: $sgpr20_sgpr21
                                        ; implicit-def: $sgpr22_sgpr23
	s_cbranch_scc1 .LBB115_137
; %bb.132:                              ;   in Loop: Header=BB115_30 Depth=1
	ds_read_b32 v2, v19 offset:4104
	s_waitcnt lgkmcnt(0)
	v_cmp_ne_u32_e32 vcc, 0, v2
	s_cbranch_vccnz .LBB115_136
; %bb.133:                              ;   in Loop: Header=BB115_30 Depth=1
	s_mov_b64 s[14:15], exec
	v_readlane_b32 s0, v54, 8
	v_readlane_b32 s1, v54, 9
	s_and_b64 s[0:1], s[14:15], s[0:1]
	s_mov_b64 exec, s[0:1]
	s_cbranch_execz .LBB115_135
; %bb.134:                              ;   in Loop: Header=BB115_30 Depth=1
	v_mov_b32_e32 v2, s34
	ds_write_b32 v19, v2 offset:4108
.LBB115_135:                            ;   in Loop: Header=BB115_30 Depth=1
	s_or_b64 exec, exec, s[14:15]
	s_waitcnt lgkmcnt(0)
	s_barrier
.LBB115_136:                            ;   in Loop: Header=BB115_30 Depth=1
	s_and_b64 s[20:21], s[82:83], s[26:27]
	s_or_b64 s[22:23], s[80:81], s[16:17]
	s_mov_b64 s[14:15], 0
	s_mov_b32 s54, 8
.LBB115_137:                            ;   in Loop: Header=BB115_30 Depth=1
	s_andn2_b64 vcc, exec, s[14:15]
	s_cbranch_vccnz .LBB115_139
; %bb.138:                              ;   in Loop: Header=BB115_30 Depth=1
	s_sub_i32 s68, s68, s34
	s_mov_b64 s[14:15], -1
	s_mov_b32 s54, 0
	s_mov_b64 s[20:21], s[82:83]
	s_mov_b64 s[22:23], s[80:81]
.LBB115_139:                            ;   in Loop: Header=BB115_30 Depth=1
	s_mov_b64 s[80:81], s[22:23]
	s_mov_b64 s[82:83], s[20:21]
	s_mov_b32 s39, s68
	s_mov_b64 s[20:21], -1
	s_and_b64 vcc, exec, s[14:15]
	s_cbranch_vccnz .LBB115_142
.LBB115_140:                            ;   in Loop: Header=BB115_30 Depth=1
	s_mov_b64 s[36:37], -1
                                        ; implicit-def: $sgpr22_sgpr23
                                        ; implicit-def: $sgpr28_sgpr29
                                        ; implicit-def: $sgpr24_sgpr25
                                        ; implicit-def: $sgpr68
	s_and_saveexec_b64 s[0:1], s[36:37]
	s_xor_b64 s[14:15], exec, s[0:1]
	s_cbranch_execz .LBB115_28
	s_branch .LBB115_265
.LBB115_141:                            ;   in Loop: Header=BB115_30 Depth=1
	s_mov_b32 s54, 1
	s_mov_b64 s[20:21], -1
	s_and_b64 vcc, exec, s[14:15]
	s_cbranch_vccz .LBB115_140
.LBB115_142:                            ;   in Loop: Header=BB115_30 Depth=1
	s_cmp_eq_u32 s38, 1
	s_cselect_b64 s[0:1], -1, 0
	s_cmp_eq_u32 s39, 1
	s_cselect_b64 s[6:7], -1, 0
	s_and_b64 s[34:35], s[0:1], s[6:7]
	s_mov_b64 s[14:15], -1
	s_and_b64 vcc, exec, s[34:35]
	s_cbranch_vccz .LBB115_154
; %bb.143:                              ;   in Loop: Header=BB115_30 Depth=1
	ds_read_b32 v2, v19 offset:4104
	s_waitcnt lgkmcnt(0)
	s_barrier
	v_readfirstlane_b32 s0, v2
	s_mov_b64 s[14:15], exec
	v_readlane_b32 s6, v54, 23
	v_readlane_b32 s7, v54, 24
	s_and_b64 s[6:7], s[14:15], s[6:7]
	s_mov_b64 exec, s[6:7]
	s_cbranch_execz .LBB115_145
; %bb.144:                              ;   in Loop: Header=BB115_30 Depth=1
	v_mov_b32_e32 v18, v19
	ds_write_b64 v32, v[18:19]
.LBB115_145:                            ;   in Loop: Header=BB115_30 Depth=1
	s_or_b64 exec, exec, s[14:15]
	s_lshl_b64 s[6:7], 1, s47
	s_and_b64 s[14:15], s[82:83], s[26:27]
	s_or_b64 s[82:83], s[14:15], s[6:7]
	s_or_b64 s[80:81], s[80:81], s[16:17]
	s_cmp_eq_u32 s0, 0
	s_waitcnt lgkmcnt(0)
	s_barrier
	s_cbranch_scc1 .LBB115_155
; %bb.146:                              ;   in Loop: Header=BB115_30 Depth=1
	v_readlane_b32 s1, v54, 14
	s_add_i32 s1, s0, s1
	v_readlane_b32 s6, v54, 37
	s_mul_hi_u32 s6, s1, s6
	s_mul_i32 s6, s6, s59
	s_sub_i32 s6, s1, s6
	s_sub_i32 s7, s6, s59
	s_cmp_ge_u32 s6, s59
	s_cselect_b32 s6, s7, s6
	s_sub_i32 s7, s6, s59
	s_cmp_ge_u32 s6, s59
	s_cselect_b32 s6, s7, s6
	s_sub_i32 s1, s1, s6
	v_cmp_gt_u32_e32 vcc, s1, v0
	s_mov_b64 s[14:15], 0
                                        ; implicit-def: $vgpr6_vgpr7
	s_and_saveexec_b64 s[22:23], vcc
	s_cbranch_execz .LBB115_157
; %bb.147:                              ;   in Loop: Header=BB115_30 Depth=1
	s_mov_b64 s[28:29], 0
	v_mov_b32_e32 v8, v31
	v_mov_b32_e32 v9, v0
                                        ; implicit-def: $sgpr24_sgpr25
	s_branch .LBB115_149
.LBB115_148:                            ;   in Loop: Header=BB115_149 Depth=2
	s_or_b64 exec, exec, s[14:15]
	s_waitcnt lgkmcnt(0)
	s_barrier
	ds_read_b128 v[4:7], v19 offset:3072
	v_add_u32_e32 v9, s59, v9
	v_cmp_le_u32_e64 s[14:15], s1, v9
	v_add_u32_e32 v8, s75, v8
	s_waitcnt lgkmcnt(0)
	v_cmp_neq_f64_e32 vcc, 0, v[4:5]
	s_or_b64 s[6:7], s[14:15], vcc
	s_and_b64 s[6:7], exec, s[6:7]
	s_or_b64 s[28:29], s[6:7], s[28:29]
	s_andn2_b64 s[6:7], s[24:25], exec
	s_and_b64 s[14:15], vcc, exec
	s_or_b64 s[24:25], s[6:7], s[14:15]
	s_barrier
	s_andn2_b64 exec, exec, s[28:29]
	s_cbranch_execz .LBB115_156
.LBB115_149:                            ;   Parent Loop BB115_30 Depth=1
                                        ; =>  This Inner Loop Header: Depth=2
	v_cmp_gt_u32_e32 vcc, s0, v9
	s_waitcnt vmcnt(0)
	v_pk_mov_b32 v[4:5], 0, 0
	s_and_saveexec_b64 s[14:15], vcc
	s_cbranch_execz .LBB115_151
; %bb.150:                              ;   in Loop: Header=BB115_149 Depth=2
	ds_read_b64 v[4:5], v8
.LBB115_151:                            ;   in Loop: Header=BB115_149 Depth=2
	s_or_b64 exec, exec, s[14:15]
	s_and_saveexec_b64 s[14:15], vcc
	s_cbranch_execz .LBB115_148
; %bb.152:                              ;   in Loop: Header=BB115_149 Depth=2
	s_waitcnt lgkmcnt(0)
	v_ashrrev_i32_e32 v2, 31, v5
	v_or_b32_e32 v6, 0x80000000, v2
	v_xor_b32_e32 v6, v6, v5
	v_xor_b32_e32 v2, v2, v4
	v_cmp_o_f64_e32 vcc, v[4:5], v[4:5]
	v_cndmask_b32_e32 v6, -1, v6, vcc
	v_cndmask_b32_e32 v2, -1, v2, vcc
	v_and_b32_e32 v7, s81, v6
	v_and_b32_e32 v6, s80, v2
	v_cmp_eq_u64_e32 vcc, s[82:83], v[6:7]
	s_and_b64 exec, exec, vcc
	s_cbranch_execz .LBB115_148
; %bb.153:                              ;   in Loop: Header=BB115_149 Depth=2
	v_mov_b32_e32 v2, v19
	ds_write_b128 v19, v[2:5] offset:3072
	s_branch .LBB115_148
.LBB115_154:                            ;   in Loop: Header=BB115_30 Depth=1
                                        ; implicit-def: $sgpr24_sgpr25
                                        ; implicit-def: $sgpr28_sgpr29
                                        ; implicit-def: $sgpr22_sgpr23
	s_branch .LBB115_168
.LBB115_155:                            ;   in Loop: Header=BB115_30 Depth=1
	s_mov_b64 s[24:25], -1
	s_mov_b64 s[14:15], 0
                                        ; implicit-def: $sgpr22_sgpr23
                                        ; implicit-def: $vgpr6_vgpr7
	s_mov_b64 s[28:29], s[24:25]
	s_cbranch_execnz .LBB115_158
	s_branch .LBB115_168
.LBB115_156:                            ;   in Loop: Header=BB115_30 Depth=1
	s_or_b64 exec, exec, s[28:29]
	s_and_b64 s[14:15], s[24:25], exec
.LBB115_157:                            ;   in Loop: Header=BB115_30 Depth=1
	s_or_b64 exec, exec, s[22:23]
	s_mov_b64 s[22:23], -1
	s_mov_b64 s[24:25], 0
	s_mov_b64 s[28:29], s[24:25]
	s_branch .LBB115_168
.LBB115_158:                            ;   in Loop: Header=BB115_30 Depth=1
	s_mov_b64 s[14:15], 0
                                        ; implicit-def: $vgpr6_vgpr7
	s_mov_b64 s[22:23], exec
	v_readlane_b32 s0, v54, 38
	v_readlane_b32 s1, v54, 39
	s_and_b64 s[0:1], s[22:23], s[0:1]
	s_mov_b64 exec, s[0:1]
	s_cbranch_execz .LBB115_167
; %bb.159:                              ;   in Loop: Header=BB115_30 Depth=1
	s_mov_b64 s[28:29], 0
	v_mov_b32_e32 v18, v16
	v_mov_b32_e32 v8, v0
                                        ; implicit-def: $sgpr24_sgpr25
	s_branch .LBB115_161
.LBB115_160:                            ;   in Loop: Header=BB115_161 Depth=2
	s_or_b64 exec, exec, s[14:15]
	s_waitcnt lgkmcnt(0)
	s_barrier
	s_waitcnt vmcnt(0)
	ds_read_b128 v[4:7], v19 offset:3072
	v_add_u32_e32 v8, s59, v8
	v_cmp_le_u32_e64 s[14:15], s13, v8
	v_add_u32_e32 v18, s72, v18
	s_waitcnt lgkmcnt(0)
	v_cmp_neq_f64_e32 vcc, 0, v[4:5]
	s_or_b64 s[0:1], s[14:15], vcc
	s_and_b64 s[0:1], exec, s[0:1]
	s_or_b64 s[28:29], s[0:1], s[28:29]
	s_andn2_b64 s[0:1], s[24:25], exec
	s_and_b64 s[6:7], vcc, exec
	s_or_b64 s[24:25], s[0:1], s[6:7]
	s_barrier
	s_andn2_b64 exec, exec, s[28:29]
	s_cbranch_execz .LBB115_166
.LBB115_161:                            ;   Parent Loop BB115_30 Depth=1
                                        ; =>  This Inner Loop Header: Depth=2
	v_cmp_gt_u32_e32 vcc, s56, v8
	s_waitcnt vmcnt(0)
	v_pk_mov_b32 v[4:5], 0, 0
	s_and_saveexec_b64 s[30:31], vcc
	s_cbranch_execz .LBB115_163
; %bb.162:                              ;   in Loop: Header=BB115_161 Depth=2
	v_lshlrev_b64 v[4:5], 3, v[18:19]
	v_mov_b32_e32 v2, s60
	v_add_co_u32_e64 v4, s[14:15], s62, v4
	v_addc_co_u32_e64 v5, s[14:15], v2, v5, s[14:15]
	global_load_dwordx2 v[4:5], v[4:5], off
.LBB115_163:                            ;   in Loop: Header=BB115_161 Depth=2
	s_or_b64 exec, exec, s[30:31]
	s_and_saveexec_b64 s[14:15], vcc
	s_cbranch_execz .LBB115_160
; %bb.164:                              ;   in Loop: Header=BB115_161 Depth=2
	s_waitcnt vmcnt(0)
	v_ashrrev_i32_e32 v2, 31, v5
	v_or_b32_e32 v6, 0x80000000, v2
	v_xor_b32_e32 v6, v6, v5
	v_xor_b32_e32 v2, v2, v4
	v_cmp_o_f64_e32 vcc, v[4:5], v[4:5]
	v_cndmask_b32_e32 v6, -1, v6, vcc
	v_cndmask_b32_e32 v2, -1, v2, vcc
	v_and_b32_e32 v7, s81, v6
	v_and_b32_e32 v6, s80, v2
	v_cmp_eq_u64_e32 vcc, s[82:83], v[6:7]
	s_and_b64 exec, exec, vcc
	s_cbranch_execz .LBB115_160
; %bb.165:                              ;   in Loop: Header=BB115_161 Depth=2
	v_mov_b32_e32 v2, v19
	ds_write_b128 v19, v[2:5] offset:3072
	s_branch .LBB115_160
.LBB115_166:                            ;   in Loop: Header=BB115_30 Depth=1
	s_or_b64 exec, exec, s[28:29]
	s_and_b64 s[14:15], s[24:25], exec
.LBB115_167:                            ;   in Loop: Header=BB115_30 Depth=1
	s_or_b64 exec, exec, s[22:23]
	s_mov_b64 s[28:29], -1
	s_mov_b64 s[24:25], 0
	s_mov_b64 s[22:23], 0
.LBB115_168:                            ;   in Loop: Header=BB115_30 Depth=1
	s_mov_b64 s[36:37], 0
                                        ; implicit-def: $sgpr54
	s_and_saveexec_b64 s[30:31], s[14:15]
	s_cbranch_execz .LBB115_264
; %bb.169:                              ;   in Loop: Header=BB115_30 Depth=1
	s_xor_b64 s[0:1], s[34:35], -1
	s_mov_b64 s[14:15], 0
	s_andn2_b64 vcc, exec, s[0:1]
	s_mov_b32 s48, 1
	s_cbranch_vccnz .LBB115_180
; %bb.170:                              ;   in Loop: Header=BB115_30 Depth=1
	s_cmp_gt_u32 s39, s38
	s_mov_b64 s[14:15], -1
                                        ; implicit-def: $sgpr54
                                        ; implicit-def: $sgpr34_sgpr35
                                        ; implicit-def: $sgpr36_sgpr37
	s_cbranch_scc1 .LBB115_176
; %bb.171:                              ;   in Loop: Header=BB115_30 Depth=1
	ds_read_b32 v2, v19 offset:4104
	s_waitcnt lgkmcnt(0)
	v_cmp_ne_u32_e32 vcc, 0, v2
	s_cbranch_vccnz .LBB115_175
; %bb.172:                              ;   in Loop: Header=BB115_30 Depth=1
	s_mov_b64 s[14:15], exec
	v_readlane_b32 s0, v54, 8
	v_readlane_b32 s1, v54, 9
	s_and_b64 s[0:1], s[14:15], s[0:1]
	s_mov_b64 exec, s[0:1]
	s_cbranch_execz .LBB115_174
; %bb.173:                              ;   in Loop: Header=BB115_30 Depth=1
	v_mov_b32_e32 v2, s38
	ds_write_b32 v19, v2 offset:4108
.LBB115_174:                            ;   in Loop: Header=BB115_30 Depth=1
	s_or_b64 exec, exec, s[14:15]
	s_waitcnt lgkmcnt(0)
	s_barrier
.LBB115_175:                            ;   in Loop: Header=BB115_30 Depth=1
	s_lshl_b64 s[0:1], 1, s47
	s_and_b64 s[6:7], s[82:83], s[26:27]
	s_or_b64 s[34:35], s[6:7], s[0:1]
	s_or_b64 s[36:37], s[80:81], s[16:17]
	s_mov_b64 s[14:15], 0
	s_mov_b32 s54, 8
.LBB115_176:                            ;   in Loop: Header=BB115_30 Depth=1
	s_andn2_b64 vcc, exec, s[14:15]
	s_cbranch_vccnz .LBB115_178
; %bb.177:                              ;   in Loop: Header=BB115_30 Depth=1
	s_sub_i32 s39, s39, s38
	s_mov_b64 s[14:15], -1
	s_mov_b32 s54, 0
	s_mov_b64 s[34:35], s[82:83]
	s_mov_b64 s[36:37], s[80:81]
.LBB115_178:                            ;   in Loop: Header=BB115_30 Depth=1
	s_mov_b64 s[80:81], s[36:37]
	s_mov_b64 s[82:83], s[34:35]
	s_mov_b32 s48, s39
	s_andn2_b64 vcc, exec, s[14:15]
	s_mov_b64 s[44:45], -1
	s_cbranch_vccz .LBB115_181
.LBB115_179:                            ;   in Loop: Header=BB115_30 Depth=1
                                        ; implicit-def: $sgpr36_sgpr37
                                        ; implicit-def: $sgpr38_sgpr39
                                        ; implicit-def: $sgpr34_sgpr35
	s_branch .LBB115_263
.LBB115_180:                            ;   in Loop: Header=BB115_30 Depth=1
	s_mov_b32 s54, 1
	s_andn2_b64 vcc, exec, s[14:15]
	s_mov_b64 s[44:45], -1
	s_cbranch_vccnz .LBB115_179
.LBB115_181:                            ;   in Loop: Header=BB115_30 Depth=1
	s_cmp_eq_u32 s46, 1
	s_cselect_b64 s[0:1], -1, 0
	s_cmp_eq_u32 s48, 1
	s_cselect_b64 s[6:7], -1, 0
	s_and_b64 s[42:43], s[0:1], s[6:7]
	s_mov_b64 s[14:15], -1
	s_and_b64 vcc, exec, s[42:43]
	s_cbranch_vccz .LBB115_193
; %bb.182:                              ;   in Loop: Header=BB115_30 Depth=1
	ds_read_b32 v2, v19 offset:4104
	s_waitcnt lgkmcnt(0)
	s_barrier
	v_readfirstlane_b32 s0, v2
	s_mov_b64 s[14:15], exec
	v_readlane_b32 s6, v54, 23
	v_readlane_b32 s7, v54, 24
	s_and_b64 s[6:7], s[14:15], s[6:7]
	s_mov_b64 exec, s[6:7]
	s_cbranch_execz .LBB115_184
; %bb.183:                              ;   in Loop: Header=BB115_30 Depth=1
	v_mov_b32_e32 v18, v19
	ds_write_b64 v32, v[18:19]
.LBB115_184:                            ;   in Loop: Header=BB115_30 Depth=1
	s_or_b64 exec, exec, s[14:15]
	s_lshl_b64 s[6:7], 2, s47
	s_and_b64 s[14:15], s[82:83], s[26:27]
	s_or_b64 s[82:83], s[14:15], s[6:7]
	s_or_b64 s[80:81], s[80:81], s[16:17]
	s_cmp_eq_u32 s0, 0
	s_waitcnt lgkmcnt(0)
	s_barrier
	s_cbranch_scc1 .LBB115_194
; %bb.185:                              ;   in Loop: Header=BB115_30 Depth=1
	v_readlane_b32 s1, v54, 14
	s_add_i32 s1, s0, s1
	v_readlane_b32 s6, v54, 37
	s_mul_hi_u32 s6, s1, s6
	s_mul_i32 s6, s6, s59
	s_sub_i32 s6, s1, s6
	s_sub_i32 s7, s6, s59
	s_cmp_ge_u32 s6, s59
	s_cselect_b32 s6, s7, s6
	s_sub_i32 s7, s6, s59
	s_cmp_ge_u32 s6, s59
	s_cselect_b32 s6, s7, s6
	s_sub_i32 s1, s1, s6
	v_cmp_gt_u32_e32 vcc, s1, v0
	s_mov_b64 s[14:15], 0
                                        ; implicit-def: $vgpr6_vgpr7
	s_and_saveexec_b64 s[34:35], vcc
	s_cbranch_execz .LBB115_196
; %bb.186:                              ;   in Loop: Header=BB115_30 Depth=1
	s_mov_b64 s[38:39], 0
	v_mov_b32_e32 v8, v31
	v_mov_b32_e32 v9, v0
                                        ; implicit-def: $sgpr36_sgpr37
	s_branch .LBB115_188
.LBB115_187:                            ;   in Loop: Header=BB115_188 Depth=2
	s_or_b64 exec, exec, s[14:15]
	s_waitcnt lgkmcnt(0)
	s_barrier
	ds_read_b128 v[4:7], v19 offset:3072
	v_add_u32_e32 v9, s59, v9
	v_cmp_le_u32_e64 s[14:15], s1, v9
	v_add_u32_e32 v8, s75, v8
	s_waitcnt lgkmcnt(0)
	v_cmp_neq_f64_e32 vcc, 0, v[4:5]
	s_or_b64 s[6:7], s[14:15], vcc
	s_and_b64 s[6:7], exec, s[6:7]
	s_or_b64 s[38:39], s[6:7], s[38:39]
	s_andn2_b64 s[6:7], s[36:37], exec
	s_and_b64 s[14:15], vcc, exec
	s_or_b64 s[36:37], s[6:7], s[14:15]
	s_barrier
	s_andn2_b64 exec, exec, s[38:39]
	s_cbranch_execz .LBB115_195
.LBB115_188:                            ;   Parent Loop BB115_30 Depth=1
                                        ; =>  This Inner Loop Header: Depth=2
	v_cmp_gt_u32_e32 vcc, s0, v9
	s_waitcnt vmcnt(0)
	v_pk_mov_b32 v[4:5], 0, 0
	s_and_saveexec_b64 s[14:15], vcc
	s_cbranch_execz .LBB115_190
; %bb.189:                              ;   in Loop: Header=BB115_188 Depth=2
	ds_read_b64 v[4:5], v8
.LBB115_190:                            ;   in Loop: Header=BB115_188 Depth=2
	s_or_b64 exec, exec, s[14:15]
	s_and_saveexec_b64 s[14:15], vcc
	s_cbranch_execz .LBB115_187
; %bb.191:                              ;   in Loop: Header=BB115_188 Depth=2
	s_waitcnt lgkmcnt(0)
	v_ashrrev_i32_e32 v2, 31, v5
	v_or_b32_e32 v6, 0x80000000, v2
	v_xor_b32_e32 v6, v6, v5
	v_xor_b32_e32 v2, v2, v4
	v_cmp_o_f64_e32 vcc, v[4:5], v[4:5]
	v_cndmask_b32_e32 v6, -1, v6, vcc
	v_cndmask_b32_e32 v2, -1, v2, vcc
	v_and_b32_e32 v7, s81, v6
	v_and_b32_e32 v6, s80, v2
	v_cmp_eq_u64_e32 vcc, s[82:83], v[6:7]
	s_and_b64 exec, exec, vcc
	s_cbranch_execz .LBB115_187
; %bb.192:                              ;   in Loop: Header=BB115_188 Depth=2
	v_mov_b32_e32 v2, v19
	ds_write_b128 v19, v[2:5] offset:3072
	s_branch .LBB115_187
.LBB115_193:                            ;   in Loop: Header=BB115_30 Depth=1
                                        ; implicit-def: $sgpr34_sgpr35
                                        ; implicit-def: $sgpr38_sgpr39
                                        ; implicit-def: $sgpr36_sgpr37
	s_branch .LBB115_207
.LBB115_194:                            ;   in Loop: Header=BB115_30 Depth=1
	s_mov_b64 s[34:35], -1
	s_mov_b64 s[14:15], 0
                                        ; implicit-def: $sgpr36_sgpr37
                                        ; implicit-def: $vgpr6_vgpr7
	s_mov_b64 s[38:39], s[34:35]
	s_cbranch_execnz .LBB115_197
	s_branch .LBB115_207
.LBB115_195:                            ;   in Loop: Header=BB115_30 Depth=1
	s_or_b64 exec, exec, s[38:39]
	s_and_b64 s[14:15], s[36:37], exec
.LBB115_196:                            ;   in Loop: Header=BB115_30 Depth=1
	s_or_b64 exec, exec, s[34:35]
	s_mov_b64 s[36:37], -1
	s_mov_b64 s[34:35], 0
	s_mov_b64 s[38:39], s[34:35]
	s_branch .LBB115_207
.LBB115_197:                            ;   in Loop: Header=BB115_30 Depth=1
	s_mov_b64 s[14:15], 0
                                        ; implicit-def: $vgpr6_vgpr7
	s_mov_b64 s[34:35], exec
	v_readlane_b32 s0, v54, 38
	v_readlane_b32 s1, v54, 39
	s_and_b64 s[0:1], s[34:35], s[0:1]
	s_mov_b64 exec, s[0:1]
	s_cbranch_execz .LBB115_206
; %bb.198:                              ;   in Loop: Header=BB115_30 Depth=1
	s_mov_b64 s[38:39], 0
	v_mov_b32_e32 v18, v16
	v_mov_b32_e32 v8, v0
                                        ; implicit-def: $sgpr36_sgpr37
	s_branch .LBB115_200
.LBB115_199:                            ;   in Loop: Header=BB115_200 Depth=2
	s_or_b64 exec, exec, s[14:15]
	s_waitcnt lgkmcnt(0)
	s_barrier
	s_waitcnt vmcnt(0)
	ds_read_b128 v[4:7], v19 offset:3072
	v_add_u32_e32 v8, s59, v8
	v_cmp_le_u32_e64 s[14:15], s13, v8
	v_add_u32_e32 v18, s72, v18
	s_waitcnt lgkmcnt(0)
	v_cmp_neq_f64_e32 vcc, 0, v[4:5]
	s_or_b64 s[0:1], s[14:15], vcc
	s_and_b64 s[0:1], exec, s[0:1]
	s_or_b64 s[38:39], s[0:1], s[38:39]
	s_andn2_b64 s[0:1], s[36:37], exec
	s_and_b64 s[6:7], vcc, exec
	s_or_b64 s[36:37], s[0:1], s[6:7]
	s_barrier
	s_andn2_b64 exec, exec, s[38:39]
	s_cbranch_execz .LBB115_205
.LBB115_200:                            ;   Parent Loop BB115_30 Depth=1
                                        ; =>  This Inner Loop Header: Depth=2
	v_cmp_gt_u32_e32 vcc, s56, v8
	s_waitcnt vmcnt(0)
	v_pk_mov_b32 v[4:5], 0, 0
	s_and_saveexec_b64 s[40:41], vcc
	s_cbranch_execz .LBB115_202
; %bb.201:                              ;   in Loop: Header=BB115_200 Depth=2
	v_lshlrev_b64 v[4:5], 3, v[18:19]
	v_mov_b32_e32 v2, s60
	v_add_co_u32_e64 v4, s[14:15], s62, v4
	v_addc_co_u32_e64 v5, s[14:15], v2, v5, s[14:15]
	global_load_dwordx2 v[4:5], v[4:5], off
.LBB115_202:                            ;   in Loop: Header=BB115_200 Depth=2
	s_or_b64 exec, exec, s[40:41]
	s_and_saveexec_b64 s[14:15], vcc
	s_cbranch_execz .LBB115_199
; %bb.203:                              ;   in Loop: Header=BB115_200 Depth=2
	s_waitcnt vmcnt(0)
	v_ashrrev_i32_e32 v2, 31, v5
	v_or_b32_e32 v6, 0x80000000, v2
	v_xor_b32_e32 v6, v6, v5
	v_xor_b32_e32 v2, v2, v4
	v_cmp_o_f64_e32 vcc, v[4:5], v[4:5]
	v_cndmask_b32_e32 v6, -1, v6, vcc
	v_cndmask_b32_e32 v2, -1, v2, vcc
	v_and_b32_e32 v7, s81, v6
	v_and_b32_e32 v6, s80, v2
	v_cmp_eq_u64_e32 vcc, s[82:83], v[6:7]
	s_and_b64 exec, exec, vcc
	s_cbranch_execz .LBB115_199
; %bb.204:                              ;   in Loop: Header=BB115_200 Depth=2
	v_mov_b32_e32 v2, v19
	ds_write_b128 v19, v[2:5] offset:3072
	s_branch .LBB115_199
.LBB115_205:                            ;   in Loop: Header=BB115_30 Depth=1
	s_or_b64 exec, exec, s[38:39]
	s_and_b64 s[14:15], s[36:37], exec
.LBB115_206:                            ;   in Loop: Header=BB115_30 Depth=1
	s_or_b64 exec, exec, s[34:35]
	s_mov_b64 s[38:39], -1
	s_mov_b64 s[34:35], 0
	s_mov_b64 s[36:37], 0
.LBB115_207:                            ;   in Loop: Header=BB115_30 Depth=1
	s_mov_b64 s[44:45], 0
                                        ; implicit-def: $sgpr54
	s_and_saveexec_b64 s[40:41], s[14:15]
	s_cbranch_execz .LBB115_262
; %bb.208:                              ;   in Loop: Header=BB115_30 Depth=1
	s_xor_b64 s[0:1], s[42:43], -1
	s_mov_b64 s[14:15], 0
	s_andn2_b64 vcc, exec, s[0:1]
	s_mov_b32 s53, 1
	s_cbranch_vccnz .LBB115_219
; %bb.209:                              ;   in Loop: Header=BB115_30 Depth=1
	s_cmp_gt_u32 s48, s46
	s_mov_b64 s[14:15], -1
                                        ; implicit-def: $sgpr54
                                        ; implicit-def: $sgpr42_sgpr43
                                        ; implicit-def: $sgpr44_sgpr45
	s_cbranch_scc1 .LBB115_215
; %bb.210:                              ;   in Loop: Header=BB115_30 Depth=1
	ds_read_b32 v2, v19 offset:4104
	s_waitcnt lgkmcnt(0)
	v_cmp_ne_u32_e32 vcc, 0, v2
	s_cbranch_vccnz .LBB115_214
; %bb.211:                              ;   in Loop: Header=BB115_30 Depth=1
	s_mov_b64 s[14:15], exec
	v_readlane_b32 s0, v54, 8
	v_readlane_b32 s1, v54, 9
	s_and_b64 s[0:1], s[14:15], s[0:1]
	s_mov_b64 exec, s[0:1]
	s_cbranch_execz .LBB115_213
; %bb.212:                              ;   in Loop: Header=BB115_30 Depth=1
	v_mov_b32_e32 v2, s46
	ds_write_b32 v19, v2 offset:4108
.LBB115_213:                            ;   in Loop: Header=BB115_30 Depth=1
	s_or_b64 exec, exec, s[14:15]
	s_waitcnt lgkmcnt(0)
	s_barrier
.LBB115_214:                            ;   in Loop: Header=BB115_30 Depth=1
	s_lshl_b64 s[0:1], 2, s47
	s_and_b64 s[6:7], s[82:83], s[26:27]
	s_or_b64 s[42:43], s[6:7], s[0:1]
	s_or_b64 s[44:45], s[80:81], s[16:17]
	s_mov_b64 s[14:15], 0
	s_mov_b32 s54, 8
.LBB115_215:                            ;   in Loop: Header=BB115_30 Depth=1
	s_andn2_b64 vcc, exec, s[14:15]
	s_cbranch_vccnz .LBB115_217
; %bb.216:                              ;   in Loop: Header=BB115_30 Depth=1
	s_sub_i32 s48, s48, s46
	s_mov_b64 s[14:15], -1
	s_mov_b32 s54, 0
	s_mov_b64 s[42:43], s[82:83]
	s_mov_b64 s[44:45], s[80:81]
.LBB115_217:                            ;   in Loop: Header=BB115_30 Depth=1
	s_mov_b64 s[80:81], s[44:45]
	s_mov_b64 s[82:83], s[42:43]
	s_mov_b32 s53, s48
	s_andn2_b64 vcc, exec, s[14:15]
	s_mov_b64 s[50:51], -1
	s_cbranch_vccz .LBB115_220
.LBB115_218:                            ;   in Loop: Header=BB115_30 Depth=1
                                        ; implicit-def: $sgpr14_sgpr15
                                        ; implicit-def: $sgpr44_sgpr45
                                        ; implicit-def: $sgpr42_sgpr43
	s_branch .LBB115_261
.LBB115_219:                            ;   in Loop: Header=BB115_30 Depth=1
	s_mov_b32 s54, 1
	s_andn2_b64 vcc, exec, s[14:15]
	s_mov_b64 s[50:51], -1
	s_cbranch_vccnz .LBB115_218
.LBB115_220:                            ;   in Loop: Header=BB115_30 Depth=1
	s_cmp_eq_u32 s52, 1
	s_cselect_b64 s[0:1], -1, 0
	s_cmp_eq_u32 s53, 1
	s_cselect_b64 s[6:7], -1, 0
	s_and_b64 s[26:27], s[0:1], s[6:7]
	s_mov_b64 s[46:47], -1
	s_and_b64 vcc, exec, s[26:27]
	s_cbranch_vccz .LBB115_232
; %bb.221:                              ;   in Loop: Header=BB115_30 Depth=1
	ds_read_b32 v2, v19 offset:4104
	s_waitcnt lgkmcnt(0)
	s_barrier
	v_readfirstlane_b32 s0, v2
	s_mov_b64 s[14:15], exec
	v_readlane_b32 s6, v54, 23
	v_readlane_b32 s7, v54, 24
	s_and_b64 s[6:7], s[14:15], s[6:7]
	s_mov_b64 exec, s[6:7]
	s_cbranch_execz .LBB115_223
; %bb.222:                              ;   in Loop: Header=BB115_30 Depth=1
	v_mov_b32_e32 v18, v19
	ds_write_b64 v32, v[18:19]
.LBB115_223:                            ;   in Loop: Header=BB115_30 Depth=1
	s_or_b64 exec, exec, s[14:15]
	s_or_b64 s[82:83], s[82:83], s[16:17]
	s_or_b64 s[80:81], s[80:81], s[16:17]
	s_cmp_eq_u32 s0, 0
	s_waitcnt lgkmcnt(0)
	s_barrier
	s_cbranch_scc1 .LBB115_233
; %bb.224:                              ;   in Loop: Header=BB115_30 Depth=1
	v_readlane_b32 s1, v54, 14
	s_add_i32 s1, s0, s1
	v_readlane_b32 s6, v54, 37
	s_mul_hi_u32 s6, s1, s6
	s_mul_i32 s6, s6, s59
	s_sub_i32 s6, s1, s6
	s_sub_i32 s7, s6, s59
	s_cmp_ge_u32 s6, s59
	s_cselect_b32 s6, s7, s6
	s_sub_i32 s7, s6, s59
	s_cmp_ge_u32 s6, s59
	s_cselect_b32 s6, s7, s6
	s_sub_i32 s1, s1, s6
	v_cmp_gt_u32_e32 vcc, s1, v0
	s_mov_b64 s[46:47], 0
                                        ; implicit-def: $vgpr6_vgpr7
	s_and_saveexec_b64 s[42:43], vcc
	s_cbranch_execz .LBB115_235
; %bb.225:                              ;   in Loop: Header=BB115_30 Depth=1
	v_mov_b32_e32 v8, v31
	v_mov_b32_e32 v9, v0
                                        ; implicit-def: $sgpr44_sgpr45
	s_branch .LBB115_227
.LBB115_226:                            ;   in Loop: Header=BB115_227 Depth=2
	s_or_b64 exec, exec, s[14:15]
	s_waitcnt lgkmcnt(0)
	s_barrier
	ds_read_b128 v[4:7], v19 offset:3072
	v_add_u32_e32 v9, s59, v9
	v_cmp_le_u32_e64 s[14:15], s1, v9
	v_add_u32_e32 v8, s75, v8
	s_waitcnt lgkmcnt(0)
	v_cmp_neq_f64_e32 vcc, 0, v[4:5]
	s_or_b64 s[6:7], s[14:15], vcc
	s_and_b64 s[6:7], exec, s[6:7]
	s_or_b64 s[46:47], s[6:7], s[46:47]
	s_andn2_b64 s[6:7], s[44:45], exec
	s_and_b64 s[14:15], vcc, exec
	s_or_b64 s[44:45], s[6:7], s[14:15]
	s_barrier
	s_andn2_b64 exec, exec, s[46:47]
	s_cbranch_execz .LBB115_234
.LBB115_227:                            ;   Parent Loop BB115_30 Depth=1
                                        ; =>  This Inner Loop Header: Depth=2
	v_cmp_gt_u32_e32 vcc, s0, v9
	s_waitcnt vmcnt(0)
	v_pk_mov_b32 v[4:5], 0, 0
	s_and_saveexec_b64 s[14:15], vcc
	s_cbranch_execz .LBB115_229
; %bb.228:                              ;   in Loop: Header=BB115_227 Depth=2
	ds_read_b64 v[4:5], v8
.LBB115_229:                            ;   in Loop: Header=BB115_227 Depth=2
	s_or_b64 exec, exec, s[14:15]
	s_and_saveexec_b64 s[14:15], vcc
	s_cbranch_execz .LBB115_226
; %bb.230:                              ;   in Loop: Header=BB115_227 Depth=2
	s_waitcnt lgkmcnt(0)
	v_ashrrev_i32_e32 v2, 31, v5
	v_or_b32_e32 v6, 0x80000000, v2
	v_xor_b32_e32 v6, v6, v5
	v_xor_b32_e32 v2, v2, v4
	v_cmp_o_f64_e32 vcc, v[4:5], v[4:5]
	v_cndmask_b32_e32 v6, -1, v6, vcc
	v_cndmask_b32_e32 v2, -1, v2, vcc
	v_and_b32_e32 v7, s81, v6
	v_and_b32_e32 v6, s80, v2
	v_cmp_eq_u64_e32 vcc, s[82:83], v[6:7]
	s_and_b64 exec, exec, vcc
	s_cbranch_execz .LBB115_226
; %bb.231:                              ;   in Loop: Header=BB115_227 Depth=2
	v_mov_b32_e32 v2, v19
	ds_write_b128 v19, v[2:5] offset:3072
	s_branch .LBB115_226
.LBB115_232:                            ;   in Loop: Header=BB115_30 Depth=1
                                        ; implicit-def: $sgpr14_sgpr15
                                        ; implicit-def: $sgpr44_sgpr45
                                        ; implicit-def: $sgpr42_sgpr43
	s_branch .LBB115_246
.LBB115_233:                            ;   in Loop: Header=BB115_30 Depth=1
	s_mov_b64 s[14:15], -1
	s_mov_b64 s[46:47], 0
                                        ; implicit-def: $sgpr42_sgpr43
                                        ; implicit-def: $vgpr6_vgpr7
	s_mov_b64 s[44:45], s[14:15]
	s_cbranch_execnz .LBB115_236
	s_branch .LBB115_246
.LBB115_234:                            ;   in Loop: Header=BB115_30 Depth=1
	s_or_b64 exec, exec, s[46:47]
	s_and_b64 s[46:47], s[44:45], exec
.LBB115_235:                            ;   in Loop: Header=BB115_30 Depth=1
	s_or_b64 exec, exec, s[42:43]
	s_mov_b64 s[42:43], -1
	s_mov_b64 s[14:15], 0
	s_mov_b64 s[44:45], s[14:15]
	s_branch .LBB115_246
.LBB115_236:                            ;   in Loop: Header=BB115_30 Depth=1
	s_mov_b64 s[46:47], 0
                                        ; implicit-def: $vgpr6_vgpr7
	s_mov_b64 s[42:43], exec
	v_readlane_b32 s0, v54, 38
	v_readlane_b32 s1, v54, 39
	s_and_b64 s[0:1], s[42:43], s[0:1]
	s_mov_b64 exec, s[0:1]
	s_cbranch_execz .LBB115_245
; %bb.237:                              ;   in Loop: Header=BB115_30 Depth=1
	v_mov_b32_e32 v18, v16
	v_mov_b32_e32 v8, v0
                                        ; implicit-def: $sgpr44_sgpr45
	s_branch .LBB115_239
.LBB115_238:                            ;   in Loop: Header=BB115_239 Depth=2
	s_or_b64 exec, exec, s[14:15]
	s_waitcnt lgkmcnt(0)
	s_barrier
	s_waitcnt vmcnt(0)
	ds_read_b128 v[4:7], v19 offset:3072
	v_add_u32_e32 v8, s59, v8
	v_cmp_le_u32_e64 s[14:15], s13, v8
	v_add_u32_e32 v18, s72, v18
	s_waitcnt lgkmcnt(0)
	v_cmp_neq_f64_e32 vcc, 0, v[4:5]
	s_or_b64 s[0:1], s[14:15], vcc
	s_and_b64 s[0:1], exec, s[0:1]
	s_or_b64 s[46:47], s[0:1], s[46:47]
	s_andn2_b64 s[0:1], s[44:45], exec
	s_and_b64 s[6:7], vcc, exec
	s_or_b64 s[44:45], s[0:1], s[6:7]
	s_barrier
	s_andn2_b64 exec, exec, s[46:47]
	s_cbranch_execz .LBB115_244
.LBB115_239:                            ;   Parent Loop BB115_30 Depth=1
                                        ; =>  This Inner Loop Header: Depth=2
	v_cmp_gt_u32_e32 vcc, s56, v8
	s_waitcnt vmcnt(0)
	v_pk_mov_b32 v[4:5], 0, 0
	s_and_saveexec_b64 s[48:49], vcc
	s_cbranch_execz .LBB115_241
; %bb.240:                              ;   in Loop: Header=BB115_239 Depth=2
	v_lshlrev_b64 v[4:5], 3, v[18:19]
	v_mov_b32_e32 v2, s60
	v_add_co_u32_e64 v4, s[14:15], s62, v4
	v_addc_co_u32_e64 v5, s[14:15], v2, v5, s[14:15]
	global_load_dwordx2 v[4:5], v[4:5], off
.LBB115_241:                            ;   in Loop: Header=BB115_239 Depth=2
	s_or_b64 exec, exec, s[48:49]
	s_and_saveexec_b64 s[14:15], vcc
	s_cbranch_execz .LBB115_238
; %bb.242:                              ;   in Loop: Header=BB115_239 Depth=2
	s_waitcnt vmcnt(0)
	v_ashrrev_i32_e32 v2, 31, v5
	v_or_b32_e32 v6, 0x80000000, v2
	v_xor_b32_e32 v6, v6, v5
	v_xor_b32_e32 v2, v2, v4
	v_cmp_o_f64_e32 vcc, v[4:5], v[4:5]
	v_cndmask_b32_e32 v6, -1, v6, vcc
	v_cndmask_b32_e32 v2, -1, v2, vcc
	v_and_b32_e32 v7, s81, v6
	v_and_b32_e32 v6, s80, v2
	v_cmp_eq_u64_e32 vcc, s[82:83], v[6:7]
	s_and_b64 exec, exec, vcc
	s_cbranch_execz .LBB115_238
; %bb.243:                              ;   in Loop: Header=BB115_239 Depth=2
	v_mov_b32_e32 v2, v19
	ds_write_b128 v19, v[2:5] offset:3072
	s_branch .LBB115_238
.LBB115_244:                            ;   in Loop: Header=BB115_30 Depth=1
	s_or_b64 exec, exec, s[46:47]
	s_and_b64 s[46:47], s[44:45], exec
.LBB115_245:                            ;   in Loop: Header=BB115_30 Depth=1
	s_or_b64 exec, exec, s[42:43]
	s_mov_b64 s[44:45], -1
	s_mov_b64 s[14:15], 0
	s_mov_b64 s[42:43], 0
.LBB115_246:                            ;   in Loop: Header=BB115_30 Depth=1
	s_mov_b64 s[50:51], 0
                                        ; implicit-def: $sgpr54
	s_and_saveexec_b64 s[48:49], s[46:47]
	s_cbranch_execz .LBB115_260
; %bb.247:                              ;   in Loop: Header=BB115_30 Depth=1
	s_xor_b64 s[0:1], s[26:27], -1
	s_andn2_b64 vcc, exec, s[0:1]
	s_mov_b32 s54, 1
	s_cbranch_vccnz .LBB115_254
; %bb.248:                              ;   in Loop: Header=BB115_30 Depth=1
	s_cmp_gt_u32 s53, s52
	s_cbranch_scc1 .LBB115_255
; %bb.249:                              ;   in Loop: Header=BB115_30 Depth=1
	ds_read_b32 v2, v19 offset:4104
	s_waitcnt lgkmcnt(0)
	v_cmp_ne_u32_e32 vcc, 0, v2
	s_cbranch_vccnz .LBB115_253
; %bb.250:                              ;   in Loop: Header=BB115_30 Depth=1
	s_mov_b64 s[26:27], exec
	v_readlane_b32 s0, v54, 8
	v_readlane_b32 s1, v54, 9
	s_and_b64 s[0:1], s[26:27], s[0:1]
	s_mov_b64 exec, s[0:1]
	s_cbranch_execz .LBB115_252
; %bb.251:                              ;   in Loop: Header=BB115_30 Depth=1
	v_mov_b32_e32 v2, s52
	ds_write_b32 v19, v2 offset:4108
.LBB115_252:                            ;   in Loop: Header=BB115_30 Depth=1
	s_or_b64 exec, exec, s[26:27]
	s_waitcnt lgkmcnt(0)
	s_barrier
.LBB115_253:                            ;   in Loop: Header=BB115_30 Depth=1
	s_or_b64 s[26:27], s[82:83], s[16:17]
	s_or_b64 s[16:17], s[80:81], s[16:17]
	s_mov_b64 s[46:47], 0
	s_mov_b32 s54, 8
	s_branch .LBB115_256
.LBB115_254:                            ;   in Loop: Header=BB115_30 Depth=1
	s_mov_b32 s53, 1
	s_branch .LBB115_259
.LBB115_255:                            ;   in Loop: Header=BB115_30 Depth=1
	s_mov_b64 s[46:47], -1
                                        ; implicit-def: $sgpr54
                                        ; implicit-def: $sgpr26_sgpr27
                                        ; implicit-def: $sgpr16_sgpr17
.LBB115_256:                            ;   in Loop: Header=BB115_30 Depth=1
	s_andn2_b64 vcc, exec, s[46:47]
	s_cbranch_vccnz .LBB115_258
; %bb.257:                              ;   in Loop: Header=BB115_30 Depth=1
	s_sub_i32 s53, s53, s52
	s_mov_b32 s54, 8
	s_mov_b64 s[26:27], s[82:83]
	s_mov_b64 s[16:17], s[80:81]
.LBB115_258:                            ;   in Loop: Header=BB115_30 Depth=1
	s_mov_b64 s[82:83], s[26:27]
	s_mov_b64 s[80:81], s[16:17]
.LBB115_259:                            ;   in Loop: Header=BB115_30 Depth=1
	s_mov_b64 s[50:51], exec
.LBB115_260:                            ;   in Loop: Header=BB115_30 Depth=1
	s_or_b64 exec, exec, s[48:49]
.LBB115_261:                            ;   in Loop: Header=BB115_30 Depth=1
	s_andn2_b64 s[0:1], s[34:35], exec
	s_and_b64 s[6:7], s[14:15], exec
	s_or_b64 s[34:35], s[0:1], s[6:7]
	s_andn2_b64 s[0:1], s[38:39], exec
	s_and_b64 s[6:7], s[44:45], exec
	s_or_b64 s[38:39], s[0:1], s[6:7]
	;; [unrolled: 3-line block ×3, first 2 shown]
	s_and_b64 s[44:45], s[50:51], exec
	s_mov_b32 s48, s53
.LBB115_262:                            ;   in Loop: Header=BB115_30 Depth=1
	s_or_b64 exec, exec, s[40:41]
.LBB115_263:                            ;   in Loop: Header=BB115_30 Depth=1
	s_andn2_b64 s[0:1], s[24:25], exec
	s_and_b64 s[6:7], s[34:35], exec
	s_or_b64 s[24:25], s[0:1], s[6:7]
	s_andn2_b64 s[0:1], s[28:29], exec
	s_and_b64 s[6:7], s[38:39], exec
	s_or_b64 s[28:29], s[0:1], s[6:7]
	;; [unrolled: 3-line block ×3, first 2 shown]
	s_and_b64 s[36:37], s[44:45], exec
	s_mov_b32 s39, s48
.LBB115_264:                            ;   in Loop: Header=BB115_30 Depth=1
	s_or_b64 exec, exec, s[30:31]
                                        ; implicit-def: $sgpr68
	s_and_saveexec_b64 s[0:1], s[36:37]
	s_xor_b64 s[14:15], exec, s[0:1]
	s_cbranch_execz .LBB115_28
.LBB115_265:                            ;   in Loop: Header=BB115_30 Depth=1
	s_and_b32 s0, s54, -9
	s_cmp_eq_u32 s0, 0
	s_cbranch_scc1 .LBB115_26
; %bb.266:                              ;   in Loop: Header=BB115_30 Depth=1
	s_mov_b64 s[16:17], -1
                                        ; implicit-def: $sgpr80_sgpr81
                                        ; implicit-def: $sgpr39
                                        ; implicit-def: $sgpr8
                                        ; implicit-def: $sgpr9
	s_mov_b64 s[20:21], -1
	s_branch .LBB115_27
.LBB115_267:
	s_or_b64 exec, exec, s[86:87]
	s_xor_b64 s[8:9], s[92:93], -1
	s_xor_b64 s[0:1], s[88:89], -1
	;; [unrolled: 1-line block ×3, first 2 shown]
	s_mov_b64 s[4:5], 0
	s_and_saveexec_b64 s[2:3], s[0:1]
	s_xor_b64 s[2:3], exec, s[2:3]
	s_cbranch_execnz .LBB115_272
; %bb.268:
	s_andn2_saveexec_b64 s[0:1], s[2:3]
	s_cbranch_execnz .LBB115_285
.LBB115_269:
	s_or_b64 exec, exec, s[0:1]
	s_and_saveexec_b64 s[0:1], s[4:5]
.LBB115_270:
	; divergent unreachable
.LBB115_271:
	s_endpgm
.LBB115_272:
	s_and_saveexec_b64 s[0:1], s[8:9]
	s_xor_b64 s[4:5], exec, s[0:1]
	s_cbranch_execz .LBB115_283
; %bb.273:
	s_and_saveexec_b64 s[0:1], s[6:7]
	s_xor_b64 s[6:7], exec, s[0:1]
; %bb.274:
	v_lshrrev_b32_e32 v1, 31, v5
	v_add_co_u32_e32 v1, vcc, -1, v1
	v_addc_co_u32_e64 v2, s[0:1], 0, -1, vcc
	v_or_b32_e32 v2, 0x80000000, v2
	v_xor_b32_e32 v7, v2, v5
	v_xor_b32_e32 v6, v1, v4
; %bb.275:
	s_or_b64 exec, exec, s[6:7]
	v_readlane_b32 s0, v54, 0
	s_mul_i32 s0, s0, s33
	s_add_i32 s0, s0, s61
	s_mov_b32 s1, 0
	s_lshl_b64 s[0:1], s[0:1], 3
	v_readlane_b32 s6, v54, 2
	v_readlane_b32 s7, v54, 3
	s_add_u32 s0, s6, s0
	s_addc_u32 s1, s7, s1
	v_mov_b32_e32 v17, 0
	global_store_dwordx2 v17, v[6:7], s[0:1]
	s_mov_b64 s[6:7], exec
	v_readlane_b32 s0, v54, 6
	v_readlane_b32 s1, v54, 7
	s_and_b64 s[0:1], s[6:7], s[0:1]
	s_mov_b64 exec, s[0:1]
	s_cbranch_execz .LBB115_282
; %bb.276:
	v_cmp_u_f64_e32 vcc, v[6:7], v[6:7]
	s_mov_b64 s[8:9], 0
	v_mov_b32_e32 v1, s60
	s_xor_b64 s[12:13], vcc, -1
                                        ; implicit-def: $sgpr10_sgpr11
                                        ; implicit-def: $sgpr16_sgpr17
                                        ; implicit-def: $sgpr14_sgpr15
	s_branch .LBB115_278
.LBB115_277:                            ;   in Loop: Header=BB115_278 Depth=1
	s_or_b64 exec, exec, s[0:1]
	s_and_b64 s[0:1], exec, s[16:17]
	s_or_b64 s[8:9], s[0:1], s[8:9]
	s_andn2_b64 s[0:1], s[10:11], exec
	s_and_b64 s[10:11], s[14:15], exec
	s_or_b64 s[10:11], s[0:1], s[10:11]
	s_andn2_b64 exec, exec, s[8:9]
	s_cbranch_execz .LBB115_280
.LBB115_278:                            ; =>This Inner Loop Header: Depth=1
	v_lshlrev_b64 v[2:3], 3, v[16:17]
	v_add_co_u32_e32 v2, vcc, s62, v2
	v_addc_co_u32_e32 v3, vcc, v1, v3, vcc
	global_load_dwordx2 v[4:5], v[2:3], off
	v_mov_b32_e32 v2, v0
	s_or_b64 s[14:15], s[14:15], exec
	s_or_b64 s[16:17], s[16:17], exec
                                        ; implicit-def: $vgpr0
	s_waitcnt vmcnt(0)
	v_cmp_o_f64_e64 s[0:1], v[4:5], v[4:5]
	v_cmp_neq_f64_e32 vcc, v[4:5], v[6:7]
	s_or_b64 s[0:1], s[0:1], s[12:13]
	s_and_b64 s[18:19], vcc, s[0:1]
	s_and_saveexec_b64 s[0:1], s[18:19]
	s_cbranch_execz .LBB115_277
; %bb.279:                              ;   in Loop: Header=BB115_278 Depth=1
	v_add_u32_e32 v0, s59, v2
	v_cmp_le_u32_e32 vcc, s56, v0
	s_andn2_b64 s[16:17], s[16:17], exec
	s_and_b64 s[18:19], vcc, exec
	v_add_u32_e32 v16, s72, v16
	s_andn2_b64 s[14:15], s[14:15], exec
	s_or_b64 s[16:17], s[16:17], s[18:19]
	s_branch .LBB115_277
.LBB115_280:
	s_or_b64 exec, exec, s[8:9]
	s_and_saveexec_b64 s[0:1], s[10:11]
	s_xor_b64 s[0:1], exec, s[0:1]
	s_cbranch_execz .LBB115_282
; %bb.281:
	v_readlane_b32 s0, v54, 1
	s_mul_i32 s0, s0, s57
	s_add_i32 s0, s0, s63
	s_mov_b32 s1, 0
	s_lshl_b64 s[0:1], s[0:1], 3
	v_readlane_b32 s8, v54, 4
	v_readlane_b32 s9, v54, 5
	s_add_u32 s0, s8, s0
	s_addc_u32 s1, s9, s1
	v_mov_b32_e32 v3, 0
	global_store_dwordx2 v3, v[2:3], s[0:1]
.LBB115_282:
	s_or_b64 exec, exec, s[6:7]
.LBB115_283:
	s_or_saveexec_b64 s[0:1], s[4:5]
	s_mov_b64 s[4:5], 0
	s_xor_b64 exec, exec, s[0:1]
	s_cbranch_execnz .LBB115_286
.LBB115_284:
	s_or_b64 exec, exec, s[0:1]
	s_and_b64 s[4:5], s[4:5], exec
	s_andn2_saveexec_b64 s[0:1], s[2:3]
	s_cbranch_execz .LBB115_269
.LBB115_285:
	s_or_b64 s[4:5], s[4:5], exec
	s_trap 2
	s_or_b64 exec, exec, s[0:1]
	s_and_saveexec_b64 s[0:1], s[4:5]
	s_cbranch_execnz .LBB115_270
	s_branch .LBB115_271
.LBB115_286:
	s_mov_b64 s[4:5], exec
	s_trap 2
	s_branch .LBB115_284
	.section	.rodata,"a",@progbits
	.p2align	6, 0x0
	.amdhsa_kernel _ZN2at6native12_GLOBAL__N_112gatherMedianIdjLin1EEEvNS_4cuda6detail10TensorInfoIT_T0_EENS5_IlS7_EENS5_IKS6_S7_EES7_S7_S7_b
		.amdhsa_group_segment_fixed_size 4120
		.amdhsa_private_segment_fixed_size 0
		.amdhsa_kernarg_size 920
		.amdhsa_user_sgpr_count 6
		.amdhsa_user_sgpr_private_segment_buffer 1
		.amdhsa_user_sgpr_dispatch_ptr 0
		.amdhsa_user_sgpr_queue_ptr 0
		.amdhsa_user_sgpr_kernarg_segment_ptr 1
		.amdhsa_user_sgpr_dispatch_id 0
		.amdhsa_user_sgpr_flat_scratch_init 0
		.amdhsa_user_sgpr_kernarg_preload_length 0
		.amdhsa_user_sgpr_kernarg_preload_offset 0
		.amdhsa_user_sgpr_private_segment_size 0
		.amdhsa_uses_dynamic_stack 0
		.amdhsa_system_sgpr_private_segment_wavefront_offset 0
		.amdhsa_system_sgpr_workgroup_id_x 1
		.amdhsa_system_sgpr_workgroup_id_y 1
		.amdhsa_system_sgpr_workgroup_id_z 1
		.amdhsa_system_sgpr_workgroup_info 0
		.amdhsa_system_vgpr_workitem_id 0
		.amdhsa_next_free_vgpr 55
		.amdhsa_next_free_sgpr 96
		.amdhsa_accum_offset 56
		.amdhsa_reserve_vcc 1
		.amdhsa_reserve_flat_scratch 0
		.amdhsa_float_round_mode_32 0
		.amdhsa_float_round_mode_16_64 0
		.amdhsa_float_denorm_mode_32 3
		.amdhsa_float_denorm_mode_16_64 3
		.amdhsa_dx10_clamp 1
		.amdhsa_ieee_mode 1
		.amdhsa_fp16_overflow 0
		.amdhsa_tg_split 0
		.amdhsa_exception_fp_ieee_invalid_op 0
		.amdhsa_exception_fp_denorm_src 0
		.amdhsa_exception_fp_ieee_div_zero 0
		.amdhsa_exception_fp_ieee_overflow 0
		.amdhsa_exception_fp_ieee_underflow 0
		.amdhsa_exception_fp_ieee_inexact 0
		.amdhsa_exception_int_div_zero 0
	.end_amdhsa_kernel
	.section	.text._ZN2at6native12_GLOBAL__N_112gatherMedianIdjLin1EEEvNS_4cuda6detail10TensorInfoIT_T0_EENS5_IlS7_EENS5_IKS6_S7_EES7_S7_S7_b,"axG",@progbits,_ZN2at6native12_GLOBAL__N_112gatherMedianIdjLin1EEEvNS_4cuda6detail10TensorInfoIT_T0_EENS5_IlS7_EENS5_IKS6_S7_EES7_S7_S7_b,comdat
.Lfunc_end115:
	.size	_ZN2at6native12_GLOBAL__N_112gatherMedianIdjLin1EEEvNS_4cuda6detail10TensorInfoIT_T0_EENS5_IlS7_EENS5_IKS6_S7_EES7_S7_S7_b, .Lfunc_end115-_ZN2at6native12_GLOBAL__N_112gatherMedianIdjLin1EEEvNS_4cuda6detail10TensorInfoIT_T0_EENS5_IlS7_EENS5_IKS6_S7_EES7_S7_S7_b
                                        ; -- End function
	.section	.AMDGPU.csdata,"",@progbits
; Kernel info:
; codeLenInByte = 11700
; NumSgprs: 100
; NumVgprs: 55
; NumAgprs: 0
; TotalNumVgprs: 55
; ScratchSize: 0
; MemoryBound: 0
; FloatMode: 240
; IeeeMode: 1
; LDSByteSize: 4120 bytes/workgroup (compile time only)
; SGPRBlocks: 12
; VGPRBlocks: 6
; NumSGPRsForWavesPerEU: 100
; NumVGPRsForWavesPerEU: 55
; AccumOffset: 56
; Occupancy: 8
; WaveLimiterHint : 1
; COMPUTE_PGM_RSRC2:SCRATCH_EN: 0
; COMPUTE_PGM_RSRC2:USER_SGPR: 6
; COMPUTE_PGM_RSRC2:TRAP_HANDLER: 0
; COMPUTE_PGM_RSRC2:TGID_X_EN: 1
; COMPUTE_PGM_RSRC2:TGID_Y_EN: 1
; COMPUTE_PGM_RSRC2:TGID_Z_EN: 1
; COMPUTE_PGM_RSRC2:TIDIG_COMP_CNT: 0
; COMPUTE_PGM_RSRC3_GFX90A:ACCUM_OFFSET: 13
; COMPUTE_PGM_RSRC3_GFX90A:TG_SPLIT: 0
	.section	.text._ZN2at6native12_GLOBAL__N_112gatherMedianIdmLi1EEEvNS_4cuda6detail10TensorInfoIT_T0_EENS5_IlS7_EENS5_IKS6_S7_EES7_S7_S7_b,"axG",@progbits,_ZN2at6native12_GLOBAL__N_112gatherMedianIdmLi1EEEvNS_4cuda6detail10TensorInfoIT_T0_EENS5_IlS7_EENS5_IKS6_S7_EES7_S7_S7_b,comdat
	.globl	_ZN2at6native12_GLOBAL__N_112gatherMedianIdmLi1EEEvNS_4cuda6detail10TensorInfoIT_T0_EENS5_IlS7_EENS5_IKS6_S7_EES7_S7_S7_b ; -- Begin function _ZN2at6native12_GLOBAL__N_112gatherMedianIdmLi1EEEvNS_4cuda6detail10TensorInfoIT_T0_EENS5_IlS7_EENS5_IKS6_S7_EES7_S7_S7_b
	.p2align	8
	.type	_ZN2at6native12_GLOBAL__N_112gatherMedianIdmLi1EEEvNS_4cuda6detail10TensorInfoIT_T0_EENS5_IlS7_EENS5_IKS6_S7_EES7_S7_S7_b,@function
_ZN2at6native12_GLOBAL__N_112gatherMedianIdmLi1EEEvNS_4cuda6detail10TensorInfoIT_T0_EENS5_IlS7_EENS5_IKS6_S7_EES7_S7_S7_b: ; @_ZN2at6native12_GLOBAL__N_112gatherMedianIdmLi1EEEvNS_4cuda6detail10TensorInfoIT_T0_EENS5_IlS7_EENS5_IKS6_S7_EES7_S7_S7_b
; %bb.0:
	s_load_dwordx4 s[52:55], s[4:5], 0x4e0
	s_load_dwordx2 s[0:1], s[4:5], 0x500
	s_add_u32 s2, s4, 0x500
	s_addc_u32 s3, s5, 0
	s_mov_b32 s79, 0
	s_waitcnt lgkmcnt(0)
	v_mov_b32_e32 v2, s54
	s_mul_i32 s1, s1, s8
	s_add_i32 s1, s1, s7
	s_mul_i32 s1, s1, s0
	v_mov_b32_e32 v3, s55
	s_add_i32 s78, s1, s6
	v_cmp_ge_u64_e32 vcc, s[78:79], v[2:3]
	s_cbranch_vccnz .LBB116_292
; %bb.1:
	s_load_dwordx2 s[64:65], s[4:5], 0x4f0
	s_load_dwordx2 s[10:11], s[4:5], 0x410
	;; [unrolled: 1-line block ×4, first 2 shown]
                                        ; implicit-def: $vgpr56 : SGPR spill to VGPR lane
	v_mov_b32_e32 v1, 0
	v_cmp_gt_u64_e64 s[30:31], s[52:53], v[0:1]
	s_waitcnt lgkmcnt(0)
	s_mul_i32 s1, s11, s78
	s_mul_hi_u32 s7, s10, s78
	v_writelane_b32 v56, s12, 0
	v_writelane_b32 v56, s13, 1
	s_load_dwordx2 s[12:13], s[4:5], 0x1a0
	s_add_i32 s11, s7, s1
	s_mul_i32 s10, s10, s78
	v_pk_mov_b32 v[2:3], 0, 0
	s_waitcnt lgkmcnt(0)
	v_writelane_b32 v56, s12, 2
	v_writelane_b32 v56, s13, 3
	s_load_dwordx2 s[12:13], s[4:5], 0xd0
	s_waitcnt lgkmcnt(0)
	v_writelane_b32 v56, s12, 4
	v_writelane_b32 v56, s13, 5
	s_load_dwordx2 s[12:13], s[4:5], 0x0
	s_waitcnt lgkmcnt(0)
	v_writelane_b32 v56, s12, 6
	v_writelane_b32 v56, s13, 7
	s_and_saveexec_b64 s[12:13], s[30:31]
	s_cbranch_execz .LBB116_5
; %bb.2:
	s_load_dword s1, s[2:3], 0xc
	v_mad_u64_u32 v[2:3], s[14:15], s64, v0, 0
	v_mov_b32_e32 v4, v3
	v_mad_u64_u32 v[4:5], s[14:15], s65, v0, v[4:5]
	s_waitcnt lgkmcnt(0)
	s_and_b32 s1, s1, 0xffff
	s_lshl_b64 s[14:15], s[10:11], 3
	v_mov_b32_e32 v3, v4
	s_add_u32 s14, s8, s14
	v_lshlrev_b64 v[2:3], 3, v[2:3]
	s_addc_u32 s15, s9, s15
	v_mov_b32_e32 v5, s15
	v_add_co_u32_e32 v4, vcc, s14, v2
	s_mul_i32 s14, s65, s1
	s_mul_hi_u32 s15, s64, s1
	s_add_i32 s15, s15, s14
	s_mul_i32 s14, s64, s1
	s_mov_b32 s7, 0
	s_lshl_b64 s[16:17], s[14:15], 3
	v_addc_co_u32_e32 v5, vcc, v5, v3, vcc
	s_mov_b64 s[14:15], 0
	v_pk_mov_b32 v[2:3], 0, 0
	v_mov_b32_e32 v8, s7
	v_mov_b32_e32 v9, s17
	v_pk_mov_b32 v[6:7], v[0:1], v[0:1] op_sel:[0,1]
.LBB116_3:                              ; =>This Inner Loop Header: Depth=1
	global_load_dwordx2 v[10:11], v[4:5], off
	v_add_co_u32_e32 v6, vcc, s1, v6
	v_addc_co_u32_e32 v7, vcc, v7, v8, vcc
	v_add_co_u32_e32 v4, vcc, s16, v4
	v_addc_co_u32_e32 v5, vcc, v5, v9, vcc
	v_cmp_le_u64_e32 vcc, s[52:53], v[6:7]
	s_or_b64 s[14:15], vcc, s[14:15]
	s_waitcnt vmcnt(0)
	v_cmp_u_f64_e32 vcc, v[10:11], v[10:11]
	v_cndmask_b32_e64 v10, 0, 1, vcc
	v_add_co_u32_e32 v2, vcc, v2, v10
	v_addc_co_u32_e32 v3, vcc, 0, v3, vcc
	s_andn2_b64 exec, exec, s[14:15]
	s_cbranch_execnz .LBB116_3
; %bb.4:
	s_or_b64 exec, exec, s[14:15]
.LBB116_5:
	s_or_b64 exec, exec, s[12:13]
	v_cmp_eq_u32_e64 s[14:15], 0, v0
	s_mov_b64 s[12:13], exec
	v_writelane_b32 v56, s14, 8
	v_writelane_b32 v56, s15, 9
	s_and_b64 s[14:15], s[12:13], s[14:15]
	s_mov_b64 exec, s[14:15]
	s_cbranch_execz .LBB116_7
; %bb.6:
	v_mov_b32_e32 v4, 0
	v_mov_b32_e32 v5, v4
	ds_write_b64 v4, v[4:5] offset:5136
.LBB116_7:
	s_or_b64 exec, exec, s[12:13]
	s_mov_b64 s[14:15], 0
	v_cmp_ne_u64_e32 vcc, 0, v[2:3]
	s_waitcnt lgkmcnt(0)
	s_barrier
	s_and_saveexec_b64 s[12:13], vcc
	s_cbranch_execz .LBB116_12
; %bb.8:
	s_mov_b64 s[16:17], exec
.LBB116_9:                              ; =>This Inner Loop Header: Depth=1
	s_ff1_i32_b64 s1, s[16:17]
	v_readlane_b32 s18, v2, s1
	v_readlane_b32 s7, v3, s1
	s_add_u32 s14, s14, s18
	s_addc_u32 s15, s15, s7
	s_lshl_b64 s[18:19], 1, s1
	s_andn2_b64 s[16:17], s[16:17], s[18:19]
	s_cmp_lg_u64 s[16:17], 0
	s_cbranch_scc1 .LBB116_9
; %bb.10:
	v_mbcnt_lo_u32_b32 v2, exec_lo, 0
	v_mbcnt_hi_u32_b32 v2, exec_hi, v2
	v_cmp_eq_u32_e32 vcc, 0, v2
	s_and_saveexec_b64 s[16:17], vcc
	s_xor_b64 s[16:17], exec, s[16:17]
	s_cbranch_execz .LBB116_12
; %bb.11:
	v_mov_b32_e32 v4, 0
	v_pk_mov_b32 v[2:3], s[14:15], s[14:15] op_sel:[0,1]
	ds_add_u64 v4, v[2:3] offset:5136
.LBB116_12:
	s_or_b64 exec, exec, s[12:13]
	v_mov_b32_e32 v3, 0
	s_waitcnt lgkmcnt(0)
	s_barrier
	ds_read_b64 v[4:5], v3 offset:5136
	s_waitcnt lgkmcnt(0)
	v_readfirstlane_b32 s12, v4
	v_readfirstlane_b32 s13, v5
	s_mov_b64 s[14:15], exec
	v_readlane_b32 s16, v56, 8
	v_readlane_b32 s17, v56, 9
	s_and_b64 s[16:17], s[14:15], s[16:17]
	s_mov_b64 exec, s[16:17]
	s_cbranch_execz .LBB116_14
; %bb.13:
	v_mov_b32_e32 v4, s52
	v_mov_b32_e32 v5, s53
	;; [unrolled: 1-line block ×3, first 2 shown]
	ds_write_b32 v3, v3 offset:5144
	ds_write_b128 v3, v[2:5] offset:5120
.LBB116_14:
	s_or_b64 exec, exec, s[14:15]
	s_load_dword s1, s[4:5], 0x4f8
	v_cmp_lt_i64_e64 s[4:5], s[12:13], 1
	s_waitcnt lgkmcnt(0)
	s_barrier
	s_bitcmp1_b32 s1, 0
	s_cselect_b64 s[14:15], -1, 0
	s_not_b64 s[12:13], s[12:13]
	s_or_b64 s[4:5], s[14:15], s[4:5]
	s_add_u32 s12, s12, s52
	s_addc_u32 s13, s13, s53
	s_lshr_b64 s[12:13], s[12:13], 1
	s_add_u32 s1, s12, 1
	s_addc_u32 s7, s13, 0
	s_and_b64 s[4:5], s[4:5], exec
	s_cselect_b32 s51, s7, s53
	s_cselect_b32 s50, s1, s52
	s_lshl_b64 s[4:5], s[10:11], 3
	s_add_u32 s76, s8, s4
	s_load_dword s1, s[2:3], 0xc
	s_addc_u32 s77, s9, s5
	v_cmp_gt_u32_e64 s[4:5], 2, v0
	v_mov_b32_e32 v4, 0x180
	v_mbcnt_lo_u32_b32 v2, -1, 0
	v_writelane_b32 v56, s4, 10
	v_mov_b32_e32 v5, 0
	v_mbcnt_hi_u32_b32 v38, -1, v2
	v_writelane_b32 v56, s5, 11
	v_cmp_gt_u64_e64 s[4:5], s[52:53], v[4:5]
	v_cmp_gt_u32_e32 vcc, 64, v0
	v_cmp_gt_i32_e64 s[8:9], 4, v38
	v_writelane_b32 v56, s4, 12
	s_and_b64 s[36:37], vcc, s[8:9]
	v_writelane_b32 v56, s5, 13
	s_waitcnt lgkmcnt(0)
	s_and_b32 s33, s1, 0xffff
	s_bfe_u32 s7, s1, 0xa0006
	v_cmp_gt_u16_e64 s[4:5], s1, 63
	v_writelane_b32 v56, s4, 14
	s_add_u32 s1, s33, -1
	v_writelane_b32 v56, s5, 15
	s_addc_u32 s4, 0, -1
	s_add_u32 s60, s1, s52
	s_addc_u32 s69, s4, s53
	s_cmp_lt_u32 s6, s0
	s_cselect_b32 s0, 12, 18
	s_add_u32 s48, s2, s0
	v_writelane_b32 v56, s1, 16
	s_addc_u32 s49, s3, 0
	s_add_i32 s0, s7, -1
	s_bfe_u32 s1, s33, 0x30006
	v_mad_u64_u32 v[4:5], s[8:9], v0, s64, 0
	s_cmp_gt_u32 s0, 6
	v_mov_b32_e32 v2, v5
	v_writelane_b32 v56, s4, 17
	s_cselect_b64 s[2:3], -1, 0
	v_mad_u64_u32 v[6:7], s[8:9], v0, s65, v[2:3]
	v_writelane_b32 v56, s2, 18
	s_and_b32 s80, s7, 0x3f8
	v_mov_b32_e32 v5, v6
	v_writelane_b32 v56, s3, 19
	s_cmp_lg_u32 s1, 0
	v_lshlrev_b64 v[6:7], 3, v[4:5]
	v_writelane_b32 v56, s1, 20
	s_cselect_b64 s[0:1], -1, 0
	v_mov_b32_e32 v2, s77
	v_add_co_u32_e32 v18, vcc, s76, v6
	v_writelane_b32 v56, s0, 21
	v_addc_co_u32_e32 v19, vcc, v2, v7, vcc
	v_lshlrev_b64 v[6:7], v38, -1
	v_writelane_b32 v56, s1, 22
	s_lshl_b64 s[0:1], s[64:65], 3
	v_lshlrev_b32_e32 v43, 5, v0
	v_lshrrev_b32_e32 v2, 4, v0
	v_not_b32_e32 v22, v6
	v_writelane_b32 v56, s0, 23
	v_or_b32_e32 v6, 24, v43
	v_and_b32_e32 v41, 60, v2
	v_lshlrev_b32_e32 v2, 2, v38
	v_writelane_b32 v56, s1, 24
	v_mad_u64_u32 v[24:25], s[0:1], s64, v6, 0
	v_and_b32_e32 v42, 0x100, v2
	v_mov_b32_e32 v2, v25
	v_not_b32_e32 v23, v7
	v_mad_u64_u32 v[6:7], s[0:1], s65, v6, v[2:3]
	s_lshl_b64 s[0:1], s[64:65], 5
	v_mov_b32_e32 v25, v6
	v_writelane_b32 v56, s0, 25
	v_or_b32_e32 v6, 16, v43
	v_writelane_b32 v56, s1, 26
	v_mad_u64_u32 v[26:27], s[0:1], s64, v6, 0
	v_mov_b32_e32 v2, v27
	v_mad_u64_u32 v[6:7], s[0:1], s65, v6, v[2:3]
	v_mov_b32_e32 v27, v6
	v_or_b32_e32 v6, 8, v43
	v_mad_u64_u32 v[28:29], s[0:1], s64, v6, 0
	v_mov_b32_e32 v2, v29
	v_mad_u64_u32 v[6:7], s[0:1], s65, v6, v[2:3]
	s_mul_i32 s0, s65, s33
	s_mul_hi_u32 s1, s64, s33
	s_add_i32 s1, s1, s0
	s_mul_i32 s0, s64, s33
	s_lshl_b64 s[66:67], s[0:1], 3
	s_mov_b32 s0, 0
	v_cmp_eq_u32_e64 s[46:47], 0, v38
	v_writelane_b32 v56, s0, 27
	v_writelane_b32 v56, s46, 28
	;; [unrolled: 1-line block ×4, first 2 shown]
	s_mov_b32 s71, 0
	v_lshlrev_b32_e32 v39, 3, v0
	v_mov_b32_e32 v2, 0xc00
	v_writelane_b32 v56, s37, 31
	v_add_u32_e32 v40, 0xc00, v39
	v_lshlrev_b32_e32 v20, 2, v0
	v_mov_b32_e32 v21, v3
	s_mov_b32 s72, s71
	v_mov_b32_e32 v29, v6
	v_lshlrev_b64 v[30:31], 5, v[4:5]
	v_lshl_or_b32 v44, v38, 3, v2
	s_lshl_b32 s81, s33, 3
	s_mov_b32 s79, 62
	s_mov_b64 s[90:91], 0
	v_pk_mov_b32 v[8:9], 0, 0
	v_mov_b32_e32 v5, 0x3ff00000
	v_mov_b32_e32 v45, 0x4f800000
	s_mov_b64 s[84:85], 0
	s_mov_b64 s[82:83], 0
	v_writelane_b32 v56, s48, 32
                                        ; implicit-def: $sgpr40_sgpr41
                                        ; implicit-def: $sgpr38_sgpr39
                                        ; implicit-def: $sgpr42_sgpr43
                                        ; implicit-def: $sgpr62_sgpr63
                                        ; implicit-def: $sgpr86_sgpr87
                                        ; implicit-def: $sgpr92_sgpr93
	v_writelane_b32 v56, s49, 33
	s_branch .LBB116_19
.LBB116_15:                             ;   in Loop: Header=BB116_19 Depth=1
	v_readlane_b32 s2, v56, 27
	s_xor_b32 s2, s2, 1
	s_add_i32 s8, s79, -2
	s_cmp_eq_u32 s79, 0
	v_writelane_b32 v56, s2, 27
	s_mov_b64 s[2:3], 0
	s_cselect_b64 s[6:7], -1, 0
	s_mov_b32 s79, s8
.LBB116_16:                             ;   in Loop: Header=BB116_19 Depth=1
	s_andn2_b64 s[8:9], s[24:25], exec
	s_and_b64 s[2:3], s[2:3], exec
	s_or_b64 s[24:25], s[8:9], s[2:3]
	s_andn2_b64 s[28:29], s[28:29], exec
	s_andn2_b64 s[22:23], s[22:23], exec
	s_orn2_b64 s[16:17], s[6:7], exec
.LBB116_17:                             ;   in Loop: Header=BB116_19 Depth=1
	s_or_b64 exec, exec, s[0:1]
	s_andn2_b64 s[0:1], s[92:93], exec
	s_and_b64 s[2:3], s[24:25], exec
	s_or_b64 s[92:93], s[0:1], s[2:3]
	s_andn2_b64 s[0:1], s[86:87], exec
	s_and_b64 s[2:3], s[28:29], exec
	s_or_b64 s[86:87], s[0:1], s[2:3]
	;; [unrolled: 3-line block ×3, first 2 shown]
	s_orn2_b64 s[22:23], s[16:17], exec
.LBB116_18:                             ;   in Loop: Header=BB116_19 Depth=1
	s_or_b64 exec, exec, s[14:15]
	s_and_b64 s[0:1], exec, s[22:23]
	s_or_b64 s[90:91], s[0:1], s[90:91]
	s_andn2_b64 s[0:1], s[42:43], exec
	s_and_b64 s[2:3], s[92:93], exec
	s_or_b64 s[42:43], s[0:1], s[2:3]
	s_andn2_b64 s[0:1], s[38:39], exec
	s_and_b64 s[2:3], s[86:87], exec
	;; [unrolled: 3-line block ×3, first 2 shown]
	s_waitcnt vmcnt(0)
	v_pk_mov_b32 v[6:7], s[84:85], s[84:85] op_sel:[0,1]
	s_or_b64 s[40:41], s[0:1], s[2:3]
	s_andn2_b64 exec, exec, s[90:91]
	s_cbranch_execz .LBB116_288
.LBB116_19:                             ; =>This Loop Header: Depth=1
                                        ;     Child Loop BB116_27 Depth 2
                                        ;     Child Loop BB116_42 Depth 2
	;; [unrolled: 1-line block ×16, first 2 shown]
	ds_read_b128 v[10:13], v3 offset:5120
	s_waitcnt lgkmcnt(0)
	v_readfirstlane_b32 s55, v11
	v_readfirstlane_b32 s54, v10
	s_cmp_lg_u64 s[54:55], 0
	s_cbranch_scc1 .LBB116_49
; %bb.20:                               ;   in Loop: Header=BB116_19 Depth=1
	v_readlane_b32 s0, v56, 12
	v_readlane_b32 s1, v56, 13
	s_and_b64 vcc, exec, s[0:1]
	s_cbranch_vccz .LBB116_35
; %bb.21:                               ;   in Loop: Header=BB116_19 Depth=1
	s_mov_b64 s[0:1], 0x181
	v_cmp_gt_u64_e32 vcc, s[0:1], v[12:13]
	s_mov_b64 s[54:55], 0
	s_mov_b64 s[0:1], 0
	s_cbranch_vccz .LBB116_36
; %bb.22:                               ;   in Loop: Header=BB116_19 Depth=1
	v_pk_mov_b32 v[6:7], 0, 0
	s_and_saveexec_b64 s[0:1], s[30:31]
	s_cbranch_execz .LBB116_24
; %bb.23:                               ;   in Loop: Header=BB116_19 Depth=1
	global_load_dwordx2 v[6:7], v[18:19], off
.LBB116_24:                             ;   in Loop: Header=BB116_19 Depth=1
	s_or_b64 exec, exec, s[0:1]
	s_and_saveexec_b64 s[0:1], s[30:31]
	s_cbranch_execz .LBB116_152
; %bb.25:                               ;   in Loop: Header=BB116_19 Depth=1
	global_load_ushort v2, v3, s[48:49]
	v_readlane_b32 s4, v56, 23
	v_pk_mov_b32 v[10:11], s[76:77], s[76:77] op_sel:[0,1]
	v_readlane_b32 s5, v56, 24
	s_mov_b64 s[2:3], 0
	s_waitcnt vmcnt(0)
	v_readfirstlane_b32 s6, v2
	s_and_b32 s6, 0xffff, s6
	v_add_u32_e32 v12, s6, v0
	s_mul_i32 s8, s5, s6
	s_mul_hi_u32 s9, s4, s6
	s_mul_i32 s16, s4, s6
	v_mad_u64_u32 v[10:11], s[6:7], s4, v12, v[10:11]
	v_mov_b32_e32 v4, v11
	v_mad_u64_u32 v[12:13], s[6:7], s5, v12, v[4:5]
	s_add_i32 s17, s9, s8
	v_mov_b32_e32 v11, v12
	v_pk_mov_b32 v[12:13], v[0:1], v[0:1] op_sel:[0,1]
	s_branch .LBB116_27
.LBB116_26:                             ;   in Loop: Header=BB116_27 Depth=2
	s_or_b64 exec, exec, s[6:7]
	s_waitcnt lgkmcnt(0)
	v_mov_b32_e32 v4, s17
	v_add_co_u32_e32 v10, vcc, s16, v10
	v_addc_co_u32_e32 v11, vcc, v11, v4, vcc
	s_waitcnt vmcnt(0)
	v_pk_mov_b32 v[6:7], v[14:15], v[14:15] op_sel:[0,1]
	s_andn2_b64 exec, exec, s[2:3]
	s_cbranch_execz .LBB116_152
.LBB116_27:                             ;   Parent Loop BB116_19 Depth=1
                                        ; =>  This Inner Loop Header: Depth=2
	v_add_co_u32_sdwa v12, vcc, v12, v2 dst_sel:DWORD dst_unused:UNUSED_PAD src0_sel:DWORD src1_sel:WORD_0
	v_addc_co_u32_e32 v13, vcc, 0, v13, vcc
	v_cmp_gt_u64_e64 s[6:7], s[52:53], v[12:13]
	v_cmp_le_u64_e32 vcc, s[52:53], v[12:13]
	v_pk_mov_b32 v[14:15], 0, 0
	s_and_saveexec_b64 s[8:9], s[6:7]
	s_cbranch_execz .LBB116_29
; %bb.28:                               ;   in Loop: Header=BB116_27 Depth=2
	global_load_dwordx2 v[14:15], v[10:11], off
.LBB116_29:                             ;   in Loop: Header=BB116_27 Depth=2
	s_or_b64 exec, exec, s[8:9]
	v_ashrrev_i32_e32 v4, 31, v7
	v_or_b32_e32 v16, 0x80000000, v4
	v_xor_b32_e32 v16, v16, v7
	v_xor_b32_e32 v4, v4, v6
	v_cmp_o_f64_e64 s[6:7], v[6:7], v[6:7]
	v_cndmask_b32_e64 v16, -1, v16, s[6:7]
	v_cndmask_b32_e64 v4, -1, v4, s[6:7]
	v_and_b32_e32 v17, s83, v16
	v_and_b32_e32 v16, s82, v4
	v_cmp_eq_u64_e64 s[10:11], s[84:85], v[16:17]
	s_cmp_lg_u64 s[10:11], 0
	s_cselect_b64 s[6:7], -1, 0
	s_and_b64 s[6:7], s[46:47], s[6:7]
	v_mov_b32_e32 v4, 0
	s_and_saveexec_b64 s[8:9], s[6:7]
	s_cbranch_execz .LBB116_33
; %bb.30:                               ;   in Loop: Header=BB116_27 Depth=2
	s_mov_b64 s[14:15], exec
	v_mbcnt_lo_u32_b32 v4, s14, 0
	v_mbcnt_hi_u32_b32 v4, s15, v4
	s_bcnt1_i32_b64 s18, s[10:11]
	v_cmp_eq_u32_e64 s[6:7], 0, v4
                                        ; implicit-def: $vgpr16
	s_and_saveexec_b64 s[12:13], s[6:7]
	s_cbranch_execz .LBB116_32
; %bb.31:                               ;   in Loop: Header=BB116_27 Depth=2
	s_bcnt1_i32_b64 s6, s[14:15]
	s_mul_i32 s6, s18, s6
	v_mov_b32_e32 v16, s6
	ds_add_rtn_u32 v16, v3, v16 offset:5144
.LBB116_32:                             ;   in Loop: Header=BB116_27 Depth=2
	s_or_b64 exec, exec, s[12:13]
	s_waitcnt lgkmcnt(0)
	v_readfirstlane_b32 s6, v16
	v_mov_b32_e32 v16, s6
	v_mad_u32_u24 v4, s18, v4, v16
.LBB116_33:                             ;   in Loop: Header=BB116_27 Depth=2
	s_or_b64 exec, exec, s[8:9]
	ds_bpermute_b32 v4, v42, v4
	s_and_b64 s[6:7], exec, vcc
	s_or_b64 s[2:3], s[6:7], s[2:3]
	s_and_saveexec_b64 s[6:7], s[10:11]
	s_cbranch_execz .LBB116_26
; %bb.34:                               ;   in Loop: Header=BB116_27 Depth=2
	v_and_b32_e32 v17, s10, v22
	v_and_b32_e32 v16, s11, v23
	v_bcnt_u32_b32 v17, v17, 0
	v_bcnt_u32_b32 v16, v16, v17
	v_lshlrev_b32_e32 v16, 3, v16
	s_waitcnt lgkmcnt(0)
	v_lshl_add_u32 v4, v4, 3, v16
	ds_write_b64 v4, v[6:7]
	s_branch .LBB116_26
.LBB116_35:                             ;   in Loop: Header=BB116_19 Depth=1
	s_mov_b64 s[54:55], -1
	s_mov_b64 s[0:1], 0
.LBB116_36:                             ;   in Loop: Header=BB116_19 Depth=1
	s_and_b64 vcc, exec, s[54:55]
	s_cbranch_vccz .LBB116_47
.LBB116_37:                             ;   in Loop: Header=BB116_19 Depth=1
	s_waitcnt vmcnt(0)
	v_pk_mov_b32 v[6:7], 0, 0
	s_and_saveexec_b64 s[0:1], s[30:31]
	s_cbranch_execz .LBB116_39
; %bb.38:                               ;   in Loop: Header=BB116_19 Depth=1
	global_load_dwordx2 v[6:7], v[18:19], off
.LBB116_39:                             ;   in Loop: Header=BB116_19 Depth=1
	s_or_b64 exec, exec, s[0:1]
	s_and_saveexec_b64 s[0:1], s[30:31]
	s_cbranch_execz .LBB116_44
; %bb.40:                               ;   in Loop: Header=BB116_19 Depth=1
	global_load_ushort v2, v3, s[48:49]
	v_readlane_b32 s4, v56, 23
	v_pk_mov_b32 v[10:11], s[76:77], s[76:77] op_sel:[0,1]
	v_readlane_b32 s5, v56, 24
	s_mov_b64 s[2:3], 0
	v_mov_b32_e32 v4, v39
	s_waitcnt vmcnt(0)
	v_readfirstlane_b32 s6, v2
	s_and_b32 s6, 0xffff, s6
	v_add_u32_e32 v13, s6, v0
	s_lshl_b32 s10, s6, 3
	s_mul_i32 s8, s5, s6
	s_mul_hi_u32 s9, s4, s6
	s_mul_i32 s11, s4, s6
	v_mad_u64_u32 v[10:11], s[6:7], s4, v13, v[10:11]
	v_mov_b32_e32 v12, v11
	v_mad_u64_u32 v[12:13], s[6:7], s5, v13, v[12:13]
	s_add_i32 s12, s9, s8
	v_mov_b32_e32 v11, v12
	v_pk_mov_b32 v[12:13], v[0:1], v[0:1] op_sel:[0,1]
	s_branch .LBB116_42
.LBB116_41:                             ;   in Loop: Header=BB116_42 Depth=2
	s_or_b64 exec, exec, s[8:9]
	s_and_b64 s[6:7], exec, vcc
	ds_write_b64 v4, v[6:7]
	v_mov_b32_e32 v6, s12
	v_add_co_u32_e32 v10, vcc, s11, v10
	s_or_b64 s[2:3], s[6:7], s[2:3]
	v_add_u32_e32 v4, s10, v4
	v_addc_co_u32_e32 v11, vcc, v11, v6, vcc
	s_waitcnt vmcnt(0)
	v_pk_mov_b32 v[6:7], v[14:15], v[14:15] op_sel:[0,1]
	s_andn2_b64 exec, exec, s[2:3]
	s_cbranch_execz .LBB116_44
.LBB116_42:                             ;   Parent Loop BB116_19 Depth=1
                                        ; =>  This Inner Loop Header: Depth=2
	v_add_co_u32_sdwa v12, vcc, v12, v2 dst_sel:DWORD dst_unused:UNUSED_PAD src0_sel:DWORD src1_sel:WORD_0
	v_addc_co_u32_e32 v13, vcc, 0, v13, vcc
	v_cmp_gt_u64_e64 s[6:7], s[52:53], v[12:13]
	v_cmp_le_u64_e32 vcc, s[52:53], v[12:13]
	v_pk_mov_b32 v[14:15], 0, 0
	s_and_saveexec_b64 s[8:9], s[6:7]
	s_cbranch_execz .LBB116_41
; %bb.43:                               ;   in Loop: Header=BB116_42 Depth=2
	global_load_dwordx2 v[14:15], v[10:11], off
	s_branch .LBB116_41
.LBB116_44:                             ;   in Loop: Header=BB116_19 Depth=1
	s_or_b64 exec, exec, s[0:1]
	s_waitcnt lgkmcnt(0)
	s_barrier
	s_mov_b64 s[0:1], exec
	v_readlane_b32 s2, v56, 8
	v_readlane_b32 s3, v56, 9
	s_and_b64 s[2:3], s[0:1], s[2:3]
	s_mov_b64 exec, s[2:3]
	s_cbranch_execz .LBB116_46
; %bb.45:                               ;   in Loop: Header=BB116_19 Depth=1
	s_waitcnt vmcnt(0)
	v_pk_mov_b32 v[6:7], s[52:53], s[52:53] op_sel:[0,1]
	ds_write_b64 v3, v[6:7] offset:5120
.LBB116_46:                             ;   in Loop: Header=BB116_19 Depth=1
	s_or_b64 exec, exec, s[0:1]
	s_mov_b64 s[0:1], -1
	s_waitcnt lgkmcnt(0)
	s_barrier
                                        ; implicit-def: $sgpr54_sgpr55
.LBB116_47:                             ;   in Loop: Header=BB116_19 Depth=1
	s_and_b64 vcc, exec, s[0:1]
	s_cbranch_vccz .LBB116_49
; %bb.48:                               ;   in Loop: Header=BB116_19 Depth=1
	s_waitcnt vmcnt(0)
	ds_read_b64 v[6:7], v3 offset:5120
	s_waitcnt lgkmcnt(0)
	v_readfirstlane_b32 s54, v6
.LBB116_49:                             ;   in Loop: Header=BB116_19 Depth=1
	s_cmp_lt_i32 s54, 1
	s_cbranch_scc0 .LBB116_64
; %bb.50:                               ;   in Loop: Header=BB116_19 Depth=1
	global_load_ushort v2, v3, s[48:49]
	s_mov_b32 s0, s71
	s_waitcnt vmcnt(0)
	v_readfirstlane_b32 s1, v2
	s_and_b32 s55, s1, 0xffff
	s_lshl_b32 s70, s55, 2
	s_mov_b32 s1, s53
	s_cmp_lg_u64 s[0:1], 0
	s_cbranch_scc0 .LBB116_84
; %bb.51:                               ;   in Loop: Header=BB116_19 Depth=1
	v_cvt_f32_u32_e32 v2, s70
	s_sub_u32 s0, 0, s70
	s_subb_u32 s1, 0, 0
	v_mac_f32_e32 v2, 0, v45
	v_rcp_f32_e32 v2, v2
	v_mul_f32_e32 v2, 0x5f7ffffc, v2
	v_mul_f32_e32 v4, 0x2f800000, v2
	v_trunc_f32_e32 v4, v4
	v_mac_f32_e32 v2, 0xcf800000, v4
	v_cvt_u32_f32_e32 v4, v4
	v_cvt_u32_f32_e32 v2, v2
	v_readfirstlane_b32 s2, v4
	v_readfirstlane_b32 s3, v2
	s_mul_i32 s6, s0, s2
	s_mul_hi_u32 s8, s0, s3
	s_mul_i32 s7, s1, s3
	s_add_i32 s6, s8, s6
	s_mul_i32 s9, s0, s3
	s_add_i32 s6, s6, s7
	s_mul_hi_u32 s8, s3, s9
	s_mul_hi_u32 s7, s3, s6
	s_mul_i32 s3, s3, s6
	s_add_u32 s3, s8, s3
	s_addc_u32 s7, 0, s7
	s_mul_hi_u32 s10, s2, s9
	s_mul_i32 s9, s2, s9
	s_add_u32 s3, s3, s9
	s_mul_hi_u32 s8, s2, s6
	s_addc_u32 s3, s7, s10
	s_addc_u32 s7, s8, 0
	s_mul_i32 s6, s2, s6
	s_add_u32 s3, s3, s6
	s_addc_u32 s6, 0, s7
	v_add_co_u32_e32 v2, vcc, s3, v2
	s_cmp_lg_u64 vcc, 0
	s_addc_u32 s2, s2, s6
	v_readfirstlane_b32 s6, v2
	s_mul_i32 s3, s0, s2
	s_mul_hi_u32 s7, s0, s6
	s_add_i32 s3, s7, s3
	s_mul_i32 s1, s1, s6
	s_add_i32 s3, s3, s1
	s_mul_i32 s0, s0, s6
	s_mul_hi_u32 s7, s2, s0
	s_mul_i32 s8, s2, s0
	s_mul_i32 s10, s6, s3
	s_mul_hi_u32 s0, s6, s0
	s_mul_hi_u32 s9, s6, s3
	s_add_u32 s0, s0, s10
	s_addc_u32 s6, 0, s9
	s_add_u32 s0, s0, s8
	s_mul_hi_u32 s1, s2, s3
	s_addc_u32 s0, s6, s7
	s_addc_u32 s1, s1, 0
	s_mul_i32 s3, s2, s3
	s_add_u32 s0, s0, s3
	s_addc_u32 s1, 0, s1
	v_add_co_u32_e32 v2, vcc, s0, v2
	s_cmp_lg_u64 vcc, 0
	s_addc_u32 s0, s2, s1
	v_readfirstlane_b32 s3, v2
	s_mul_i32 s2, s52, s0
	s_mul_hi_u32 s6, s52, s3
	s_mul_hi_u32 s1, s52, s0
	s_add_u32 s2, s6, s2
	s_addc_u32 s1, 0, s1
	s_mul_hi_u32 s7, s53, s3
	s_mul_i32 s3, s53, s3
	s_add_u32 s2, s2, s3
	s_mul_hi_u32 s6, s53, s0
	s_addc_u32 s1, s1, s7
	s_addc_u32 s2, s6, 0
	s_mul_i32 s0, s53, s0
	s_add_u32 s0, s1, s0
	s_addc_u32 s1, 0, s2
	s_mul_hi_u32 s2, s70, s0
	s_mul_i32 s0, s70, s0
	s_mul_i32 s1, s70, s1
	v_mov_b32_e32 v2, s0
	s_add_i32 s2, s2, s1
	v_sub_co_u32_e32 v2, vcc, s52, v2
	s_cmp_lg_u64 vcc, 0
	s_subb_u32 s0, s53, s2
	v_subrev_co_u32_e32 v4, vcc, s70, v2
	s_cmp_lg_u64 vcc, 0
	s_subb_u32 s1, s0, 0
	v_subrev_co_u32_e32 v6, vcc, s70, v4
	s_cmp_lg_u64 vcc, 0
	s_subb_u32 s2, s1, 0
	v_cmp_le_u32_e32 vcc, s70, v4
	s_cmp_eq_u32 s1, 0
	v_cndmask_b32_e64 v7, 0, -1, vcc
	s_cselect_b64 vcc, -1, 0
	v_cndmask_b32_e32 v7, -1, v7, vcc
	v_mov_b32_e32 v10, s1
	v_mov_b32_e32 v11, s2
	v_cmp_ne_u32_e32 vcc, 0, v7
	v_cndmask_b32_e32 v7, v10, v11, vcc
	v_cndmask_b32_e32 v4, v4, v6, vcc
	v_cmp_le_u32_e32 vcc, s70, v2
	s_cmp_eq_u32 s0, 0
	v_cndmask_b32_e64 v6, 0, -1, vcc
	s_cselect_b64 vcc, -1, 0
	v_cndmask_b32_e32 v6, -1, v6, vcc
	v_mov_b32_e32 v10, s0
	v_cmp_ne_u32_e32 vcc, 0, v6
	v_cndmask_b32_e32 v7, v10, v7, vcc
	v_cndmask_b32_e32 v6, v2, v4, vcc
	s_cbranch_execnz .LBB116_53
.LBB116_52:                             ;   in Loop: Header=BB116_19 Depth=1
	v_cvt_f32_u32_e32 v2, s70
	s_sub_i32 s0, 0, s70
	v_rcp_iflag_f32_e32 v2, v2
	v_mul_f32_e32 v2, 0x4f7ffffe, v2
	v_cvt_u32_f32_e32 v2, v2
	v_mul_lo_u32 v4, s0, v2
	v_mul_hi_u32 v4, v2, v4
	v_add_u32_e32 v2, v2, v4
	v_mul_hi_u32 v2, s52, v2
	v_mul_lo_u32 v2, v2, s70
	v_sub_u32_e32 v2, s52, v2
	v_subrev_u32_e32 v4, s70, v2
	v_cmp_le_u32_e32 vcc, s70, v2
	v_cndmask_b32_e32 v2, v2, v4, vcc
	v_subrev_u32_e32 v4, s70, v2
	v_cmp_le_u32_e32 vcc, s70, v2
	v_cndmask_b32_e32 v2, v2, v4, vcc
	v_pk_mov_b32 v[6:7], v[2:3], v[2:3] op_sel:[0,1]
.LBB116_53:                             ;   in Loop: Header=BB116_19 Depth=1
	v_mov_b32_e32 v2, s53
	v_sub_co_u32_e32 v6, vcc, s52, v6
	v_subb_co_u32_e32 v7, vcc, v2, v7, vcc
	v_pk_mov_b32 v[10:11], 0, 0
	v_cmp_gt_u64_e32 vcc, v[6:7], v[20:21]
	s_mov_b64 s[2:3], 0
	v_pk_mov_b32 v[12:13], v[10:11], v[10:11] op_sel:[0,1]
	v_pk_mov_b32 v[14:15], v[10:11], v[10:11] op_sel:[0,1]
	;; [unrolled: 1-line block ×3, first 2 shown]
	s_and_saveexec_b64 s[8:9], vcc
	s_cbranch_execz .LBB116_57
; %bb.54:                               ;   in Loop: Header=BB116_19 Depth=1
	v_writelane_b32 v56, s92, 34
	v_writelane_b32 v56, s93, 35
	;; [unrolled: 1-line block ×4, first 2 shown]
	v_readlane_b32 s6, v56, 25
	v_readlane_b32 s7, v56, 26
	s_mul_i32 s0, s7, s55
	s_mul_hi_u32 s1, s6, s55
	s_mov_b64 s[58:59], s[42:43]
	s_mov_b64 s[56:57], s[40:41]
	s_mov_b64 s[94:95], s[86:87]
	s_mov_b64 s[92:93], s[62:63]
	s_mov_b32 s63, s69
	s_mov_b32 s5, s60
	s_mov_b64 s[60:61], s[50:51]
	s_mov_b64 s[74:75], s[30:31]
	s_mov_b32 s4, s78
	s_mov_b32 s62, s79
	s_and_b32 s78, s79, 0xfe
	s_add_i32 s73, s1, s0
	s_mul_i32 s79, s6, s55
	s_mov_b64 s[68:69], s[76:77]
	s_mov_b64 s[0:1], 0
	;; [unrolled: 1-line block ×5, first 2 shown]
	v_pk_mov_b32 v[32:33], v[20:21], v[20:21] op_sel:[0,1]
.LBB116_55:                             ;   Parent Loop BB116_19 Depth=1
                                        ; =>  This Inner Loop Header: Depth=2
	v_add_co_u32_e64 v32, s[6:7], s70, v32
	v_addc_co_u32_e64 v33, s[6:7], 0, v33, s[6:7]
	v_mov_b32_e32 v2, s69
	v_add_co_u32_e32 v16, vcc, s68, v28
	v_add_co_u32_e64 v34, s[10:11], s68, v26
	v_add_co_u32_e64 v36, s[12:13], s68, v24
	;; [unrolled: 1-line block ×3, first 2 shown]
	v_addc_co_u32_e64 v47, s[6:7], v2, v31, s[6:7]
	v_addc_co_u32_e32 v17, vcc, v2, v29, vcc
	v_addc_co_u32_e64 v35, vcc, v2, v27, s[10:11]
	v_addc_co_u32_e64 v37, vcc, v2, v25, s[12:13]
	global_load_dwordx2 v[46:47], v[46:47], off
	s_nop 0
	global_load_dwordx2 v[16:17], v[16:17], off
	s_nop 0
	;; [unrolled: 2-line block ×3, first 2 shown]
	global_load_dwordx2 v[36:37], v[36:37], off
	v_mov_b32_e32 v11, v3
	v_mov_b32_e32 v13, v3
	;; [unrolled: 1-line block ×3, first 2 shown]
	v_cmp_ge_u64_e32 vcc, v[32:33], v[6:7]
	s_waitcnt vmcnt(3)
	v_ashrrev_i32_e32 v2, 31, v47
	s_waitcnt vmcnt(2)
	v_ashrrev_i32_e32 v4, 31, v17
	v_xor_b32_e32 v14, v4, v16
	v_cmp_o_f64_e64 s[6:7], v[16:17], v[16:17]
	v_or_b32_e32 v16, 0x80000000, v2
	s_waitcnt vmcnt(1)
	v_ashrrev_i32_e32 v10, 31, v35
	s_waitcnt vmcnt(0)
	v_ashrrev_i32_e32 v12, 31, v37
	v_xor_b32_e32 v2, v2, v46
	v_or_b32_e32 v4, 0x80000000, v4
	v_cmp_o_f64_e64 s[14:15], v[46:47], v[46:47]
	v_xor_b32_e32 v47, v16, v47
	v_xor_b32_e32 v48, v10, v34
	v_cmp_o_f64_e64 s[10:11], v[34:35], v[34:35]
	v_xor_b32_e32 v49, v12, v36
	v_cmp_o_f64_e64 s[12:13], v[36:37], v[36:37]
	v_or_b32_e32 v10, 0x80000000, v10
	v_xor_b32_e32 v4, v4, v17
	v_cndmask_b32_e64 v16, -1, v2, s[14:15]
	v_cndmask_b32_e64 v17, -1, v47, s[14:15]
	v_or_b32_e32 v12, 0x80000000, v12
	v_xor_b32_e32 v10, v10, v35
	v_cndmask_b32_e64 v34, -1, v14, s[6:7]
	v_cndmask_b32_e64 v36, -1, v48, s[10:11]
	;; [unrolled: 1-line block ×4, first 2 shown]
	v_and_b32_e32 v48, s82, v16
	v_and_b32_e32 v49, s83, v17
	v_lshrrev_b64 v[16:17], s78, v[16:17]
	v_xor_b32_e32 v12, v12, v37
	v_cndmask_b32_e64 v37, -1, v10, s[10:11]
	v_and_b32_e32 v50, s82, v34
	v_and_b32_e32 v51, s83, v35
	v_lshrrev_b64 v[34:35], s78, v[34:35]
	v_and_b32_e32 v2, 3, v16
	v_cndmask_b32_e64 v47, -1, v12, s[12:13]
	v_and_b32_e32 v52, s82, v36
	v_and_b32_e32 v53, s83, v37
	v_lshrrev_b64 v[36:37], s78, v[36:37]
	v_cmp_eq_u64_e64 s[16:17], s[84:85], v[48:49]
	v_and_b32_e32 v10, 3, v34
	v_cmp_eq_u64_e64 s[6:7], 0, v[2:3]
	v_and_b32_e32 v54, s82, v46
	v_and_b32_e32 v55, s83, v47
	v_lshrrev_b64 v[46:47], s78, v[46:47]
	v_cmp_eq_u64_e64 s[14:15], s[84:85], v[50:51]
	v_and_b32_e32 v12, 3, v36
	v_cmp_eq_u64_e64 s[28:29], 0, v[10:11]
	s_and_b64 s[6:7], s[16:17], s[6:7]
	v_cmp_eq_u64_e64 s[12:13], s[84:85], v[52:53]
	v_and_b32_e32 v14, 3, v46
	v_cmp_eq_u64_e64 s[30:31], 0, v[12:13]
	v_cmp_eq_u64_e64 s[36:37], 1, v[2:3]
	;; [unrolled: 1-line block ×4, first 2 shown]
	v_cndmask_b32_e64 v2, 0, 1, s[6:7]
	s_and_b64 s[6:7], s[14:15], s[28:29]
	v_cmp_eq_u64_e64 s[10:11], s[84:85], v[54:55]
	v_cmp_eq_u64_e64 s[34:35], 0, v[14:15]
	v_cndmask_b32_e64 v4, 0, 1, s[6:7]
	s_and_b64 s[6:7], s[12:13], s[30:31]
	v_cmp_eq_u64_e64 s[38:39], 1, v[10:11]
	v_cmp_eq_u64_e64 s[46:47], 2, v[10:11]
	;; [unrolled: 1-line block ×3, first 2 shown]
	v_cndmask_b32_e64 v10, 0, 1, s[6:7]
	s_and_b64 s[6:7], s[10:11], s[34:35]
	v_cndmask_b32_e64 v11, 0, 1, s[6:7]
	v_cmp_ne_u32_e64 s[6:7], 0, v2
	v_cmp_ne_u32_e64 s[28:29], 0, v4
	;; [unrolled: 1-line block ×4, first 2 shown]
	s_bcnt1_i32_b64 s6, s[6:7]
	s_bcnt1_i32_b64 s7, s[28:29]
	;; [unrolled: 1-line block ×4, first 2 shown]
	s_add_u32 s6, s6, s88
	s_addc_u32 s30, 0, s89
	s_add_u32 s6, s6, s7
	s_addc_u32 s7, s30, 0
	;; [unrolled: 2-line block ×4, first 2 shown]
	s_and_b64 s[6:7], s[16:17], s[36:37]
	v_cmp_eq_u64_e64 s[40:41], 1, v[12:13]
	v_cndmask_b32_e64 v2, 0, 1, s[6:7]
	s_and_b64 s[6:7], s[14:15], s[38:39]
	v_cmp_eq_u64_e64 s[42:43], 1, v[14:15]
	v_cndmask_b32_e64 v4, 0, 1, s[6:7]
	s_and_b64 s[6:7], s[12:13], s[40:41]
	v_cmp_eq_u64_e64 s[48:49], 2, v[12:13]
	v_cmp_eq_u64_e64 s[20:21], 3, v[12:13]
	v_cndmask_b32_e64 v12, 0, 1, s[6:7]
	s_and_b64 s[6:7], s[10:11], s[42:43]
	v_cndmask_b32_e64 v13, 0, 1, s[6:7]
	v_cmp_ne_u32_e64 s[6:7], 0, v2
	v_cmp_ne_u32_e64 s[28:29], 0, v4
	;; [unrolled: 1-line block ×4, first 2 shown]
	s_bcnt1_i32_b64 s6, s[6:7]
	s_bcnt1_i32_b64 s7, s[28:29]
	;; [unrolled: 1-line block ×4, first 2 shown]
	s_add_u32 s6, s6, s86
	s_addc_u32 s30, 0, s87
	s_add_u32 s6, s6, s7
	s_addc_u32 s7, s30, 0
	s_add_u32 s6, s6, s28
	s_addc_u32 s7, s7, 0
	s_add_u32 s86, s6, s29
	s_addc_u32 s87, s7, 0
	s_and_b64 s[6:7], s[16:17], s[44:45]
	v_cndmask_b32_e64 v2, 0, 1, s[6:7]
	s_and_b64 s[6:7], s[14:15], s[46:47]
	v_cmp_eq_u64_e64 s[50:51], 2, v[14:15]
	v_cndmask_b32_e64 v4, 0, 1, s[6:7]
	s_and_b64 s[6:7], s[12:13], s[48:49]
	v_cmp_eq_u64_e64 s[18:19], 3, v[14:15]
	v_cndmask_b32_e64 v14, 0, 1, s[6:7]
	s_and_b64 s[6:7], s[10:11], s[50:51]
	v_cndmask_b32_e64 v15, 0, 1, s[6:7]
	v_cmp_ne_u32_e64 s[6:7], 0, v2
	v_cmp_ne_u32_e64 s[28:29], 0, v4
	;; [unrolled: 1-line block ×4, first 2 shown]
	s_bcnt1_i32_b64 s6, s[6:7]
	s_bcnt1_i32_b64 s7, s[28:29]
	;; [unrolled: 1-line block ×4, first 2 shown]
	s_add_u32 s6, s6, s26
	s_addc_u32 s26, 0, s27
	s_add_u32 s6, s6, s7
	s_addc_u32 s7, s26, 0
	;; [unrolled: 2-line block ×4, first 2 shown]
	s_and_b64 s[6:7], s[16:17], s[24:25]
	v_cndmask_b32_e64 v2, 0, 1, s[6:7]
	s_and_b64 s[6:7], s[14:15], s[22:23]
	v_cndmask_b32_e64 v4, 0, 1, s[6:7]
	;; [unrolled: 2-line block ×4, first 2 shown]
	v_cmp_ne_u32_e64 s[6:7], 0, v2
	v_cmp_ne_u32_e64 s[10:11], 0, v4
	;; [unrolled: 1-line block ×4, first 2 shown]
	s_bcnt1_i32_b64 s6, s[6:7]
	s_bcnt1_i32_b64 s7, s[10:11]
	;; [unrolled: 1-line block ×4, first 2 shown]
	s_add_u32 s0, s6, s0
	s_addc_u32 s1, 0, s1
	s_add_u32 s0, s0, s7
	s_addc_u32 s1, s1, 0
	;; [unrolled: 2-line block ×5, first 2 shown]
	v_pk_mov_b32 v[10:11], s[88:89], s[88:89] op_sel:[0,1]
	v_pk_mov_b32 v[12:13], s[86:87], s[86:87] op_sel:[0,1]
	;; [unrolled: 1-line block ×3, first 2 shown]
	s_or_b64 s[2:3], vcc, s[2:3]
	v_pk_mov_b32 v[16:17], s[0:1], s[0:1] op_sel:[0,1]
	s_andn2_b64 exec, exec, s[2:3]
	s_cbranch_execnz .LBB116_55
; %bb.56:                               ;   in Loop: Header=BB116_19 Depth=1
	s_or_b64 exec, exec, s[2:3]
	v_readlane_b32 s46, v56, 28
	v_readlane_b32 s36, v56, 30
	s_mov_b32 s69, s63
	v_readlane_b32 s48, v56, 32
	s_mov_b32 s79, s62
	s_mov_b64 s[62:63], s[92:93]
	v_readlane_b32 s38, v56, 36
	v_readlane_b32 s92, v56, 34
	s_mov_b32 s78, s4
	s_mov_b64 s[30:31], s[74:75]
	v_readlane_b32 s47, v56, 29
	v_readlane_b32 s37, v56, 31
	s_mov_b64 s[50:51], s[60:61]
	s_mov_b32 s60, s5
	v_readlane_b32 s49, v56, 33
	s_mov_b64 s[86:87], s[94:95]
	s_mov_b64 s[40:41], s[56:57]
	;; [unrolled: 1-line block ×3, first 2 shown]
	v_readlane_b32 s39, v56, 37
	v_readlane_b32 s93, v56, 35
.LBB116_57:                             ;   in Loop: Header=BB116_19 Depth=1
	s_or_b64 exec, exec, s[8:9]
	v_add_co_u32_e32 v6, vcc, v6, v0
	v_addc_co_u32_e32 v7, vcc, 0, v7, vcc
	v_cmp_gt_u64_e32 vcc, s[52:53], v[6:7]
	v_pk_mov_b32 v[32:33], 0, 0
	s_and_saveexec_b64 s[0:1], vcc
	s_cbranch_execz .LBB116_59
; %bb.58:                               ;   in Loop: Header=BB116_19 Depth=1
	v_mul_lo_u32 v2, v7, s64
	v_mul_lo_u32 v4, v6, s65
	v_mad_u64_u32 v[32:33], s[2:3], v6, s64, 0
	v_add3_u32 v33, v33, v4, v2
	v_lshlrev_b64 v[32:33], 3, v[32:33]
	v_mov_b32_e32 v2, s77
	v_add_co_u32_e64 v32, s[6:7], s76, v32
	v_addc_co_u32_e64 v33, s[6:7], v2, v33, s[6:7]
	global_load_dwordx2 v[32:33], v[32:33], off
.LBB116_59:                             ;   in Loop: Header=BB116_19 Depth=1
	s_or_b64 exec, exec, s[0:1]
	s_and_saveexec_b64 s[0:1], vcc
	s_cbranch_execz .LBB116_66
; %bb.60:                               ;   in Loop: Header=BB116_19 Depth=1
	s_and_b32 s10, s79, 0xfe
	s_mov_b64 s[2:3], 0
	s_branch .LBB116_62
.LBB116_61:                             ;   in Loop: Header=BB116_62 Depth=2
	s_or_b64 exec, exec, s[8:9]
	s_waitcnt vmcnt(0)
	v_ashrrev_i32_e32 v2, 31, v33
	v_or_b32_e32 v4, 0x80000000, v2
	s_and_b64 s[6:7], exec, vcc
	v_xor_b32_e32 v4, v4, v33
	v_xor_b32_e32 v2, v2, v32
	v_cmp_o_f64_e32 vcc, v[32:33], v[32:33]
	v_cndmask_b32_e32 v33, -1, v4, vcc
	v_cndmask_b32_e32 v32, -1, v2, vcc
	v_and_b32_e32 v37, s83, v33
	v_and_b32_e32 v36, s82, v32
	v_lshrrev_b64 v[32:33], s10, v[32:33]
	v_and_b32_e32 v2, 3, v32
	s_or_b64 s[2:3], s[6:7], s[2:3]
	v_cmp_eq_u64_e32 vcc, s[84:85], v[36:37]
	v_cmp_eq_u64_e64 s[6:7], 0, v[2:3]
	s_and_b64 s[6:7], vcc, s[6:7]
	v_cndmask_b32_e64 v4, 0, 1, s[6:7]
	v_cmp_ne_u32_e64 s[6:7], 0, v4
	s_bcnt1_i32_b64 s6, s[6:7]
	v_add_co_u32_e64 v10, s[6:7], s6, v10
	v_addc_co_u32_e64 v11, s[6:7], 0, v11, s[6:7]
	v_cmp_eq_u64_e64 s[6:7], 1, v[2:3]
	s_and_b64 s[6:7], vcc, s[6:7]
	v_cndmask_b32_e64 v4, 0, 1, s[6:7]
	v_cmp_ne_u32_e64 s[6:7], 0, v4
	s_bcnt1_i32_b64 s6, s[6:7]
	v_add_co_u32_e64 v12, s[6:7], s6, v12
	v_addc_co_u32_e64 v13, s[6:7], 0, v13, s[6:7]
	;; [unrolled: 7-line block ×3, first 2 shown]
	v_cmp_eq_u64_e64 s[6:7], 3, v[2:3]
	s_and_b64 s[6:7], vcc, s[6:7]
	v_cndmask_b32_e64 v2, 0, 1, s[6:7]
	v_cmp_ne_u32_e32 vcc, 0, v2
	s_bcnt1_i32_b64 s6, vcc
	v_add_co_u32_e32 v16, vcc, s6, v16
	v_addc_co_u32_e32 v17, vcc, 0, v17, vcc
	v_pk_mov_b32 v[32:33], v[34:35], v[34:35] op_sel:[0,1]
	s_andn2_b64 exec, exec, s[2:3]
	s_cbranch_execz .LBB116_65
.LBB116_62:                             ;   Parent Loop BB116_19 Depth=1
                                        ; =>  This Inner Loop Header: Depth=2
	v_mov_b32_e32 v2, s71
	v_add_co_u32_e32 v6, vcc, s55, v6
	v_addc_co_u32_e32 v7, vcc, v7, v2, vcc
	v_cmp_gt_u64_e64 s[6:7], s[52:53], v[6:7]
	v_cmp_le_u64_e32 vcc, s[52:53], v[6:7]
	v_pk_mov_b32 v[34:35], 0, 0
	s_and_saveexec_b64 s[8:9], s[6:7]
	s_cbranch_execz .LBB116_61
; %bb.63:                               ;   in Loop: Header=BB116_62 Depth=2
	v_mul_lo_u32 v2, v7, s64
	v_mul_lo_u32 v4, v6, s65
	v_mad_u64_u32 v[34:35], s[6:7], v6, s64, 0
	v_add3_u32 v35, v35, v4, v2
	v_lshlrev_b64 v[34:35], 3, v[34:35]
	v_mov_b32_e32 v2, s77
	v_add_co_u32_e64 v34, s[6:7], s76, v34
	v_addc_co_u32_e64 v35, s[6:7], v2, v35, s[6:7]
	global_load_dwordx2 v[34:35], v[34:35], off
	s_branch .LBB116_61
.LBB116_64:                             ;   in Loop: Header=BB116_19 Depth=1
                                        ; implicit-def: $vgpr16_vgpr17
                                        ; implicit-def: $vgpr12_vgpr13
	s_cbranch_execnz .LBB116_67
	s_branch .LBB116_76
.LBB116_65:                             ;   in Loop: Header=BB116_19 Depth=1
	s_or_b64 exec, exec, s[2:3]
.LBB116_66:                             ;   in Loop: Header=BB116_19 Depth=1
	s_or_b64 exec, exec, s[0:1]
	s_branch .LBB116_76
.LBB116_67:                             ;   in Loop: Header=BB116_19 Depth=1
	global_load_ushort v2, v3, s[48:49]
	v_pk_mov_b32 v[10:11], 0, 0
	s_mov_b64 s[2:3], 0
	v_pk_mov_b32 v[12:13], v[10:11], v[10:11] op_sel:[0,1]
	v_pk_mov_b32 v[14:15], v[10:11], v[10:11] op_sel:[0,1]
	;; [unrolled: 1-line block ×3, first 2 shown]
	s_waitcnt vmcnt(0)
	v_readfirstlane_b32 s0, v2
	s_and_b32 s0, 0xffff, s0
	s_lshl_b32 s55, s0, 2
	v_cvt_f32_u32_e32 v4, s55
	s_sub_i32 s0, 0, s55
	v_rcp_iflag_f32_e32 v4, v4
	v_mul_f32_e32 v4, 0x4f7ffffe, v4
	v_cvt_u32_f32_e32 v6, v4
	v_and_b32_e32 v4, 0xffff, v2
	v_readfirstlane_b32 s1, v6
	s_mul_i32 s0, s0, s1
	s_mul_hi_u32 s0, s1, s0
	s_add_i32 s1, s1, s0
	s_mul_hi_u32 s0, s54, s1
	s_mul_i32 s0, s0, s55
	s_sub_i32 s0, s54, s0
	s_sub_i32 s1, s0, s55
	s_cmp_ge_u32 s0, s55
	s_cselect_b32 s0, s1, s0
	s_sub_i32 s1, s0, s55
	s_cmp_ge_u32 s0, s55
	s_cselect_b32 s0, s1, s0
	s_sub_i32 s70, s54, s0
	v_cmp_gt_u32_e32 vcc, s70, v20
	s_and_saveexec_b64 s[8:9], vcc
	s_cbranch_execz .LBB116_71
; %bb.68:                               ;   in Loop: Header=BB116_19 Depth=1
	s_mov_b64 s[74:75], s[30:31]
	s_mov_b64 s[88:89], s[92:93]
	;; [unrolled: 1-line block ×6, first 2 shown]
	s_mov_b32 s61, s69
	s_mov_b64 s[4:5], s[50:51]
	s_and_b32 s73, s79, 0xfe
	v_lshlrev_b32_e32 v46, 5, v4
	v_mov_b32_e32 v47, v43
	s_mov_b64 s[0:1], 0
	s_mov_b64 s[26:27], 0
	;; [unrolled: 1-line block ×4, first 2 shown]
	v_pk_mov_b32 v[6:7], v[20:21], v[20:21] op_sel:[0,1]
.LBB116_69:                             ;   Parent Loop BB116_19 Depth=1
                                        ; =>  This Inner Loop Header: Depth=2
	ds_read_b128 v[14:17], v47
	ds_read_b128 v[10:13], v47 offset:16
	v_mov_b32_e32 v33, v3
	v_mov_b32_e32 v35, v3
	;; [unrolled: 1-line block ×3, first 2 shown]
	s_waitcnt lgkmcnt(1)
	v_ashrrev_i32_e32 v2, 31, v15
	v_ashrrev_i32_e32 v32, 31, v17
	s_waitcnt lgkmcnt(0)
	v_ashrrev_i32_e32 v34, 31, v11
	v_ashrrev_i32_e32 v36, 31, v13
	v_xor_b32_e32 v48, v32, v16
	v_cmp_o_f64_e64 s[6:7], v[16:17], v[16:17]
	v_xor_b32_e32 v16, v34, v10
	v_cmp_o_f64_e64 s[10:11], v[10:11], v[10:11]
	v_or_b32_e32 v10, 0x80000000, v2
	v_xor_b32_e32 v49, v36, v12
	v_cmp_o_f64_e64 s[12:13], v[12:13], v[12:13]
	v_xor_b32_e32 v2, v2, v14
	v_or_b32_e32 v12, 0x80000000, v32
	v_or_b32_e32 v32, 0x80000000, v34
	v_cmp_o_f64_e64 s[14:15], v[14:15], v[14:15]
	v_xor_b32_e32 v15, v10, v15
	v_or_b32_e32 v34, 0x80000000, v36
	v_xor_b32_e32 v17, v12, v17
	v_xor_b32_e32 v32, v32, v11
	v_cndmask_b32_e64 v10, -1, v2, s[14:15]
	v_cndmask_b32_e64 v11, -1, v15, s[14:15]
	v_xor_b32_e32 v34, v34, v13
	v_cndmask_b32_e64 v12, -1, v48, s[6:7]
	v_cndmask_b32_e64 v14, -1, v16, s[10:11]
	;; [unrolled: 1-line block ×4, first 2 shown]
	v_and_b32_e32 v48, s82, v10
	v_and_b32_e32 v49, s83, v11
	v_lshrrev_b64 v[10:11], s73, v[10:11]
	v_cndmask_b32_e64 v15, -1, v32, s[10:11]
	v_and_b32_e32 v50, s82, v12
	v_and_b32_e32 v51, s83, v13
	v_lshrrev_b64 v[12:13], s73, v[12:13]
	v_and_b32_e32 v2, 3, v10
	v_cndmask_b32_e64 v17, -1, v34, s[12:13]
	v_and_b32_e32 v52, s82, v14
	v_and_b32_e32 v53, s83, v15
	v_lshrrev_b64 v[14:15], s73, v[14:15]
	v_cmp_eq_u64_e64 s[16:17], s[84:85], v[48:49]
	v_and_b32_e32 v32, 3, v12
	v_cmp_eq_u64_e64 s[6:7], 0, v[2:3]
	v_and_b32_e32 v54, s82, v16
	v_and_b32_e32 v55, s83, v17
	v_lshrrev_b64 v[16:17], s73, v[16:17]
	v_cmp_eq_u64_e64 s[14:15], s[84:85], v[50:51]
	v_and_b32_e32 v34, 3, v14
	v_cmp_eq_u64_e64 s[28:29], 0, v[32:33]
	s_and_b64 s[6:7], s[16:17], s[6:7]
	v_cmp_eq_u64_e64 s[12:13], s[84:85], v[52:53]
	v_and_b32_e32 v36, 3, v16
	v_cmp_eq_u64_e64 s[30:31], 0, v[34:35]
	v_cmp_eq_u64_e64 s[36:37], 1, v[2:3]
	;; [unrolled: 1-line block ×4, first 2 shown]
	v_cndmask_b32_e64 v2, 0, 1, s[6:7]
	s_and_b64 s[6:7], s[14:15], s[28:29]
	v_cmp_eq_u64_e64 s[10:11], s[84:85], v[54:55]
	v_cmp_eq_u64_e64 s[34:35], 0, v[36:37]
	v_cndmask_b32_e64 v10, 0, 1, s[6:7]
	s_and_b64 s[6:7], s[12:13], s[30:31]
	v_cndmask_b32_e64 v11, 0, 1, s[6:7]
	s_and_b64 s[6:7], s[10:11], s[34:35]
	v_cndmask_b32_e64 v12, 0, 1, s[6:7]
	v_cmp_ne_u32_e64 s[6:7], 0, v2
	v_cmp_ne_u32_e64 s[28:29], 0, v10
	v_cmp_ne_u32_e64 s[30:31], 0, v11
	v_cmp_ne_u32_e64 s[34:35], 0, v12
	s_bcnt1_i32_b64 s6, s[6:7]
	s_bcnt1_i32_b64 s7, s[28:29]
	s_bcnt1_i32_b64 s28, s[30:31]
	s_bcnt1_i32_b64 s29, s[34:35]
	s_add_u32 s6, s6, s86
	s_addc_u32 s30, 0, s87
	s_add_u32 s6, s6, s7
	s_addc_u32 s7, s30, 0
	s_add_u32 s6, s6, s28
	s_addc_u32 s7, s7, 0
	s_add_u32 s86, s6, s29
	v_cmp_eq_u64_e64 s[38:39], 1, v[32:33]
	s_addc_u32 s87, s7, 0
	s_and_b64 s[6:7], s[16:17], s[36:37]
	v_cmp_eq_u64_e64 s[40:41], 1, v[34:35]
	v_cndmask_b32_e64 v2, 0, 1, s[6:7]
	s_and_b64 s[6:7], s[14:15], s[38:39]
	v_cmp_eq_u64_e64 s[42:43], 1, v[36:37]
	v_cndmask_b32_e64 v12, 0, 1, s[6:7]
	s_and_b64 s[6:7], s[12:13], s[40:41]
	v_cndmask_b32_e64 v13, 0, 1, s[6:7]
	s_and_b64 s[6:7], s[10:11], s[42:43]
	v_cndmask_b32_e64 v14, 0, 1, s[6:7]
	v_cmp_ne_u32_e64 s[6:7], 0, v2
	v_cmp_ne_u32_e64 s[28:29], 0, v12
	v_cmp_ne_u32_e64 s[30:31], 0, v13
	v_cmp_ne_u32_e64 s[34:35], 0, v14
	s_bcnt1_i32_b64 s6, s[6:7]
	s_bcnt1_i32_b64 s7, s[28:29]
	s_bcnt1_i32_b64 s28, s[30:31]
	s_bcnt1_i32_b64 s29, s[34:35]
	s_add_u32 s6, s6, s68
	s_addc_u32 s30, 0, s69
	s_add_u32 s6, s6, s7
	s_addc_u32 s7, s30, 0
	s_add_u32 s6, s6, s28
	s_addc_u32 s7, s7, 0
	s_add_u32 s68, s6, s29
	v_cmp_eq_u64_e64 s[46:47], 2, v[32:33]
	s_addc_u32 s69, s7, 0
	s_and_b64 s[6:7], s[16:17], s[44:45]
	v_cmp_eq_u64_e64 s[48:49], 2, v[34:35]
	v_cndmask_b32_e64 v2, 0, 1, s[6:7]
	s_and_b64 s[6:7], s[14:15], s[46:47]
	;; [unrolled: 27-line block ×3, first 2 shown]
	v_cmp_eq_u64_e64 s[18:19], 3, v[36:37]
	v_cndmask_b32_e64 v16, 0, 1, s[6:7]
	s_and_b64 s[6:7], s[12:13], s[20:21]
	v_cndmask_b32_e64 v17, 0, 1, s[6:7]
	s_and_b64 s[6:7], s[10:11], s[18:19]
	v_cndmask_b32_e64 v32, 0, 1, s[6:7]
	v_cmp_ne_u32_e64 s[6:7], 0, v2
	v_cmp_ne_u32_e64 s[10:11], 0, v16
	;; [unrolled: 1-line block ×4, first 2 shown]
	s_bcnt1_i32_b64 s6, s[6:7]
	s_bcnt1_i32_b64 s7, s[10:11]
	;; [unrolled: 1-line block ×4, first 2 shown]
	s_add_u32 s0, s6, s0
	s_addc_u32 s1, 0, s1
	s_add_u32 s0, s0, s7
	s_addc_u32 s1, s1, 0
	s_add_u32 s0, s0, s10
	v_add_co_u32_e32 v6, vcc, s55, v6
	s_addc_u32 s1, s1, 0
	v_addc_co_u32_e32 v7, vcc, 0, v7, vcc
	s_add_u32 s0, s0, s11
	v_cmp_le_u64_e32 vcc, s[70:71], v[6:7]
	s_addc_u32 s1, s1, 0
	v_add_u32_e32 v47, v47, v46
	v_pk_mov_b32 v[10:11], s[86:87], s[86:87] op_sel:[0,1]
	v_pk_mov_b32 v[12:13], s[68:69], s[68:69] op_sel:[0,1]
	;; [unrolled: 1-line block ×3, first 2 shown]
	s_or_b64 s[2:3], vcc, s[2:3]
	v_pk_mov_b32 v[16:17], s[0:1], s[0:1] op_sel:[0,1]
	s_andn2_b64 exec, exec, s[2:3]
	s_cbranch_execnz .LBB116_69
; %bb.70:                               ;   in Loop: Header=BB116_19 Depth=1
	s_or_b64 exec, exec, s[2:3]
	v_readlane_b32 s46, v56, 28
	v_readlane_b32 s36, v56, 30
	;; [unrolled: 1-line block ×5, first 2 shown]
	s_mov_b64 s[50:51], s[4:5]
	s_mov_b32 s69, s61
	v_readlane_b32 s49, v56, 33
	s_mov_b64 s[86:87], s[92:93]
	s_mov_b64 s[40:41], s[56:57]
	;; [unrolled: 1-line block ×6, first 2 shown]
.LBB116_71:                             ;   in Loop: Header=BB116_19 Depth=1
	s_or_b64 exec, exec, s[8:9]
	v_add_u32_e32 v2, s70, v0
	v_cmp_gt_u32_e32 vcc, s54, v2
	s_and_saveexec_b64 s[0:1], vcc
	s_cbranch_execz .LBB116_75
; %bb.72:                               ;   in Loop: Header=BB116_19 Depth=1
	s_and_b32 s70, s54, 0x7fffffff
	s_and_b32 s8, s79, 0xfe
	v_lshlrev_b32_e32 v32, 3, v2
	v_lshlrev_b32_e32 v33, 3, v4
	s_mov_b64 s[2:3], 0
	v_pk_mov_b32 v[6:7], v[2:3], v[2:3] op_sel:[0,1]
.LBB116_73:                             ;   Parent Loop BB116_19 Depth=1
                                        ; =>  This Inner Loop Header: Depth=2
	ds_read_b64 v[34:35], v32
	v_add_co_u32_e32 v6, vcc, v6, v4
	v_addc_co_u32_e32 v7, vcc, 0, v7, vcc
	s_waitcnt lgkmcnt(0)
	v_ashrrev_i32_e32 v2, 31, v35
	v_or_b32_e32 v36, 0x80000000, v2
	v_xor_b32_e32 v2, v2, v34
	v_xor_b32_e32 v36, v36, v35
	v_cmp_o_f64_e64 s[6:7], v[34:35], v[34:35]
	v_cndmask_b32_e64 v35, -1, v36, s[6:7]
	v_cndmask_b32_e64 v34, -1, v2, s[6:7]
	v_and_b32_e32 v37, s83, v35
	v_and_b32_e32 v36, s82, v34
	v_lshrrev_b64 v[34:35], s8, v[34:35]
	v_and_b32_e32 v2, 3, v34
	v_cmp_eq_u64_e64 s[6:7], s[84:85], v[36:37]
	v_cmp_eq_u64_e64 s[10:11], 0, v[2:3]
	;; [unrolled: 1-line block ×3, first 2 shown]
	s_and_b64 s[10:11], s[6:7], s[10:11]
	v_cmp_eq_u64_e64 s[14:15], 2, v[2:3]
	v_cmp_eq_u64_e64 s[16:17], 3, v[2:3]
	v_cndmask_b32_e64 v2, 0, 1, s[10:11]
	s_and_b64 s[10:11], s[6:7], s[12:13]
	v_cndmask_b32_e64 v34, 0, 1, s[10:11]
	s_and_b64 s[10:11], s[6:7], s[14:15]
	s_and_b64 s[6:7], s[6:7], s[16:17]
	v_cndmask_b32_e64 v36, 0, 1, s[6:7]
	v_cmp_ne_u32_e64 s[6:7], 0, v2
	s_bcnt1_i32_b64 s6, s[6:7]
	v_cndmask_b32_e64 v35, 0, 1, s[10:11]
	v_cmp_ne_u32_e64 s[10:11], 0, v34
	v_add_co_u32_e64 v10, s[6:7], s6, v10
	s_bcnt1_i32_b64 s9, s[10:11]
	v_addc_co_u32_e64 v11, s[6:7], 0, v11, s[6:7]
	v_cmp_ne_u32_e64 s[12:13], 0, v35
	v_cmp_ne_u32_e64 s[14:15], 0, v36
	v_add_co_u32_e64 v12, s[6:7], s9, v12
	v_cmp_le_u64_e32 vcc, s[70:71], v[6:7]
	s_bcnt1_i32_b64 s10, s[12:13]
	s_bcnt1_i32_b64 s11, s[14:15]
	v_addc_co_u32_e64 v13, s[6:7], 0, v13, s[6:7]
	v_add_co_u32_e64 v14, s[6:7], s10, v14
	s_or_b64 s[2:3], vcc, s[2:3]
	v_add_co_u32_e32 v16, vcc, s11, v16
	v_add_u32_e32 v32, v32, v33
	v_addc_co_u32_e64 v15, s[6:7], 0, v15, s[6:7]
	v_addc_co_u32_e32 v17, vcc, 0, v17, vcc
	s_andn2_b64 exec, exec, s[2:3]
	s_cbranch_execnz .LBB116_73
; %bb.74:                               ;   in Loop: Header=BB116_19 Depth=1
	s_or_b64 exec, exec, s[2:3]
.LBB116_75:                             ;   in Loop: Header=BB116_19 Depth=1
	s_or_b64 exec, exec, s[0:1]
.LBB116_76:                             ;   in Loop: Header=BB116_19 Depth=1
	v_readlane_b32 s0, v56, 27
	s_lshl_b32 s2, s0, 6
	s_and_saveexec_b64 s[0:1], s[46:47]
	s_cbranch_execz .LBB116_78
; %bb.77:                               ;   in Loop: Header=BB116_19 Depth=1
	v_or_b32_e32 v2, s2, v41
	v_lshlrev_b32_e32 v2, 3, v2
	ds_write_b128 v2, v[10:13] offset:3072
	ds_write_b128 v2, v[14:17] offset:3088
.LBB116_78:                             ;   in Loop: Header=BB116_19 Depth=1
	s_or_b64 exec, exec, s[0:1]
	s_waitcnt lgkmcnt(0)
	s_barrier
	s_and_saveexec_b64 s[0:1], s[36:37]
	s_cbranch_execz .LBB116_90
; %bb.79:                               ;   in Loop: Header=BB116_19 Depth=1
	v_readlane_b32 s4, v56, 14
	v_readlane_b32 s5, v56, 15
	s_andn2_b64 vcc, exec, s[4:5]
	s_waitcnt vmcnt(0)
	v_pk_mov_b32 v[6:7], 0, 0
	s_cbranch_vccnz .LBB116_89
; %bb.80:                               ;   in Loop: Header=BB116_19 Depth=1
	v_readlane_b32 s4, v56, 18
	v_readlane_b32 s5, v56, 19
	s_andn2_b64 vcc, exec, s[4:5]
	s_cbranch_vccnz .LBB116_85
; %bb.81:                               ;   in Loop: Header=BB116_19 Depth=1
	v_readlane_b32 s3, v56, 27
	v_lshl_add_u32 v2, s3, 9, v44
	s_mov_b32 s3, 0
	v_pk_mov_b32 v[6:7], 0, 0
.LBB116_82:                             ;   Parent Loop BB116_19 Depth=1
                                        ; =>  This Inner Loop Header: Depth=2
	ds_read2_b64 v[10:13], v2 offset1:4
	ds_read2_b64 v[14:17], v2 offset0:8 offset1:12
	ds_read2_b64 v[32:35], v2 offset0:16 offset1:20
	;; [unrolled: 1-line block ×3, first 2 shown]
	s_add_i32 s3, s3, 8
	s_waitcnt lgkmcnt(3)
	v_add_co_u32_e32 v4, vcc, v10, v6
	v_addc_co_u32_e32 v6, vcc, v11, v7, vcc
	v_add_co_u32_e32 v4, vcc, v12, v4
	v_addc_co_u32_e32 v6, vcc, v13, v6, vcc
	s_waitcnt lgkmcnt(2)
	v_add_co_u32_e32 v4, vcc, v14, v4
	v_addc_co_u32_e32 v6, vcc, v15, v6, vcc
	v_add_co_u32_e32 v4, vcc, v16, v4
	v_addc_co_u32_e32 v6, vcc, v17, v6, vcc
	;; [unrolled: 5-line block ×3, first 2 shown]
	s_waitcnt lgkmcnt(0)
	v_add_co_u32_e32 v4, vcc, v46, v4
	v_addc_co_u32_e32 v7, vcc, v47, v6, vcc
	v_add_co_u32_e32 v6, vcc, v48, v4
	v_add_u32_e32 v2, 0x100, v2
	s_cmp_eq_u32 s80, s3
	v_addc_co_u32_e32 v7, vcc, v49, v7, vcc
	s_cbranch_scc0 .LBB116_82
; %bb.83:                               ;   in Loop: Header=BB116_19 Depth=1
	s_mov_b32 s3, s80
	s_branch .LBB116_86
.LBB116_84:                             ;   in Loop: Header=BB116_19 Depth=1
                                        ; implicit-def: $vgpr6_vgpr7
	s_branch .LBB116_52
.LBB116_85:                             ;   in Loop: Header=BB116_19 Depth=1
	s_mov_b32 s3, 0
	v_pk_mov_b32 v[6:7], 0, 0
.LBB116_86:                             ;   in Loop: Header=BB116_19 Depth=1
	v_readlane_b32 s4, v56, 21
	v_readlane_b32 s5, v56, 22
	s_andn2_b64 vcc, exec, s[4:5]
	s_cbranch_vccnz .LBB116_89
; %bb.87:                               ;   in Loop: Header=BB116_19 Depth=1
	v_readlane_b32 s4, v56, 27
	s_lshl_b32 s6, s4, 9
	s_lshl_b32 s3, s3, 5
	s_add_i32 s6, s6, s3
	v_add_u32_e32 v2, s6, v44
	v_readlane_b32 s3, v56, 20
.LBB116_88:                             ;   Parent Loop BB116_19 Depth=1
                                        ; =>  This Inner Loop Header: Depth=2
	ds_read_b64 v[10:11], v2
	s_add_i32 s3, s3, -1
	v_add_u32_e32 v2, 32, v2
	s_cmp_lg_u32 s3, 0
	s_waitcnt lgkmcnt(0)
	v_add_co_u32_e32 v6, vcc, v10, v6
	v_addc_co_u32_e32 v7, vcc, v11, v7, vcc
	s_cbranch_scc1 .LBB116_88
.LBB116_89:                             ;   in Loop: Header=BB116_19 Depth=1
	v_add_lshl_u32 v2, s2, v38, 3
	ds_write_b64 v2, v[6:7] offset:3072
.LBB116_90:                             ;   in Loop: Header=BB116_19 Depth=1
	s_or_b64 exec, exec, s[0:1]
	s_lshl_b32 s0, s2, 3
	v_mov_b32_e32 v2, s0
	s_waitcnt lgkmcnt(0)
	s_barrier
	ds_read_b128 v[10:13], v2 offset:3072
	ds_read_b128 v[14:17], v2 offset:3088
	s_and_b32 s44, s79, 0xfe
	s_lshl_b64 s[12:13], 3, s44
	s_not_b64 s[20:21], s[12:13]
	s_waitcnt lgkmcnt(1)
	v_readfirstlane_b32 s17, v11
	v_readfirstlane_b32 s16, v10
	s_cmp_eq_u64 s[16:17], 1
	s_cselect_b64 s[0:1], -1, 0
	s_cmp_eq_u64 s[50:51], 1
	s_cselect_b64 s[2:3], -1, 0
	s_and_b64 s[24:25], s[0:1], s[2:3]
	v_readfirstlane_b32 s34, v12
	v_readfirstlane_b32 s35, v13
	s_waitcnt lgkmcnt(0)
	v_readfirstlane_b32 s18, v14
	v_readfirstlane_b32 s19, v15
	;; [unrolled: 1-line block ×4, first 2 shown]
	s_mov_b64 s[22:23], -1
	s_and_b64 vcc, exec, s[24:25]
	s_cbranch_vccz .LBB116_105
; %bb.91:                               ;   in Loop: Header=BB116_19 Depth=1
	s_waitcnt vmcnt(0)
	ds_read_b64 v[6:7], v3 offset:5120
	v_readlane_b32 s4, v56, 10
	v_readlane_b32 s5, v56, 11
	s_waitcnt lgkmcnt(0)
	s_barrier
	v_readfirstlane_b32 s0, v6
	v_readfirstlane_b32 s1, v7
	s_and_saveexec_b64 s[2:3], s[4:5]
	s_cbranch_execz .LBB116_93
; %bb.92:                               ;   in Loop: Header=BB116_19 Depth=1
	v_mov_b32_e32 v2, v3
	ds_write_b64 v40, v[2:3]
.LBB116_93:                             ;   in Loop: Header=BB116_19 Depth=1
	s_or_b64 exec, exec, s[2:3]
	s_and_b64 s[84:85], s[84:85], s[20:21]
	s_or_b64 s[82:83], s[82:83], s[12:13]
	s_cmp_eq_u64 s[0:1], 0
	s_waitcnt lgkmcnt(0)
	s_barrier
	s_cbranch_scc1 .LBB116_106
; %bb.94:                               ;   in Loop: Header=BB116_19 Depth=1
	v_readlane_b32 s2, v56, 16
	s_add_u32 s8, s2, s0
	v_readlane_b32 s2, v56, 17
	s_addc_u32 s3, s2, s1
	s_mov_b32 s2, s71
	s_cmp_lg_u64 s[2:3], 0
	s_cbranch_scc0 .LBB116_151
; %bb.95:                               ;   in Loop: Header=BB116_19 Depth=1
	v_cvt_f32_u32_e32 v2, s33
	s_sub_u32 s2, 0, s33
	s_subb_u32 s6, 0, 0
	v_mac_f32_e32 v2, 0, v45
	v_rcp_f32_e32 v2, v2
	v_mul_f32_e32 v2, 0x5f7ffffc, v2
	v_mul_f32_e32 v4, 0x2f800000, v2
	v_trunc_f32_e32 v4, v4
	v_mac_f32_e32 v2, 0xcf800000, v4
	v_cvt_u32_f32_e32 v4, v4
	v_cvt_u32_f32_e32 v2, v2
	v_readfirstlane_b32 s7, v4
	v_readfirstlane_b32 s9, v2
	s_mul_i32 s14, s2, s7
	s_mul_hi_u32 s26, s2, s9
	s_mul_i32 s15, s6, s9
	s_add_i32 s14, s26, s14
	s_mul_i32 s27, s2, s9
	s_add_i32 s14, s14, s15
	s_mul_hi_u32 s26, s9, s27
	s_mul_hi_u32 s15, s9, s14
	s_mul_i32 s9, s9, s14
	s_add_u32 s9, s26, s9
	s_addc_u32 s15, 0, s15
	s_mul_hi_u32 s28, s7, s27
	s_mul_i32 s27, s7, s27
	s_add_u32 s9, s9, s27
	s_mul_hi_u32 s26, s7, s14
	s_addc_u32 s9, s15, s28
	s_addc_u32 s15, s26, 0
	s_mul_i32 s14, s7, s14
	s_add_u32 s9, s9, s14
	s_addc_u32 s14, 0, s15
	v_add_co_u32_e32 v2, vcc, s9, v2
	s_cmp_lg_u64 vcc, 0
	s_addc_u32 s7, s7, s14
	v_readfirstlane_b32 s14, v2
	s_mul_i32 s9, s2, s7
	s_mul_hi_u32 s15, s2, s14
	s_add_i32 s9, s15, s9
	s_mul_i32 s6, s6, s14
	s_add_i32 s9, s9, s6
	s_mul_i32 s2, s2, s14
	s_mul_hi_u32 s15, s7, s2
	s_mul_i32 s26, s7, s2
	s_mul_i32 s28, s14, s9
	s_mul_hi_u32 s2, s14, s2
	s_mul_hi_u32 s27, s14, s9
	s_add_u32 s2, s2, s28
	s_addc_u32 s14, 0, s27
	s_add_u32 s2, s2, s26
	s_mul_hi_u32 s6, s7, s9
	s_addc_u32 s2, s14, s15
	s_addc_u32 s6, s6, 0
	s_mul_i32 s9, s7, s9
	s_add_u32 s2, s2, s9
	s_addc_u32 s6, 0, s6
	v_add_co_u32_e32 v2, vcc, s2, v2
	s_cmp_lg_u64 vcc, 0
	s_addc_u32 s2, s7, s6
	v_readfirstlane_b32 s9, v2
	s_mul_i32 s7, s8, s2
	s_mul_hi_u32 s14, s8, s9
	s_mul_hi_u32 s6, s8, s2
	s_add_u32 s7, s14, s7
	s_addc_u32 s6, 0, s6
	s_mul_hi_u32 s15, s3, s9
	s_mul_i32 s9, s3, s9
	s_add_u32 s7, s7, s9
	s_mul_hi_u32 s14, s3, s2
	s_addc_u32 s6, s6, s15
	s_addc_u32 s7, s14, 0
	s_mul_i32 s2, s3, s2
	s_add_u32 s2, s6, s2
	s_addc_u32 s6, 0, s7
	s_mul_hi_u32 s7, s33, s2
	s_mul_i32 s2, s33, s2
	s_mul_i32 s6, s33, s6
	v_mov_b32_e32 v2, s2
	s_add_i32 s7, s7, s6
	v_sub_co_u32_e32 v2, vcc, s8, v2
	s_cmp_lg_u64 vcc, 0
	s_subb_u32 s2, s3, s7
	v_subrev_co_u32_e32 v4, vcc, s33, v2
	s_cmp_lg_u64 vcc, 0
	s_subb_u32 s6, s2, 0
	v_subrev_co_u32_e32 v6, vcc, s33, v4
	s_cmp_lg_u64 vcc, 0
	s_subb_u32 s7, s6, 0
	v_cmp_le_u32_e32 vcc, s33, v4
	s_cmp_eq_u32 s6, 0
	v_cndmask_b32_e64 v7, 0, -1, vcc
	s_cselect_b64 vcc, -1, 0
	v_cndmask_b32_e32 v7, -1, v7, vcc
	v_mov_b32_e32 v8, s6
	v_mov_b32_e32 v9, s7
	v_cmp_ne_u32_e32 vcc, 0, v7
	v_cndmask_b32_e32 v7, v8, v9, vcc
	v_cndmask_b32_e32 v4, v4, v6, vcc
	v_cmp_le_u32_e32 vcc, s33, v2
	s_cmp_eq_u32 s2, 0
	v_cndmask_b32_e64 v6, 0, -1, vcc
	s_cselect_b64 vcc, -1, 0
	v_cndmask_b32_e32 v6, -1, v6, vcc
	v_mov_b32_e32 v8, s2
	v_cmp_ne_u32_e32 vcc, 0, v6
	v_cndmask_b32_e32 v7, v8, v7, vcc
	v_cndmask_b32_e32 v6, v2, v4, vcc
	s_cbranch_execnz .LBB116_97
.LBB116_96:                             ;   in Loop: Header=BB116_19 Depth=1
	v_cvt_f32_u32_e32 v2, s33
	s_sub_i32 s2, 0, s33
	v_rcp_iflag_f32_e32 v2, v2
	v_mul_f32_e32 v2, 0x4f7ffffe, v2
	v_cvt_u32_f32_e32 v2, v2
	v_mul_lo_u32 v4, s2, v2
	v_mul_hi_u32 v4, v2, v4
	v_add_u32_e32 v2, v2, v4
	v_mul_hi_u32 v2, s8, v2
	v_mul_lo_u32 v2, v2, s33
	v_sub_u32_e32 v2, s8, v2
	v_subrev_u32_e32 v4, s33, v2
	v_cmp_le_u32_e32 vcc, s33, v2
	v_cndmask_b32_e32 v2, v2, v4, vcc
	v_subrev_u32_e32 v4, s33, v2
	v_cmp_le_u32_e32 vcc, s33, v2
	v_cndmask_b32_e32 v2, v2, v4, vcc
	v_pk_mov_b32 v[6:7], v[2:3], v[2:3] op_sel:[0,1]
.LBB116_97:                             ;   in Loop: Header=BB116_19 Depth=1
	v_mov_b32_e32 v2, s3
	v_sub_co_u32_e32 v10, vcc, s8, v6
	v_subb_co_u32_e32 v11, vcc, v2, v7, vcc
	v_cmp_gt_u64_e32 vcc, v[10:11], v[0:1]
	s_mov_b64 s[2:3], 0
                                        ; implicit-def: $vgpr8_vgpr9
	s_and_saveexec_b64 s[8:9], vcc
	s_cbranch_execz .LBB116_108
; %bb.98:                               ;   in Loop: Header=BB116_19 Depth=1
	s_mov_b64 s[14:15], 0
	v_mov_b32_e32 v2, v39
	v_pk_mov_b32 v[12:13], v[0:1], v[0:1] op_sel:[0,1]
                                        ; implicit-def: $sgpr2_sgpr3
	s_branch .LBB116_100
.LBB116_99:                             ;   in Loop: Header=BB116_100 Depth=2
	s_or_b64 exec, exec, s[6:7]
	s_waitcnt lgkmcnt(0)
	s_barrier
	ds_read_b128 v[6:9], v3 offset:3072
	v_mov_b32_e32 v4, s72
	v_add_co_u32_e64 v12, s[6:7], s33, v12
	v_addc_co_u32_e64 v13, s[6:7], v13, v4, s[6:7]
	s_waitcnt lgkmcnt(0)
	v_cmp_neq_f64_e32 vcc, 0, v[6:7]
	v_cmp_ge_u64_e64 s[6:7], v[12:13], v[10:11]
	s_or_b64 s[6:7], s[6:7], vcc
	s_and_b64 s[6:7], exec, s[6:7]
	s_or_b64 s[14:15], s[6:7], s[14:15]
	s_andn2_b64 s[2:3], s[2:3], exec
	s_and_b64 s[6:7], vcc, exec
	v_add_u32_e32 v2, s81, v2
	s_or_b64 s[2:3], s[2:3], s[6:7]
	s_barrier
	s_andn2_b64 exec, exec, s[14:15]
	s_cbranch_execz .LBB116_107
.LBB116_100:                            ;   Parent Loop BB116_19 Depth=1
                                        ; =>  This Inner Loop Header: Depth=2
	v_cmp_gt_u64_e32 vcc, s[0:1], v[12:13]
	v_pk_mov_b32 v[6:7], 0, 0
	s_and_saveexec_b64 s[6:7], vcc
	s_cbranch_execz .LBB116_102
; %bb.101:                              ;   in Loop: Header=BB116_100 Depth=2
	ds_read_b64 v[6:7], v2
.LBB116_102:                            ;   in Loop: Header=BB116_100 Depth=2
	s_or_b64 exec, exec, s[6:7]
	s_and_saveexec_b64 s[6:7], vcc
	s_cbranch_execz .LBB116_99
; %bb.103:                              ;   in Loop: Header=BB116_100 Depth=2
	s_waitcnt lgkmcnt(0)
	v_ashrrev_i32_e32 v4, 31, v7
	v_or_b32_e32 v8, 0x80000000, v4
	v_xor_b32_e32 v8, v8, v7
	v_xor_b32_e32 v4, v4, v6
	v_cmp_o_f64_e32 vcc, v[6:7], v[6:7]
	v_cndmask_b32_e32 v8, -1, v8, vcc
	v_cndmask_b32_e32 v4, -1, v4, vcc
	v_and_b32_e32 v9, s83, v8
	v_and_b32_e32 v8, s82, v4
	v_cmp_eq_u64_e32 vcc, s[84:85], v[8:9]
	s_and_b64 exec, exec, vcc
	s_cbranch_execz .LBB116_99
; %bb.104:                              ;   in Loop: Header=BB116_100 Depth=2
	v_mov_b32_e32 v4, v3
	ds_write_b128 v3, v[4:7] offset:3072
	s_branch .LBB116_99
.LBB116_105:                            ;   in Loop: Header=BB116_19 Depth=1
	s_mov_b64 s[2:3], -1
                                        ; implicit-def: $sgpr0_sgpr1
                                        ; implicit-def: $sgpr8_sgpr9
                                        ; implicit-def: $sgpr6_sgpr7
	s_branch .LBB116_122
.LBB116_106:                            ;   in Loop: Header=BB116_19 Depth=1
	s_mov_b64 s[0:1], -1
	s_mov_b64 s[2:3], 0
                                        ; implicit-def: $sgpr6_sgpr7
                                        ; implicit-def: $vgpr8_vgpr9
	s_mov_b64 s[8:9], s[0:1]
	s_cbranch_execnz .LBB116_109
	s_branch .LBB116_122
.LBB116_107:                            ;   in Loop: Header=BB116_19 Depth=1
	s_or_b64 exec, exec, s[14:15]
	s_and_b64 s[2:3], s[2:3], exec
.LBB116_108:                            ;   in Loop: Header=BB116_19 Depth=1
	s_or_b64 exec, exec, s[8:9]
	s_mov_b64 s[6:7], -1
	s_mov_b64 s[0:1], 0
	s_mov_b64 s[8:9], s[0:1]
	s_branch .LBB116_122
.LBB116_109:                            ;   in Loop: Header=BB116_19 Depth=1
	s_mov_b32 s68, s71
	s_cmp_lg_u64 s[68:69], 0
	s_cbranch_scc0 .LBB116_155
; %bb.110:                              ;   in Loop: Header=BB116_19 Depth=1
	v_cvt_f32_u32_e32 v2, s33
	s_sub_u32 s0, 0, s33
	s_subb_u32 s1, 0, 0
	v_mac_f32_e32 v2, 0, v45
	v_rcp_f32_e32 v2, v2
	v_mul_f32_e32 v2, 0x5f7ffffc, v2
	v_mul_f32_e32 v4, 0x2f800000, v2
	v_trunc_f32_e32 v4, v4
	v_mac_f32_e32 v2, 0xcf800000, v4
	v_cvt_u32_f32_e32 v4, v4
	v_cvt_u32_f32_e32 v2, v2
	v_readfirstlane_b32 s2, v4
	v_readfirstlane_b32 s3, v2
	s_mul_i32 s6, s0, s2
	s_mul_hi_u32 s8, s0, s3
	s_mul_i32 s7, s1, s3
	s_add_i32 s6, s8, s6
	s_mul_i32 s9, s0, s3
	s_add_i32 s6, s6, s7
	s_mul_hi_u32 s8, s3, s9
	s_mul_hi_u32 s7, s3, s6
	s_mul_i32 s3, s3, s6
	s_add_u32 s3, s8, s3
	s_addc_u32 s7, 0, s7
	s_mul_hi_u32 s14, s2, s9
	s_mul_i32 s9, s2, s9
	s_add_u32 s3, s3, s9
	s_mul_hi_u32 s8, s2, s6
	s_addc_u32 s3, s7, s14
	s_addc_u32 s7, s8, 0
	s_mul_i32 s6, s2, s6
	s_add_u32 s3, s3, s6
	s_addc_u32 s6, 0, s7
	v_add_co_u32_e32 v2, vcc, s3, v2
	s_cmp_lg_u64 vcc, 0
	s_addc_u32 s2, s2, s6
	v_readfirstlane_b32 s6, v2
	s_mul_i32 s3, s0, s2
	s_mul_hi_u32 s7, s0, s6
	s_add_i32 s3, s7, s3
	s_mul_i32 s1, s1, s6
	s_add_i32 s3, s3, s1
	s_mul_i32 s0, s0, s6
	s_mul_hi_u32 s7, s2, s0
	s_mul_i32 s8, s2, s0
	s_mul_i32 s14, s6, s3
	s_mul_hi_u32 s0, s6, s0
	s_mul_hi_u32 s9, s6, s3
	s_add_u32 s0, s0, s14
	s_addc_u32 s6, 0, s9
	s_add_u32 s0, s0, s8
	s_mul_hi_u32 s1, s2, s3
	s_addc_u32 s0, s6, s7
	s_addc_u32 s1, s1, 0
	s_mul_i32 s3, s2, s3
	s_add_u32 s0, s0, s3
	s_addc_u32 s1, 0, s1
	v_add_co_u32_e32 v2, vcc, s0, v2
	s_cmp_lg_u64 vcc, 0
	s_addc_u32 s0, s2, s1
	v_readfirstlane_b32 s3, v2
	s_mul_i32 s2, s60, s0
	s_mul_hi_u32 s6, s60, s3
	s_mul_hi_u32 s1, s60, s0
	s_add_u32 s2, s6, s2
	s_addc_u32 s1, 0, s1
	s_mul_hi_u32 s7, s69, s3
	s_mul_i32 s3, s69, s3
	s_add_u32 s2, s2, s3
	s_mul_hi_u32 s6, s69, s0
	s_addc_u32 s1, s1, s7
	s_addc_u32 s2, s6, 0
	s_mul_i32 s0, s69, s0
	s_add_u32 s0, s1, s0
	s_addc_u32 s1, 0, s2
	s_mul_hi_u32 s2, s33, s0
	s_mul_i32 s0, s33, s0
	s_mul_i32 s1, s33, s1
	v_mov_b32_e32 v2, s0
	s_add_i32 s2, s2, s1
	v_sub_co_u32_e32 v2, vcc, s60, v2
	s_cmp_lg_u64 vcc, 0
	s_subb_u32 s0, s69, s2
	v_subrev_co_u32_e32 v4, vcc, s33, v2
	s_cmp_lg_u64 vcc, 0
	s_subb_u32 s1, s0, 0
	v_subrev_co_u32_e32 v6, vcc, s33, v4
	s_cmp_lg_u64 vcc, 0
	s_subb_u32 s2, s1, 0
	v_cmp_le_u32_e32 vcc, s33, v4
	s_cmp_eq_u32 s1, 0
	v_cndmask_b32_e64 v7, 0, -1, vcc
	s_cselect_b64 vcc, -1, 0
	v_cndmask_b32_e32 v7, -1, v7, vcc
	v_mov_b32_e32 v8, s1
	v_mov_b32_e32 v9, s2
	v_cmp_ne_u32_e32 vcc, 0, v7
	v_cndmask_b32_e32 v7, v8, v9, vcc
	v_cndmask_b32_e32 v4, v4, v6, vcc
	v_cmp_le_u32_e32 vcc, s33, v2
	s_cmp_eq_u32 s0, 0
	v_cndmask_b32_e64 v6, 0, -1, vcc
	s_cselect_b64 vcc, -1, 0
	v_cndmask_b32_e32 v6, -1, v6, vcc
	v_mov_b32_e32 v8, s0
	v_cmp_ne_u32_e32 vcc, 0, v6
	v_cndmask_b32_e32 v7, v8, v7, vcc
	v_cndmask_b32_e32 v6, v2, v4, vcc
	s_cbranch_execnz .LBB116_112
.LBB116_111:                            ;   in Loop: Header=BB116_19 Depth=1
	v_cvt_f32_u32_e32 v2, s33
	s_sub_i32 s0, 0, s33
	v_rcp_iflag_f32_e32 v2, v2
	v_mul_f32_e32 v2, 0x4f7ffffe, v2
	v_cvt_u32_f32_e32 v2, v2
	v_mul_lo_u32 v4, s0, v2
	v_mul_hi_u32 v4, v2, v4
	v_add_u32_e32 v2, v2, v4
	v_mul_hi_u32 v2, s60, v2
	v_mul_lo_u32 v2, v2, s33
	v_sub_u32_e32 v2, s60, v2
	v_subrev_u32_e32 v4, s33, v2
	v_cmp_le_u32_e32 vcc, s33, v2
	v_cndmask_b32_e32 v2, v2, v4, vcc
	v_subrev_u32_e32 v4, s33, v2
	v_cmp_le_u32_e32 vcc, s33, v2
	v_cndmask_b32_e32 v2, v2, v4, vcc
	v_pk_mov_b32 v[6:7], v[2:3], v[2:3] op_sel:[0,1]
.LBB116_112:                            ;   in Loop: Header=BB116_19 Depth=1
	v_mov_b32_e32 v2, s69
	v_sub_co_u32_e32 v10, vcc, s60, v6
	v_subb_co_u32_e32 v11, vcc, v2, v7, vcc
	v_cmp_gt_u64_e32 vcc, v[10:11], v[0:1]
	s_mov_b64 s[2:3], 0
                                        ; implicit-def: $vgpr8_vgpr9
	s_and_saveexec_b64 s[0:1], vcc
	s_cbranch_execz .LBB116_121
; %bb.113:                              ;   in Loop: Header=BB116_19 Depth=1
	s_mov_b64 s[8:9], 0
	v_pk_mov_b32 v[12:13], v[18:19], v[18:19] op_sel:[0,1]
	v_pk_mov_b32 v[14:15], v[0:1], v[0:1] op_sel:[0,1]
                                        ; implicit-def: $sgpr2_sgpr3
	s_branch .LBB116_115
.LBB116_114:                            ;   in Loop: Header=BB116_115 Depth=2
	s_or_b64 exec, exec, s[6:7]
	s_waitcnt lgkmcnt(0)
	s_barrier
	s_waitcnt vmcnt(0)
	ds_read_b128 v[6:9], v3 offset:3072
	v_mov_b32_e32 v2, s72
	v_add_co_u32_e64 v14, s[6:7], s33, v14
	v_addc_co_u32_e64 v15, s[6:7], v15, v2, s[6:7]
	s_waitcnt lgkmcnt(0)
	v_cmp_neq_f64_e32 vcc, 0, v[6:7]
	v_cmp_ge_u64_e64 s[6:7], v[14:15], v[10:11]
	s_or_b64 s[14:15], s[6:7], vcc
	v_mov_b32_e32 v2, s67
	v_add_co_u32_e64 v12, s[6:7], s66, v12
	v_addc_co_u32_e64 v13, s[6:7], v13, v2, s[6:7]
	s_and_b64 s[6:7], exec, s[14:15]
	s_or_b64 s[8:9], s[6:7], s[8:9]
	s_andn2_b64 s[2:3], s[2:3], exec
	s_and_b64 s[6:7], vcc, exec
	s_or_b64 s[2:3], s[2:3], s[6:7]
	s_barrier
	s_andn2_b64 exec, exec, s[8:9]
	s_cbranch_execz .LBB116_120
.LBB116_115:                            ;   Parent Loop BB116_19 Depth=1
                                        ; =>  This Inner Loop Header: Depth=2
	v_cmp_gt_u64_e32 vcc, s[52:53], v[14:15]
	v_pk_mov_b32 v[6:7], 0, 0
	s_and_saveexec_b64 s[6:7], vcc
	s_cbranch_execz .LBB116_117
; %bb.116:                              ;   in Loop: Header=BB116_115 Depth=2
	global_load_dwordx2 v[6:7], v[12:13], off
.LBB116_117:                            ;   in Loop: Header=BB116_115 Depth=2
	s_or_b64 exec, exec, s[6:7]
	s_and_saveexec_b64 s[6:7], vcc
	s_cbranch_execz .LBB116_114
; %bb.118:                              ;   in Loop: Header=BB116_115 Depth=2
	s_waitcnt vmcnt(0)
	v_ashrrev_i32_e32 v2, 31, v7
	v_or_b32_e32 v4, 0x80000000, v2
	v_xor_b32_e32 v4, v4, v7
	v_xor_b32_e32 v2, v2, v6
	v_cmp_o_f64_e32 vcc, v[6:7], v[6:7]
	v_cndmask_b32_e32 v4, -1, v4, vcc
	v_cndmask_b32_e32 v2, -1, v2, vcc
	v_and_b32_e32 v9, s83, v4
	v_and_b32_e32 v8, s82, v2
	v_cmp_eq_u64_e32 vcc, s[84:85], v[8:9]
	s_and_b64 exec, exec, vcc
	s_cbranch_execz .LBB116_114
; %bb.119:                              ;   in Loop: Header=BB116_115 Depth=2
	v_mov_b32_e32 v4, v3
	ds_write_b128 v3, v[4:7] offset:3072
	s_branch .LBB116_114
.LBB116_120:                            ;   in Loop: Header=BB116_19 Depth=1
	s_or_b64 exec, exec, s[8:9]
	s_and_b64 s[2:3], s[2:3], exec
.LBB116_121:                            ;   in Loop: Header=BB116_19 Depth=1
	s_or_b64 exec, exec, s[0:1]
	s_mov_b64 s[8:9], -1
	s_mov_b64 s[0:1], 0
	s_mov_b64 s[6:7], 0
.LBB116_122:                            ;   in Loop: Header=BB116_19 Depth=1
	s_andn2_b64 s[14:15], s[92:93], exec
	s_and_b64 s[0:1], s[0:1], exec
	s_or_b64 s[92:93], s[14:15], s[0:1]
	s_andn2_b64 s[0:1], s[86:87], exec
	s_and_b64 s[8:9], s[8:9], exec
	s_or_b64 s[86:87], s[0:1], s[8:9]
	;; [unrolled: 3-line block ×3, first 2 shown]
	s_and_saveexec_b64 s[14:15], s[2:3]
	s_cbranch_execz .LBB116_18
; %bb.123:                              ;   in Loop: Header=BB116_19 Depth=1
	s_xor_b64 s[0:1], s[24:25], -1
	s_andn2_b64 vcc, exec, s[0:1]
	s_mov_b32 s45, 1
	s_cbranch_vccnz .LBB116_134
; %bb.124:                              ;   in Loop: Header=BB116_19 Depth=1
	s_waitcnt vmcnt(0)
	v_pk_mov_b32 v[6:7], s[16:17], s[16:17] op_sel:[0,1]
	v_cmp_gt_u64_e32 vcc, s[50:51], v[6:7]
	s_mov_b64 s[0:1], -1
                                        ; implicit-def: $sgpr45
                                        ; implicit-def: $sgpr2_sgpr3
                                        ; implicit-def: $sgpr6_sgpr7
	s_cbranch_vccnz .LBB116_130
; %bb.125:                              ;   in Loop: Header=BB116_19 Depth=1
	ds_read_b64 v[6:7], v3 offset:5120
	s_waitcnt lgkmcnt(0)
	v_cmp_ne_u64_e32 vcc, 0, v[6:7]
	s_cbranch_vccnz .LBB116_129
; %bb.126:                              ;   in Loop: Header=BB116_19 Depth=1
	s_mov_b64 s[0:1], exec
	v_readlane_b32 s2, v56, 8
	v_readlane_b32 s3, v56, 9
	s_and_b64 s[2:3], s[0:1], s[2:3]
	s_mov_b64 exec, s[2:3]
	s_cbranch_execz .LBB116_128
; %bb.127:                              ;   in Loop: Header=BB116_19 Depth=1
	v_pk_mov_b32 v[6:7], s[16:17], s[16:17] op_sel:[0,1]
	ds_write_b64 v3, v[6:7] offset:5128
.LBB116_128:                            ;   in Loop: Header=BB116_19 Depth=1
	s_or_b64 exec, exec, s[0:1]
	s_waitcnt lgkmcnt(0)
	s_barrier
.LBB116_129:                            ;   in Loop: Header=BB116_19 Depth=1
	s_and_b64 s[2:3], s[84:85], s[20:21]
	s_or_b64 s[6:7], s[82:83], s[12:13]
	s_mov_b64 s[0:1], 0
	s_mov_b32 s45, 8
.LBB116_130:                            ;   in Loop: Header=BB116_19 Depth=1
	s_andn2_b64 vcc, exec, s[0:1]
	s_cbranch_vccnz .LBB116_132
; %bb.131:                              ;   in Loop: Header=BB116_19 Depth=1
	s_sub_u32 s50, s50, s16
	s_subb_u32 s51, s51, s17
	s_mov_b64 s[0:1], -1
	s_mov_b32 s45, 0
	s_mov_b64 s[2:3], s[84:85]
	s_mov_b64 s[6:7], s[82:83]
.LBB116_132:                            ;   in Loop: Header=BB116_19 Depth=1
	s_mov_b64 s[82:83], s[6:7]
	s_mov_b64 s[84:85], s[2:3]
	s_mov_b64 s[16:17], -1
	s_and_b64 vcc, exec, s[0:1]
	s_cbranch_vccnz .LBB116_135
.LBB116_133:                            ;   in Loop: Header=BB116_19 Depth=1
	s_mov_b64 s[0:1], -1
                                        ; implicit-def: $sgpr22_sgpr23
                                        ; implicit-def: $sgpr28_sgpr29
                                        ; implicit-def: $sgpr24_sgpr25
	s_and_saveexec_b64 s[2:3], s[0:1]
	s_xor_b64 s[0:1], exec, s[2:3]
	s_cbranch_execz .LBB116_17
	s_branch .LBB116_284
.LBB116_134:                            ;   in Loop: Header=BB116_19 Depth=1
	s_mov_b64 s[50:51], 1
	s_mov_b64 s[16:17], -1
	s_branch .LBB116_133
.LBB116_135:                            ;   in Loop: Header=BB116_19 Depth=1
	s_cmp_eq_u64 s[34:35], 1
	s_cselect_b64 s[0:1], -1, 0
	s_cmp_eq_u64 s[50:51], 1
	s_cselect_b64 s[2:3], -1, 0
	s_mov_b64 s[74:75], s[36:37]
	s_and_b64 s[36:37], s[0:1], s[2:3]
	s_mov_b64 s[88:89], s[30:31]
	s_mov_b64 s[2:3], -1
	s_and_b64 vcc, exec, s[36:37]
	s_cbranch_vccz .LBB116_150
; %bb.136:                              ;   in Loop: Header=BB116_19 Depth=1
	s_waitcnt vmcnt(0)
	ds_read_b64 v[6:7], v3 offset:5120
	v_readlane_b32 s4, v56, 10
	v_readlane_b32 s5, v56, 11
	s_waitcnt lgkmcnt(0)
	s_barrier
	v_readfirstlane_b32 s0, v6
	v_readfirstlane_b32 s1, v7
	s_and_saveexec_b64 s[2:3], s[4:5]
	s_cbranch_execz .LBB116_138
; %bb.137:                              ;   in Loop: Header=BB116_19 Depth=1
	v_mov_b32_e32 v2, v3
	ds_write_b64 v40, v[2:3]
.LBB116_138:                            ;   in Loop: Header=BB116_19 Depth=1
	s_or_b64 exec, exec, s[2:3]
	s_lshl_b64 s[2:3], 1, s44
	s_and_b64 s[6:7], s[84:85], s[20:21]
	s_or_b64 s[84:85], s[6:7], s[2:3]
	s_or_b64 s[82:83], s[82:83], s[12:13]
	s_cmp_eq_u64 s[0:1], 0
	s_waitcnt lgkmcnt(0)
	s_barrier
	s_cbranch_scc1 .LBB116_156
; %bb.139:                              ;   in Loop: Header=BB116_19 Depth=1
	v_readlane_b32 s2, v56, 16
	s_add_u32 s8, s2, s0
	v_readlane_b32 s2, v56, 17
	s_addc_u32 s3, s2, s1
	s_mov_b32 s2, s71
	s_cmp_lg_u64 s[2:3], 0
	s_cbranch_scc0 .LBB116_201
; %bb.140:                              ;   in Loop: Header=BB116_19 Depth=1
	v_cvt_f32_u32_e32 v2, s33
	s_sub_u32 s2, 0, s33
	s_subb_u32 s6, 0, 0
	v_mac_f32_e32 v2, 0, v45
	v_rcp_f32_e32 v2, v2
	v_mul_f32_e32 v2, 0x5f7ffffc, v2
	v_mul_f32_e32 v4, 0x2f800000, v2
	v_trunc_f32_e32 v4, v4
	v_mac_f32_e32 v2, 0xcf800000, v4
	v_cvt_u32_f32_e32 v4, v4
	v_cvt_u32_f32_e32 v2, v2
	v_readfirstlane_b32 s7, v4
	v_readfirstlane_b32 s9, v2
	s_mul_i32 s22, s2, s7
	s_mul_hi_u32 s24, s2, s9
	s_mul_i32 s23, s6, s9
	s_add_i32 s22, s24, s22
	s_mul_i32 s25, s2, s9
	s_add_i32 s22, s22, s23
	s_mul_hi_u32 s24, s9, s25
	s_mul_hi_u32 s23, s9, s22
	s_mul_i32 s9, s9, s22
	s_add_u32 s9, s24, s9
	s_addc_u32 s23, 0, s23
	s_mul_hi_u32 s26, s7, s25
	s_mul_i32 s25, s7, s25
	s_add_u32 s9, s9, s25
	s_mul_hi_u32 s24, s7, s22
	s_addc_u32 s9, s23, s26
	s_addc_u32 s23, s24, 0
	s_mul_i32 s22, s7, s22
	s_add_u32 s9, s9, s22
	s_addc_u32 s22, 0, s23
	v_add_co_u32_e32 v2, vcc, s9, v2
	s_cmp_lg_u64 vcc, 0
	s_addc_u32 s7, s7, s22
	v_readfirstlane_b32 s22, v2
	s_mul_i32 s9, s2, s7
	s_mul_hi_u32 s23, s2, s22
	s_add_i32 s9, s23, s9
	s_mul_i32 s6, s6, s22
	s_add_i32 s9, s9, s6
	s_mul_i32 s2, s2, s22
	s_mul_hi_u32 s23, s7, s2
	s_mul_i32 s24, s7, s2
	s_mul_i32 s26, s22, s9
	s_mul_hi_u32 s2, s22, s2
	s_mul_hi_u32 s25, s22, s9
	s_add_u32 s2, s2, s26
	s_addc_u32 s22, 0, s25
	s_add_u32 s2, s2, s24
	s_mul_hi_u32 s6, s7, s9
	s_addc_u32 s2, s22, s23
	s_addc_u32 s6, s6, 0
	s_mul_i32 s9, s7, s9
	s_add_u32 s2, s2, s9
	s_addc_u32 s6, 0, s6
	v_add_co_u32_e32 v2, vcc, s2, v2
	s_cmp_lg_u64 vcc, 0
	s_addc_u32 s2, s7, s6
	v_readfirstlane_b32 s9, v2
	s_mul_i32 s7, s8, s2
	s_mul_hi_u32 s22, s8, s9
	s_mul_hi_u32 s6, s8, s2
	s_add_u32 s7, s22, s7
	s_addc_u32 s6, 0, s6
	s_mul_hi_u32 s23, s3, s9
	s_mul_i32 s9, s3, s9
	s_add_u32 s7, s7, s9
	s_mul_hi_u32 s22, s3, s2
	s_addc_u32 s6, s6, s23
	s_addc_u32 s7, s22, 0
	s_mul_i32 s2, s3, s2
	s_add_u32 s2, s6, s2
	s_addc_u32 s6, 0, s7
	s_mul_hi_u32 s7, s33, s2
	s_mul_i32 s2, s33, s2
	s_mul_i32 s6, s33, s6
	v_mov_b32_e32 v2, s2
	s_add_i32 s7, s7, s6
	v_sub_co_u32_e32 v2, vcc, s8, v2
	s_cmp_lg_u64 vcc, 0
	s_subb_u32 s2, s3, s7
	v_subrev_co_u32_e32 v4, vcc, s33, v2
	s_cmp_lg_u64 vcc, 0
	s_subb_u32 s6, s2, 0
	v_subrev_co_u32_e32 v6, vcc, s33, v4
	s_cmp_lg_u64 vcc, 0
	s_subb_u32 s7, s6, 0
	v_cmp_le_u32_e32 vcc, s33, v4
	s_cmp_eq_u32 s6, 0
	v_cndmask_b32_e64 v7, 0, -1, vcc
	s_cselect_b64 vcc, -1, 0
	v_cndmask_b32_e32 v7, -1, v7, vcc
	v_mov_b32_e32 v8, s6
	v_mov_b32_e32 v9, s7
	v_cmp_ne_u32_e32 vcc, 0, v7
	v_cndmask_b32_e32 v7, v8, v9, vcc
	v_cndmask_b32_e32 v4, v4, v6, vcc
	v_cmp_le_u32_e32 vcc, s33, v2
	s_cmp_eq_u32 s2, 0
	v_cndmask_b32_e64 v6, 0, -1, vcc
	s_cselect_b64 vcc, -1, 0
	v_cndmask_b32_e32 v6, -1, v6, vcc
	v_mov_b32_e32 v8, s2
	v_cmp_ne_u32_e32 vcc, 0, v6
	v_cndmask_b32_e32 v7, v8, v7, vcc
	v_cndmask_b32_e32 v6, v2, v4, vcc
	s_cbranch_execnz .LBB116_142
.LBB116_141:                            ;   in Loop: Header=BB116_19 Depth=1
	v_cvt_f32_u32_e32 v2, s33
	s_sub_i32 s2, 0, s33
	v_rcp_iflag_f32_e32 v2, v2
	v_mul_f32_e32 v2, 0x4f7ffffe, v2
	v_cvt_u32_f32_e32 v2, v2
	v_mul_lo_u32 v4, s2, v2
	v_mul_hi_u32 v4, v2, v4
	v_add_u32_e32 v2, v2, v4
	v_mul_hi_u32 v2, s8, v2
	v_mul_lo_u32 v2, v2, s33
	v_sub_u32_e32 v2, s8, v2
	v_subrev_u32_e32 v4, s33, v2
	v_cmp_le_u32_e32 vcc, s33, v2
	v_cndmask_b32_e32 v2, v2, v4, vcc
	v_subrev_u32_e32 v4, s33, v2
	v_cmp_le_u32_e32 vcc, s33, v2
	v_cndmask_b32_e32 v2, v2, v4, vcc
	v_pk_mov_b32 v[6:7], v[2:3], v[2:3] op_sel:[0,1]
.LBB116_142:                            ;   in Loop: Header=BB116_19 Depth=1
	v_mov_b32_e32 v2, s3
	v_sub_co_u32_e32 v10, vcc, s8, v6
	v_subb_co_u32_e32 v11, vcc, v2, v7, vcc
	v_cmp_gt_u64_e32 vcc, v[10:11], v[0:1]
	s_mov_b64 s[2:3], 0
                                        ; implicit-def: $vgpr8_vgpr9
	s_and_saveexec_b64 s[8:9], vcc
	s_cbranch_execz .LBB116_158
; %bb.143:                              ;   in Loop: Header=BB116_19 Depth=1
	s_mov_b64 s[22:23], 0
	v_mov_b32_e32 v2, v39
	v_pk_mov_b32 v[12:13], v[0:1], v[0:1] op_sel:[0,1]
                                        ; implicit-def: $sgpr2_sgpr3
	s_branch .LBB116_145
.LBB116_144:                            ;   in Loop: Header=BB116_145 Depth=2
	s_or_b64 exec, exec, s[6:7]
	s_waitcnt lgkmcnt(0)
	s_barrier
	ds_read_b128 v[6:9], v3 offset:3072
	v_mov_b32_e32 v4, s72
	v_add_co_u32_e64 v12, s[6:7], s33, v12
	v_addc_co_u32_e64 v13, s[6:7], v13, v4, s[6:7]
	s_waitcnt lgkmcnt(0)
	v_cmp_neq_f64_e32 vcc, 0, v[6:7]
	v_cmp_ge_u64_e64 s[6:7], v[12:13], v[10:11]
	s_or_b64 s[6:7], s[6:7], vcc
	s_and_b64 s[6:7], exec, s[6:7]
	s_or_b64 s[22:23], s[6:7], s[22:23]
	s_andn2_b64 s[2:3], s[2:3], exec
	s_and_b64 s[6:7], vcc, exec
	v_add_u32_e32 v2, s81, v2
	s_or_b64 s[2:3], s[2:3], s[6:7]
	s_barrier
	s_andn2_b64 exec, exec, s[22:23]
	s_cbranch_execz .LBB116_157
.LBB116_145:                            ;   Parent Loop BB116_19 Depth=1
                                        ; =>  This Inner Loop Header: Depth=2
	v_cmp_gt_u64_e32 vcc, s[0:1], v[12:13]
	v_pk_mov_b32 v[6:7], 0, 0
	s_and_saveexec_b64 s[6:7], vcc
	s_cbranch_execz .LBB116_147
; %bb.146:                              ;   in Loop: Header=BB116_145 Depth=2
	ds_read_b64 v[6:7], v2
.LBB116_147:                            ;   in Loop: Header=BB116_145 Depth=2
	s_or_b64 exec, exec, s[6:7]
	s_and_saveexec_b64 s[6:7], vcc
	s_cbranch_execz .LBB116_144
; %bb.148:                              ;   in Loop: Header=BB116_145 Depth=2
	s_waitcnt lgkmcnt(0)
	v_ashrrev_i32_e32 v4, 31, v7
	v_or_b32_e32 v8, 0x80000000, v4
	v_xor_b32_e32 v8, v8, v7
	v_xor_b32_e32 v4, v4, v6
	v_cmp_o_f64_e32 vcc, v[6:7], v[6:7]
	v_cndmask_b32_e32 v8, -1, v8, vcc
	v_cndmask_b32_e32 v4, -1, v4, vcc
	v_and_b32_e32 v9, s83, v8
	v_and_b32_e32 v8, s82, v4
	v_cmp_eq_u64_e32 vcc, s[84:85], v[8:9]
	s_and_b64 exec, exec, vcc
	s_cbranch_execz .LBB116_144
; %bb.149:                              ;   in Loop: Header=BB116_145 Depth=2
	v_mov_b32_e32 v4, v3
	ds_write_b128 v3, v[4:7] offset:3072
	s_branch .LBB116_144
.LBB116_150:                            ;   in Loop: Header=BB116_19 Depth=1
                                        ; implicit-def: $sgpr24_sgpr25
                                        ; implicit-def: $sgpr28_sgpr29
                                        ; implicit-def: $sgpr22_sgpr23
	s_branch .LBB116_172
.LBB116_151:                            ;   in Loop: Header=BB116_19 Depth=1
                                        ; implicit-def: $vgpr6_vgpr7
	s_branch .LBB116_96
.LBB116_152:                            ;   in Loop: Header=BB116_19 Depth=1
	s_or_b64 exec, exec, s[0:1]
	s_barrier
	s_mov_b64 s[0:1], exec
	v_readlane_b32 s2, v56, 8
	v_readlane_b32 s3, v56, 9
	s_and_b64 s[2:3], s[0:1], s[2:3]
	s_mov_b64 exec, s[2:3]
	s_cbranch_execz .LBB116_154
; %bb.153:                              ;   in Loop: Header=BB116_19 Depth=1
	s_waitcnt vmcnt(0)
	ds_read_b32 v6, v3 offset:5144
	s_waitcnt lgkmcnt(0)
	v_ashrrev_i32_e32 v7, 31, v6
	ds_write_b64 v3, v[6:7] offset:5120
.LBB116_154:                            ;   in Loop: Header=BB116_19 Depth=1
	s_or_b64 exec, exec, s[0:1]
	s_waitcnt lgkmcnt(0)
	s_barrier
	s_mov_b64 s[0:1], -1
	s_and_b64 vcc, exec, s[54:55]
	s_cbranch_vccnz .LBB116_37
	s_branch .LBB116_47
.LBB116_155:                            ;   in Loop: Header=BB116_19 Depth=1
                                        ; implicit-def: $vgpr6_vgpr7
	s_branch .LBB116_111
.LBB116_156:                            ;   in Loop: Header=BB116_19 Depth=1
	s_mov_b64 s[24:25], -1
	s_mov_b64 s[2:3], 0
                                        ; implicit-def: $sgpr22_sgpr23
                                        ; implicit-def: $vgpr8_vgpr9
	s_mov_b64 s[28:29], s[24:25]
	s_cbranch_execnz .LBB116_159
	s_branch .LBB116_172
.LBB116_157:                            ;   in Loop: Header=BB116_19 Depth=1
	s_or_b64 exec, exec, s[22:23]
	s_and_b64 s[2:3], s[2:3], exec
.LBB116_158:                            ;   in Loop: Header=BB116_19 Depth=1
	s_or_b64 exec, exec, s[8:9]
	s_mov_b64 s[22:23], -1
	s_mov_b64 s[24:25], 0
	s_mov_b64 s[28:29], s[24:25]
	s_branch .LBB116_172
.LBB116_159:                            ;   in Loop: Header=BB116_19 Depth=1
	s_mov_b32 s68, s71
	s_cmp_lg_u64 s[68:69], 0
	s_cbranch_scc0 .LBB116_202
; %bb.160:                              ;   in Loop: Header=BB116_19 Depth=1
	v_cvt_f32_u32_e32 v2, s33
	s_sub_u32 s0, 0, s33
	s_subb_u32 s1, 0, 0
	v_mac_f32_e32 v2, 0, v45
	v_rcp_f32_e32 v2, v2
	v_mul_f32_e32 v2, 0x5f7ffffc, v2
	v_mul_f32_e32 v4, 0x2f800000, v2
	v_trunc_f32_e32 v4, v4
	v_mac_f32_e32 v2, 0xcf800000, v4
	v_cvt_u32_f32_e32 v4, v4
	v_cvt_u32_f32_e32 v2, v2
	v_readfirstlane_b32 s2, v4
	v_readfirstlane_b32 s3, v2
	s_mul_i32 s6, s0, s2
	s_mul_hi_u32 s8, s0, s3
	s_mul_i32 s7, s1, s3
	s_add_i32 s6, s8, s6
	s_mul_i32 s9, s0, s3
	s_add_i32 s6, s6, s7
	s_mul_hi_u32 s8, s3, s9
	s_mul_hi_u32 s7, s3, s6
	s_mul_i32 s3, s3, s6
	s_add_u32 s3, s8, s3
	s_addc_u32 s7, 0, s7
	s_mul_hi_u32 s22, s2, s9
	s_mul_i32 s9, s2, s9
	s_add_u32 s3, s3, s9
	s_mul_hi_u32 s8, s2, s6
	s_addc_u32 s3, s7, s22
	s_addc_u32 s7, s8, 0
	s_mul_i32 s6, s2, s6
	s_add_u32 s3, s3, s6
	s_addc_u32 s6, 0, s7
	v_add_co_u32_e32 v2, vcc, s3, v2
	s_cmp_lg_u64 vcc, 0
	s_addc_u32 s2, s2, s6
	v_readfirstlane_b32 s6, v2
	s_mul_i32 s3, s0, s2
	s_mul_hi_u32 s7, s0, s6
	s_add_i32 s3, s7, s3
	s_mul_i32 s1, s1, s6
	s_add_i32 s3, s3, s1
	s_mul_i32 s0, s0, s6
	s_mul_hi_u32 s7, s2, s0
	s_mul_i32 s8, s2, s0
	s_mul_i32 s22, s6, s3
	s_mul_hi_u32 s0, s6, s0
	s_mul_hi_u32 s9, s6, s3
	s_add_u32 s0, s0, s22
	s_addc_u32 s6, 0, s9
	s_add_u32 s0, s0, s8
	s_mul_hi_u32 s1, s2, s3
	s_addc_u32 s0, s6, s7
	s_addc_u32 s1, s1, 0
	s_mul_i32 s3, s2, s3
	s_add_u32 s0, s0, s3
	s_addc_u32 s1, 0, s1
	v_add_co_u32_e32 v2, vcc, s0, v2
	s_cmp_lg_u64 vcc, 0
	s_addc_u32 s0, s2, s1
	v_readfirstlane_b32 s3, v2
	s_mul_i32 s2, s60, s0
	s_mul_hi_u32 s6, s60, s3
	s_mul_hi_u32 s1, s60, s0
	s_add_u32 s2, s6, s2
	s_addc_u32 s1, 0, s1
	s_mul_hi_u32 s7, s69, s3
	s_mul_i32 s3, s69, s3
	s_add_u32 s2, s2, s3
	s_mul_hi_u32 s6, s69, s0
	s_addc_u32 s1, s1, s7
	s_addc_u32 s2, s6, 0
	s_mul_i32 s0, s69, s0
	s_add_u32 s0, s1, s0
	s_addc_u32 s1, 0, s2
	s_mul_hi_u32 s2, s33, s0
	s_mul_i32 s0, s33, s0
	s_mul_i32 s1, s33, s1
	v_mov_b32_e32 v2, s0
	s_add_i32 s2, s2, s1
	v_sub_co_u32_e32 v2, vcc, s60, v2
	s_cmp_lg_u64 vcc, 0
	s_subb_u32 s0, s69, s2
	v_subrev_co_u32_e32 v4, vcc, s33, v2
	s_cmp_lg_u64 vcc, 0
	s_subb_u32 s1, s0, 0
	v_subrev_co_u32_e32 v6, vcc, s33, v4
	s_cmp_lg_u64 vcc, 0
	s_subb_u32 s2, s1, 0
	v_cmp_le_u32_e32 vcc, s33, v4
	s_cmp_eq_u32 s1, 0
	v_cndmask_b32_e64 v7, 0, -1, vcc
	s_cselect_b64 vcc, -1, 0
	v_cndmask_b32_e32 v7, -1, v7, vcc
	v_mov_b32_e32 v8, s1
	v_mov_b32_e32 v9, s2
	v_cmp_ne_u32_e32 vcc, 0, v7
	v_cndmask_b32_e32 v7, v8, v9, vcc
	v_cndmask_b32_e32 v4, v4, v6, vcc
	v_cmp_le_u32_e32 vcc, s33, v2
	s_cmp_eq_u32 s0, 0
	v_cndmask_b32_e64 v6, 0, -1, vcc
	s_cselect_b64 vcc, -1, 0
	v_cndmask_b32_e32 v6, -1, v6, vcc
	v_mov_b32_e32 v8, s0
	v_cmp_ne_u32_e32 vcc, 0, v6
	v_cndmask_b32_e32 v7, v8, v7, vcc
	v_cndmask_b32_e32 v6, v2, v4, vcc
	s_cbranch_execnz .LBB116_162
.LBB116_161:                            ;   in Loop: Header=BB116_19 Depth=1
	v_cvt_f32_u32_e32 v2, s33
	s_sub_i32 s0, 0, s33
	v_rcp_iflag_f32_e32 v2, v2
	v_mul_f32_e32 v2, 0x4f7ffffe, v2
	v_cvt_u32_f32_e32 v2, v2
	v_mul_lo_u32 v4, s0, v2
	v_mul_hi_u32 v4, v2, v4
	v_add_u32_e32 v2, v2, v4
	v_mul_hi_u32 v2, s60, v2
	v_mul_lo_u32 v2, v2, s33
	v_sub_u32_e32 v2, s60, v2
	v_subrev_u32_e32 v4, s33, v2
	v_cmp_le_u32_e32 vcc, s33, v2
	v_cndmask_b32_e32 v2, v2, v4, vcc
	v_subrev_u32_e32 v4, s33, v2
	v_cmp_le_u32_e32 vcc, s33, v2
	v_cndmask_b32_e32 v2, v2, v4, vcc
	v_pk_mov_b32 v[6:7], v[2:3], v[2:3] op_sel:[0,1]
.LBB116_162:                            ;   in Loop: Header=BB116_19 Depth=1
	v_mov_b32_e32 v2, s69
	v_sub_co_u32_e32 v10, vcc, s60, v6
	v_subb_co_u32_e32 v11, vcc, v2, v7, vcc
	v_cmp_gt_u64_e32 vcc, v[10:11], v[0:1]
	s_mov_b64 s[2:3], 0
                                        ; implicit-def: $vgpr8_vgpr9
	s_and_saveexec_b64 s[0:1], vcc
	s_cbranch_execz .LBB116_171
; %bb.163:                              ;   in Loop: Header=BB116_19 Depth=1
	s_mov_b64 s[8:9], 0
	v_pk_mov_b32 v[12:13], v[18:19], v[18:19] op_sel:[0,1]
	v_pk_mov_b32 v[14:15], v[0:1], v[0:1] op_sel:[0,1]
                                        ; implicit-def: $sgpr2_sgpr3
	s_branch .LBB116_165
.LBB116_164:                            ;   in Loop: Header=BB116_165 Depth=2
	s_or_b64 exec, exec, s[6:7]
	s_waitcnt lgkmcnt(0)
	s_barrier
	s_waitcnt vmcnt(0)
	ds_read_b128 v[6:9], v3 offset:3072
	v_mov_b32_e32 v2, s72
	v_add_co_u32_e64 v14, s[6:7], s33, v14
	v_addc_co_u32_e64 v15, s[6:7], v15, v2, s[6:7]
	s_waitcnt lgkmcnt(0)
	v_cmp_neq_f64_e32 vcc, 0, v[6:7]
	v_cmp_ge_u64_e64 s[6:7], v[14:15], v[10:11]
	s_or_b64 s[22:23], s[6:7], vcc
	v_mov_b32_e32 v2, s67
	v_add_co_u32_e64 v12, s[6:7], s66, v12
	v_addc_co_u32_e64 v13, s[6:7], v13, v2, s[6:7]
	s_and_b64 s[6:7], exec, s[22:23]
	s_or_b64 s[8:9], s[6:7], s[8:9]
	s_andn2_b64 s[2:3], s[2:3], exec
	s_and_b64 s[6:7], vcc, exec
	s_or_b64 s[2:3], s[2:3], s[6:7]
	s_barrier
	s_andn2_b64 exec, exec, s[8:9]
	s_cbranch_execz .LBB116_170
.LBB116_165:                            ;   Parent Loop BB116_19 Depth=1
                                        ; =>  This Inner Loop Header: Depth=2
	v_cmp_gt_u64_e32 vcc, s[52:53], v[14:15]
	v_pk_mov_b32 v[6:7], 0, 0
	s_and_saveexec_b64 s[6:7], vcc
	s_cbranch_execz .LBB116_167
; %bb.166:                              ;   in Loop: Header=BB116_165 Depth=2
	global_load_dwordx2 v[6:7], v[12:13], off
.LBB116_167:                            ;   in Loop: Header=BB116_165 Depth=2
	s_or_b64 exec, exec, s[6:7]
	s_and_saveexec_b64 s[6:7], vcc
	s_cbranch_execz .LBB116_164
; %bb.168:                              ;   in Loop: Header=BB116_165 Depth=2
	s_waitcnt vmcnt(0)
	v_ashrrev_i32_e32 v2, 31, v7
	v_or_b32_e32 v4, 0x80000000, v2
	v_xor_b32_e32 v4, v4, v7
	v_xor_b32_e32 v2, v2, v6
	v_cmp_o_f64_e32 vcc, v[6:7], v[6:7]
	v_cndmask_b32_e32 v4, -1, v4, vcc
	v_cndmask_b32_e32 v2, -1, v2, vcc
	v_and_b32_e32 v9, s83, v4
	v_and_b32_e32 v8, s82, v2
	v_cmp_eq_u64_e32 vcc, s[84:85], v[8:9]
	s_and_b64 exec, exec, vcc
	s_cbranch_execz .LBB116_164
; %bb.169:                              ;   in Loop: Header=BB116_165 Depth=2
	v_mov_b32_e32 v4, v3
	ds_write_b128 v3, v[4:7] offset:3072
	s_branch .LBB116_164
.LBB116_170:                            ;   in Loop: Header=BB116_19 Depth=1
	s_or_b64 exec, exec, s[8:9]
	s_and_b64 s[2:3], s[2:3], exec
.LBB116_171:                            ;   in Loop: Header=BB116_19 Depth=1
	s_or_b64 exec, exec, s[0:1]
	s_mov_b64 s[28:29], -1
	s_mov_b64 s[24:25], 0
	s_mov_b64 s[22:23], 0
.LBB116_172:                            ;   in Loop: Header=BB116_19 Depth=1
	s_mov_b64 s[0:1], 0
                                        ; implicit-def: $sgpr45
	s_and_saveexec_b64 s[30:31], s[2:3]
	s_cbranch_execz .LBB116_283
; %bb.173:                              ;   in Loop: Header=BB116_19 Depth=1
	s_xor_b64 s[0:1], s[36:37], -1
	s_andn2_b64 vcc, exec, s[0:1]
	s_mov_b32 s45, 1
	s_cbranch_vccnz .LBB116_184
; %bb.174:                              ;   in Loop: Header=BB116_19 Depth=1
	s_waitcnt vmcnt(0)
	v_pk_mov_b32 v[6:7], s[34:35], s[34:35] op_sel:[0,1]
	v_cmp_gt_u64_e32 vcc, s[50:51], v[6:7]
	s_mov_b64 s[0:1], -1
                                        ; implicit-def: $sgpr45
                                        ; implicit-def: $sgpr2_sgpr3
                                        ; implicit-def: $sgpr6_sgpr7
	s_cbranch_vccnz .LBB116_180
; %bb.175:                              ;   in Loop: Header=BB116_19 Depth=1
	ds_read_b64 v[6:7], v3 offset:5120
	s_waitcnt lgkmcnt(0)
	v_cmp_ne_u64_e32 vcc, 0, v[6:7]
	s_cbranch_vccnz .LBB116_179
; %bb.176:                              ;   in Loop: Header=BB116_19 Depth=1
	s_mov_b64 s[0:1], exec
	v_readlane_b32 s2, v56, 8
	v_readlane_b32 s3, v56, 9
	s_and_b64 s[2:3], s[0:1], s[2:3]
	s_mov_b64 exec, s[2:3]
	s_cbranch_execz .LBB116_178
; %bb.177:                              ;   in Loop: Header=BB116_19 Depth=1
	v_pk_mov_b32 v[6:7], s[34:35], s[34:35] op_sel:[0,1]
	ds_write_b64 v3, v[6:7] offset:5128
.LBB116_178:                            ;   in Loop: Header=BB116_19 Depth=1
	s_or_b64 exec, exec, s[0:1]
	s_waitcnt lgkmcnt(0)
	s_barrier
.LBB116_179:                            ;   in Loop: Header=BB116_19 Depth=1
	s_lshl_b64 s[0:1], 1, s44
	s_and_b64 s[2:3], s[84:85], s[20:21]
	s_or_b64 s[2:3], s[2:3], s[0:1]
	s_or_b64 s[6:7], s[82:83], s[12:13]
	s_mov_b64 s[0:1], 0
	s_mov_b32 s45, 8
.LBB116_180:                            ;   in Loop: Header=BB116_19 Depth=1
	s_andn2_b64 vcc, exec, s[0:1]
	s_cbranch_vccnz .LBB116_182
; %bb.181:                              ;   in Loop: Header=BB116_19 Depth=1
	s_sub_u32 s50, s50, s34
	s_subb_u32 s51, s51, s35
	s_mov_b64 s[0:1], -1
	s_mov_b32 s45, 0
	s_mov_b64 s[2:3], s[84:85]
	s_mov_b64 s[6:7], s[82:83]
.LBB116_182:                            ;   in Loop: Header=BB116_19 Depth=1
	s_mov_b64 s[82:83], s[6:7]
	s_mov_b64 s[84:85], s[2:3]
	s_andn2_b64 vcc, exec, s[0:1]
	s_mov_b64 s[0:1], -1
	s_cbranch_vccz .LBB116_185
.LBB116_183:                            ;   in Loop: Header=BB116_19 Depth=1
	s_mov_b64 s[58:59], s[38:39]
                                        ; implicit-def: $sgpr36_sgpr37
                                        ; implicit-def: $sgpr38_sgpr39
                                        ; implicit-def: $sgpr34_sgpr35
	s_branch .LBB116_282
.LBB116_184:                            ;   in Loop: Header=BB116_19 Depth=1
	s_mov_b64 s[50:51], 1
	s_mov_b64 s[0:1], -1
	s_cbranch_execnz .LBB116_183
.LBB116_185:                            ;   in Loop: Header=BB116_19 Depth=1
	s_cmp_eq_u64 s[18:19], 1
	s_cselect_b64 s[0:1], -1, 0
	s_cmp_eq_u64 s[50:51], 1
	s_cselect_b64 s[2:3], -1, 0
	s_mov_b64 s[56:57], s[42:43]
	s_and_b64 s[42:43], s[0:1], s[2:3]
	s_mov_b64 s[54:55], s[40:41]
	s_mov_b64 s[2:3], -1
	s_and_b64 vcc, exec, s[42:43]
	s_cbranch_vccz .LBB116_200
; %bb.186:                              ;   in Loop: Header=BB116_19 Depth=1
	s_waitcnt vmcnt(0)
	ds_read_b64 v[6:7], v3 offset:5120
	v_readlane_b32 s4, v56, 10
	v_readlane_b32 s5, v56, 11
	s_waitcnt lgkmcnt(0)
	s_barrier
	v_readfirstlane_b32 s0, v6
	v_readfirstlane_b32 s1, v7
	s_and_saveexec_b64 s[2:3], s[4:5]
	s_cbranch_execz .LBB116_188
; %bb.187:                              ;   in Loop: Header=BB116_19 Depth=1
	v_mov_b32_e32 v2, v3
	ds_write_b64 v40, v[2:3]
.LBB116_188:                            ;   in Loop: Header=BB116_19 Depth=1
	s_or_b64 exec, exec, s[2:3]
	s_lshl_b64 s[2:3], 2, s44
	s_and_b64 s[6:7], s[84:85], s[20:21]
	s_or_b64 s[84:85], s[6:7], s[2:3]
	s_or_b64 s[82:83], s[82:83], s[12:13]
	s_cmp_eq_u64 s[0:1], 0
	s_waitcnt lgkmcnt(0)
	s_barrier
	s_cbranch_scc1 .LBB116_203
; %bb.189:                              ;   in Loop: Header=BB116_19 Depth=1
	v_readlane_b32 s2, v56, 16
	s_add_u32 s8, s2, s0
	v_readlane_b32 s2, v56, 17
	s_addc_u32 s3, s2, s1
	s_mov_b32 s2, s71
	s_cmp_lg_u64 s[2:3], 0
	s_cbranch_scc0 .LBB116_248
; %bb.190:                              ;   in Loop: Header=BB116_19 Depth=1
	v_cvt_f32_u32_e32 v2, s33
	s_sub_u32 s2, 0, s33
	s_subb_u32 s6, 0, 0
	v_mac_f32_e32 v2, 0, v45
	v_rcp_f32_e32 v2, v2
	v_mul_f32_e32 v2, 0x5f7ffffc, v2
	v_mul_f32_e32 v4, 0x2f800000, v2
	v_trunc_f32_e32 v4, v4
	v_mac_f32_e32 v2, 0xcf800000, v4
	v_cvt_u32_f32_e32 v4, v4
	v_cvt_u32_f32_e32 v2, v2
	v_readfirstlane_b32 s7, v4
	v_readfirstlane_b32 s9, v2
	s_mul_i32 s26, s2, s7
	s_mul_hi_u32 s34, s2, s9
	s_mul_i32 s27, s6, s9
	s_add_i32 s26, s34, s26
	s_mul_i32 s35, s2, s9
	s_add_i32 s26, s26, s27
	s_mul_hi_u32 s34, s9, s35
	s_mul_hi_u32 s27, s9, s26
	s_mul_i32 s9, s9, s26
	s_add_u32 s9, s34, s9
	s_addc_u32 s27, 0, s27
	s_mul_hi_u32 s36, s7, s35
	s_mul_i32 s35, s7, s35
	s_add_u32 s9, s9, s35
	s_mul_hi_u32 s34, s7, s26
	s_addc_u32 s9, s27, s36
	s_addc_u32 s27, s34, 0
	s_mul_i32 s26, s7, s26
	s_add_u32 s9, s9, s26
	s_addc_u32 s26, 0, s27
	v_add_co_u32_e32 v2, vcc, s9, v2
	s_cmp_lg_u64 vcc, 0
	s_addc_u32 s7, s7, s26
	v_readfirstlane_b32 s26, v2
	s_mul_i32 s9, s2, s7
	s_mul_hi_u32 s27, s2, s26
	s_add_i32 s9, s27, s9
	s_mul_i32 s6, s6, s26
	s_add_i32 s9, s9, s6
	s_mul_i32 s2, s2, s26
	s_mul_hi_u32 s27, s7, s2
	s_mul_i32 s34, s7, s2
	s_mul_i32 s36, s26, s9
	s_mul_hi_u32 s2, s26, s2
	s_mul_hi_u32 s35, s26, s9
	s_add_u32 s2, s2, s36
	s_addc_u32 s26, 0, s35
	s_add_u32 s2, s2, s34
	s_mul_hi_u32 s6, s7, s9
	s_addc_u32 s2, s26, s27
	s_addc_u32 s6, s6, 0
	s_mul_i32 s9, s7, s9
	s_add_u32 s2, s2, s9
	s_addc_u32 s6, 0, s6
	v_add_co_u32_e32 v2, vcc, s2, v2
	s_cmp_lg_u64 vcc, 0
	s_addc_u32 s2, s7, s6
	v_readfirstlane_b32 s9, v2
	s_mul_i32 s7, s8, s2
	s_mul_hi_u32 s26, s8, s9
	s_mul_hi_u32 s6, s8, s2
	s_add_u32 s7, s26, s7
	s_addc_u32 s6, 0, s6
	s_mul_hi_u32 s27, s3, s9
	s_mul_i32 s9, s3, s9
	s_add_u32 s7, s7, s9
	s_mul_hi_u32 s26, s3, s2
	s_addc_u32 s6, s6, s27
	s_addc_u32 s7, s26, 0
	s_mul_i32 s2, s3, s2
	s_add_u32 s2, s6, s2
	s_addc_u32 s6, 0, s7
	s_mul_hi_u32 s7, s33, s2
	s_mul_i32 s2, s33, s2
	s_mul_i32 s6, s33, s6
	v_mov_b32_e32 v2, s2
	s_add_i32 s7, s7, s6
	v_sub_co_u32_e32 v2, vcc, s8, v2
	s_cmp_lg_u64 vcc, 0
	s_subb_u32 s2, s3, s7
	v_subrev_co_u32_e32 v4, vcc, s33, v2
	s_cmp_lg_u64 vcc, 0
	s_subb_u32 s6, s2, 0
	v_subrev_co_u32_e32 v6, vcc, s33, v4
	s_cmp_lg_u64 vcc, 0
	s_subb_u32 s7, s6, 0
	v_cmp_le_u32_e32 vcc, s33, v4
	s_cmp_eq_u32 s6, 0
	v_cndmask_b32_e64 v7, 0, -1, vcc
	s_cselect_b64 vcc, -1, 0
	v_cndmask_b32_e32 v7, -1, v7, vcc
	v_mov_b32_e32 v8, s6
	v_mov_b32_e32 v9, s7
	v_cmp_ne_u32_e32 vcc, 0, v7
	v_cndmask_b32_e32 v7, v8, v9, vcc
	v_cndmask_b32_e32 v4, v4, v6, vcc
	v_cmp_le_u32_e32 vcc, s33, v2
	s_cmp_eq_u32 s2, 0
	v_cndmask_b32_e64 v6, 0, -1, vcc
	s_cselect_b64 vcc, -1, 0
	v_cndmask_b32_e32 v6, -1, v6, vcc
	v_mov_b32_e32 v8, s2
	v_cmp_ne_u32_e32 vcc, 0, v6
	v_cndmask_b32_e32 v7, v8, v7, vcc
	v_cndmask_b32_e32 v6, v2, v4, vcc
	s_cbranch_execnz .LBB116_192
.LBB116_191:                            ;   in Loop: Header=BB116_19 Depth=1
	v_cvt_f32_u32_e32 v2, s33
	s_sub_i32 s2, 0, s33
	v_rcp_iflag_f32_e32 v2, v2
	v_mul_f32_e32 v2, 0x4f7ffffe, v2
	v_cvt_u32_f32_e32 v2, v2
	v_mul_lo_u32 v4, s2, v2
	v_mul_hi_u32 v4, v2, v4
	v_add_u32_e32 v2, v2, v4
	v_mul_hi_u32 v2, s8, v2
	v_mul_lo_u32 v2, v2, s33
	v_sub_u32_e32 v2, s8, v2
	v_subrev_u32_e32 v4, s33, v2
	v_cmp_le_u32_e32 vcc, s33, v2
	v_cndmask_b32_e32 v2, v2, v4, vcc
	v_subrev_u32_e32 v4, s33, v2
	v_cmp_le_u32_e32 vcc, s33, v2
	v_cndmask_b32_e32 v2, v2, v4, vcc
	v_pk_mov_b32 v[6:7], v[2:3], v[2:3] op_sel:[0,1]
.LBB116_192:                            ;   in Loop: Header=BB116_19 Depth=1
	v_mov_b32_e32 v2, s3
	v_sub_co_u32_e32 v10, vcc, s8, v6
	v_subb_co_u32_e32 v11, vcc, v2, v7, vcc
	v_cmp_gt_u64_e32 vcc, v[10:11], v[0:1]
	s_mov_b64 s[2:3], 0
                                        ; implicit-def: $vgpr8_vgpr9
	s_and_saveexec_b64 s[8:9], vcc
	s_cbranch_execz .LBB116_205
; %bb.193:                              ;   in Loop: Header=BB116_19 Depth=1
	s_mov_b64 s[26:27], 0
	v_mov_b32_e32 v2, v39
	v_pk_mov_b32 v[12:13], v[0:1], v[0:1] op_sel:[0,1]
                                        ; implicit-def: $sgpr2_sgpr3
	s_branch .LBB116_195
.LBB116_194:                            ;   in Loop: Header=BB116_195 Depth=2
	s_or_b64 exec, exec, s[6:7]
	s_waitcnt lgkmcnt(0)
	s_barrier
	ds_read_b128 v[6:9], v3 offset:3072
	v_mov_b32_e32 v4, s72
	v_add_co_u32_e64 v12, s[6:7], s33, v12
	v_addc_co_u32_e64 v13, s[6:7], v13, v4, s[6:7]
	s_waitcnt lgkmcnt(0)
	v_cmp_neq_f64_e32 vcc, 0, v[6:7]
	v_cmp_ge_u64_e64 s[6:7], v[12:13], v[10:11]
	s_or_b64 s[6:7], s[6:7], vcc
	s_and_b64 s[6:7], exec, s[6:7]
	s_or_b64 s[26:27], s[6:7], s[26:27]
	s_andn2_b64 s[2:3], s[2:3], exec
	s_and_b64 s[6:7], vcc, exec
	v_add_u32_e32 v2, s81, v2
	s_or_b64 s[2:3], s[2:3], s[6:7]
	s_barrier
	s_andn2_b64 exec, exec, s[26:27]
	s_cbranch_execz .LBB116_204
.LBB116_195:                            ;   Parent Loop BB116_19 Depth=1
                                        ; =>  This Inner Loop Header: Depth=2
	v_cmp_gt_u64_e32 vcc, s[0:1], v[12:13]
	v_pk_mov_b32 v[6:7], 0, 0
	s_and_saveexec_b64 s[6:7], vcc
	s_cbranch_execz .LBB116_197
; %bb.196:                              ;   in Loop: Header=BB116_195 Depth=2
	ds_read_b64 v[6:7], v2
.LBB116_197:                            ;   in Loop: Header=BB116_195 Depth=2
	s_or_b64 exec, exec, s[6:7]
	s_and_saveexec_b64 s[6:7], vcc
	s_cbranch_execz .LBB116_194
; %bb.198:                              ;   in Loop: Header=BB116_195 Depth=2
	s_waitcnt lgkmcnt(0)
	v_ashrrev_i32_e32 v4, 31, v7
	v_or_b32_e32 v8, 0x80000000, v4
	v_xor_b32_e32 v8, v8, v7
	v_xor_b32_e32 v4, v4, v6
	v_cmp_o_f64_e32 vcc, v[6:7], v[6:7]
	v_cndmask_b32_e32 v8, -1, v8, vcc
	v_cndmask_b32_e32 v4, -1, v4, vcc
	v_and_b32_e32 v9, s83, v8
	v_and_b32_e32 v8, s82, v4
	v_cmp_eq_u64_e32 vcc, s[84:85], v[8:9]
	s_and_b64 exec, exec, vcc
	s_cbranch_execz .LBB116_194
; %bb.199:                              ;   in Loop: Header=BB116_195 Depth=2
	v_mov_b32_e32 v4, v3
	ds_write_b128 v3, v[4:7] offset:3072
	s_branch .LBB116_194
.LBB116_200:                            ;   in Loop: Header=BB116_19 Depth=1
	s_mov_b64 s[58:59], s[38:39]
                                        ; implicit-def: $sgpr34_sgpr35
                                        ; implicit-def: $sgpr38_sgpr39
                                        ; implicit-def: $sgpr36_sgpr37
	s_branch .LBB116_219
.LBB116_201:                            ;   in Loop: Header=BB116_19 Depth=1
                                        ; implicit-def: $vgpr6_vgpr7
	s_branch .LBB116_141
.LBB116_202:                            ;   in Loop: Header=BB116_19 Depth=1
                                        ; implicit-def: $vgpr6_vgpr7
	s_branch .LBB116_161
.LBB116_203:                            ;   in Loop: Header=BB116_19 Depth=1
	s_mov_b64 s[58:59], s[38:39]
	s_mov_b64 s[34:35], -1
	s_mov_b64 s[2:3], 0
                                        ; implicit-def: $sgpr36_sgpr37
                                        ; implicit-def: $vgpr8_vgpr9
	s_mov_b64 s[38:39], s[34:35]
	s_cbranch_execnz .LBB116_206
	s_branch .LBB116_219
.LBB116_204:                            ;   in Loop: Header=BB116_19 Depth=1
	s_or_b64 exec, exec, s[26:27]
	s_and_b64 s[2:3], s[2:3], exec
.LBB116_205:                            ;   in Loop: Header=BB116_19 Depth=1
	s_or_b64 exec, exec, s[8:9]
	s_mov_b64 s[58:59], s[38:39]
	s_mov_b64 s[36:37], -1
	s_mov_b64 s[34:35], 0
	s_mov_b64 s[38:39], s[34:35]
	s_branch .LBB116_219
.LBB116_206:                            ;   in Loop: Header=BB116_19 Depth=1
	s_mov_b32 s68, s71
	s_cmp_lg_u64 s[68:69], 0
	s_cbranch_scc0 .LBB116_249
; %bb.207:                              ;   in Loop: Header=BB116_19 Depth=1
	v_cvt_f32_u32_e32 v2, s33
	s_sub_u32 s0, 0, s33
	s_subb_u32 s1, 0, 0
	v_mac_f32_e32 v2, 0, v45
	v_rcp_f32_e32 v2, v2
	v_mul_f32_e32 v2, 0x5f7ffffc, v2
	v_mul_f32_e32 v4, 0x2f800000, v2
	v_trunc_f32_e32 v4, v4
	v_mac_f32_e32 v2, 0xcf800000, v4
	v_cvt_u32_f32_e32 v4, v4
	v_cvt_u32_f32_e32 v2, v2
	v_readfirstlane_b32 s2, v4
	v_readfirstlane_b32 s3, v2
	s_mul_i32 s6, s0, s2
	s_mul_hi_u32 s8, s0, s3
	s_mul_i32 s7, s1, s3
	s_add_i32 s6, s8, s6
	s_mul_i32 s9, s0, s3
	s_add_i32 s6, s6, s7
	s_mul_hi_u32 s8, s3, s9
	s_mul_hi_u32 s7, s3, s6
	s_mul_i32 s3, s3, s6
	s_add_u32 s3, s8, s3
	s_addc_u32 s7, 0, s7
	s_mul_hi_u32 s26, s2, s9
	s_mul_i32 s9, s2, s9
	s_add_u32 s3, s3, s9
	s_mul_hi_u32 s8, s2, s6
	s_addc_u32 s3, s7, s26
	s_addc_u32 s7, s8, 0
	s_mul_i32 s6, s2, s6
	s_add_u32 s3, s3, s6
	s_addc_u32 s6, 0, s7
	v_add_co_u32_e32 v2, vcc, s3, v2
	s_cmp_lg_u64 vcc, 0
	s_addc_u32 s2, s2, s6
	v_readfirstlane_b32 s6, v2
	s_mul_i32 s3, s0, s2
	s_mul_hi_u32 s7, s0, s6
	s_add_i32 s3, s7, s3
	s_mul_i32 s1, s1, s6
	s_add_i32 s3, s3, s1
	s_mul_i32 s0, s0, s6
	s_mul_hi_u32 s7, s2, s0
	s_mul_i32 s8, s2, s0
	s_mul_i32 s26, s6, s3
	s_mul_hi_u32 s0, s6, s0
	s_mul_hi_u32 s9, s6, s3
	s_add_u32 s0, s0, s26
	s_addc_u32 s6, 0, s9
	s_add_u32 s0, s0, s8
	s_mul_hi_u32 s1, s2, s3
	s_addc_u32 s0, s6, s7
	s_addc_u32 s1, s1, 0
	s_mul_i32 s3, s2, s3
	s_add_u32 s0, s0, s3
	s_addc_u32 s1, 0, s1
	v_add_co_u32_e32 v2, vcc, s0, v2
	s_cmp_lg_u64 vcc, 0
	s_addc_u32 s0, s2, s1
	v_readfirstlane_b32 s3, v2
	s_mul_i32 s2, s60, s0
	s_mul_hi_u32 s6, s60, s3
	s_mul_hi_u32 s1, s60, s0
	s_add_u32 s2, s6, s2
	s_addc_u32 s1, 0, s1
	s_mul_hi_u32 s7, s69, s3
	s_mul_i32 s3, s69, s3
	s_add_u32 s2, s2, s3
	s_mul_hi_u32 s6, s69, s0
	s_addc_u32 s1, s1, s7
	s_addc_u32 s2, s6, 0
	s_mul_i32 s0, s69, s0
	s_add_u32 s0, s1, s0
	s_addc_u32 s1, 0, s2
	s_mul_hi_u32 s2, s33, s0
	s_mul_i32 s0, s33, s0
	s_mul_i32 s1, s33, s1
	v_mov_b32_e32 v2, s0
	s_add_i32 s2, s2, s1
	v_sub_co_u32_e32 v2, vcc, s60, v2
	s_cmp_lg_u64 vcc, 0
	s_subb_u32 s0, s69, s2
	v_subrev_co_u32_e32 v4, vcc, s33, v2
	s_cmp_lg_u64 vcc, 0
	s_subb_u32 s1, s0, 0
	v_subrev_co_u32_e32 v6, vcc, s33, v4
	s_cmp_lg_u64 vcc, 0
	s_subb_u32 s2, s1, 0
	v_cmp_le_u32_e32 vcc, s33, v4
	s_cmp_eq_u32 s1, 0
	v_cndmask_b32_e64 v7, 0, -1, vcc
	s_cselect_b64 vcc, -1, 0
	v_cndmask_b32_e32 v7, -1, v7, vcc
	v_mov_b32_e32 v8, s1
	v_mov_b32_e32 v9, s2
	v_cmp_ne_u32_e32 vcc, 0, v7
	v_cndmask_b32_e32 v7, v8, v9, vcc
	v_cndmask_b32_e32 v4, v4, v6, vcc
	v_cmp_le_u32_e32 vcc, s33, v2
	s_cmp_eq_u32 s0, 0
	v_cndmask_b32_e64 v6, 0, -1, vcc
	s_cselect_b64 vcc, -1, 0
	v_cndmask_b32_e32 v6, -1, v6, vcc
	v_mov_b32_e32 v8, s0
	v_cmp_ne_u32_e32 vcc, 0, v6
	v_cndmask_b32_e32 v7, v8, v7, vcc
	v_cndmask_b32_e32 v6, v2, v4, vcc
	s_cbranch_execnz .LBB116_209
.LBB116_208:                            ;   in Loop: Header=BB116_19 Depth=1
	v_cvt_f32_u32_e32 v2, s33
	s_sub_i32 s0, 0, s33
	v_rcp_iflag_f32_e32 v2, v2
	v_mul_f32_e32 v2, 0x4f7ffffe, v2
	v_cvt_u32_f32_e32 v2, v2
	v_mul_lo_u32 v4, s0, v2
	v_mul_hi_u32 v4, v2, v4
	v_add_u32_e32 v2, v2, v4
	v_mul_hi_u32 v2, s60, v2
	v_mul_lo_u32 v2, v2, s33
	v_sub_u32_e32 v2, s60, v2
	v_subrev_u32_e32 v4, s33, v2
	v_cmp_le_u32_e32 vcc, s33, v2
	v_cndmask_b32_e32 v2, v2, v4, vcc
	v_subrev_u32_e32 v4, s33, v2
	v_cmp_le_u32_e32 vcc, s33, v2
	v_cndmask_b32_e32 v2, v2, v4, vcc
	v_pk_mov_b32 v[6:7], v[2:3], v[2:3] op_sel:[0,1]
.LBB116_209:                            ;   in Loop: Header=BB116_19 Depth=1
	v_mov_b32_e32 v2, s69
	v_sub_co_u32_e32 v10, vcc, s60, v6
	v_subb_co_u32_e32 v11, vcc, v2, v7, vcc
	v_cmp_gt_u64_e32 vcc, v[10:11], v[0:1]
	s_mov_b64 s[2:3], 0
                                        ; implicit-def: $vgpr8_vgpr9
	s_and_saveexec_b64 s[0:1], vcc
	s_cbranch_execz .LBB116_218
; %bb.210:                              ;   in Loop: Header=BB116_19 Depth=1
	s_mov_b64 s[8:9], 0
	v_pk_mov_b32 v[12:13], v[18:19], v[18:19] op_sel:[0,1]
	v_pk_mov_b32 v[14:15], v[0:1], v[0:1] op_sel:[0,1]
                                        ; implicit-def: $sgpr2_sgpr3
	s_branch .LBB116_212
.LBB116_211:                            ;   in Loop: Header=BB116_212 Depth=2
	s_or_b64 exec, exec, s[6:7]
	s_waitcnt lgkmcnt(0)
	s_barrier
	s_waitcnt vmcnt(0)
	ds_read_b128 v[6:9], v3 offset:3072
	v_mov_b32_e32 v2, s72
	v_add_co_u32_e64 v14, s[6:7], s33, v14
	v_addc_co_u32_e64 v15, s[6:7], v15, v2, s[6:7]
	s_waitcnt lgkmcnt(0)
	v_cmp_neq_f64_e32 vcc, 0, v[6:7]
	v_cmp_ge_u64_e64 s[6:7], v[14:15], v[10:11]
	s_or_b64 s[26:27], s[6:7], vcc
	v_mov_b32_e32 v2, s67
	v_add_co_u32_e64 v12, s[6:7], s66, v12
	v_addc_co_u32_e64 v13, s[6:7], v13, v2, s[6:7]
	s_and_b64 s[6:7], exec, s[26:27]
	s_or_b64 s[8:9], s[6:7], s[8:9]
	s_andn2_b64 s[2:3], s[2:3], exec
	s_and_b64 s[6:7], vcc, exec
	s_or_b64 s[2:3], s[2:3], s[6:7]
	s_barrier
	s_andn2_b64 exec, exec, s[8:9]
	s_cbranch_execz .LBB116_217
.LBB116_212:                            ;   Parent Loop BB116_19 Depth=1
                                        ; =>  This Inner Loop Header: Depth=2
	v_cmp_gt_u64_e32 vcc, s[52:53], v[14:15]
	v_pk_mov_b32 v[6:7], 0, 0
	s_and_saveexec_b64 s[6:7], vcc
	s_cbranch_execz .LBB116_214
; %bb.213:                              ;   in Loop: Header=BB116_212 Depth=2
	global_load_dwordx2 v[6:7], v[12:13], off
.LBB116_214:                            ;   in Loop: Header=BB116_212 Depth=2
	s_or_b64 exec, exec, s[6:7]
	s_and_saveexec_b64 s[6:7], vcc
	s_cbranch_execz .LBB116_211
; %bb.215:                              ;   in Loop: Header=BB116_212 Depth=2
	s_waitcnt vmcnt(0)
	v_ashrrev_i32_e32 v2, 31, v7
	v_or_b32_e32 v4, 0x80000000, v2
	v_xor_b32_e32 v4, v4, v7
	v_xor_b32_e32 v2, v2, v6
	v_cmp_o_f64_e32 vcc, v[6:7], v[6:7]
	v_cndmask_b32_e32 v4, -1, v4, vcc
	v_cndmask_b32_e32 v2, -1, v2, vcc
	v_and_b32_e32 v9, s83, v4
	v_and_b32_e32 v8, s82, v2
	v_cmp_eq_u64_e32 vcc, s[84:85], v[8:9]
	s_and_b64 exec, exec, vcc
	s_cbranch_execz .LBB116_211
; %bb.216:                              ;   in Loop: Header=BB116_212 Depth=2
	v_mov_b32_e32 v4, v3
	ds_write_b128 v3, v[4:7] offset:3072
	s_branch .LBB116_211
.LBB116_217:                            ;   in Loop: Header=BB116_19 Depth=1
	s_or_b64 exec, exec, s[8:9]
	s_and_b64 s[2:3], s[2:3], exec
.LBB116_218:                            ;   in Loop: Header=BB116_19 Depth=1
	s_or_b64 exec, exec, s[0:1]
	s_mov_b64 s[38:39], -1
	s_mov_b64 s[34:35], 0
	s_mov_b64 s[36:37], 0
.LBB116_219:                            ;   in Loop: Header=BB116_19 Depth=1
	s_mov_b64 s[0:1], 0
                                        ; implicit-def: $sgpr45
	s_and_saveexec_b64 s[40:41], s[2:3]
	s_cbranch_execz .LBB116_281
; %bb.220:                              ;   in Loop: Header=BB116_19 Depth=1
	s_xor_b64 s[0:1], s[42:43], -1
	s_andn2_b64 vcc, exec, s[0:1]
	s_mov_b32 s45, 1
	s_cbranch_vccnz .LBB116_231
; %bb.221:                              ;   in Loop: Header=BB116_19 Depth=1
	s_waitcnt vmcnt(0)
	v_pk_mov_b32 v[6:7], s[18:19], s[18:19] op_sel:[0,1]
	v_cmp_gt_u64_e32 vcc, s[50:51], v[6:7]
	s_mov_b64 s[0:1], -1
                                        ; implicit-def: $sgpr45
                                        ; implicit-def: $sgpr2_sgpr3
                                        ; implicit-def: $sgpr6_sgpr7
	s_cbranch_vccnz .LBB116_227
; %bb.222:                              ;   in Loop: Header=BB116_19 Depth=1
	ds_read_b64 v[6:7], v3 offset:5120
	s_waitcnt lgkmcnt(0)
	v_cmp_ne_u64_e32 vcc, 0, v[6:7]
	s_cbranch_vccnz .LBB116_226
; %bb.223:                              ;   in Loop: Header=BB116_19 Depth=1
	s_mov_b64 s[0:1], exec
	v_readlane_b32 s2, v56, 8
	v_readlane_b32 s3, v56, 9
	s_and_b64 s[2:3], s[0:1], s[2:3]
	s_mov_b64 exec, s[2:3]
	s_cbranch_execz .LBB116_225
; %bb.224:                              ;   in Loop: Header=BB116_19 Depth=1
	v_pk_mov_b32 v[6:7], s[18:19], s[18:19] op_sel:[0,1]
	ds_write_b64 v3, v[6:7] offset:5128
.LBB116_225:                            ;   in Loop: Header=BB116_19 Depth=1
	s_or_b64 exec, exec, s[0:1]
	s_waitcnt lgkmcnt(0)
	s_barrier
.LBB116_226:                            ;   in Loop: Header=BB116_19 Depth=1
	s_lshl_b64 s[0:1], 2, s44
	s_and_b64 s[2:3], s[84:85], s[20:21]
	s_or_b64 s[2:3], s[2:3], s[0:1]
	s_or_b64 s[6:7], s[82:83], s[12:13]
	s_mov_b64 s[0:1], 0
	s_mov_b32 s45, 8
.LBB116_227:                            ;   in Loop: Header=BB116_19 Depth=1
	s_andn2_b64 vcc, exec, s[0:1]
	s_cbranch_vccnz .LBB116_229
; %bb.228:                              ;   in Loop: Header=BB116_19 Depth=1
	s_sub_u32 s50, s50, s18
	s_subb_u32 s51, s51, s19
	s_mov_b64 s[0:1], -1
	s_mov_b32 s45, 0
	s_mov_b64 s[2:3], s[84:85]
	s_mov_b64 s[6:7], s[82:83]
.LBB116_229:                            ;   in Loop: Header=BB116_19 Depth=1
	s_mov_b64 s[82:83], s[6:7]
	s_mov_b64 s[84:85], s[2:3]
	s_andn2_b64 vcc, exec, s[0:1]
	s_mov_b64 s[26:27], -1
	s_cbranch_vccz .LBB116_232
.LBB116_230:                            ;   in Loop: Header=BB116_19 Depth=1
                                        ; implicit-def: $sgpr0_sgpr1
                                        ; implicit-def: $sgpr6_sgpr7
                                        ; implicit-def: $sgpr2_sgpr3
	s_branch .LBB116_280
.LBB116_231:                            ;   in Loop: Header=BB116_19 Depth=1
	s_mov_b64 s[50:51], 1
	s_mov_b64 s[26:27], -1
	s_cbranch_execnz .LBB116_230
.LBB116_232:                            ;   in Loop: Header=BB116_19 Depth=1
	s_cmp_eq_u64 s[10:11], 1
	s_cselect_b64 s[0:1], -1, 0
	s_cmp_eq_u64 s[50:51], 1
	s_cselect_b64 s[2:3], -1, 0
	s_and_b64 s[18:19], s[0:1], s[2:3]
	s_mov_b64 s[8:9], -1
	s_and_b64 vcc, exec, s[18:19]
	s_cbranch_vccz .LBB116_247
; %bb.233:                              ;   in Loop: Header=BB116_19 Depth=1
	s_waitcnt vmcnt(0)
	ds_read_b64 v[6:7], v3 offset:5120
	v_readlane_b32 s4, v56, 10
	v_readlane_b32 s5, v56, 11
	s_waitcnt lgkmcnt(0)
	s_barrier
	v_readfirstlane_b32 s0, v6
	v_readfirstlane_b32 s1, v7
	s_and_saveexec_b64 s[2:3], s[4:5]
	s_cbranch_execz .LBB116_235
; %bb.234:                              ;   in Loop: Header=BB116_19 Depth=1
	v_mov_b32_e32 v2, v3
	ds_write_b64 v40, v[2:3]
.LBB116_235:                            ;   in Loop: Header=BB116_19 Depth=1
	s_or_b64 exec, exec, s[2:3]
	s_or_b64 s[84:85], s[84:85], s[12:13]
	s_or_b64 s[82:83], s[82:83], s[12:13]
	s_cmp_eq_u64 s[0:1], 0
	s_waitcnt lgkmcnt(0)
	s_barrier
	s_cbranch_scc1 .LBB116_250
; %bb.236:                              ;   in Loop: Header=BB116_19 Depth=1
	v_readlane_b32 s2, v56, 16
	s_add_u32 s8, s2, s0
	v_readlane_b32 s2, v56, 17
	s_addc_u32 s3, s2, s1
	s_mov_b32 s2, s71
	s_cmp_lg_u64 s[2:3], 0
	s_cbranch_scc0 .LBB116_286
; %bb.237:                              ;   in Loop: Header=BB116_19 Depth=1
	v_cvt_f32_u32_e32 v2, s33
	s_sub_u32 s2, 0, s33
	s_subb_u32 s6, 0, 0
	v_mac_f32_e32 v2, 0, v45
	v_rcp_f32_e32 v2, v2
	v_mul_f32_e32 v2, 0x5f7ffffc, v2
	v_mul_f32_e32 v4, 0x2f800000, v2
	v_trunc_f32_e32 v4, v4
	v_mac_f32_e32 v2, 0xcf800000, v4
	v_cvt_u32_f32_e32 v4, v4
	v_cvt_u32_f32_e32 v2, v2
	v_readfirstlane_b32 s7, v4
	v_readfirstlane_b32 s9, v2
	s_mul_i32 s20, s2, s7
	s_mul_hi_u32 s26, s2, s9
	s_mul_i32 s21, s6, s9
	s_add_i32 s20, s26, s20
	s_mul_i32 s27, s2, s9
	s_add_i32 s20, s20, s21
	s_mul_hi_u32 s26, s9, s27
	s_mul_hi_u32 s21, s9, s20
	s_mul_i32 s9, s9, s20
	s_add_u32 s9, s26, s9
	s_addc_u32 s21, 0, s21
	s_mul_hi_u32 s42, s7, s27
	s_mul_i32 s27, s7, s27
	s_add_u32 s9, s9, s27
	s_mul_hi_u32 s26, s7, s20
	s_addc_u32 s9, s21, s42
	s_addc_u32 s21, s26, 0
	s_mul_i32 s20, s7, s20
	s_add_u32 s9, s9, s20
	s_addc_u32 s20, 0, s21
	v_add_co_u32_e32 v2, vcc, s9, v2
	s_cmp_lg_u64 vcc, 0
	s_addc_u32 s7, s7, s20
	v_readfirstlane_b32 s20, v2
	s_mul_i32 s9, s2, s7
	s_mul_hi_u32 s21, s2, s20
	s_add_i32 s9, s21, s9
	s_mul_i32 s6, s6, s20
	s_add_i32 s9, s9, s6
	s_mul_i32 s2, s2, s20
	s_mul_hi_u32 s21, s7, s2
	s_mul_i32 s26, s7, s2
	s_mul_i32 s42, s20, s9
	s_mul_hi_u32 s2, s20, s2
	s_mul_hi_u32 s27, s20, s9
	s_add_u32 s2, s2, s42
	s_addc_u32 s20, 0, s27
	s_add_u32 s2, s2, s26
	s_mul_hi_u32 s6, s7, s9
	s_addc_u32 s2, s20, s21
	s_addc_u32 s6, s6, 0
	s_mul_i32 s9, s7, s9
	s_add_u32 s2, s2, s9
	s_addc_u32 s6, 0, s6
	v_add_co_u32_e32 v2, vcc, s2, v2
	s_cmp_lg_u64 vcc, 0
	s_addc_u32 s2, s7, s6
	v_readfirstlane_b32 s9, v2
	s_mul_i32 s7, s8, s2
	s_mul_hi_u32 s20, s8, s9
	s_mul_hi_u32 s6, s8, s2
	s_add_u32 s7, s20, s7
	s_addc_u32 s6, 0, s6
	s_mul_hi_u32 s21, s3, s9
	s_mul_i32 s9, s3, s9
	s_add_u32 s7, s7, s9
	s_mul_hi_u32 s20, s3, s2
	s_addc_u32 s6, s6, s21
	s_addc_u32 s7, s20, 0
	s_mul_i32 s2, s3, s2
	s_add_u32 s2, s6, s2
	s_addc_u32 s6, 0, s7
	s_mul_hi_u32 s7, s33, s2
	s_mul_i32 s2, s33, s2
	s_mul_i32 s6, s33, s6
	v_mov_b32_e32 v2, s2
	s_add_i32 s7, s7, s6
	v_sub_co_u32_e32 v2, vcc, s8, v2
	s_cmp_lg_u64 vcc, 0
	s_subb_u32 s2, s3, s7
	v_subrev_co_u32_e32 v4, vcc, s33, v2
	s_cmp_lg_u64 vcc, 0
	s_subb_u32 s6, s2, 0
	v_subrev_co_u32_e32 v6, vcc, s33, v4
	s_cmp_lg_u64 vcc, 0
	s_subb_u32 s7, s6, 0
	v_cmp_le_u32_e32 vcc, s33, v4
	s_cmp_eq_u32 s6, 0
	v_cndmask_b32_e64 v7, 0, -1, vcc
	s_cselect_b64 vcc, -1, 0
	v_cndmask_b32_e32 v7, -1, v7, vcc
	v_mov_b32_e32 v8, s6
	v_mov_b32_e32 v9, s7
	v_cmp_ne_u32_e32 vcc, 0, v7
	v_cndmask_b32_e32 v7, v8, v9, vcc
	v_cndmask_b32_e32 v4, v4, v6, vcc
	v_cmp_le_u32_e32 vcc, s33, v2
	s_cmp_eq_u32 s2, 0
	v_cndmask_b32_e64 v6, 0, -1, vcc
	s_cselect_b64 vcc, -1, 0
	v_cndmask_b32_e32 v6, -1, v6, vcc
	v_mov_b32_e32 v8, s2
	v_cmp_ne_u32_e32 vcc, 0, v6
	v_cndmask_b32_e32 v7, v8, v7, vcc
	v_cndmask_b32_e32 v6, v2, v4, vcc
	s_cbranch_execnz .LBB116_239
.LBB116_238:                            ;   in Loop: Header=BB116_19 Depth=1
	v_cvt_f32_u32_e32 v2, s33
	s_sub_i32 s2, 0, s33
	v_rcp_iflag_f32_e32 v2, v2
	v_mul_f32_e32 v2, 0x4f7ffffe, v2
	v_cvt_u32_f32_e32 v2, v2
	v_mul_lo_u32 v4, s2, v2
	v_mul_hi_u32 v4, v2, v4
	v_add_u32_e32 v2, v2, v4
	v_mul_hi_u32 v2, s8, v2
	v_mul_lo_u32 v2, v2, s33
	v_sub_u32_e32 v2, s8, v2
	v_subrev_u32_e32 v4, s33, v2
	v_cmp_le_u32_e32 vcc, s33, v2
	v_cndmask_b32_e32 v2, v2, v4, vcc
	v_subrev_u32_e32 v4, s33, v2
	v_cmp_le_u32_e32 vcc, s33, v2
	v_cndmask_b32_e32 v2, v2, v4, vcc
	v_pk_mov_b32 v[6:7], v[2:3], v[2:3] op_sel:[0,1]
.LBB116_239:                            ;   in Loop: Header=BB116_19 Depth=1
	v_mov_b32_e32 v2, s3
	v_sub_co_u32_e32 v10, vcc, s8, v6
	v_subb_co_u32_e32 v11, vcc, v2, v7, vcc
	v_cmp_gt_u64_e32 vcc, v[10:11], v[0:1]
	s_mov_b64 s[8:9], 0
                                        ; implicit-def: $vgpr8_vgpr9
	s_and_saveexec_b64 s[2:3], vcc
	s_cbranch_execz .LBB116_252
; %bb.240:                              ;   in Loop: Header=BB116_19 Depth=1
	s_mov_b64 s[20:21], 0
	v_mov_b32_e32 v2, v39
	v_pk_mov_b32 v[12:13], v[0:1], v[0:1] op_sel:[0,1]
                                        ; implicit-def: $sgpr8_sgpr9
	s_branch .LBB116_242
.LBB116_241:                            ;   in Loop: Header=BB116_242 Depth=2
	s_or_b64 exec, exec, s[6:7]
	s_waitcnt lgkmcnt(0)
	s_barrier
	ds_read_b128 v[6:9], v3 offset:3072
	v_mov_b32_e32 v4, s72
	v_add_co_u32_e64 v12, s[6:7], s33, v12
	v_addc_co_u32_e64 v13, s[6:7], v13, v4, s[6:7]
	s_waitcnt lgkmcnt(0)
	v_cmp_neq_f64_e32 vcc, 0, v[6:7]
	v_cmp_ge_u64_e64 s[6:7], v[12:13], v[10:11]
	s_or_b64 s[6:7], s[6:7], vcc
	s_and_b64 s[6:7], exec, s[6:7]
	s_or_b64 s[20:21], s[6:7], s[20:21]
	s_andn2_b64 s[6:7], s[8:9], exec
	s_and_b64 s[8:9], vcc, exec
	v_add_u32_e32 v2, s81, v2
	s_or_b64 s[8:9], s[6:7], s[8:9]
	s_barrier
	s_andn2_b64 exec, exec, s[20:21]
	s_cbranch_execz .LBB116_251
.LBB116_242:                            ;   Parent Loop BB116_19 Depth=1
                                        ; =>  This Inner Loop Header: Depth=2
	v_cmp_gt_u64_e32 vcc, s[0:1], v[12:13]
	v_pk_mov_b32 v[6:7], 0, 0
	s_and_saveexec_b64 s[6:7], vcc
	s_cbranch_execz .LBB116_244
; %bb.243:                              ;   in Loop: Header=BB116_242 Depth=2
	ds_read_b64 v[6:7], v2
.LBB116_244:                            ;   in Loop: Header=BB116_242 Depth=2
	s_or_b64 exec, exec, s[6:7]
	s_and_saveexec_b64 s[6:7], vcc
	s_cbranch_execz .LBB116_241
; %bb.245:                              ;   in Loop: Header=BB116_242 Depth=2
	s_waitcnt lgkmcnt(0)
	v_ashrrev_i32_e32 v4, 31, v7
	v_or_b32_e32 v8, 0x80000000, v4
	v_xor_b32_e32 v8, v8, v7
	v_xor_b32_e32 v4, v4, v6
	v_cmp_o_f64_e32 vcc, v[6:7], v[6:7]
	v_cndmask_b32_e32 v8, -1, v8, vcc
	v_cndmask_b32_e32 v4, -1, v4, vcc
	v_and_b32_e32 v9, s83, v8
	v_and_b32_e32 v8, s82, v4
	v_cmp_eq_u64_e32 vcc, s[84:85], v[8:9]
	s_and_b64 exec, exec, vcc
	s_cbranch_execz .LBB116_241
; %bb.246:                              ;   in Loop: Header=BB116_242 Depth=2
	v_mov_b32_e32 v4, v3
	ds_write_b128 v3, v[4:7] offset:3072
	s_branch .LBB116_241
.LBB116_247:                            ;   in Loop: Header=BB116_19 Depth=1
                                        ; implicit-def: $sgpr0_sgpr1
                                        ; implicit-def: $sgpr6_sgpr7
                                        ; implicit-def: $sgpr2_sgpr3
	s_branch .LBB116_266
.LBB116_248:                            ;   in Loop: Header=BB116_19 Depth=1
                                        ; implicit-def: $vgpr6_vgpr7
	s_branch .LBB116_191
.LBB116_249:                            ;   in Loop: Header=BB116_19 Depth=1
                                        ; implicit-def: $vgpr6_vgpr7
	s_branch .LBB116_208
.LBB116_250:                            ;   in Loop: Header=BB116_19 Depth=1
	s_mov_b64 s[0:1], -1
	s_mov_b64 s[8:9], 0
                                        ; implicit-def: $sgpr2_sgpr3
                                        ; implicit-def: $vgpr8_vgpr9
	s_mov_b64 s[6:7], s[0:1]
	s_cbranch_execnz .LBB116_253
	s_branch .LBB116_266
.LBB116_251:                            ;   in Loop: Header=BB116_19 Depth=1
	s_or_b64 exec, exec, s[20:21]
	s_and_b64 s[8:9], s[8:9], exec
.LBB116_252:                            ;   in Loop: Header=BB116_19 Depth=1
	s_or_b64 exec, exec, s[2:3]
	s_mov_b64 s[2:3], -1
	s_mov_b64 s[0:1], 0
	s_mov_b64 s[6:7], s[0:1]
	s_branch .LBB116_266
.LBB116_253:                            ;   in Loop: Header=BB116_19 Depth=1
	s_mov_b32 s68, s71
	s_cmp_lg_u64 s[68:69], 0
	s_cbranch_scc0 .LBB116_287
; %bb.254:                              ;   in Loop: Header=BB116_19 Depth=1
	v_cvt_f32_u32_e32 v2, s33
	s_sub_u32 s0, 0, s33
	s_subb_u32 s1, 0, 0
	v_mac_f32_e32 v2, 0, v45
	v_rcp_f32_e32 v2, v2
	v_mul_f32_e32 v2, 0x5f7ffffc, v2
	v_mul_f32_e32 v4, 0x2f800000, v2
	v_trunc_f32_e32 v4, v4
	v_mac_f32_e32 v2, 0xcf800000, v4
	v_cvt_u32_f32_e32 v4, v4
	v_cvt_u32_f32_e32 v2, v2
	v_readfirstlane_b32 s2, v4
	v_readfirstlane_b32 s3, v2
	s_mul_i32 s6, s0, s2
	s_mul_hi_u32 s8, s0, s3
	s_mul_i32 s7, s1, s3
	s_add_i32 s6, s8, s6
	s_mul_i32 s9, s0, s3
	s_add_i32 s6, s6, s7
	s_mul_hi_u32 s8, s3, s9
	s_mul_hi_u32 s7, s3, s6
	s_mul_i32 s3, s3, s6
	s_add_u32 s3, s8, s3
	s_addc_u32 s7, 0, s7
	s_mul_hi_u32 s20, s2, s9
	s_mul_i32 s9, s2, s9
	s_add_u32 s3, s3, s9
	s_mul_hi_u32 s8, s2, s6
	s_addc_u32 s3, s7, s20
	s_addc_u32 s7, s8, 0
	s_mul_i32 s6, s2, s6
	s_add_u32 s3, s3, s6
	s_addc_u32 s6, 0, s7
	v_add_co_u32_e32 v2, vcc, s3, v2
	s_cmp_lg_u64 vcc, 0
	s_addc_u32 s2, s2, s6
	v_readfirstlane_b32 s6, v2
	s_mul_i32 s3, s0, s2
	s_mul_hi_u32 s7, s0, s6
	s_add_i32 s3, s7, s3
	s_mul_i32 s1, s1, s6
	s_add_i32 s3, s3, s1
	s_mul_i32 s0, s0, s6
	s_mul_hi_u32 s7, s2, s0
	s_mul_i32 s8, s2, s0
	s_mul_i32 s20, s6, s3
	s_mul_hi_u32 s0, s6, s0
	s_mul_hi_u32 s9, s6, s3
	s_add_u32 s0, s0, s20
	s_addc_u32 s6, 0, s9
	s_add_u32 s0, s0, s8
	s_mul_hi_u32 s1, s2, s3
	s_addc_u32 s0, s6, s7
	s_addc_u32 s1, s1, 0
	s_mul_i32 s3, s2, s3
	s_add_u32 s0, s0, s3
	s_addc_u32 s1, 0, s1
	v_add_co_u32_e32 v2, vcc, s0, v2
	s_cmp_lg_u64 vcc, 0
	s_addc_u32 s0, s2, s1
	v_readfirstlane_b32 s3, v2
	s_mul_i32 s2, s60, s0
	s_mul_hi_u32 s6, s60, s3
	s_mul_hi_u32 s1, s60, s0
	s_add_u32 s2, s6, s2
	s_addc_u32 s1, 0, s1
	s_mul_hi_u32 s7, s69, s3
	s_mul_i32 s3, s69, s3
	s_add_u32 s2, s2, s3
	s_mul_hi_u32 s6, s69, s0
	s_addc_u32 s1, s1, s7
	s_addc_u32 s2, s6, 0
	s_mul_i32 s0, s69, s0
	s_add_u32 s0, s1, s0
	s_addc_u32 s1, 0, s2
	s_mul_hi_u32 s2, s33, s0
	s_mul_i32 s0, s33, s0
	s_mul_i32 s1, s33, s1
	v_mov_b32_e32 v2, s0
	s_add_i32 s2, s2, s1
	v_sub_co_u32_e32 v2, vcc, s60, v2
	s_cmp_lg_u64 vcc, 0
	s_subb_u32 s0, s69, s2
	v_subrev_co_u32_e32 v4, vcc, s33, v2
	s_cmp_lg_u64 vcc, 0
	s_subb_u32 s1, s0, 0
	v_subrev_co_u32_e32 v6, vcc, s33, v4
	s_cmp_lg_u64 vcc, 0
	s_subb_u32 s2, s1, 0
	v_cmp_le_u32_e32 vcc, s33, v4
	s_cmp_eq_u32 s1, 0
	v_cndmask_b32_e64 v7, 0, -1, vcc
	s_cselect_b64 vcc, -1, 0
	v_cndmask_b32_e32 v7, -1, v7, vcc
	v_mov_b32_e32 v8, s1
	v_mov_b32_e32 v9, s2
	v_cmp_ne_u32_e32 vcc, 0, v7
	v_cndmask_b32_e32 v7, v8, v9, vcc
	v_cndmask_b32_e32 v4, v4, v6, vcc
	v_cmp_le_u32_e32 vcc, s33, v2
	s_cmp_eq_u32 s0, 0
	v_cndmask_b32_e64 v6, 0, -1, vcc
	s_cselect_b64 vcc, -1, 0
	v_cndmask_b32_e32 v6, -1, v6, vcc
	v_mov_b32_e32 v8, s0
	v_cmp_ne_u32_e32 vcc, 0, v6
	v_cndmask_b32_e32 v7, v8, v7, vcc
	v_cndmask_b32_e32 v6, v2, v4, vcc
	s_cbranch_execnz .LBB116_256
.LBB116_255:                            ;   in Loop: Header=BB116_19 Depth=1
	v_cvt_f32_u32_e32 v2, s33
	s_sub_i32 s0, 0, s33
	v_rcp_iflag_f32_e32 v2, v2
	v_mul_f32_e32 v2, 0x4f7ffffe, v2
	v_cvt_u32_f32_e32 v2, v2
	v_mul_lo_u32 v4, s0, v2
	v_mul_hi_u32 v4, v2, v4
	v_add_u32_e32 v2, v2, v4
	v_mul_hi_u32 v2, s60, v2
	v_mul_lo_u32 v2, v2, s33
	v_sub_u32_e32 v2, s60, v2
	v_subrev_u32_e32 v4, s33, v2
	v_cmp_le_u32_e32 vcc, s33, v2
	v_cndmask_b32_e32 v2, v2, v4, vcc
	v_subrev_u32_e32 v4, s33, v2
	v_cmp_le_u32_e32 vcc, s33, v2
	v_cndmask_b32_e32 v2, v2, v4, vcc
	v_pk_mov_b32 v[6:7], v[2:3], v[2:3] op_sel:[0,1]
.LBB116_256:                            ;   in Loop: Header=BB116_19 Depth=1
	v_mov_b32_e32 v2, s69
	v_sub_co_u32_e32 v10, vcc, s60, v6
	v_subb_co_u32_e32 v11, vcc, v2, v7, vcc
	v_cmp_gt_u64_e32 vcc, v[10:11], v[0:1]
	s_mov_b64 s[8:9], 0
                                        ; implicit-def: $vgpr8_vgpr9
	s_and_saveexec_b64 s[0:1], vcc
	s_cbranch_execz .LBB116_265
; %bb.257:                              ;   in Loop: Header=BB116_19 Depth=1
	v_pk_mov_b32 v[12:13], v[18:19], v[18:19] op_sel:[0,1]
	v_pk_mov_b32 v[14:15], v[0:1], v[0:1] op_sel:[0,1]
                                        ; implicit-def: $sgpr2_sgpr3
	s_branch .LBB116_259
.LBB116_258:                            ;   in Loop: Header=BB116_259 Depth=2
	s_or_b64 exec, exec, s[6:7]
	s_waitcnt lgkmcnt(0)
	s_barrier
	s_waitcnt vmcnt(0)
	ds_read_b128 v[6:9], v3 offset:3072
	v_mov_b32_e32 v2, s72
	v_add_co_u32_e64 v14, s[6:7], s33, v14
	v_addc_co_u32_e64 v15, s[6:7], v15, v2, s[6:7]
	s_waitcnt lgkmcnt(0)
	v_cmp_neq_f64_e32 vcc, 0, v[6:7]
	v_cmp_ge_u64_e64 s[6:7], v[14:15], v[10:11]
	s_or_b64 s[20:21], s[6:7], vcc
	v_mov_b32_e32 v2, s67
	v_add_co_u32_e64 v12, s[6:7], s66, v12
	v_addc_co_u32_e64 v13, s[6:7], v13, v2, s[6:7]
	s_and_b64 s[6:7], exec, s[20:21]
	s_or_b64 s[8:9], s[6:7], s[8:9]
	s_andn2_b64 s[2:3], s[2:3], exec
	s_and_b64 s[6:7], vcc, exec
	s_or_b64 s[2:3], s[2:3], s[6:7]
	s_barrier
	s_andn2_b64 exec, exec, s[8:9]
	s_cbranch_execz .LBB116_264
.LBB116_259:                            ;   Parent Loop BB116_19 Depth=1
                                        ; =>  This Inner Loop Header: Depth=2
	v_cmp_gt_u64_e32 vcc, s[52:53], v[14:15]
	v_pk_mov_b32 v[6:7], 0, 0
	s_and_saveexec_b64 s[6:7], vcc
	s_cbranch_execz .LBB116_261
; %bb.260:                              ;   in Loop: Header=BB116_259 Depth=2
	global_load_dwordx2 v[6:7], v[12:13], off
.LBB116_261:                            ;   in Loop: Header=BB116_259 Depth=2
	s_or_b64 exec, exec, s[6:7]
	s_and_saveexec_b64 s[6:7], vcc
	s_cbranch_execz .LBB116_258
; %bb.262:                              ;   in Loop: Header=BB116_259 Depth=2
	s_waitcnt vmcnt(0)
	v_ashrrev_i32_e32 v2, 31, v7
	v_or_b32_e32 v4, 0x80000000, v2
	v_xor_b32_e32 v4, v4, v7
	v_xor_b32_e32 v2, v2, v6
	v_cmp_o_f64_e32 vcc, v[6:7], v[6:7]
	v_cndmask_b32_e32 v4, -1, v4, vcc
	v_cndmask_b32_e32 v2, -1, v2, vcc
	v_and_b32_e32 v9, s83, v4
	v_and_b32_e32 v8, s82, v2
	v_cmp_eq_u64_e32 vcc, s[84:85], v[8:9]
	s_and_b64 exec, exec, vcc
	s_cbranch_execz .LBB116_258
; %bb.263:                              ;   in Loop: Header=BB116_259 Depth=2
	v_mov_b32_e32 v4, v3
	ds_write_b128 v3, v[4:7] offset:3072
	s_branch .LBB116_258
.LBB116_264:                            ;   in Loop: Header=BB116_19 Depth=1
	s_or_b64 exec, exec, s[8:9]
	s_and_b64 s[8:9], s[2:3], exec
.LBB116_265:                            ;   in Loop: Header=BB116_19 Depth=1
	s_or_b64 exec, exec, s[0:1]
	s_mov_b64 s[6:7], -1
	s_mov_b64 s[0:1], 0
	s_mov_b64 s[2:3], 0
.LBB116_266:                            ;   in Loop: Header=BB116_19 Depth=1
	s_mov_b64 s[26:27], 0
                                        ; implicit-def: $sgpr45
                                        ; implicit-def: $sgpr42_sgpr43
	s_and_saveexec_b64 s[20:21], s[8:9]
	s_cbranch_execz .LBB116_279
; %bb.267:                              ;   in Loop: Header=BB116_19 Depth=1
	s_xor_b64 s[8:9], s[18:19], -1
	s_mov_b64 s[42:43], 1
	s_andn2_b64 vcc, exec, s[8:9]
	s_mov_b32 s45, 1
	s_cbranch_vccnz .LBB116_278
; %bb.268:                              ;   in Loop: Header=BB116_19 Depth=1
	s_waitcnt vmcnt(0)
	v_pk_mov_b32 v[6:7], s[10:11], s[10:11] op_sel:[0,1]
	v_cmp_gt_u64_e32 vcc, s[50:51], v[6:7]
	s_cbranch_vccnz .LBB116_274
; %bb.269:                              ;   in Loop: Header=BB116_19 Depth=1
	ds_read_b64 v[6:7], v3 offset:5120
	s_waitcnt lgkmcnt(0)
	v_cmp_ne_u64_e32 vcc, 0, v[6:7]
	s_cbranch_vccnz .LBB116_273
; %bb.270:                              ;   in Loop: Header=BB116_19 Depth=1
	v_readlane_b32 s4, v56, 8
	v_readlane_b32 s5, v56, 9
	s_and_saveexec_b64 s[8:9], s[4:5]
	s_cbranch_execz .LBB116_272
; %bb.271:                              ;   in Loop: Header=BB116_19 Depth=1
	v_pk_mov_b32 v[6:7], s[10:11], s[10:11] op_sel:[0,1]
	ds_write_b64 v3, v[6:7] offset:5128
.LBB116_272:                            ;   in Loop: Header=BB116_19 Depth=1
	s_or_b64 exec, exec, s[8:9]
	s_waitcnt lgkmcnt(0)
	s_barrier
.LBB116_273:                            ;   in Loop: Header=BB116_19 Depth=1
	s_or_b64 s[8:9], s[84:85], s[12:13]
	s_or_b64 s[12:13], s[82:83], s[12:13]
	s_mov_b64 s[18:19], 0
	s_mov_b32 s45, 8
	s_branch .LBB116_275
.LBB116_274:                            ;   in Loop: Header=BB116_19 Depth=1
	s_mov_b64 s[18:19], -1
                                        ; implicit-def: $sgpr45
                                        ; implicit-def: $sgpr8_sgpr9
                                        ; implicit-def: $sgpr12_sgpr13
.LBB116_275:                            ;   in Loop: Header=BB116_19 Depth=1
	s_andn2_b64 vcc, exec, s[18:19]
	s_cbranch_vccnz .LBB116_277
; %bb.276:                              ;   in Loop: Header=BB116_19 Depth=1
	s_sub_u32 s50, s50, s10
	s_subb_u32 s51, s51, s11
	s_mov_b32 s45, 8
	s_mov_b64 s[8:9], s[84:85]
	s_mov_b64 s[12:13], s[82:83]
.LBB116_277:                            ;   in Loop: Header=BB116_19 Depth=1
	s_mov_b64 s[42:43], s[50:51]
	s_mov_b64 s[84:85], s[8:9]
	;; [unrolled: 1-line block ×3, first 2 shown]
.LBB116_278:                            ;   in Loop: Header=BB116_19 Depth=1
	s_mov_b64 s[26:27], exec
.LBB116_279:                            ;   in Loop: Header=BB116_19 Depth=1
	s_or_b64 exec, exec, s[20:21]
	s_mov_b64 s[50:51], s[42:43]
.LBB116_280:                            ;   in Loop: Header=BB116_19 Depth=1
	s_andn2_b64 s[8:9], s[34:35], exec
	s_and_b64 s[0:1], s[0:1], exec
	s_or_b64 s[34:35], s[8:9], s[0:1]
	s_andn2_b64 s[0:1], s[38:39], exec
	s_and_b64 s[6:7], s[6:7], exec
	s_or_b64 s[38:39], s[0:1], s[6:7]
	;; [unrolled: 3-line block ×3, first 2 shown]
	s_and_b64 s[0:1], s[26:27], exec
.LBB116_281:                            ;   in Loop: Header=BB116_19 Depth=1
	s_or_b64 exec, exec, s[40:41]
	s_mov_b64 s[40:41], s[54:55]
	s_mov_b64 s[42:43], s[56:57]
.LBB116_282:                            ;   in Loop: Header=BB116_19 Depth=1
	s_andn2_b64 s[2:3], s[24:25], exec
	s_and_b64 s[6:7], s[34:35], exec
	s_or_b64 s[24:25], s[2:3], s[6:7]
	s_andn2_b64 s[2:3], s[28:29], exec
	s_and_b64 s[6:7], s[38:39], exec
	s_or_b64 s[28:29], s[2:3], s[6:7]
	s_andn2_b64 s[2:3], s[22:23], exec
	s_and_b64 s[6:7], s[36:37], exec
	s_or_b64 s[22:23], s[2:3], s[6:7]
	s_and_b64 s[0:1], s[0:1], exec
	s_mov_b64 s[38:39], s[58:59]
.LBB116_283:                            ;   in Loop: Header=BB116_19 Depth=1
	s_or_b64 exec, exec, s[30:31]
	s_mov_b64 s[30:31], s[88:89]
	s_mov_b64 s[36:37], s[74:75]
	s_and_saveexec_b64 s[2:3], s[0:1]
	s_xor_b64 s[0:1], exec, s[2:3]
	s_cbranch_execz .LBB116_17
.LBB116_284:                            ;   in Loop: Header=BB116_19 Depth=1
	s_and_b32 s2, s45, -9
	s_cmp_eq_u32 s2, 0
	s_cbranch_scc1 .LBB116_15
; %bb.285:                              ;   in Loop: Header=BB116_19 Depth=1
	s_mov_b64 s[2:3], -1
                                        ; implicit-def: $sgpr82_sgpr83
                                        ; implicit-def: $sgpr50_sgpr51
                                        ; implicit-def: $sgpr79
                                        ; implicit-def: $sgpr4
                                        ; kill: killed $sgpr4
	s_mov_b64 s[6:7], -1
	s_branch .LBB116_16
.LBB116_286:                            ;   in Loop: Header=BB116_19 Depth=1
                                        ; implicit-def: $vgpr6_vgpr7
	s_branch .LBB116_238
.LBB116_287:                            ;   in Loop: Header=BB116_19 Depth=1
                                        ; implicit-def: $vgpr6_vgpr7
	s_branch .LBB116_255
.LBB116_288:
	s_or_b64 exec, exec, s[90:91]
	s_xor_b64 s[4:5], s[38:39], -1
	s_xor_b64 s[2:3], s[40:41], -1
	;; [unrolled: 1-line block ×3, first 2 shown]
	s_mov_b64 s[0:1], 0
	s_and_saveexec_b64 s[8:9], s[2:3]
	s_xor_b64 s[2:3], exec, s[8:9]
	s_cbranch_execnz .LBB116_293
; %bb.289:
	s_andn2_saveexec_b64 s[2:3], s[2:3]
	s_cbranch_execnz .LBB116_306
.LBB116_290:
	s_or_b64 exec, exec, s[2:3]
	s_and_saveexec_b64 s[2:3], s[0:1]
.LBB116_291:
	; divergent unreachable
.LBB116_292:
	s_endpgm
.LBB116_293:
	s_and_saveexec_b64 s[0:1], s[4:5]
	s_xor_b64 s[4:5], exec, s[0:1]
	s_cbranch_execz .LBB116_304
; %bb.294:
	s_and_saveexec_b64 s[0:1], s[6:7]
	s_xor_b64 s[0:1], exec, s[0:1]
; %bb.295:
	v_lshrrev_b32_e32 v2, 31, v7
	v_add_co_u32_e32 v2, vcc, -1, v2
	v_addc_co_u32_e64 v3, s[6:7], 0, -1, vcc
	v_or_b32_e32 v3, 0x80000000, v3
	v_xor_b32_e32 v9, v3, v7
	v_xor_b32_e32 v8, v2, v6
; %bb.296:
	s_or_b64 exec, exec, s[0:1]
	v_readlane_b32 s6, v56, 4
	v_readlane_b32 s7, v56, 5
	s_mul_i32 s0, s7, s78
	s_mul_hi_u32 s1, s6, s78
	s_add_i32 s1, s1, s0
	s_mul_i32 s0, s6, s78
	s_lshl_b64 s[0:1], s[0:1], 3
	v_readlane_b32 s6, v56, 6
	v_readlane_b32 s7, v56, 7
	s_add_u32 s0, s6, s0
	s_addc_u32 s1, s7, s1
	v_mov_b32_e32 v2, 0
	global_store_dwordx2 v2, v[8:9], s[0:1]
	s_and_saveexec_b64 s[6:7], s[30:31]
	s_cbranch_execz .LBB116_303
; %bb.297:
	v_cmp_u_f64_e32 vcc, v[8:9], v[8:9]
	s_mov_b64 s[8:9], 0
	s_xor_b64 s[12:13], vcc, -1
                                        ; implicit-def: $sgpr10_sgpr11
                                        ; implicit-def: $sgpr16_sgpr17
                                        ; implicit-def: $sgpr14_sgpr15
	s_branch .LBB116_299
.LBB116_298:                            ;   in Loop: Header=BB116_299 Depth=1
	s_or_b64 exec, exec, s[0:1]
	s_and_b64 s[0:1], exec, s[16:17]
	s_or_b64 s[8:9], s[0:1], s[8:9]
	s_andn2_b64 s[0:1], s[10:11], exec
	s_and_b64 s[10:11], s[14:15], exec
	s_or_b64 s[10:11], s[0:1], s[10:11]
	s_andn2_b64 exec, exec, s[8:9]
	s_cbranch_execz .LBB116_301
.LBB116_299:                            ; =>This Inner Loop Header: Depth=1
	global_load_dwordx2 v[4:5], v[18:19], off
	v_pk_mov_b32 v[2:3], v[0:1], v[0:1] op_sel:[0,1]
	s_or_b64 s[14:15], s[14:15], exec
	s_or_b64 s[16:17], s[16:17], exec
                                        ; implicit-def: $vgpr0_vgpr1
	s_waitcnt vmcnt(0)
	v_cmp_o_f64_e64 s[0:1], v[4:5], v[4:5]
	v_cmp_neq_f64_e32 vcc, v[4:5], v[8:9]
	s_or_b64 s[0:1], s[0:1], s[12:13]
	s_and_b64 s[18:19], vcc, s[0:1]
	s_and_saveexec_b64 s[0:1], s[18:19]
	s_cbranch_execz .LBB116_298
; %bb.300:                              ;   in Loop: Header=BB116_299 Depth=1
	v_mov_b32_e32 v1, s72
	v_add_co_u32_e32 v0, vcc, s33, v2
	v_addc_co_u32_e32 v1, vcc, v3, v1, vcc
	v_mov_b32_e32 v4, s67
	v_add_co_u32_e32 v18, vcc, s66, v18
	v_addc_co_u32_e32 v19, vcc, v19, v4, vcc
	v_cmp_le_u64_e32 vcc, s[52:53], v[0:1]
	s_andn2_b64 s[16:17], s[16:17], exec
	s_and_b64 s[18:19], vcc, exec
	s_andn2_b64 s[14:15], s[14:15], exec
	s_or_b64 s[16:17], s[16:17], s[18:19]
	s_branch .LBB116_298
.LBB116_301:
	s_or_b64 exec, exec, s[8:9]
	s_and_saveexec_b64 s[0:1], s[10:11]
	s_xor_b64 s[0:1], exec, s[0:1]
	s_cbranch_execz .LBB116_303
; %bb.302:
	v_readlane_b32 s8, v56, 0
	v_readlane_b32 s9, v56, 1
	s_mul_i32 s0, s9, s78
	s_mul_hi_u32 s1, s8, s78
	s_add_i32 s1, s1, s0
	s_mul_i32 s0, s8, s78
	s_lshl_b64 s[0:1], s[0:1], 3
	v_readlane_b32 s8, v56, 2
	v_readlane_b32 s9, v56, 3
	s_add_u32 s0, s8, s0
	s_addc_u32 s1, s9, s1
	v_mov_b32_e32 v0, 0
	global_store_dwordx2 v0, v[2:3], s[0:1]
.LBB116_303:
	s_or_b64 exec, exec, s[6:7]
.LBB116_304:
	s_or_saveexec_b64 s[0:1], s[4:5]
	s_mov_b64 s[4:5], 0
	s_xor_b64 exec, exec, s[0:1]
	s_cbranch_execnz .LBB116_307
.LBB116_305:
	s_or_b64 exec, exec, s[0:1]
	s_and_b64 s[0:1], s[4:5], exec
	s_andn2_saveexec_b64 s[2:3], s[2:3]
	s_cbranch_execz .LBB116_290
.LBB116_306:
	s_or_b64 s[0:1], s[0:1], exec
	s_trap 2
	s_or_b64 exec, exec, s[2:3]
	s_and_saveexec_b64 s[2:3], s[0:1]
	s_cbranch_execnz .LBB116_291
	s_branch .LBB116_292
.LBB116_307:
	s_mov_b64 s[4:5], exec
	s_trap 2
	s_branch .LBB116_305
	.section	.rodata,"a",@progbits
	.p2align	6, 0x0
	.amdhsa_kernel _ZN2at6native12_GLOBAL__N_112gatherMedianIdmLi1EEEvNS_4cuda6detail10TensorInfoIT_T0_EENS5_IlS7_EENS5_IKS6_S7_EES7_S7_S7_b
		.amdhsa_group_segment_fixed_size 5152
		.amdhsa_private_segment_fixed_size 0
		.amdhsa_kernarg_size 1536
		.amdhsa_user_sgpr_count 6
		.amdhsa_user_sgpr_private_segment_buffer 1
		.amdhsa_user_sgpr_dispatch_ptr 0
		.amdhsa_user_sgpr_queue_ptr 0
		.amdhsa_user_sgpr_kernarg_segment_ptr 1
		.amdhsa_user_sgpr_dispatch_id 0
		.amdhsa_user_sgpr_flat_scratch_init 0
		.amdhsa_user_sgpr_kernarg_preload_length 0
		.amdhsa_user_sgpr_kernarg_preload_offset 0
		.amdhsa_user_sgpr_private_segment_size 0
		.amdhsa_uses_dynamic_stack 0
		.amdhsa_system_sgpr_private_segment_wavefront_offset 0
		.amdhsa_system_sgpr_workgroup_id_x 1
		.amdhsa_system_sgpr_workgroup_id_y 1
		.amdhsa_system_sgpr_workgroup_id_z 1
		.amdhsa_system_sgpr_workgroup_info 0
		.amdhsa_system_vgpr_workitem_id 0
		.amdhsa_next_free_vgpr 57
		.amdhsa_next_free_sgpr 96
		.amdhsa_accum_offset 60
		.amdhsa_reserve_vcc 1
		.amdhsa_reserve_flat_scratch 0
		.amdhsa_float_round_mode_32 0
		.amdhsa_float_round_mode_16_64 0
		.amdhsa_float_denorm_mode_32 3
		.amdhsa_float_denorm_mode_16_64 3
		.amdhsa_dx10_clamp 1
		.amdhsa_ieee_mode 1
		.amdhsa_fp16_overflow 0
		.amdhsa_tg_split 0
		.amdhsa_exception_fp_ieee_invalid_op 0
		.amdhsa_exception_fp_denorm_src 0
		.amdhsa_exception_fp_ieee_div_zero 0
		.amdhsa_exception_fp_ieee_overflow 0
		.amdhsa_exception_fp_ieee_underflow 0
		.amdhsa_exception_fp_ieee_inexact 0
		.amdhsa_exception_int_div_zero 0
	.end_amdhsa_kernel
	.section	.text._ZN2at6native12_GLOBAL__N_112gatherMedianIdmLi1EEEvNS_4cuda6detail10TensorInfoIT_T0_EENS5_IlS7_EENS5_IKS6_S7_EES7_S7_S7_b,"axG",@progbits,_ZN2at6native12_GLOBAL__N_112gatherMedianIdmLi1EEEvNS_4cuda6detail10TensorInfoIT_T0_EENS5_IlS7_EENS5_IKS6_S7_EES7_S7_S7_b,comdat
.Lfunc_end116:
	.size	_ZN2at6native12_GLOBAL__N_112gatherMedianIdmLi1EEEvNS_4cuda6detail10TensorInfoIT_T0_EENS5_IlS7_EENS5_IKS6_S7_EES7_S7_S7_b, .Lfunc_end116-_ZN2at6native12_GLOBAL__N_112gatherMedianIdmLi1EEEvNS_4cuda6detail10TensorInfoIT_T0_EENS5_IlS7_EENS5_IKS6_S7_EES7_S7_S7_b
                                        ; -- End function
	.section	.AMDGPU.csdata,"",@progbits
; Kernel info:
; codeLenInByte = 16688
; NumSgprs: 100
; NumVgprs: 57
; NumAgprs: 0
; TotalNumVgprs: 57
; ScratchSize: 0
; MemoryBound: 0
; FloatMode: 240
; IeeeMode: 1
; LDSByteSize: 5152 bytes/workgroup (compile time only)
; SGPRBlocks: 12
; VGPRBlocks: 7
; NumSGPRsForWavesPerEU: 100
; NumVGPRsForWavesPerEU: 57
; AccumOffset: 60
; Occupancy: 8
; WaveLimiterHint : 1
; COMPUTE_PGM_RSRC2:SCRATCH_EN: 0
; COMPUTE_PGM_RSRC2:USER_SGPR: 6
; COMPUTE_PGM_RSRC2:TRAP_HANDLER: 0
; COMPUTE_PGM_RSRC2:TGID_X_EN: 1
; COMPUTE_PGM_RSRC2:TGID_Y_EN: 1
; COMPUTE_PGM_RSRC2:TGID_Z_EN: 1
; COMPUTE_PGM_RSRC2:TIDIG_COMP_CNT: 0
; COMPUTE_PGM_RSRC3_GFX90A:ACCUM_OFFSET: 14
; COMPUTE_PGM_RSRC3_GFX90A:TG_SPLIT: 0
	.section	.text._ZN2at6native12_GLOBAL__N_112gatherMedianIdmLi2EEEvNS_4cuda6detail10TensorInfoIT_T0_EENS5_IlS7_EENS5_IKS6_S7_EES7_S7_S7_b,"axG",@progbits,_ZN2at6native12_GLOBAL__N_112gatherMedianIdmLi2EEEvNS_4cuda6detail10TensorInfoIT_T0_EENS5_IlS7_EENS5_IKS6_S7_EES7_S7_S7_b,comdat
	.globl	_ZN2at6native12_GLOBAL__N_112gatherMedianIdmLi2EEEvNS_4cuda6detail10TensorInfoIT_T0_EENS5_IlS7_EENS5_IKS6_S7_EES7_S7_S7_b ; -- Begin function _ZN2at6native12_GLOBAL__N_112gatherMedianIdmLi2EEEvNS_4cuda6detail10TensorInfoIT_T0_EENS5_IlS7_EENS5_IKS6_S7_EES7_S7_S7_b
	.p2align	8
	.type	_ZN2at6native12_GLOBAL__N_112gatherMedianIdmLi2EEEvNS_4cuda6detail10TensorInfoIT_T0_EENS5_IlS7_EENS5_IKS6_S7_EES7_S7_S7_b,@function
_ZN2at6native12_GLOBAL__N_112gatherMedianIdmLi2EEEvNS_4cuda6detail10TensorInfoIT_T0_EENS5_IlS7_EENS5_IKS6_S7_EES7_S7_S7_b: ; @_ZN2at6native12_GLOBAL__N_112gatherMedianIdmLi2EEEvNS_4cuda6detail10TensorInfoIT_T0_EENS5_IlS7_EENS5_IKS6_S7_EES7_S7_S7_b
; %bb.0:
	s_load_dwordx4 s[52:55], s[4:5], 0x4e0
	s_load_dwordx2 s[10:11], s[4:5], 0x500
	s_add_u32 s12, s4, 0x500
	s_addc_u32 s13, s5, 0
	s_mov_b32 s19, 0
	s_waitcnt lgkmcnt(0)
	v_mov_b32_e32 v2, s54
	s_mul_i32 s0, s11, s8
	s_add_i32 s0, s0, s7
	s_mul_i32 s0, s0, s10
	v_mov_b32_e32 v3, s55
	s_add_i32 s18, s0, s6
	v_cmp_ge_u64_e32 vcc, s[18:19], v[2:3]
	s_cbranch_vccnz .LBB117_298
; %bb.1:
	s_load_dwordx2 s[20:21], s[4:5], 0x10
	s_load_dwordx2 s[68:69], s[4:5], 0x4f0
	;; [unrolled: 1-line block ×4, first 2 shown]
                                        ; implicit-def: $vgpr50 : SGPR spill to VGPR lane
	s_mov_b64 s[22:23], 0
	s_waitcnt lgkmcnt(0)
	v_pk_mov_b32 v[2:3], s[20:21], s[20:21] op_sel:[0,1]
	v_cmp_lt_u64_e32 vcc, s[18:19], v[2:3]
	s_and_b64 vcc, exec, vcc
	v_writelane_b32 v50, s0, 0
	v_writelane_b32 v50, s1, 1
	s_mov_b64 s[0:1], 0
	v_writelane_b32 v50, s0, 2
	v_writelane_b32 v50, s1, 3
	s_cbranch_vccnz .LBB117_3
; %bb.2:
	v_cvt_f32_u32_e32 v1, s20
	s_sub_i32 s0, 0, s20
	v_rcp_iflag_f32_e32 v1, v1
	v_mul_f32_e32 v1, 0x4f7ffffe, v1
	v_cvt_u32_f32_e32 v1, v1
	v_readfirstlane_b32 s1, v1
	s_mul_i32 s0, s0, s1
	s_mul_hi_u32 s0, s1, s0
	s_add_i32 s1, s1, s0
	s_mul_hi_u32 s0, s18, s1
	s_mul_i32 s2, s0, s20
	s_sub_i32 s2, s18, s2
	s_add_i32 s1, s0, 1
	s_sub_i32 s3, s2, s20
	s_cmp_ge_u32 s2, s20
	s_cselect_b32 s0, s1, s0
	s_cselect_b32 s2, s3, s2
	s_add_i32 s1, s0, 1
	s_cmp_ge_u32 s2, s20
	s_cselect_b32 s22, s1, s0
.LBB117_3:
	s_load_dwordx2 s[14:15], s[4:5], 0x340
	s_load_dwordx2 s[0:1], s[4:5], 0x1b0
	s_waitcnt lgkmcnt(0)
	v_pk_mov_b32 v[2:3], s[0:1], s[0:1] op_sel:[0,1]
	v_cmp_lt_u64_e32 vcc, s[18:19], v[2:3]
	s_cbranch_vccnz .LBB117_5
; %bb.4:
	s_load_dwordx2 s[16:17], s[4:5], 0x1b0
	s_waitcnt lgkmcnt(0)
	v_cvt_f32_u32_e32 v1, s16
	s_sub_i32 s0, 0, s16
	v_rcp_iflag_f32_e32 v1, v1
	v_mul_f32_e32 v1, 0x4f7ffffe, v1
	v_cvt_u32_f32_e32 v1, v1
	v_readfirstlane_b32 s1, v1
	s_mul_i32 s0, s0, s1
	s_mul_hi_u32 s0, s1, s0
	s_add_i32 s1, s1, s0
	s_mul_hi_u32 s0, s18, s1
	s_mul_i32 s2, s0, s16
	s_sub_i32 s2, s18, s2
	s_add_i32 s1, s0, 1
	s_sub_i32 s3, s2, s16
	s_cmp_ge_u32 s2, s16
	s_cselect_b32 s0, s1, s0
	s_cselect_b32 s2, s3, s2
	s_add_i32 s1, s0, 1
	s_cmp_ge_u32 s2, s16
	s_cselect_b32 s0, s1, s0
	v_writelane_b32 v50, s0, 2
	v_writelane_b32 v50, s1, 3
.LBB117_5:
	s_load_dwordx4 s[0:3], s[4:5], 0x410
	v_writelane_b32 v50, s22, 4
	v_pk_mov_b32 v[2:3], s[8:9], s[8:9] op_sel:[0,1]
	v_writelane_b32 v50, s23, 5
	v_cmp_lt_u64_e32 vcc, s[18:19], v[2:3]
	v_writelane_b32 v50, s20, 6
	s_mov_b64 s[16:17], 0
	v_writelane_b32 v50, s21, 7
	s_cbranch_vccnz .LBB117_7
; %bb.6:
	v_cvt_f32_u32_e32 v1, s8
	s_sub_i32 s7, 0, s8
	v_rcp_iflag_f32_e32 v1, v1
	v_mul_f32_e32 v1, 0x4f7ffffe, v1
	v_cvt_u32_f32_e32 v1, v1
	v_readfirstlane_b32 s11, v1
	s_mul_i32 s7, s7, s11
	s_mul_hi_u32 s7, s11, s7
	s_add_i32 s11, s11, s7
	s_mul_hi_u32 s7, s18, s11
	s_mul_i32 s16, s7, s8
	s_sub_i32 s16, s18, s16
	s_add_i32 s11, s7, 1
	s_sub_i32 s17, s16, s8
	s_cmp_ge_u32 s16, s8
	s_cselect_b32 s7, s11, s7
	s_cselect_b32 s16, s17, s16
	s_add_i32 s11, s7, 1
	s_cmp_ge_u32 s16, s8
	s_cselect_b32 s16, s11, s7
.LBB117_7:
	s_load_dwordx2 s[20:21], s[4:5], 0x1a0
	s_mul_i32 s7, s16, s9
	s_mul_hi_u32 s9, s16, s8
	s_add_i32 s9, s9, s7
	s_mul_i32 s7, s16, s8
	s_waitcnt lgkmcnt(0)
	v_writelane_b32 v50, s20, 8
	v_writelane_b32 v50, s21, 9
	s_load_dwordx2 s[20:21], s[4:5], 0x0
	s_mov_b32 s8, s18
	s_sub_u32 s7, s18, s7
	s_mul_i32 s3, s7, s3
	s_mul_i32 s1, s16, s1
	s_waitcnt lgkmcnt(0)
	v_writelane_b32 v50, s20, 10
	v_writelane_b32 v50, s21, 11
	;; [unrolled: 1-line block ×4, first 2 shown]
	s_subb_u32 s8, 0, s9
	s_mul_hi_u32 s9, s7, s2
	s_mul_i32 s8, s8, s2
	s_mul_i32 s2, s7, s2
	s_mul_hi_u32 s7, s16, s0
	s_add_i32 s3, s9, s3
	s_add_i32 s1, s7, s1
	s_mul_i32 s0, s16, s0
	s_add_i32 s3, s3, s8
	s_lshl_b64 s[0:1], s[0:1], 3
	s_add_u32 s7, s14, s0
	s_addc_u32 s8, s15, s1
	s_lshl_b64 s[0:1], s[2:3], 3
	s_add_u32 s33, s7, s0
	s_addc_u32 s84, s8, s1
	v_mov_b32_e32 v1, 0
	v_pk_mov_b32 v[2:3], 0, 0
	v_cmp_gt_u64_e64 s[0:1], s[52:53], v[0:1]
	s_mov_b64 s[2:3], exec
	v_writelane_b32 v50, s0, 14
	v_writelane_b32 v50, s1, 15
	s_and_b64 s[0:1], s[2:3], s[0:1]
	s_mov_b64 exec, s[0:1]
	s_cbranch_execz .LBB117_11
; %bb.8:
	s_load_dword s0, s[12:13], 0xc
	s_mov_b32 s1, 0
	s_mov_b64 s[8:9], 0
	v_pk_mov_b32 v[2:3], 0, 0
	v_mov_b32_e32 v6, s84
	s_waitcnt lgkmcnt(0)
	s_and_b32 s0, s0, 0xffff
	v_mov_b32_e32 v7, s1
	v_pk_mov_b32 v[4:5], v[0:1], v[0:1] op_sel:[0,1]
.LBB117_9:                              ; =>This Inner Loop Header: Depth=1
	v_mul_lo_u32 v10, v5, s68
	v_mul_lo_u32 v11, v4, s69
	v_mad_u64_u32 v[8:9], s[14:15], v4, s68, 0
	v_add3_u32 v9, v9, v11, v10
	v_lshlrev_b64 v[8:9], 3, v[8:9]
	v_add_co_u32_e32 v8, vcc, s33, v8
	v_addc_co_u32_e32 v9, vcc, v6, v9, vcc
	global_load_dwordx2 v[8:9], v[8:9], off
	v_add_co_u32_e32 v4, vcc, s0, v4
	v_addc_co_u32_e32 v5, vcc, v5, v7, vcc
	v_cmp_le_u64_e32 vcc, s[52:53], v[4:5]
	s_or_b64 s[8:9], vcc, s[8:9]
	s_waitcnt vmcnt(0)
	v_cmp_u_f64_e32 vcc, v[8:9], v[8:9]
	v_cndmask_b32_e64 v8, 0, 1, vcc
	v_add_co_u32_e32 v2, vcc, v2, v8
	v_addc_co_u32_e32 v3, vcc, 0, v3, vcc
	s_andn2_b64 exec, exec, s[8:9]
	s_cbranch_execnz .LBB117_9
; %bb.10:
	s_or_b64 exec, exec, s[8:9]
.LBB117_11:
	s_or_b64 exec, exec, s[2:3]
	s_load_dwordx4 s[0:3], s[4:5], 0x270
	s_waitcnt lgkmcnt(0)
	v_writelane_b32 v50, s0, 18
	v_writelane_b32 v50, s1, 19
	;; [unrolled: 1-line block ×4, first 2 shown]
	s_load_dwordx4 s[0:3], s[4:5], 0xd0
	s_waitcnt lgkmcnt(0)
	v_writelane_b32 v50, s0, 22
	v_writelane_b32 v50, s1, 23
	;; [unrolled: 1-line block ×4, first 2 shown]
	v_cmp_eq_u32_e64 s[0:1], 0, v0
	s_mov_b64 s[2:3], exec
	v_writelane_b32 v50, s0, 16
	v_writelane_b32 v50, s1, 17
	s_and_b64 s[0:1], s[2:3], s[0:1]
	s_mov_b64 exec, s[0:1]
	s_cbranch_execz .LBB117_13
; %bb.12:
	v_mov_b32_e32 v4, 0
	v_mov_b32_e32 v5, v4
	ds_write_b64 v4, v[4:5] offset:5136
.LBB117_13:
	s_or_b64 exec, exec, s[2:3]
	s_mov_b64 s[8:9], 0
	v_cmp_ne_u64_e32 vcc, 0, v[2:3]
	s_waitcnt lgkmcnt(0)
	s_barrier
	s_and_saveexec_b64 s[2:3], vcc
	s_cbranch_execz .LBB117_18
; %bb.14:
	s_mov_b64 s[14:15], exec
.LBB117_15:                             ; =>This Inner Loop Header: Depth=1
	s_ff1_i32_b64 s0, s[14:15]
	v_readlane_b32 s7, v2, s0
	v_readlane_b32 s1, v3, s0
	s_add_u32 s8, s8, s7
	s_addc_u32 s9, s9, s1
	s_lshl_b64 s[0:1], 1, s0
	s_andn2_b64 s[14:15], s[14:15], s[0:1]
	s_cmp_lg_u64 s[14:15], 0
	s_cbranch_scc1 .LBB117_15
; %bb.16:
	v_mbcnt_lo_u32_b32 v2, exec_lo, 0
	v_mbcnt_hi_u32_b32 v2, exec_hi, v2
	v_cmp_eq_u32_e32 vcc, 0, v2
	s_and_saveexec_b64 s[0:1], vcc
	s_xor_b64 s[0:1], exec, s[0:1]
	s_cbranch_execz .LBB117_18
; %bb.17:
	v_mov_b32_e32 v4, 0
	v_pk_mov_b32 v[2:3], s[8:9], s[8:9] op_sel:[0,1]
	ds_add_u64 v4, v[2:3] offset:5136
.LBB117_18:
	s_or_b64 exec, exec, s[2:3]
	v_mov_b32_e32 v3, 0
	s_waitcnt lgkmcnt(0)
	s_barrier
	ds_read_b64 v[4:5], v3 offset:5136
	s_waitcnt lgkmcnt(0)
	v_readfirstlane_b32 s2, v4
	v_readfirstlane_b32 s3, v5
	s_mov_b64 s[8:9], exec
	v_readlane_b32 s0, v50, 16
	v_readlane_b32 s1, v50, 17
	s_and_b64 s[0:1], s[8:9], s[0:1]
	s_mov_b64 exec, s[0:1]
	s_cbranch_execz .LBB117_20
; %bb.19:
	v_mov_b32_e32 v4, s52
	v_mov_b32_e32 v5, s53
	;; [unrolled: 1-line block ×3, first 2 shown]
	ds_write_b32 v3, v3 offset:5144
	ds_write_b128 v3, v[2:5] offset:5120
.LBB117_20:
	s_or_b64 exec, exec, s[8:9]
	s_load_dword s4, s[4:5], 0x4f8
	v_cmp_lt_i64_e64 s[0:1], s[2:3], 1
	v_mov_b32_e32 v4, 0x180
	v_mov_b32_e32 v5, 0
	v_mbcnt_lo_u32_b32 v2, -1, 0
	s_waitcnt lgkmcnt(0)
	s_bitcmp1_b32 s4, 0
	s_cselect_b64 s[4:5], -1, 0
	s_not_b64 s[2:3], s[2:3]
	s_or_b64 s[0:1], s[4:5], s[0:1]
	s_add_u32 s2, s2, s52
	s_addc_u32 s3, s3, s53
	s_lshr_b64 s[2:3], s[2:3], 1
	s_add_u32 s2, s2, 1
	s_addc_u32 s3, s3, 0
	s_and_b64 s[0:1], s[0:1], exec
	v_cmp_gt_u32_e64 s[0:1], 2, v0
	v_writelane_b32 v50, s0, 26
	v_writelane_b32 v50, s1, 27
	v_cmp_gt_u64_e64 s[0:1], s[52:53], v[4:5]
	v_writelane_b32 v50, s0, 28
	v_writelane_b32 v50, s1, 29
	v_mad_u64_u32 v[4:5], s[0:1], v0, s68, 0
	v_mbcnt_hi_u32_b32 v30, -1, v2
	v_mov_b32_e32 v2, v5
	v_mad_u64_u32 v[6:7], s[0:1], v0, s69, v[2:3]
	s_barrier
	s_load_dword s0, s[12:13], 0xc
	v_cmp_gt_u32_e32 vcc, 64, v0
	v_cmp_gt_i32_e64 s[8:9], 4, v30
	s_cselect_b32 s83, s3, s53
	s_cselect_b32 s82, s2, s52
	s_and_b64 s[90:91], vcc, s[8:9]
	s_waitcnt lgkmcnt(0)
	s_and_b32 s85, s0, 0xffff
	s_bfe_u32 s1, s0, 0xa0006
	v_cmp_gt_u16_e64 s[2:3], s0, 63
	v_writelane_b32 v50, s2, 30
	s_add_u32 s0, s85, -1
	v_writelane_b32 v50, s3, 31
	s_addc_u32 s2, 0, -1
	s_add_u32 s27, s0, s52
	s_addc_u32 s87, s2, s53
	s_cmp_lt_u32 s6, s10
	v_writelane_b32 v50, s0, 32
	s_cselect_b32 s0, 12, 18
	s_add_u32 s88, s12, s0
	v_writelane_b32 v50, s2, 33
	s_addc_u32 s89, s13, 0
	s_add_i32 s0, s1, -1
	s_bfe_u32 s2, s85, 0x30006
	s_cmp_gt_u32 s0, 6
	s_cselect_b64 s[6:7], -1, 0
	v_writelane_b32 v50, s6, 34
	s_and_b32 s0, s1, 0x3f8
	v_mov_b32_e32 v5, v6
	v_writelane_b32 v50, s7, 35
	s_cmp_lg_u32 s2, 0
	v_lshlrev_b64 v[4:5], 3, v[4:5]
	v_lshrrev_b32_e32 v2, 4, v0
	v_writelane_b32 v50, s2, 36
	s_cselect_b64 s[2:3], -1, 0
	v_mov_b32_e32 v33, s84
	v_add_co_u32_e32 v18, vcc, s33, v4
	v_and_b32_e32 v34, 60, v2
	v_lshlrev_b32_e32 v2, 2, v30
	v_writelane_b32 v50, s2, 37
	s_mov_b32 s79, 0
	v_lshlrev_b32_e32 v31, 3, v0
	v_addc_co_u32_e32 v19, vcc, v33, v5, vcc
	v_and_b32_e32 v35, 0x100, v2
	v_lshlrev_b64 v[4:5], v30, -1
	v_writelane_b32 v50, s3, 38
	v_mov_b32_e32 v2, 0xc00
	v_cmp_eq_u32_e64 s[4:5], 0, v30
	v_add_u32_e32 v32, 0xc00, v31
	v_lshlrev_b32_e32 v20, 2, v0
	v_mov_b32_e32 v21, v3
	v_not_b32_e32 v23, v5
	v_not_b32_e32 v22, v4
	s_mov_b32 s26, s79
	v_lshlrev_b32_e32 v36, 5, v0
	v_lshl_or_b32 v37, v30, 3, v2
	s_lshl_b32 s1, s85, 3
	s_mov_b32 s80, 62
	s_mov_b64 s[94:95], 0
	v_pk_mov_b32 v[8:9], 0, 0
	v_mov_b32_e32 v5, 0x3ff00000
	v_mov_b32_e32 v38, 0x4f800000
	s_mov_b32 s81, 0
	s_mov_b64 s[72:73], 0
	s_mov_b64 s[64:65], 0
	v_writelane_b32 v50, s90, 39
                                        ; implicit-def: $sgpr56_sgpr57
                                        ; implicit-def: $sgpr76_sgpr77
                                        ; implicit-def: $sgpr58_sgpr59
                                        ; implicit-def: $sgpr60_sgpr61
                                        ; implicit-def: $sgpr62_sgpr63
                                        ; implicit-def: $sgpr66_sgpr67
	v_writelane_b32 v50, s91, 40
	s_branch .LBB117_25
.LBB117_21:                             ;   in Loop: Header=BB117_25 Depth=1
	s_xor_b32 s81, s81, 1
	s_add_i32 s10, s80, -2
	s_cmp_eq_u32 s80, 0
	s_mov_b64 s[6:7], 0
	s_cselect_b64 s[8:9], -1, 0
	s_mov_b32 s80, s10
.LBB117_22:                             ;   in Loop: Header=BB117_25 Depth=1
	s_andn2_b64 s[10:11], s[24:25], exec
	s_and_b64 s[6:7], s[6:7], exec
	s_or_b64 s[24:25], s[10:11], s[6:7]
	s_andn2_b64 s[28:29], s[28:29], exec
	s_andn2_b64 s[22:23], s[22:23], exec
	s_orn2_b64 s[16:17], s[8:9], exec
.LBB117_23:                             ;   in Loop: Header=BB117_25 Depth=1
	s_or_b64 exec, exec, s[2:3]
	s_andn2_b64 s[2:3], s[66:67], exec
	s_and_b64 s[6:7], s[24:25], exec
	s_or_b64 s[66:67], s[2:3], s[6:7]
	s_andn2_b64 s[2:3], s[62:63], exec
	s_and_b64 s[6:7], s[28:29], exec
	s_or_b64 s[62:63], s[2:3], s[6:7]
	;; [unrolled: 3-line block ×3, first 2 shown]
	s_orn2_b64 s[22:23], s[16:17], exec
.LBB117_24:                             ;   in Loop: Header=BB117_25 Depth=1
	s_or_b64 exec, exec, s[14:15]
	s_and_b64 s[2:3], exec, s[22:23]
	s_or_b64 s[94:95], s[2:3], s[94:95]
	s_andn2_b64 s[2:3], s[58:59], exec
	s_and_b64 s[6:7], s[66:67], exec
	s_or_b64 s[58:59], s[2:3], s[6:7]
	s_andn2_b64 s[2:3], s[76:77], exec
	s_and_b64 s[6:7], s[62:63], exec
	;; [unrolled: 3-line block ×3, first 2 shown]
	s_waitcnt vmcnt(0)
	v_pk_mov_b32 v[6:7], s[72:73], s[72:73] op_sel:[0,1]
	s_or_b64 s[56:57], s[2:3], s[6:7]
	s_andn2_b64 exec, exec, s[94:95]
	s_cbranch_execz .LBB117_294
.LBB117_25:                             ; =>This Loop Header: Depth=1
                                        ;     Child Loop BB117_33 Depth 2
                                        ;     Child Loop BB117_48 Depth 2
	;; [unrolled: 1-line block ×16, first 2 shown]
	ds_read_b128 v[10:13], v3 offset:5120
	s_waitcnt lgkmcnt(0)
	v_readfirstlane_b32 s75, v11
	v_readfirstlane_b32 s74, v10
	s_cmp_lg_u64 s[74:75], 0
	s_cbranch_scc1 .LBB117_55
; %bb.26:                               ;   in Loop: Header=BB117_25 Depth=1
	v_readlane_b32 s2, v50, 28
	v_readlane_b32 s3, v50, 29
	s_and_b64 vcc, exec, s[2:3]
	s_cbranch_vccz .LBB117_41
; %bb.27:                               ;   in Loop: Header=BB117_25 Depth=1
	s_mov_b64 s[2:3], 0x181
	v_cmp_gt_u64_e32 vcc, s[2:3], v[12:13]
	s_mov_b64 s[74:75], 0
	s_mov_b64 s[2:3], 0
	s_cbranch_vccz .LBB117_42
; %bb.28:                               ;   in Loop: Header=BB117_25 Depth=1
	v_pk_mov_b32 v[6:7], 0, 0
	s_mov_b64 s[2:3], exec
	v_readlane_b32 s6, v50, 14
	v_readlane_b32 s7, v50, 15
	s_and_b64 s[6:7], s[2:3], s[6:7]
	s_mov_b64 exec, s[6:7]
	s_cbranch_execz .LBB117_30
; %bb.29:                               ;   in Loop: Header=BB117_25 Depth=1
	global_load_dwordx2 v[6:7], v[18:19], off
.LBB117_30:                             ;   in Loop: Header=BB117_25 Depth=1
	s_or_b64 exec, exec, s[2:3]
	s_mov_b64 s[2:3], exec
	v_readlane_b32 s6, v50, 14
	v_readlane_b32 s7, v50, 15
	s_and_b64 s[6:7], s[2:3], s[6:7]
	s_mov_b64 exec, s[6:7]
	s_cbranch_execz .LBB117_158
; %bb.31:                               ;   in Loop: Header=BB117_25 Depth=1
	global_load_ushort v2, v3, s[88:89]
	s_mov_b64 s[8:9], 0
	v_pk_mov_b32 v[10:11], v[0:1], v[0:1] op_sel:[0,1]
	s_branch .LBB117_33
.LBB117_32:                             ;   in Loop: Header=BB117_33 Depth=2
	s_or_b64 exec, exec, s[6:7]
	s_waitcnt vmcnt(0)
	v_pk_mov_b32 v[6:7], v[12:13], v[12:13] op_sel:[0,1]
	s_andn2_b64 exec, exec, s[8:9]
	s_cbranch_execz .LBB117_158
.LBB117_33:                             ;   Parent Loop BB117_25 Depth=1
                                        ; =>  This Inner Loop Header: Depth=2
	s_waitcnt vmcnt(0)
	v_add_co_u32_sdwa v10, vcc, v10, v2 dst_sel:DWORD dst_unused:UNUSED_PAD src0_sel:DWORD src1_sel:WORD_0
	v_addc_co_u32_e32 v11, vcc, 0, v11, vcc
	v_cmp_gt_u64_e64 s[6:7], s[52:53], v[10:11]
	v_cmp_le_u64_e32 vcc, s[52:53], v[10:11]
	v_pk_mov_b32 v[12:13], 0, 0
	s_and_saveexec_b64 s[10:11], s[6:7]
	s_cbranch_execz .LBB117_35
; %bb.34:                               ;   in Loop: Header=BB117_33 Depth=2
	s_waitcnt lgkmcnt(0)
	v_mul_lo_u32 v4, v11, s68
	v_mul_lo_u32 v14, v10, s69
	v_mad_u64_u32 v[12:13], s[6:7], v10, s68, 0
	v_add3_u32 v13, v13, v14, v4
	v_lshlrev_b64 v[12:13], 3, v[12:13]
	v_add_co_u32_e64 v12, s[6:7], s33, v12
	v_addc_co_u32_e64 v13, s[6:7], v33, v13, s[6:7]
	global_load_dwordx2 v[12:13], v[12:13], off
.LBB117_35:                             ;   in Loop: Header=BB117_33 Depth=2
	s_or_b64 exec, exec, s[10:11]
	s_waitcnt lgkmcnt(0)
	v_ashrrev_i32_e32 v4, 31, v7
	v_or_b32_e32 v14, 0x80000000, v4
	v_xor_b32_e32 v14, v14, v7
	v_xor_b32_e32 v4, v4, v6
	v_cmp_o_f64_e64 s[6:7], v[6:7], v[6:7]
	v_cndmask_b32_e64 v14, -1, v14, s[6:7]
	v_cndmask_b32_e64 v4, -1, v4, s[6:7]
	v_and_b32_e32 v15, s65, v14
	v_and_b32_e32 v14, s64, v4
	v_cmp_eq_u64_e64 s[10:11], s[72:73], v[14:15]
	s_cmp_lg_u64 s[10:11], 0
	s_cselect_b64 s[6:7], -1, 0
	s_and_b64 s[6:7], s[4:5], s[6:7]
	v_mov_b32_e32 v4, 0
	s_and_saveexec_b64 s[12:13], s[6:7]
	s_cbranch_execz .LBB117_39
; %bb.36:                               ;   in Loop: Header=BB117_33 Depth=2
	s_mov_b64 s[16:17], exec
	v_mbcnt_lo_u32_b32 v4, s16, 0
	v_mbcnt_hi_u32_b32 v4, s17, v4
	s_bcnt1_i32_b64 s18, s[10:11]
	v_cmp_eq_u32_e64 s[6:7], 0, v4
                                        ; implicit-def: $vgpr14
	s_and_saveexec_b64 s[14:15], s[6:7]
	s_cbranch_execz .LBB117_38
; %bb.37:                               ;   in Loop: Header=BB117_33 Depth=2
	s_bcnt1_i32_b64 s6, s[16:17]
	s_mul_i32 s6, s18, s6
	v_mov_b32_e32 v14, s6
	ds_add_rtn_u32 v14, v3, v14 offset:5144
.LBB117_38:                             ;   in Loop: Header=BB117_33 Depth=2
	s_or_b64 exec, exec, s[14:15]
	s_waitcnt lgkmcnt(0)
	v_readfirstlane_b32 s6, v14
	v_mov_b32_e32 v14, s6
	v_mad_u32_u24 v4, s18, v4, v14
.LBB117_39:                             ;   in Loop: Header=BB117_33 Depth=2
	s_or_b64 exec, exec, s[12:13]
	ds_bpermute_b32 v4, v35, v4
	s_and_b64 s[6:7], exec, vcc
	s_or_b64 s[8:9], s[6:7], s[8:9]
	s_and_saveexec_b64 s[6:7], s[10:11]
	s_cbranch_execz .LBB117_32
; %bb.40:                               ;   in Loop: Header=BB117_33 Depth=2
	v_and_b32_e32 v15, s10, v22
	v_and_b32_e32 v14, s11, v23
	v_bcnt_u32_b32 v15, v15, 0
	v_bcnt_u32_b32 v14, v14, v15
	v_lshlrev_b32_e32 v14, 3, v14
	s_waitcnt lgkmcnt(0)
	v_lshl_add_u32 v4, v4, 3, v14
	ds_write_b64 v4, v[6:7]
	s_branch .LBB117_32
.LBB117_41:                             ;   in Loop: Header=BB117_25 Depth=1
	s_mov_b64 s[74:75], -1
	s_mov_b64 s[2:3], 0
.LBB117_42:                             ;   in Loop: Header=BB117_25 Depth=1
	s_and_b64 vcc, exec, s[74:75]
	s_cbranch_vccz .LBB117_53
.LBB117_43:                             ;   in Loop: Header=BB117_25 Depth=1
	s_waitcnt vmcnt(0)
	v_pk_mov_b32 v[6:7], 0, 0
	s_mov_b64 s[2:3], exec
	v_readlane_b32 s6, v50, 14
	v_readlane_b32 s7, v50, 15
	s_and_b64 s[6:7], s[2:3], s[6:7]
	s_mov_b64 exec, s[6:7]
	s_cbranch_execz .LBB117_45
; %bb.44:                               ;   in Loop: Header=BB117_25 Depth=1
	global_load_dwordx2 v[6:7], v[18:19], off
.LBB117_45:                             ;   in Loop: Header=BB117_25 Depth=1
	s_or_b64 exec, exec, s[2:3]
	s_mov_b64 s[2:3], exec
	v_readlane_b32 s6, v50, 14
	v_readlane_b32 s7, v50, 15
	s_and_b64 s[6:7], s[2:3], s[6:7]
	s_mov_b64 exec, s[6:7]
	s_cbranch_execz .LBB117_50
; %bb.46:                               ;   in Loop: Header=BB117_25 Depth=1
	global_load_ushort v4, v3, s[88:89]
	s_mov_b64 s[8:9], 0
	v_mov_b32_e32 v2, v31
	v_pk_mov_b32 v[10:11], v[0:1], v[0:1] op_sel:[0,1]
	s_waitcnt vmcnt(0)
	v_and_b32_e32 v4, 0xffff, v4
	v_lshlrev_b32_e32 v14, 3, v4
	s_branch .LBB117_48
.LBB117_47:                             ;   in Loop: Header=BB117_48 Depth=2
	s_or_b64 exec, exec, s[10:11]
	s_and_b64 s[6:7], exec, vcc
	s_or_b64 s[8:9], s[6:7], s[8:9]
	ds_write_b64 v2, v[6:7]
	v_add_u32_e32 v2, v2, v14
	s_waitcnt vmcnt(0)
	v_pk_mov_b32 v[6:7], v[12:13], v[12:13] op_sel:[0,1]
	s_andn2_b64 exec, exec, s[8:9]
	s_cbranch_execz .LBB117_50
.LBB117_48:                             ;   Parent Loop BB117_25 Depth=1
                                        ; =>  This Inner Loop Header: Depth=2
	v_add_co_u32_e32 v10, vcc, v10, v4
	v_addc_co_u32_e32 v11, vcc, 0, v11, vcc
	v_cmp_gt_u64_e64 s[6:7], s[52:53], v[10:11]
	v_cmp_le_u64_e32 vcc, s[52:53], v[10:11]
	v_pk_mov_b32 v[12:13], 0, 0
	s_and_saveexec_b64 s[10:11], s[6:7]
	s_cbranch_execz .LBB117_47
; %bb.49:                               ;   in Loop: Header=BB117_48 Depth=2
	v_mul_lo_u32 v15, v11, s68
	v_mul_lo_u32 v16, v10, s69
	v_mad_u64_u32 v[12:13], s[6:7], v10, s68, 0
	v_add3_u32 v13, v13, v16, v15
	v_lshlrev_b64 v[12:13], 3, v[12:13]
	v_mov_b32_e32 v15, s84
	v_add_co_u32_e64 v12, s[6:7], s33, v12
	v_addc_co_u32_e64 v13, s[6:7], v15, v13, s[6:7]
	global_load_dwordx2 v[12:13], v[12:13], off
	s_branch .LBB117_47
.LBB117_50:                             ;   in Loop: Header=BB117_25 Depth=1
	s_or_b64 exec, exec, s[2:3]
	s_waitcnt lgkmcnt(0)
	s_barrier
	s_mov_b64 s[2:3], exec
	v_readlane_b32 s6, v50, 16
	v_readlane_b32 s7, v50, 17
	s_and_b64 s[6:7], s[2:3], s[6:7]
	s_mov_b64 exec, s[6:7]
	s_cbranch_execz .LBB117_52
; %bb.51:                               ;   in Loop: Header=BB117_25 Depth=1
	s_waitcnt vmcnt(0)
	v_pk_mov_b32 v[6:7], s[52:53], s[52:53] op_sel:[0,1]
	ds_write_b64 v3, v[6:7] offset:5120
.LBB117_52:                             ;   in Loop: Header=BB117_25 Depth=1
	s_or_b64 exec, exec, s[2:3]
	s_mov_b64 s[2:3], -1
	s_waitcnt lgkmcnt(0)
	s_barrier
                                        ; implicit-def: $sgpr74_sgpr75
.LBB117_53:                             ;   in Loop: Header=BB117_25 Depth=1
	s_and_b64 vcc, exec, s[2:3]
	s_cbranch_vccz .LBB117_55
; %bb.54:                               ;   in Loop: Header=BB117_25 Depth=1
	s_waitcnt vmcnt(0)
	ds_read_b64 v[6:7], v3 offset:5120
	s_waitcnt lgkmcnt(0)
	v_readfirstlane_b32 s74, v6
.LBB117_55:                             ;   in Loop: Header=BB117_25 Depth=1
	s_cmp_lt_i32 s74, 1
	s_cbranch_scc0 .LBB117_70
; %bb.56:                               ;   in Loop: Header=BB117_25 Depth=1
	global_load_ushort v4, v3, s[88:89]
	s_mov_b32 s2, s79
	s_waitcnt vmcnt(0)
	v_readfirstlane_b32 s3, v4
	s_and_b32 s3, 0xffff, s3
	s_lshl_b32 s54, s3, 2
	s_mov_b32 s3, s53
	s_cmp_lg_u64 s[2:3], 0
	s_cbranch_scc0 .LBB117_90
; %bb.57:                               ;   in Loop: Header=BB117_25 Depth=1
	v_cvt_f32_u32_e32 v2, s54
	s_sub_u32 s2, 0, s54
	s_subb_u32 s3, 0, 0
	v_mac_f32_e32 v2, 0, v38
	v_rcp_f32_e32 v2, v2
	v_mul_f32_e32 v2, 0x5f7ffffc, v2
	v_mul_f32_e32 v6, 0x2f800000, v2
	v_trunc_f32_e32 v6, v6
	v_mac_f32_e32 v2, 0xcf800000, v6
	v_cvt_u32_f32_e32 v6, v6
	v_cvt_u32_f32_e32 v2, v2
	v_readfirstlane_b32 s6, v6
	v_readfirstlane_b32 s7, v2
	s_mul_i32 s8, s2, s6
	s_mul_hi_u32 s10, s2, s7
	s_mul_i32 s9, s3, s7
	s_add_i32 s8, s10, s8
	s_mul_i32 s11, s2, s7
	s_add_i32 s8, s8, s9
	s_mul_hi_u32 s10, s7, s11
	s_mul_hi_u32 s9, s7, s8
	s_mul_i32 s7, s7, s8
	s_add_u32 s7, s10, s7
	s_addc_u32 s9, 0, s9
	s_mul_hi_u32 s12, s6, s11
	s_mul_i32 s11, s6, s11
	s_add_u32 s7, s7, s11
	s_mul_hi_u32 s10, s6, s8
	s_addc_u32 s7, s9, s12
	s_addc_u32 s9, s10, 0
	s_mul_i32 s8, s6, s8
	s_add_u32 s7, s7, s8
	s_addc_u32 s8, 0, s9
	v_add_co_u32_e32 v2, vcc, s7, v2
	s_cmp_lg_u64 vcc, 0
	s_addc_u32 s6, s6, s8
	v_readfirstlane_b32 s8, v2
	s_mul_i32 s7, s2, s6
	s_mul_hi_u32 s9, s2, s8
	s_add_i32 s7, s9, s7
	s_mul_i32 s3, s3, s8
	s_add_i32 s7, s7, s3
	s_mul_i32 s2, s2, s8
	s_mul_hi_u32 s9, s6, s2
	s_mul_i32 s10, s6, s2
	s_mul_i32 s12, s8, s7
	s_mul_hi_u32 s2, s8, s2
	s_mul_hi_u32 s11, s8, s7
	s_add_u32 s2, s2, s12
	s_addc_u32 s8, 0, s11
	s_add_u32 s2, s2, s10
	s_mul_hi_u32 s3, s6, s7
	s_addc_u32 s2, s8, s9
	s_addc_u32 s3, s3, 0
	s_mul_i32 s7, s6, s7
	s_add_u32 s2, s2, s7
	s_addc_u32 s3, 0, s3
	v_add_co_u32_e32 v2, vcc, s2, v2
	s_cmp_lg_u64 vcc, 0
	s_addc_u32 s2, s6, s3
	v_readfirstlane_b32 s7, v2
	s_mul_i32 s6, s52, s2
	s_mul_hi_u32 s8, s52, s7
	s_mul_hi_u32 s3, s52, s2
	s_add_u32 s6, s8, s6
	s_addc_u32 s3, 0, s3
	s_mul_hi_u32 s9, s53, s7
	s_mul_i32 s7, s53, s7
	s_add_u32 s6, s6, s7
	s_mul_hi_u32 s8, s53, s2
	s_addc_u32 s3, s3, s9
	s_addc_u32 s6, s8, 0
	s_mul_i32 s2, s53, s2
	s_add_u32 s2, s3, s2
	s_addc_u32 s3, 0, s6
	s_mul_hi_u32 s6, s54, s2
	s_mul_i32 s2, s54, s2
	s_mul_i32 s3, s54, s3
	v_mov_b32_e32 v2, s2
	s_add_i32 s6, s6, s3
	v_sub_co_u32_e32 v2, vcc, s52, v2
	s_cmp_lg_u64 vcc, 0
	s_subb_u32 s2, s53, s6
	v_subrev_co_u32_e32 v6, vcc, s54, v2
	s_cmp_lg_u64 vcc, 0
	s_subb_u32 s3, s2, 0
	v_subrev_co_u32_e32 v7, vcc, s54, v6
	s_cmp_lg_u64 vcc, 0
	s_subb_u32 s6, s3, 0
	v_cmp_le_u32_e32 vcc, s54, v6
	s_cmp_eq_u32 s3, 0
	v_cndmask_b32_e64 v10, 0, -1, vcc
	s_cselect_b64 vcc, -1, 0
	v_cndmask_b32_e32 v10, -1, v10, vcc
	v_mov_b32_e32 v11, s3
	v_mov_b32_e32 v12, s6
	v_cmp_ne_u32_e32 vcc, 0, v10
	v_cndmask_b32_e32 v10, v11, v12, vcc
	v_cndmask_b32_e32 v6, v6, v7, vcc
	v_cmp_le_u32_e32 vcc, s54, v2
	s_cmp_eq_u32 s2, 0
	v_cndmask_b32_e64 v7, 0, -1, vcc
	s_cselect_b64 vcc, -1, 0
	v_cndmask_b32_e32 v7, -1, v7, vcc
	v_mov_b32_e32 v11, s2
	v_cmp_ne_u32_e32 vcc, 0, v7
	v_cndmask_b32_e32 v7, v11, v10, vcc
	v_cndmask_b32_e32 v6, v2, v6, vcc
	s_cbranch_execnz .LBB117_59
.LBB117_58:                             ;   in Loop: Header=BB117_25 Depth=1
	v_cvt_f32_u32_e32 v2, s54
	s_sub_i32 s2, 0, s54
	v_rcp_iflag_f32_e32 v2, v2
	v_mul_f32_e32 v2, 0x4f7ffffe, v2
	v_cvt_u32_f32_e32 v2, v2
	v_mul_lo_u32 v6, s2, v2
	v_mul_hi_u32 v6, v2, v6
	v_add_u32_e32 v2, v2, v6
	v_mul_hi_u32 v2, s52, v2
	v_mul_lo_u32 v2, v2, s54
	v_sub_u32_e32 v2, s52, v2
	v_subrev_u32_e32 v6, s54, v2
	v_cmp_le_u32_e32 vcc, s54, v2
	v_cndmask_b32_e32 v2, v2, v6, vcc
	v_subrev_u32_e32 v6, s54, v2
	v_cmp_le_u32_e32 vcc, s54, v2
	v_cndmask_b32_e32 v2, v2, v6, vcc
	v_pk_mov_b32 v[6:7], v[2:3], v[2:3] op_sel:[0,1]
.LBB117_59:                             ;   in Loop: Header=BB117_25 Depth=1
	v_mov_b32_e32 v2, s53
	v_sub_co_u32_e32 v6, vcc, s52, v6
	v_subb_co_u32_e32 v7, vcc, v2, v7, vcc
	v_pk_mov_b32 v[10:11], 0, 0
	v_cmp_gt_u64_e32 vcc, v[6:7], v[20:21]
	s_mov_b64 s[70:71], 0
	v_pk_mov_b32 v[12:13], v[10:11], v[10:11] op_sel:[0,1]
	v_pk_mov_b32 v[14:15], v[10:11], v[10:11] op_sel:[0,1]
	;; [unrolled: 1-line block ×3, first 2 shown]
	s_and_saveexec_b64 s[50:51], vcc
	s_cbranch_execz .LBB117_63
; %bb.60:                               ;   in Loop: Header=BB117_25 Depth=1
	s_and_b32 s55, s80, 0xfe
	s_mov_b64 s[90:91], 0
	s_mov_b64 s[92:93], 0
	s_mov_b64 s[8:9], 0
	s_mov_b64 s[2:3], 0
	v_pk_mov_b32 v[24:25], v[20:21], v[20:21] op_sel:[0,1]
.LBB117_61:                             ;   Parent Loop BB117_25 Depth=1
                                        ; =>  This Inner Loop Header: Depth=2
	v_mul_lo_u32 v2, v25, s68
	v_mul_lo_u32 v10, v24, s69
	v_mad_u64_u32 v[16:17], s[6:7], v24, s68, 0
	v_add3_u32 v17, v17, v10, v2
	v_lshlrev_b64 v[16:17], 3, v[16:17]
	v_mov_b32_e32 v12, s84
	v_add_co_u32_e64 v16, s[6:7], s33, v16
	s_lshl_b64 s[10:11], s[68:69], 3
	v_addc_co_u32_e64 v17, s[6:7], v12, v17, s[6:7]
	v_mov_b32_e32 v2, s11
	global_load_dwordx2 v[26:27], v[16:17], off
	v_add_co_u32_e64 v16, s[6:7], s10, v16
	v_addc_co_u32_e64 v17, s[6:7], v17, v2, s[6:7]
	global_load_dwordx2 v[28:29], v[16:17], off
	v_add_co_u32_e64 v16, s[6:7], s10, v16
	v_addc_co_u32_e64 v17, s[6:7], v17, v2, s[6:7]
	;; [unrolled: 3-line block ×3, first 2 shown]
	global_load_dwordx2 v[16:17], v[16:17], off
	v_mov_b32_e32 v15, v3
	v_mov_b32_e32 v13, v3
	;; [unrolled: 1-line block ×3, first 2 shown]
	v_add_co_u32_e32 v24, vcc, s54, v24
	v_addc_co_u32_e32 v25, vcc, 0, v25, vcc
	v_cmp_ge_u64_e32 vcc, v[24:25], v[6:7]
	s_waitcnt vmcnt(3)
	v_ashrrev_i32_e32 v2, 31, v27
	v_or_b32_e32 v10, 0x80000000, v2
	v_xor_b32_e32 v2, v2, v26
	v_cmp_o_f64_e64 s[6:7], v[26:27], v[26:27]
	v_xor_b32_e32 v10, v10, v27
	s_waitcnt vmcnt(2)
	v_ashrrev_i32_e32 v12, 31, v29
	v_or_b32_e32 v14, 0x80000000, v12
	v_xor_b32_e32 v12, v12, v28
	v_cndmask_b32_e64 v26, -1, v2, s[6:7]
	v_cmp_o_f64_e64 s[10:11], v[28:29], v[28:29]
	s_waitcnt vmcnt(1)
	v_ashrrev_i32_e32 v39, 31, v41
	v_cndmask_b32_e64 v27, -1, v10, s[6:7]
	v_xor_b32_e32 v2, v14, v29
	v_or_b32_e32 v10, 0x80000000, v39
	v_xor_b32_e32 v14, v39, v40
	s_waitcnt vmcnt(0)
	v_ashrrev_i32_e32 v39, 31, v17
	v_cndmask_b32_e64 v28, -1, v12, s[10:11]
	v_and_b32_e32 v42, s64, v26
	v_cmp_o_f64_e64 s[6:7], v[40:41], v[40:41]
	v_cndmask_b32_e64 v29, -1, v2, s[10:11]
	v_xor_b32_e32 v2, v10, v41
	v_or_b32_e32 v10, 0x80000000, v39
	v_and_b32_e32 v43, s65, v27
	v_lshrrev_b64 v[26:27], s55, v[26:27]
	v_xor_b32_e32 v12, v39, v16
	v_cmp_o_f64_e64 s[12:13], v[16:17], v[16:17]
	v_cndmask_b32_e64 v41, -1, v2, s[6:7]
	v_xor_b32_e32 v10, v10, v17
	v_and_b32_e32 v2, 3, v26
	v_lshrrev_b64 v[16:17], s55, v[28:29]
	v_cndmask_b32_e64 v40, -1, v14, s[6:7]
	v_and_b32_e32 v44, s64, v28
	v_cmp_eq_u64_e64 s[10:11], s[72:73], v[42:43]
	v_and_b32_e32 v45, s65, v29
	v_and_b32_e32 v14, 3, v16
	v_cmp_eq_u64_e64 s[6:7], 0, v[2:3]
	v_cndmask_b32_e64 v26, -1, v12, s[12:13]
	v_cndmask_b32_e64 v27, -1, v10, s[12:13]
	v_cmp_eq_u64_e64 s[12:13], s[72:73], v[44:45]
	v_lshrrev_b64 v[16:17], s55, v[40:41]
	v_cmp_eq_u64_e64 s[24:25], 0, v[14:15]
	s_and_b64 s[6:7], s[10:11], s[6:7]
	v_and_b32_e32 v28, s64, v40
	v_and_b32_e32 v29, s65, v41
	v_cmp_eq_u64_e64 s[28:29], 1, v[2:3]
	v_cmp_eq_u64_e64 s[30:31], 2, v[2:3]
	;; [unrolled: 1-line block ×3, first 2 shown]
	v_and_b32_e32 v12, 3, v16
	v_lshrrev_b64 v[16:17], s55, v[26:27]
	v_cndmask_b32_e64 v2, 0, 1, s[6:7]
	s_and_b64 s[24:25], s[12:13], s[24:25]
	v_and_b32_e32 v40, s64, v26
	v_cmp_eq_u64_e64 s[14:15], s[72:73], v[28:29]
	v_and_b32_e32 v41, s65, v27
	v_and_b32_e32 v10, 3, v16
	v_cmp_eq_u64_e64 s[6:7], 0, v[12:13]
	v_cmp_ne_u32_e64 s[42:43], 0, v2
	v_cndmask_b32_e64 v2, 0, 1, s[24:25]
	v_cmp_eq_u64_e64 s[18:19], s[72:73], v[40:41]
	v_cmp_eq_u64_e64 s[44:45], 0, v[10:11]
	s_bcnt1_i32_b64 s75, s[42:43]
	v_cmp_ne_u32_e64 s[42:43], 0, v2
	s_and_b64 s[6:7], s[14:15], s[6:7]
	v_cndmask_b32_e64 v2, 0, 1, s[6:7]
	s_bcnt1_i32_b64 s78, s[42:43]
	s_and_b64 s[42:43], s[18:19], s[44:45]
	v_cmp_ne_u32_e64 s[6:7], 0, v2
	v_cndmask_b32_e64 v2, 0, 1, s[42:43]
	s_bcnt1_i32_b64 s42, s[6:7]
	v_cmp_ne_u32_e64 s[6:7], 0, v2
	s_bcnt1_i32_b64 s6, s[6:7]
	s_add_u32 s2, s75, s2
	s_addc_u32 s3, 0, s3
	s_add_u32 s2, s2, s78
	s_addc_u32 s3, s3, 0
	;; [unrolled: 2-line block ×3, first 2 shown]
	s_add_u32 s2, s2, s6
	v_cmp_eq_u64_e64 s[34:35], 1, v[14:15]
	s_addc_u32 s3, s3, 0
	s_and_b64 s[6:7], s[10:11], s[28:29]
	v_cmp_eq_u64_e64 s[38:39], 1, v[12:13]
	v_cndmask_b32_e64 v2, 0, 1, s[6:7]
	s_and_b64 s[6:7], s[12:13], s[34:35]
	v_cmp_eq_u64_e64 s[40:41], 2, v[12:13]
	v_cmp_eq_u64_e64 s[22:23], 3, v[12:13]
	;; [unrolled: 1-line block ×3, first 2 shown]
	v_cndmask_b32_e64 v12, 0, 1, s[6:7]
	s_and_b64 s[6:7], s[14:15], s[38:39]
	v_cndmask_b32_e64 v13, 0, 1, s[6:7]
	s_and_b64 s[6:7], s[18:19], s[46:47]
	v_cmp_eq_u64_e64 s[36:37], 2, v[14:15]
	v_cmp_eq_u64_e64 s[20:21], 3, v[14:15]
	v_cndmask_b32_e64 v14, 0, 1, s[6:7]
	v_cmp_ne_u32_e64 s[6:7], 0, v2
	v_cmp_ne_u32_e64 s[28:29], 0, v12
	;; [unrolled: 1-line block ×4, first 2 shown]
	s_bcnt1_i32_b64 s6, s[6:7]
	s_bcnt1_i32_b64 s7, s[28:29]
	;; [unrolled: 1-line block ×4, first 2 shown]
	s_add_u32 s6, s6, s8
	s_addc_u32 s8, 0, s9
	s_add_u32 s6, s6, s7
	s_addc_u32 s7, s8, 0
	;; [unrolled: 2-line block ×4, first 2 shown]
	s_and_b64 s[6:7], s[10:11], s[30:31]
	v_cndmask_b32_e64 v2, 0, 1, s[6:7]
	s_and_b64 s[6:7], s[12:13], s[36:37]
	v_cmp_eq_u64_e64 s[48:49], 2, v[10:11]
	v_cndmask_b32_e64 v14, 0, 1, s[6:7]
	s_and_b64 s[6:7], s[14:15], s[40:41]
	v_cndmask_b32_e64 v15, 0, 1, s[6:7]
	s_and_b64 s[6:7], s[18:19], s[48:49]
	v_cndmask_b32_e64 v16, 0, 1, s[6:7]
	v_cmp_ne_u32_e64 s[6:7], 0, v2
	v_cmp_ne_u32_e64 s[28:29], 0, v14
	;; [unrolled: 1-line block ×4, first 2 shown]
	s_bcnt1_i32_b64 s6, s[6:7]
	s_bcnt1_i32_b64 s7, s[28:29]
	;; [unrolled: 1-line block ×4, first 2 shown]
	s_add_u32 s6, s6, s92
	s_addc_u32 s30, 0, s93
	s_add_u32 s6, s6, s7
	s_addc_u32 s7, s30, 0
	;; [unrolled: 2-line block ×4, first 2 shown]
	s_and_b64 s[6:7], s[10:11], s[16:17]
	v_cndmask_b32_e64 v2, 0, 1, s[6:7]
	s_and_b64 s[6:7], s[12:13], s[20:21]
	v_cmp_eq_u64_e64 s[24:25], 3, v[10:11]
	v_cndmask_b32_e64 v16, 0, 1, s[6:7]
	s_and_b64 s[6:7], s[14:15], s[22:23]
	v_cndmask_b32_e64 v17, 0, 1, s[6:7]
	s_and_b64 s[6:7], s[18:19], s[24:25]
	v_cndmask_b32_e64 v26, 0, 1, s[6:7]
	v_cmp_ne_u32_e64 s[6:7], 0, v2
	v_cmp_ne_u32_e64 s[10:11], 0, v16
	;; [unrolled: 1-line block ×4, first 2 shown]
	s_bcnt1_i32_b64 s6, s[6:7]
	s_bcnt1_i32_b64 s7, s[10:11]
	;; [unrolled: 1-line block ×4, first 2 shown]
	s_add_u32 s6, s6, s90
	s_addc_u32 s12, 0, s91
	s_add_u32 s6, s6, s7
	s_addc_u32 s7, s12, 0
	;; [unrolled: 2-line block ×4, first 2 shown]
	v_pk_mov_b32 v[10:11], s[2:3], s[2:3] op_sel:[0,1]
	v_pk_mov_b32 v[12:13], s[8:9], s[8:9] op_sel:[0,1]
	;; [unrolled: 1-line block ×3, first 2 shown]
	s_or_b64 s[70:71], vcc, s[70:71]
	v_pk_mov_b32 v[16:17], s[90:91], s[90:91] op_sel:[0,1]
	s_andn2_b64 exec, exec, s[70:71]
	s_cbranch_execnz .LBB117_61
; %bb.62:                               ;   in Loop: Header=BB117_25 Depth=1
	s_or_b64 exec, exec, s[70:71]
	v_readlane_b32 s90, v50, 39
	v_readlane_b32 s91, v50, 40
.LBB117_63:                             ;   in Loop: Header=BB117_25 Depth=1
	s_or_b64 exec, exec, s[50:51]
	v_add_co_u32_e32 v6, vcc, v6, v0
	v_addc_co_u32_e32 v7, vcc, 0, v7, vcc
	v_cmp_gt_u64_e32 vcc, s[52:53], v[6:7]
	v_pk_mov_b32 v[24:25], 0, 0
	s_and_saveexec_b64 s[2:3], vcc
	s_cbranch_execz .LBB117_65
; %bb.64:                               ;   in Loop: Header=BB117_25 Depth=1
	v_mul_lo_u32 v2, v7, s68
	v_mul_lo_u32 v26, v6, s69
	v_mad_u64_u32 v[24:25], s[6:7], v6, s68, 0
	v_add3_u32 v25, v25, v26, v2
	v_lshlrev_b64 v[24:25], 3, v[24:25]
	v_mov_b32_e32 v2, s84
	v_add_co_u32_e64 v24, s[6:7], s33, v24
	v_addc_co_u32_e64 v25, s[6:7], v2, v25, s[6:7]
	global_load_dwordx2 v[24:25], v[24:25], off
.LBB117_65:                             ;   in Loop: Header=BB117_25 Depth=1
	s_or_b64 exec, exec, s[2:3]
	s_and_saveexec_b64 s[2:3], vcc
	s_cbranch_execz .LBB117_72
; %bb.66:                               ;   in Loop: Header=BB117_25 Depth=1
	s_and_b32 s12, s80, 0xfe
	s_mov_b64 s[8:9], 0
	s_branch .LBB117_68
.LBB117_67:                             ;   in Loop: Header=BB117_68 Depth=2
	s_or_b64 exec, exec, s[10:11]
	s_waitcnt vmcnt(0)
	v_ashrrev_i32_e32 v2, 31, v25
	v_or_b32_e32 v28, 0x80000000, v2
	s_and_b64 s[6:7], exec, vcc
	v_xor_b32_e32 v28, v28, v25
	v_xor_b32_e32 v2, v2, v24
	v_cmp_o_f64_e32 vcc, v[24:25], v[24:25]
	v_cndmask_b32_e32 v25, -1, v28, vcc
	v_cndmask_b32_e32 v24, -1, v2, vcc
	v_and_b32_e32 v29, s65, v25
	v_and_b32_e32 v28, s64, v24
	v_lshrrev_b64 v[24:25], s12, v[24:25]
	v_and_b32_e32 v2, 3, v24
	s_or_b64 s[8:9], s[6:7], s[8:9]
	v_cmp_eq_u64_e32 vcc, s[72:73], v[28:29]
	v_cmp_eq_u64_e64 s[6:7], 0, v[2:3]
	s_and_b64 s[6:7], vcc, s[6:7]
	v_cndmask_b32_e64 v24, 0, 1, s[6:7]
	v_cmp_ne_u32_e64 s[6:7], 0, v24
	s_bcnt1_i32_b64 s6, s[6:7]
	v_add_co_u32_e64 v10, s[6:7], s6, v10
	v_addc_co_u32_e64 v11, s[6:7], 0, v11, s[6:7]
	v_cmp_eq_u64_e64 s[6:7], 1, v[2:3]
	s_and_b64 s[6:7], vcc, s[6:7]
	v_cndmask_b32_e64 v24, 0, 1, s[6:7]
	v_cmp_ne_u32_e64 s[6:7], 0, v24
	s_bcnt1_i32_b64 s6, s[6:7]
	v_add_co_u32_e64 v12, s[6:7], s6, v12
	v_addc_co_u32_e64 v13, s[6:7], 0, v13, s[6:7]
	;; [unrolled: 7-line block ×3, first 2 shown]
	v_cmp_eq_u64_e64 s[6:7], 3, v[2:3]
	s_and_b64 s[6:7], vcc, s[6:7]
	v_cndmask_b32_e64 v2, 0, 1, s[6:7]
	v_cmp_ne_u32_e32 vcc, 0, v2
	s_bcnt1_i32_b64 s6, vcc
	v_add_co_u32_e32 v16, vcc, s6, v16
	v_addc_co_u32_e32 v17, vcc, 0, v17, vcc
	v_pk_mov_b32 v[24:25], v[26:27], v[26:27] op_sel:[0,1]
	s_andn2_b64 exec, exec, s[8:9]
	s_cbranch_execz .LBB117_71
.LBB117_68:                             ;   Parent Loop BB117_25 Depth=1
                                        ; =>  This Inner Loop Header: Depth=2
	v_add_co_u32_sdwa v6, vcc, v6, v4 dst_sel:DWORD dst_unused:UNUSED_PAD src0_sel:DWORD src1_sel:WORD_0
	v_addc_co_u32_e32 v7, vcc, 0, v7, vcc
	v_cmp_gt_u64_e64 s[6:7], s[52:53], v[6:7]
	v_cmp_le_u64_e32 vcc, s[52:53], v[6:7]
	v_pk_mov_b32 v[26:27], 0, 0
	s_and_saveexec_b64 s[10:11], s[6:7]
	s_cbranch_execz .LBB117_67
; %bb.69:                               ;   in Loop: Header=BB117_68 Depth=2
	v_mul_lo_u32 v2, v7, s68
	v_mul_lo_u32 v28, v6, s69
	v_mad_u64_u32 v[26:27], s[6:7], v6, s68, 0
	v_add3_u32 v27, v27, v28, v2
	v_lshlrev_b64 v[26:27], 3, v[26:27]
	v_mov_b32_e32 v2, s84
	v_add_co_u32_e64 v26, s[6:7], s33, v26
	v_addc_co_u32_e64 v27, s[6:7], v2, v27, s[6:7]
	global_load_dwordx2 v[26:27], v[26:27], off
	s_branch .LBB117_67
.LBB117_70:                             ;   in Loop: Header=BB117_25 Depth=1
                                        ; implicit-def: $vgpr16_vgpr17
                                        ; implicit-def: $vgpr12_vgpr13
	s_cbranch_execnz .LBB117_73
	s_branch .LBB117_82
.LBB117_71:                             ;   in Loop: Header=BB117_25 Depth=1
	s_or_b64 exec, exec, s[8:9]
.LBB117_72:                             ;   in Loop: Header=BB117_25 Depth=1
	s_or_b64 exec, exec, s[2:3]
	s_branch .LBB117_82
.LBB117_73:                             ;   in Loop: Header=BB117_25 Depth=1
	global_load_ushort v2, v3, s[88:89]
	v_pk_mov_b32 v[10:11], 0, 0
	s_mov_b64 s[70:71], 0
	v_pk_mov_b32 v[12:13], v[10:11], v[10:11] op_sel:[0,1]
	v_pk_mov_b32 v[14:15], v[10:11], v[10:11] op_sel:[0,1]
	;; [unrolled: 1-line block ×3, first 2 shown]
	s_waitcnt vmcnt(0)
	v_readfirstlane_b32 s2, v2
	s_and_b32 s2, 0xffff, s2
	s_lshl_b32 s75, s2, 2
	v_cvt_f32_u32_e32 v4, s75
	s_sub_i32 s2, 0, s75
	v_rcp_iflag_f32_e32 v4, v4
	v_mul_f32_e32 v4, 0x4f7ffffe, v4
	v_cvt_u32_f32_e32 v6, v4
	v_and_b32_e32 v4, 0xffff, v2
	v_readfirstlane_b32 s3, v6
	s_mul_i32 s2, s2, s3
	s_mul_hi_u32 s2, s3, s2
	s_add_i32 s3, s3, s2
	s_mul_hi_u32 s2, s74, s3
	s_mul_i32 s2, s2, s75
	s_sub_i32 s2, s74, s2
	s_sub_i32 s3, s2, s75
	s_cmp_ge_u32 s2, s75
	s_cselect_b32 s2, s3, s2
	s_sub_i32 s3, s2, s75
	s_cmp_ge_u32 s2, s75
	s_cselect_b32 s2, s3, s2
	s_sub_i32 s78, s74, s2
	v_cmp_gt_u32_e32 vcc, s78, v20
	s_and_saveexec_b64 s[2:3], vcc
	s_cbranch_execz .LBB117_77
; %bb.74:                               ;   in Loop: Header=BB117_25 Depth=1
	s_and_b32 s86, s80, 0xfe
	v_lshlrev_b32_e32 v39, 5, v4
	v_mov_b32_e32 v40, v36
	s_mov_b64 s[8:9], 0
	s_mov_b64 s[90:91], 0
	;; [unrolled: 1-line block ×4, first 2 shown]
	v_pk_mov_b32 v[6:7], v[20:21], v[20:21] op_sel:[0,1]
.LBB117_75:                             ;   Parent Loop BB117_25 Depth=1
                                        ; =>  This Inner Loop Header: Depth=2
	ds_read_b128 v[14:17], v40
	ds_read_b128 v[10:13], v40 offset:16
	v_mov_b32_e32 v25, v3
	v_mov_b32_e32 v27, v3
	;; [unrolled: 1-line block ×3, first 2 shown]
	s_waitcnt lgkmcnt(1)
	v_ashrrev_i32_e32 v2, 31, v15
	v_ashrrev_i32_e32 v24, 31, v17
	s_waitcnt lgkmcnt(0)
	v_ashrrev_i32_e32 v26, 31, v11
	v_ashrrev_i32_e32 v28, 31, v13
	v_xor_b32_e32 v41, v24, v16
	v_cmp_o_f64_e64 s[6:7], v[16:17], v[16:17]
	v_xor_b32_e32 v16, v26, v10
	v_cmp_o_f64_e64 s[10:11], v[10:11], v[10:11]
	v_or_b32_e32 v10, 0x80000000, v2
	v_xor_b32_e32 v42, v28, v12
	v_cmp_o_f64_e64 s[12:13], v[12:13], v[12:13]
	v_xor_b32_e32 v2, v2, v14
	v_or_b32_e32 v12, 0x80000000, v24
	v_or_b32_e32 v24, 0x80000000, v26
	v_cmp_o_f64_e64 s[14:15], v[14:15], v[14:15]
	v_xor_b32_e32 v15, v10, v15
	v_or_b32_e32 v26, 0x80000000, v28
	v_xor_b32_e32 v17, v12, v17
	v_xor_b32_e32 v24, v24, v11
	v_cndmask_b32_e64 v10, -1, v2, s[14:15]
	v_cndmask_b32_e64 v11, -1, v15, s[14:15]
	v_xor_b32_e32 v26, v26, v13
	v_cndmask_b32_e64 v12, -1, v41, s[6:7]
	v_cndmask_b32_e64 v14, -1, v16, s[10:11]
	;; [unrolled: 1-line block ×4, first 2 shown]
	v_and_b32_e32 v42, s64, v10
	v_and_b32_e32 v43, s65, v11
	v_lshrrev_b64 v[10:11], s86, v[10:11]
	v_cndmask_b32_e64 v15, -1, v24, s[10:11]
	v_and_b32_e32 v44, s64, v12
	v_and_b32_e32 v45, s65, v13
	v_lshrrev_b64 v[12:13], s86, v[12:13]
	v_and_b32_e32 v2, 3, v10
	v_cndmask_b32_e64 v17, -1, v26, s[12:13]
	v_and_b32_e32 v46, s64, v14
	v_and_b32_e32 v47, s65, v15
	v_lshrrev_b64 v[14:15], s86, v[14:15]
	v_cmp_eq_u64_e64 s[16:17], s[72:73], v[42:43]
	v_and_b32_e32 v24, 3, v12
	v_cmp_eq_u64_e64 s[6:7], 0, v[2:3]
	v_and_b32_e32 v48, s64, v16
	v_and_b32_e32 v49, s65, v17
	v_lshrrev_b64 v[16:17], s86, v[16:17]
	v_cmp_eq_u64_e64 s[14:15], s[72:73], v[44:45]
	v_and_b32_e32 v26, 3, v14
	v_cmp_eq_u64_e64 s[28:29], 0, v[24:25]
	s_and_b64 s[6:7], s[16:17], s[6:7]
	v_cmp_eq_u64_e64 s[12:13], s[72:73], v[46:47]
	v_and_b32_e32 v28, 3, v16
	v_cmp_eq_u64_e64 s[30:31], 0, v[26:27]
	v_cmp_eq_u64_e64 s[36:37], 1, v[2:3]
	;; [unrolled: 1-line block ×4, first 2 shown]
	v_cndmask_b32_e64 v2, 0, 1, s[6:7]
	s_and_b64 s[6:7], s[14:15], s[28:29]
	v_cmp_eq_u64_e64 s[10:11], s[72:73], v[48:49]
	v_cmp_eq_u64_e64 s[34:35], 0, v[28:29]
	v_cndmask_b32_e64 v10, 0, 1, s[6:7]
	s_and_b64 s[6:7], s[12:13], s[30:31]
	v_cndmask_b32_e64 v11, 0, 1, s[6:7]
	s_and_b64 s[6:7], s[10:11], s[34:35]
	v_cndmask_b32_e64 v12, 0, 1, s[6:7]
	v_cmp_ne_u32_e64 s[6:7], 0, v2
	v_cmp_ne_u32_e64 s[28:29], 0, v10
	v_cmp_ne_u32_e64 s[30:31], 0, v11
	v_cmp_ne_u32_e64 s[34:35], 0, v12
	s_bcnt1_i32_b64 s6, s[6:7]
	s_bcnt1_i32_b64 s7, s[28:29]
	s_bcnt1_i32_b64 s28, s[30:31]
	s_bcnt1_i32_b64 s29, s[34:35]
	s_add_u32 s6, s6, s54
	s_addc_u32 s30, 0, s55
	s_add_u32 s6, s6, s7
	s_addc_u32 s7, s30, 0
	s_add_u32 s6, s6, s28
	s_addc_u32 s7, s7, 0
	s_add_u32 s54, s6, s29
	v_cmp_eq_u64_e64 s[38:39], 1, v[24:25]
	s_addc_u32 s55, s7, 0
	s_and_b64 s[6:7], s[16:17], s[36:37]
	v_cmp_eq_u64_e64 s[40:41], 1, v[26:27]
	v_cndmask_b32_e64 v2, 0, 1, s[6:7]
	s_and_b64 s[6:7], s[14:15], s[38:39]
	v_cmp_eq_u64_e64 s[42:43], 1, v[28:29]
	v_cndmask_b32_e64 v12, 0, 1, s[6:7]
	s_and_b64 s[6:7], s[12:13], s[40:41]
	v_cndmask_b32_e64 v13, 0, 1, s[6:7]
	s_and_b64 s[6:7], s[10:11], s[42:43]
	v_cndmask_b32_e64 v14, 0, 1, s[6:7]
	v_cmp_ne_u32_e64 s[6:7], 0, v2
	v_cmp_ne_u32_e64 s[28:29], 0, v12
	v_cmp_ne_u32_e64 s[30:31], 0, v13
	v_cmp_ne_u32_e64 s[34:35], 0, v14
	s_bcnt1_i32_b64 s6, s[6:7]
	s_bcnt1_i32_b64 s7, s[28:29]
	s_bcnt1_i32_b64 s28, s[30:31]
	s_bcnt1_i32_b64 s29, s[34:35]
	s_add_u32 s6, s6, s92
	s_addc_u32 s30, 0, s93
	s_add_u32 s6, s6, s7
	s_addc_u32 s7, s30, 0
	s_add_u32 s6, s6, s28
	s_addc_u32 s7, s7, 0
	s_add_u32 s92, s6, s29
	v_cmp_eq_u64_e64 s[46:47], 2, v[24:25]
	s_addc_u32 s93, s7, 0
	s_and_b64 s[6:7], s[16:17], s[44:45]
	v_cmp_eq_u64_e64 s[48:49], 2, v[26:27]
	v_cndmask_b32_e64 v2, 0, 1, s[6:7]
	s_and_b64 s[6:7], s[14:15], s[46:47]
	;; [unrolled: 27-line block ×3, first 2 shown]
	v_cmp_eq_u64_e64 s[18:19], 3, v[28:29]
	v_cndmask_b32_e64 v16, 0, 1, s[6:7]
	s_and_b64 s[6:7], s[12:13], s[20:21]
	v_cndmask_b32_e64 v17, 0, 1, s[6:7]
	s_and_b64 s[6:7], s[10:11], s[18:19]
	v_cndmask_b32_e64 v24, 0, 1, s[6:7]
	v_cmp_ne_u32_e64 s[6:7], 0, v2
	v_cmp_ne_u32_e64 s[10:11], 0, v16
	;; [unrolled: 1-line block ×4, first 2 shown]
	s_bcnt1_i32_b64 s6, s[6:7]
	s_bcnt1_i32_b64 s7, s[10:11]
	;; [unrolled: 1-line block ×4, first 2 shown]
	s_add_u32 s6, s6, s8
	s_addc_u32 s8, 0, s9
	s_add_u32 s6, s6, s7
	s_addc_u32 s7, s8, 0
	s_add_u32 s6, s6, s10
	v_add_co_u32_e32 v6, vcc, s75, v6
	s_addc_u32 s7, s7, 0
	v_addc_co_u32_e32 v7, vcc, 0, v7, vcc
	s_add_u32 s8, s6, s11
	v_cmp_le_u64_e32 vcc, s[78:79], v[6:7]
	s_addc_u32 s9, s7, 0
	v_add_u32_e32 v40, v40, v39
	v_pk_mov_b32 v[10:11], s[54:55], s[54:55] op_sel:[0,1]
	v_pk_mov_b32 v[12:13], s[92:93], s[92:93] op_sel:[0,1]
	;; [unrolled: 1-line block ×3, first 2 shown]
	s_or_b64 s[70:71], vcc, s[70:71]
	v_pk_mov_b32 v[16:17], s[8:9], s[8:9] op_sel:[0,1]
	s_andn2_b64 exec, exec, s[70:71]
	s_cbranch_execnz .LBB117_75
; %bb.76:                               ;   in Loop: Header=BB117_25 Depth=1
	s_or_b64 exec, exec, s[70:71]
	v_readlane_b32 s90, v50, 39
	v_readlane_b32 s91, v50, 40
.LBB117_77:                             ;   in Loop: Header=BB117_25 Depth=1
	s_or_b64 exec, exec, s[2:3]
	v_add_u32_e32 v2, s78, v0
	v_cmp_gt_u32_e32 vcc, s74, v2
	s_and_saveexec_b64 s[2:3], vcc
	s_cbranch_execz .LBB117_81
; %bb.78:                               ;   in Loop: Header=BB117_25 Depth=1
	s_and_b32 s78, s74, 0x7fffffff
	s_and_b32 s18, s80, 0xfe
	v_lshlrev_b32_e32 v24, 3, v2
	v_lshlrev_b32_e32 v25, 3, v4
	s_mov_b64 s[8:9], 0
	v_pk_mov_b32 v[6:7], v[2:3], v[2:3] op_sel:[0,1]
.LBB117_79:                             ;   Parent Loop BB117_25 Depth=1
                                        ; =>  This Inner Loop Header: Depth=2
	ds_read_b64 v[26:27], v24
	v_add_co_u32_e32 v6, vcc, v6, v4
	v_addc_co_u32_e32 v7, vcc, 0, v7, vcc
	s_waitcnt lgkmcnt(0)
	v_ashrrev_i32_e32 v2, 31, v27
	v_or_b32_e32 v28, 0x80000000, v2
	v_xor_b32_e32 v2, v2, v26
	v_xor_b32_e32 v28, v28, v27
	v_cmp_o_f64_e64 s[6:7], v[26:27], v[26:27]
	v_cndmask_b32_e64 v27, -1, v28, s[6:7]
	v_cndmask_b32_e64 v26, -1, v2, s[6:7]
	v_and_b32_e32 v29, s65, v27
	v_and_b32_e32 v28, s64, v26
	v_lshrrev_b64 v[26:27], s18, v[26:27]
	v_and_b32_e32 v2, 3, v26
	v_cmp_eq_u64_e64 s[6:7], s[72:73], v[28:29]
	v_cmp_eq_u64_e64 s[10:11], 0, v[2:3]
	v_cmp_eq_u64_e64 s[12:13], 1, v[2:3]
	s_and_b64 s[10:11], s[6:7], s[10:11]
	v_cmp_eq_u64_e64 s[14:15], 2, v[2:3]
	v_cmp_eq_u64_e64 s[16:17], 3, v[2:3]
	v_cndmask_b32_e64 v2, 0, 1, s[10:11]
	s_and_b64 s[10:11], s[6:7], s[12:13]
	v_cndmask_b32_e64 v26, 0, 1, s[10:11]
	s_and_b64 s[10:11], s[6:7], s[14:15]
	s_and_b64 s[6:7], s[6:7], s[16:17]
	v_cndmask_b32_e64 v28, 0, 1, s[6:7]
	v_cmp_ne_u32_e64 s[6:7], 0, v2
	s_bcnt1_i32_b64 s6, s[6:7]
	v_cndmask_b32_e64 v27, 0, 1, s[10:11]
	v_cmp_ne_u32_e64 s[10:11], 0, v26
	v_add_co_u32_e64 v10, s[6:7], s6, v10
	s_bcnt1_i32_b64 s10, s[10:11]
	v_addc_co_u32_e64 v11, s[6:7], 0, v11, s[6:7]
	v_cmp_ne_u32_e64 s[12:13], 0, v27
	v_cmp_ne_u32_e64 s[14:15], 0, v28
	v_add_co_u32_e64 v12, s[6:7], s10, v12
	v_cmp_le_u64_e32 vcc, s[78:79], v[6:7]
	s_bcnt1_i32_b64 s11, s[12:13]
	s_bcnt1_i32_b64 s12, s[14:15]
	v_addc_co_u32_e64 v13, s[6:7], 0, v13, s[6:7]
	v_add_co_u32_e64 v14, s[6:7], s11, v14
	s_or_b64 s[8:9], vcc, s[8:9]
	v_add_co_u32_e32 v16, vcc, s12, v16
	v_add_u32_e32 v24, v24, v25
	v_addc_co_u32_e64 v15, s[6:7], 0, v15, s[6:7]
	v_addc_co_u32_e32 v17, vcc, 0, v17, vcc
	s_andn2_b64 exec, exec, s[8:9]
	s_cbranch_execnz .LBB117_79
; %bb.80:                               ;   in Loop: Header=BB117_25 Depth=1
	s_or_b64 exec, exec, s[8:9]
.LBB117_81:                             ;   in Loop: Header=BB117_25 Depth=1
	s_or_b64 exec, exec, s[2:3]
.LBB117_82:                             ;   in Loop: Header=BB117_25 Depth=1
	s_lshl_b32 s6, s81, 6
	s_and_saveexec_b64 s[2:3], s[4:5]
	s_cbranch_execz .LBB117_84
; %bb.83:                               ;   in Loop: Header=BB117_25 Depth=1
	v_or_b32_e32 v2, s6, v34
	v_lshlrev_b32_e32 v2, 3, v2
	ds_write_b128 v2, v[10:13] offset:3072
	ds_write_b128 v2, v[14:17] offset:3088
.LBB117_84:                             ;   in Loop: Header=BB117_25 Depth=1
	s_or_b64 exec, exec, s[2:3]
	s_waitcnt lgkmcnt(0)
	s_barrier
	s_and_saveexec_b64 s[2:3], s[90:91]
	s_cbranch_execz .LBB117_96
; %bb.85:                               ;   in Loop: Header=BB117_25 Depth=1
	v_readlane_b32 s8, v50, 30
	v_readlane_b32 s9, v50, 31
	s_andn2_b64 vcc, exec, s[8:9]
	s_waitcnt vmcnt(0)
	v_pk_mov_b32 v[6:7], 0, 0
	s_cbranch_vccnz .LBB117_95
; %bb.86:                               ;   in Loop: Header=BB117_25 Depth=1
	v_readlane_b32 s8, v50, 34
	v_readlane_b32 s9, v50, 35
	s_andn2_b64 vcc, exec, s[8:9]
	s_cbranch_vccnz .LBB117_91
; %bb.87:                               ;   in Loop: Header=BB117_25 Depth=1
	v_lshl_add_u32 v2, s81, 9, v37
	s_mov_b32 s7, 0
	v_pk_mov_b32 v[6:7], 0, 0
.LBB117_88:                             ;   Parent Loop BB117_25 Depth=1
                                        ; =>  This Inner Loop Header: Depth=2
	ds_read2_b64 v[10:13], v2 offset1:4
	ds_read2_b64 v[14:17], v2 offset0:8 offset1:12
	ds_read2_b64 v[24:27], v2 offset0:16 offset1:20
	;; [unrolled: 1-line block ×3, first 2 shown]
	s_add_i32 s7, s7, 8
	s_waitcnt lgkmcnt(3)
	v_add_co_u32_e32 v4, vcc, v10, v6
	v_addc_co_u32_e32 v6, vcc, v11, v7, vcc
	v_add_co_u32_e32 v4, vcc, v12, v4
	v_addc_co_u32_e32 v6, vcc, v13, v6, vcc
	s_waitcnt lgkmcnt(2)
	v_add_co_u32_e32 v4, vcc, v14, v4
	v_addc_co_u32_e32 v6, vcc, v15, v6, vcc
	v_add_co_u32_e32 v4, vcc, v16, v4
	v_addc_co_u32_e32 v6, vcc, v17, v6, vcc
	;; [unrolled: 5-line block ×3, first 2 shown]
	s_waitcnt lgkmcnt(0)
	v_add_co_u32_e32 v4, vcc, v40, v4
	v_addc_co_u32_e32 v7, vcc, v41, v6, vcc
	v_add_co_u32_e32 v6, vcc, v42, v4
	v_add_u32_e32 v2, 0x100, v2
	s_cmp_eq_u32 s0, s7
	v_addc_co_u32_e32 v7, vcc, v43, v7, vcc
	s_cbranch_scc0 .LBB117_88
; %bb.89:                               ;   in Loop: Header=BB117_25 Depth=1
	s_mov_b32 s7, s0
	s_branch .LBB117_92
.LBB117_90:                             ;   in Loop: Header=BB117_25 Depth=1
                                        ; implicit-def: $vgpr6_vgpr7
	s_branch .LBB117_58
.LBB117_91:                             ;   in Loop: Header=BB117_25 Depth=1
	s_mov_b32 s7, 0
	v_pk_mov_b32 v[6:7], 0, 0
.LBB117_92:                             ;   in Loop: Header=BB117_25 Depth=1
	v_readlane_b32 s8, v50, 37
	v_readlane_b32 s9, v50, 38
	s_andn2_b64 vcc, exec, s[8:9]
	s_cbranch_vccnz .LBB117_95
; %bb.93:                               ;   in Loop: Header=BB117_25 Depth=1
	s_lshl_b32 s8, s81, 9
	s_lshl_b32 s7, s7, 5
	s_add_i32 s8, s8, s7
	v_add_u32_e32 v2, s8, v37
	v_readlane_b32 s7, v50, 36
.LBB117_94:                             ;   Parent Loop BB117_25 Depth=1
                                        ; =>  This Inner Loop Header: Depth=2
	ds_read_b64 v[10:11], v2
	s_add_i32 s7, s7, -1
	v_add_u32_e32 v2, 32, v2
	s_cmp_lg_u32 s7, 0
	s_waitcnt lgkmcnt(0)
	v_add_co_u32_e32 v6, vcc, v10, v6
	v_addc_co_u32_e32 v7, vcc, v11, v7, vcc
	s_cbranch_scc1 .LBB117_94
.LBB117_95:                             ;   in Loop: Header=BB117_25 Depth=1
	v_add_lshl_u32 v2, s6, v30, 3
	ds_write_b64 v2, v[6:7] offset:3072
.LBB117_96:                             ;   in Loop: Header=BB117_25 Depth=1
	s_or_b64 exec, exec, s[2:3]
	s_lshl_b32 s2, s6, 3
	v_mov_b32_e32 v2, s2
	s_waitcnt lgkmcnt(0)
	s_barrier
	ds_read_b128 v[10:13], v2 offset:3072
	ds_read_b128 v[14:17], v2 offset:3088
	s_and_b32 s44, s80, 0xfe
	s_lshl_b64 s[12:13], 3, s44
	s_not_b64 s[20:21], s[12:13]
	s_waitcnt lgkmcnt(1)
	v_readfirstlane_b32 s17, v11
	v_readfirstlane_b32 s16, v10
	s_cmp_eq_u64 s[16:17], 1
	s_cselect_b64 s[2:3], -1, 0
	s_cmp_eq_u64 s[82:83], 1
	s_cselect_b64 s[6:7], -1, 0
	s_and_b64 s[24:25], s[2:3], s[6:7]
	v_readfirstlane_b32 s34, v12
	v_readfirstlane_b32 s35, v13
	s_waitcnt lgkmcnt(0)
	v_readfirstlane_b32 s18, v14
	v_readfirstlane_b32 s19, v15
	;; [unrolled: 1-line block ×4, first 2 shown]
	s_mov_b64 s[22:23], -1
	s_and_b64 vcc, exec, s[24:25]
	s_cbranch_vccz .LBB117_111
; %bb.97:                               ;   in Loop: Header=BB117_25 Depth=1
	s_waitcnt vmcnt(0)
	ds_read_b64 v[6:7], v3 offset:5120
	s_waitcnt lgkmcnt(0)
	s_barrier
	v_readfirstlane_b32 s2, v6
	v_readfirstlane_b32 s3, v7
	s_mov_b64 s[6:7], exec
	v_readlane_b32 s8, v50, 26
	v_readlane_b32 s9, v50, 27
	s_and_b64 s[8:9], s[6:7], s[8:9]
	s_mov_b64 exec, s[8:9]
	s_cbranch_execz .LBB117_99
; %bb.98:                               ;   in Loop: Header=BB117_25 Depth=1
	v_mov_b32_e32 v2, v3
	ds_write_b64 v32, v[2:3]
.LBB117_99:                             ;   in Loop: Header=BB117_25 Depth=1
	s_or_b64 exec, exec, s[6:7]
	s_and_b64 s[72:73], s[72:73], s[20:21]
	s_or_b64 s[64:65], s[64:65], s[12:13]
	s_cmp_eq_u64 s[2:3], 0
	s_waitcnt lgkmcnt(0)
	s_barrier
	s_cbranch_scc1 .LBB117_112
; %bb.100:                              ;   in Loop: Header=BB117_25 Depth=1
	v_readlane_b32 s6, v50, 32
	s_add_u32 s14, s6, s2
	v_readlane_b32 s6, v50, 33
	s_addc_u32 s7, s6, s3
	s_mov_b32 s6, s79
	s_cmp_lg_u64 s[6:7], 0
	s_cbranch_scc0 .LBB117_157
; %bb.101:                              ;   in Loop: Header=BB117_25 Depth=1
	v_cvt_f32_u32_e32 v2, s85
	s_sub_u32 s6, 0, s85
	s_subb_u32 s8, 0, 0
	v_mac_f32_e32 v2, 0, v38
	v_rcp_f32_e32 v2, v2
	v_mul_f32_e32 v2, 0x5f7ffffc, v2
	v_mul_f32_e32 v4, 0x2f800000, v2
	v_trunc_f32_e32 v4, v4
	v_mac_f32_e32 v2, 0xcf800000, v4
	v_cvt_u32_f32_e32 v4, v4
	v_cvt_u32_f32_e32 v2, v2
	v_readfirstlane_b32 s9, v4
	v_readfirstlane_b32 s15, v2
	s_mul_i32 s28, s6, s9
	s_mul_hi_u32 s30, s6, s15
	s_mul_i32 s29, s8, s15
	s_add_i32 s28, s30, s28
	s_mul_i32 s31, s6, s15
	s_add_i32 s28, s28, s29
	s_mul_hi_u32 s30, s15, s31
	s_mul_hi_u32 s29, s15, s28
	s_mul_i32 s15, s15, s28
	s_add_u32 s15, s30, s15
	s_addc_u32 s29, 0, s29
	s_mul_hi_u32 s36, s9, s31
	s_mul_i32 s31, s9, s31
	s_add_u32 s15, s15, s31
	s_mul_hi_u32 s30, s9, s28
	s_addc_u32 s15, s29, s36
	s_addc_u32 s29, s30, 0
	s_mul_i32 s28, s9, s28
	s_add_u32 s15, s15, s28
	s_addc_u32 s28, 0, s29
	v_add_co_u32_e32 v2, vcc, s15, v2
	s_cmp_lg_u64 vcc, 0
	s_addc_u32 s9, s9, s28
	v_readfirstlane_b32 s28, v2
	s_mul_i32 s15, s6, s9
	s_mul_hi_u32 s29, s6, s28
	s_add_i32 s15, s29, s15
	s_mul_i32 s8, s8, s28
	s_add_i32 s15, s15, s8
	s_mul_i32 s6, s6, s28
	s_mul_hi_u32 s29, s9, s6
	s_mul_i32 s30, s9, s6
	s_mul_i32 s36, s28, s15
	s_mul_hi_u32 s6, s28, s6
	s_mul_hi_u32 s31, s28, s15
	s_add_u32 s6, s6, s36
	s_addc_u32 s28, 0, s31
	s_add_u32 s6, s6, s30
	s_mul_hi_u32 s8, s9, s15
	s_addc_u32 s6, s28, s29
	s_addc_u32 s8, s8, 0
	s_mul_i32 s15, s9, s15
	s_add_u32 s6, s6, s15
	s_addc_u32 s8, 0, s8
	v_add_co_u32_e32 v2, vcc, s6, v2
	s_cmp_lg_u64 vcc, 0
	s_addc_u32 s6, s9, s8
	v_readfirstlane_b32 s15, v2
	s_mul_i32 s9, s14, s6
	s_mul_hi_u32 s28, s14, s15
	s_mul_hi_u32 s8, s14, s6
	s_add_u32 s9, s28, s9
	s_addc_u32 s8, 0, s8
	s_mul_hi_u32 s29, s7, s15
	s_mul_i32 s15, s7, s15
	s_add_u32 s9, s9, s15
	s_mul_hi_u32 s28, s7, s6
	s_addc_u32 s8, s8, s29
	s_addc_u32 s9, s28, 0
	s_mul_i32 s6, s7, s6
	s_add_u32 s6, s8, s6
	s_addc_u32 s8, 0, s9
	s_mul_hi_u32 s9, s85, s6
	s_mul_i32 s6, s85, s6
	s_mul_i32 s8, s85, s8
	v_mov_b32_e32 v2, s6
	s_add_i32 s9, s9, s8
	v_sub_co_u32_e32 v2, vcc, s14, v2
	s_cmp_lg_u64 vcc, 0
	s_subb_u32 s6, s7, s9
	v_subrev_co_u32_e32 v4, vcc, s85, v2
	s_cmp_lg_u64 vcc, 0
	s_subb_u32 s8, s6, 0
	v_subrev_co_u32_e32 v6, vcc, s85, v4
	s_cmp_lg_u64 vcc, 0
	s_subb_u32 s9, s8, 0
	v_cmp_le_u32_e32 vcc, s85, v4
	s_cmp_eq_u32 s8, 0
	v_cndmask_b32_e64 v7, 0, -1, vcc
	s_cselect_b64 vcc, -1, 0
	v_cndmask_b32_e32 v7, -1, v7, vcc
	v_mov_b32_e32 v8, s8
	v_mov_b32_e32 v9, s9
	v_cmp_ne_u32_e32 vcc, 0, v7
	v_cndmask_b32_e32 v7, v8, v9, vcc
	v_cndmask_b32_e32 v4, v4, v6, vcc
	v_cmp_le_u32_e32 vcc, s85, v2
	s_cmp_eq_u32 s6, 0
	v_cndmask_b32_e64 v6, 0, -1, vcc
	s_cselect_b64 vcc, -1, 0
	v_cndmask_b32_e32 v6, -1, v6, vcc
	v_mov_b32_e32 v8, s6
	v_cmp_ne_u32_e32 vcc, 0, v6
	v_cndmask_b32_e32 v7, v8, v7, vcc
	v_cndmask_b32_e32 v6, v2, v4, vcc
	s_cbranch_execnz .LBB117_103
.LBB117_102:                            ;   in Loop: Header=BB117_25 Depth=1
	v_cvt_f32_u32_e32 v2, s85
	s_sub_i32 s6, 0, s85
	v_rcp_iflag_f32_e32 v2, v2
	v_mul_f32_e32 v2, 0x4f7ffffe, v2
	v_cvt_u32_f32_e32 v2, v2
	v_mul_lo_u32 v4, s6, v2
	v_mul_hi_u32 v4, v2, v4
	v_add_u32_e32 v2, v2, v4
	v_mul_hi_u32 v2, s14, v2
	v_mul_lo_u32 v2, v2, s85
	v_sub_u32_e32 v2, s14, v2
	v_subrev_u32_e32 v4, s85, v2
	v_cmp_le_u32_e32 vcc, s85, v2
	v_cndmask_b32_e32 v2, v2, v4, vcc
	v_subrev_u32_e32 v4, s85, v2
	v_cmp_le_u32_e32 vcc, s85, v2
	v_cndmask_b32_e32 v2, v2, v4, vcc
	v_pk_mov_b32 v[6:7], v[2:3], v[2:3] op_sel:[0,1]
.LBB117_103:                            ;   in Loop: Header=BB117_25 Depth=1
	v_mov_b32_e32 v2, s7
	v_sub_co_u32_e32 v10, vcc, s14, v6
	v_subb_co_u32_e32 v11, vcc, v2, v7, vcc
	v_cmp_gt_u64_e32 vcc, v[10:11], v[0:1]
	s_mov_b64 s[6:7], 0
                                        ; implicit-def: $vgpr8_vgpr9
	s_and_saveexec_b64 s[8:9], vcc
	s_cbranch_execz .LBB117_114
; %bb.104:                              ;   in Loop: Header=BB117_25 Depth=1
	s_mov_b64 s[28:29], 0
	v_mov_b32_e32 v2, v31
	v_pk_mov_b32 v[12:13], v[0:1], v[0:1] op_sel:[0,1]
                                        ; implicit-def: $sgpr14_sgpr15
	s_branch .LBB117_106
.LBB117_105:                            ;   in Loop: Header=BB117_106 Depth=2
	s_or_b64 exec, exec, s[6:7]
	s_waitcnt lgkmcnt(0)
	s_barrier
	ds_read_b128 v[6:9], v3 offset:3072
	v_mov_b32_e32 v4, s26
	v_add_co_u32_e64 v12, s[6:7], s85, v12
	v_addc_co_u32_e64 v13, s[6:7], v13, v4, s[6:7]
	s_waitcnt lgkmcnt(0)
	v_cmp_neq_f64_e32 vcc, 0, v[6:7]
	v_cmp_ge_u64_e64 s[6:7], v[12:13], v[10:11]
	s_or_b64 s[6:7], s[6:7], vcc
	s_and_b64 s[6:7], exec, s[6:7]
	s_or_b64 s[28:29], s[6:7], s[28:29]
	s_andn2_b64 s[6:7], s[14:15], exec
	s_and_b64 s[14:15], vcc, exec
	v_add_u32_e32 v2, s1, v2
	s_or_b64 s[14:15], s[6:7], s[14:15]
	s_barrier
	s_andn2_b64 exec, exec, s[28:29]
	s_cbranch_execz .LBB117_113
.LBB117_106:                            ;   Parent Loop BB117_25 Depth=1
                                        ; =>  This Inner Loop Header: Depth=2
	v_cmp_gt_u64_e32 vcc, s[2:3], v[12:13]
	v_pk_mov_b32 v[6:7], 0, 0
	s_and_saveexec_b64 s[6:7], vcc
	s_cbranch_execz .LBB117_108
; %bb.107:                              ;   in Loop: Header=BB117_106 Depth=2
	ds_read_b64 v[6:7], v2
.LBB117_108:                            ;   in Loop: Header=BB117_106 Depth=2
	s_or_b64 exec, exec, s[6:7]
	s_and_saveexec_b64 s[6:7], vcc
	s_cbranch_execz .LBB117_105
; %bb.109:                              ;   in Loop: Header=BB117_106 Depth=2
	s_waitcnt lgkmcnt(0)
	v_ashrrev_i32_e32 v4, 31, v7
	v_or_b32_e32 v8, 0x80000000, v4
	v_xor_b32_e32 v8, v8, v7
	v_xor_b32_e32 v4, v4, v6
	v_cmp_o_f64_e32 vcc, v[6:7], v[6:7]
	v_cndmask_b32_e32 v8, -1, v8, vcc
	v_cndmask_b32_e32 v4, -1, v4, vcc
	v_and_b32_e32 v9, s65, v8
	v_and_b32_e32 v8, s64, v4
	v_cmp_eq_u64_e32 vcc, s[72:73], v[8:9]
	s_and_b64 exec, exec, vcc
	s_cbranch_execz .LBB117_105
; %bb.110:                              ;   in Loop: Header=BB117_106 Depth=2
	v_mov_b32_e32 v4, v3
	ds_write_b128 v3, v[4:7] offset:3072
	s_branch .LBB117_105
.LBB117_111:                            ;   in Loop: Header=BB117_25 Depth=1
	s_mov_b64 s[6:7], -1
                                        ; implicit-def: $sgpr2_sgpr3
                                        ; implicit-def: $sgpr14_sgpr15
                                        ; implicit-def: $sgpr8_sgpr9
	s_branch .LBB117_128
.LBB117_112:                            ;   in Loop: Header=BB117_25 Depth=1
	s_mov_b64 s[2:3], -1
	s_mov_b64 s[6:7], 0
                                        ; implicit-def: $sgpr8_sgpr9
                                        ; implicit-def: $vgpr8_vgpr9
	s_mov_b64 s[14:15], s[2:3]
	s_cbranch_execnz .LBB117_115
	s_branch .LBB117_128
.LBB117_113:                            ;   in Loop: Header=BB117_25 Depth=1
	s_or_b64 exec, exec, s[28:29]
	s_and_b64 s[6:7], s[14:15], exec
.LBB117_114:                            ;   in Loop: Header=BB117_25 Depth=1
	s_or_b64 exec, exec, s[8:9]
	s_mov_b64 s[8:9], -1
	s_mov_b64 s[2:3], 0
	s_mov_b64 s[14:15], s[2:3]
	s_branch .LBB117_128
.LBB117_115:                            ;   in Loop: Header=BB117_25 Depth=1
	s_mov_b32 s86, s79
	s_cmp_lg_u64 s[86:87], 0
	s_cbranch_scc0 .LBB117_161
; %bb.116:                              ;   in Loop: Header=BB117_25 Depth=1
	v_cvt_f32_u32_e32 v2, s85
	s_sub_u32 s2, 0, s85
	s_subb_u32 s3, 0, 0
	v_mac_f32_e32 v2, 0, v38
	v_rcp_f32_e32 v2, v2
	v_mul_f32_e32 v2, 0x5f7ffffc, v2
	v_mul_f32_e32 v4, 0x2f800000, v2
	v_trunc_f32_e32 v4, v4
	v_mac_f32_e32 v2, 0xcf800000, v4
	v_cvt_u32_f32_e32 v4, v4
	v_cvt_u32_f32_e32 v2, v2
	v_readfirstlane_b32 s6, v4
	v_readfirstlane_b32 s7, v2
	s_mul_i32 s8, s2, s6
	s_mul_hi_u32 s14, s2, s7
	s_mul_i32 s9, s3, s7
	s_add_i32 s8, s14, s8
	s_mul_i32 s15, s2, s7
	s_add_i32 s8, s8, s9
	s_mul_hi_u32 s14, s7, s15
	s_mul_hi_u32 s9, s7, s8
	s_mul_i32 s7, s7, s8
	s_add_u32 s7, s14, s7
	s_addc_u32 s9, 0, s9
	s_mul_hi_u32 s28, s6, s15
	s_mul_i32 s15, s6, s15
	s_add_u32 s7, s7, s15
	s_mul_hi_u32 s14, s6, s8
	s_addc_u32 s7, s9, s28
	s_addc_u32 s9, s14, 0
	s_mul_i32 s8, s6, s8
	s_add_u32 s7, s7, s8
	s_addc_u32 s8, 0, s9
	v_add_co_u32_e32 v2, vcc, s7, v2
	s_cmp_lg_u64 vcc, 0
	s_addc_u32 s6, s6, s8
	v_readfirstlane_b32 s8, v2
	s_mul_i32 s7, s2, s6
	s_mul_hi_u32 s9, s2, s8
	s_add_i32 s7, s9, s7
	s_mul_i32 s3, s3, s8
	s_add_i32 s7, s7, s3
	s_mul_i32 s2, s2, s8
	s_mul_hi_u32 s9, s6, s2
	s_mul_i32 s14, s6, s2
	s_mul_i32 s28, s8, s7
	s_mul_hi_u32 s2, s8, s2
	s_mul_hi_u32 s15, s8, s7
	s_add_u32 s2, s2, s28
	s_addc_u32 s8, 0, s15
	s_add_u32 s2, s2, s14
	s_mul_hi_u32 s3, s6, s7
	s_addc_u32 s2, s8, s9
	s_addc_u32 s3, s3, 0
	s_mul_i32 s7, s6, s7
	s_add_u32 s2, s2, s7
	s_addc_u32 s3, 0, s3
	v_add_co_u32_e32 v2, vcc, s2, v2
	s_cmp_lg_u64 vcc, 0
	s_addc_u32 s2, s6, s3
	v_readfirstlane_b32 s7, v2
	s_mul_i32 s6, s27, s2
	s_mul_hi_u32 s8, s27, s7
	s_mul_hi_u32 s3, s27, s2
	s_add_u32 s6, s8, s6
	s_addc_u32 s3, 0, s3
	s_mul_hi_u32 s9, s87, s7
	s_mul_i32 s7, s87, s7
	s_add_u32 s6, s6, s7
	s_mul_hi_u32 s8, s87, s2
	s_addc_u32 s3, s3, s9
	s_addc_u32 s6, s8, 0
	s_mul_i32 s2, s87, s2
	s_add_u32 s2, s3, s2
	s_addc_u32 s3, 0, s6
	s_mul_hi_u32 s6, s85, s2
	s_mul_i32 s2, s85, s2
	s_mul_i32 s3, s85, s3
	v_mov_b32_e32 v2, s2
	s_add_i32 s6, s6, s3
	v_sub_co_u32_e32 v2, vcc, s27, v2
	s_cmp_lg_u64 vcc, 0
	s_subb_u32 s2, s87, s6
	v_subrev_co_u32_e32 v4, vcc, s85, v2
	s_cmp_lg_u64 vcc, 0
	s_subb_u32 s3, s2, 0
	v_subrev_co_u32_e32 v6, vcc, s85, v4
	s_cmp_lg_u64 vcc, 0
	s_subb_u32 s6, s3, 0
	v_cmp_le_u32_e32 vcc, s85, v4
	s_cmp_eq_u32 s3, 0
	v_cndmask_b32_e64 v7, 0, -1, vcc
	s_cselect_b64 vcc, -1, 0
	v_cndmask_b32_e32 v7, -1, v7, vcc
	v_mov_b32_e32 v8, s3
	v_mov_b32_e32 v9, s6
	v_cmp_ne_u32_e32 vcc, 0, v7
	v_cndmask_b32_e32 v7, v8, v9, vcc
	v_cndmask_b32_e32 v4, v4, v6, vcc
	v_cmp_le_u32_e32 vcc, s85, v2
	s_cmp_eq_u32 s2, 0
	v_cndmask_b32_e64 v6, 0, -1, vcc
	s_cselect_b64 vcc, -1, 0
	v_cndmask_b32_e32 v6, -1, v6, vcc
	v_mov_b32_e32 v8, s2
	v_cmp_ne_u32_e32 vcc, 0, v6
	v_cndmask_b32_e32 v7, v8, v7, vcc
	v_cndmask_b32_e32 v6, v2, v4, vcc
	s_cbranch_execnz .LBB117_118
.LBB117_117:                            ;   in Loop: Header=BB117_25 Depth=1
	v_cvt_f32_u32_e32 v2, s85
	s_sub_i32 s2, 0, s85
	v_rcp_iflag_f32_e32 v2, v2
	v_mul_f32_e32 v2, 0x4f7ffffe, v2
	v_cvt_u32_f32_e32 v2, v2
	v_mul_lo_u32 v4, s2, v2
	v_mul_hi_u32 v4, v2, v4
	v_add_u32_e32 v2, v2, v4
	v_mul_hi_u32 v2, s27, v2
	v_mul_lo_u32 v2, v2, s85
	v_sub_u32_e32 v2, s27, v2
	v_subrev_u32_e32 v4, s85, v2
	v_cmp_le_u32_e32 vcc, s85, v2
	v_cndmask_b32_e32 v2, v2, v4, vcc
	v_subrev_u32_e32 v4, s85, v2
	v_cmp_le_u32_e32 vcc, s85, v2
	v_cndmask_b32_e32 v2, v2, v4, vcc
	v_pk_mov_b32 v[6:7], v[2:3], v[2:3] op_sel:[0,1]
.LBB117_118:                            ;   in Loop: Header=BB117_25 Depth=1
	v_mov_b32_e32 v2, s87
	v_sub_co_u32_e32 v10, vcc, s27, v6
	v_subb_co_u32_e32 v11, vcc, v2, v7, vcc
	v_cmp_gt_u64_e32 vcc, v[10:11], v[0:1]
	s_mov_b64 s[6:7], 0
                                        ; implicit-def: $vgpr8_vgpr9
	s_and_saveexec_b64 s[2:3], vcc
	s_cbranch_execz .LBB117_127
; %bb.119:                              ;   in Loop: Header=BB117_25 Depth=1
	s_mov_b64 s[14:15], 0
	v_pk_mov_b32 v[12:13], v[0:1], v[0:1] op_sel:[0,1]
                                        ; implicit-def: $sgpr8_sgpr9
	s_branch .LBB117_121
.LBB117_120:                            ;   in Loop: Header=BB117_121 Depth=2
	s_or_b64 exec, exec, s[6:7]
	s_waitcnt lgkmcnt(0)
	s_barrier
	s_waitcnt vmcnt(0)
	ds_read_b128 v[6:9], v3 offset:3072
	v_mov_b32_e32 v2, s26
	v_add_co_u32_e64 v12, s[6:7], s85, v12
	v_addc_co_u32_e64 v13, s[6:7], v13, v2, s[6:7]
	s_waitcnt lgkmcnt(0)
	v_cmp_neq_f64_e32 vcc, 0, v[6:7]
	v_cmp_ge_u64_e64 s[6:7], v[12:13], v[10:11]
	s_or_b64 s[6:7], s[6:7], vcc
	s_and_b64 s[6:7], exec, s[6:7]
	s_or_b64 s[14:15], s[6:7], s[14:15]
	s_andn2_b64 s[6:7], s[8:9], exec
	s_and_b64 s[8:9], vcc, exec
	s_or_b64 s[8:9], s[6:7], s[8:9]
	s_barrier
	s_andn2_b64 exec, exec, s[14:15]
	s_cbranch_execz .LBB117_126
.LBB117_121:                            ;   Parent Loop BB117_25 Depth=1
                                        ; =>  This Inner Loop Header: Depth=2
	v_cmp_gt_u64_e32 vcc, s[52:53], v[12:13]
	v_pk_mov_b32 v[6:7], 0, 0
	s_and_saveexec_b64 s[28:29], vcc
	s_cbranch_execz .LBB117_123
; %bb.122:                              ;   in Loop: Header=BB117_121 Depth=2
	v_mul_lo_u32 v2, v13, s68
	v_mul_lo_u32 v4, v12, s69
	v_mad_u64_u32 v[6:7], s[6:7], v12, s68, 0
	v_add3_u32 v7, v7, v4, v2
	v_lshlrev_b64 v[6:7], 3, v[6:7]
	v_mov_b32_e32 v2, s84
	v_add_co_u32_e64 v6, s[6:7], s33, v6
	v_addc_co_u32_e64 v7, s[6:7], v2, v7, s[6:7]
	global_load_dwordx2 v[6:7], v[6:7], off
.LBB117_123:                            ;   in Loop: Header=BB117_121 Depth=2
	s_or_b64 exec, exec, s[28:29]
	s_and_saveexec_b64 s[6:7], vcc
	s_cbranch_execz .LBB117_120
; %bb.124:                              ;   in Loop: Header=BB117_121 Depth=2
	s_waitcnt vmcnt(0)
	v_ashrrev_i32_e32 v2, 31, v7
	v_or_b32_e32 v4, 0x80000000, v2
	v_xor_b32_e32 v4, v4, v7
	v_xor_b32_e32 v2, v2, v6
	v_cmp_o_f64_e32 vcc, v[6:7], v[6:7]
	v_cndmask_b32_e32 v4, -1, v4, vcc
	v_cndmask_b32_e32 v2, -1, v2, vcc
	v_and_b32_e32 v9, s65, v4
	v_and_b32_e32 v8, s64, v2
	v_cmp_eq_u64_e32 vcc, s[72:73], v[8:9]
	s_and_b64 exec, exec, vcc
	s_cbranch_execz .LBB117_120
; %bb.125:                              ;   in Loop: Header=BB117_121 Depth=2
	v_mov_b32_e32 v4, v3
	ds_write_b128 v3, v[4:7] offset:3072
	s_branch .LBB117_120
.LBB117_126:                            ;   in Loop: Header=BB117_25 Depth=1
	s_or_b64 exec, exec, s[14:15]
	s_and_b64 s[6:7], s[8:9], exec
.LBB117_127:                            ;   in Loop: Header=BB117_25 Depth=1
	s_or_b64 exec, exec, s[2:3]
	s_mov_b64 s[14:15], -1
	s_mov_b64 s[2:3], 0
	s_mov_b64 s[8:9], 0
.LBB117_128:                            ;   in Loop: Header=BB117_25 Depth=1
	s_andn2_b64 s[28:29], s[66:67], exec
	s_and_b64 s[2:3], s[2:3], exec
	s_or_b64 s[66:67], s[28:29], s[2:3]
	s_andn2_b64 s[2:3], s[62:63], exec
	s_and_b64 s[14:15], s[14:15], exec
	s_or_b64 s[62:63], s[2:3], s[14:15]
	;; [unrolled: 3-line block ×3, first 2 shown]
	s_and_saveexec_b64 s[14:15], s[6:7]
	s_cbranch_execz .LBB117_24
; %bb.129:                              ;   in Loop: Header=BB117_25 Depth=1
	s_xor_b64 s[2:3], s[24:25], -1
	s_andn2_b64 vcc, exec, s[2:3]
	s_mov_b32 s48, 1
	s_cbranch_vccnz .LBB117_140
; %bb.130:                              ;   in Loop: Header=BB117_25 Depth=1
	s_waitcnt vmcnt(0)
	v_pk_mov_b32 v[6:7], s[16:17], s[16:17] op_sel:[0,1]
	v_cmp_gt_u64_e32 vcc, s[82:83], v[6:7]
	s_mov_b64 s[2:3], -1
                                        ; implicit-def: $sgpr48
                                        ; implicit-def: $sgpr6_sgpr7
                                        ; implicit-def: $sgpr8_sgpr9
	s_cbranch_vccnz .LBB117_136
; %bb.131:                              ;   in Loop: Header=BB117_25 Depth=1
	ds_read_b64 v[6:7], v3 offset:5120
	s_waitcnt lgkmcnt(0)
	v_cmp_ne_u64_e32 vcc, 0, v[6:7]
	s_cbranch_vccnz .LBB117_135
; %bb.132:                              ;   in Loop: Header=BB117_25 Depth=1
	s_mov_b64 s[2:3], exec
	v_readlane_b32 s6, v50, 16
	v_readlane_b32 s7, v50, 17
	s_and_b64 s[6:7], s[2:3], s[6:7]
	s_mov_b64 exec, s[6:7]
	s_cbranch_execz .LBB117_134
; %bb.133:                              ;   in Loop: Header=BB117_25 Depth=1
	v_pk_mov_b32 v[6:7], s[16:17], s[16:17] op_sel:[0,1]
	ds_write_b64 v3, v[6:7] offset:5128
.LBB117_134:                            ;   in Loop: Header=BB117_25 Depth=1
	s_or_b64 exec, exec, s[2:3]
	s_waitcnt lgkmcnt(0)
	s_barrier
.LBB117_135:                            ;   in Loop: Header=BB117_25 Depth=1
	s_and_b64 s[6:7], s[72:73], s[20:21]
	s_or_b64 s[8:9], s[64:65], s[12:13]
	s_mov_b64 s[2:3], 0
	s_mov_b32 s48, 8
.LBB117_136:                            ;   in Loop: Header=BB117_25 Depth=1
	s_andn2_b64 vcc, exec, s[2:3]
	s_cbranch_vccnz .LBB117_138
; %bb.137:                              ;   in Loop: Header=BB117_25 Depth=1
	s_sub_u32 s82, s82, s16
	s_subb_u32 s83, s83, s17
	s_mov_b64 s[2:3], -1
	s_mov_b32 s48, 0
	s_mov_b64 s[6:7], s[72:73]
	s_mov_b64 s[8:9], s[64:65]
.LBB117_138:                            ;   in Loop: Header=BB117_25 Depth=1
	s_mov_b64 s[64:65], s[8:9]
	s_mov_b64 s[72:73], s[6:7]
	s_mov_b64 s[16:17], -1
	s_and_b64 vcc, exec, s[2:3]
	s_cbranch_vccnz .LBB117_141
.LBB117_139:                            ;   in Loop: Header=BB117_25 Depth=1
	s_mov_b64 s[2:3], -1
                                        ; implicit-def: $sgpr22_sgpr23
                                        ; implicit-def: $sgpr28_sgpr29
                                        ; implicit-def: $sgpr24_sgpr25
	s_and_saveexec_b64 s[6:7], s[2:3]
	s_xor_b64 s[2:3], exec, s[6:7]
	s_cbranch_execz .LBB117_23
	s_branch .LBB117_290
.LBB117_140:                            ;   in Loop: Header=BB117_25 Depth=1
	s_mov_b64 s[82:83], 1
	s_mov_b64 s[16:17], -1
	s_branch .LBB117_139
.LBB117_141:                            ;   in Loop: Header=BB117_25 Depth=1
	s_cmp_eq_u64 s[34:35], 1
	s_cselect_b64 s[2:3], -1, 0
	s_cmp_eq_u64 s[82:83], 1
	s_cselect_b64 s[6:7], -1, 0
	s_and_b64 s[36:37], s[2:3], s[6:7]
	s_mov_b64 s[6:7], -1
	s_and_b64 vcc, exec, s[36:37]
	s_cbranch_vccz .LBB117_156
; %bb.142:                              ;   in Loop: Header=BB117_25 Depth=1
	s_waitcnt vmcnt(0)
	ds_read_b64 v[6:7], v3 offset:5120
	s_waitcnt lgkmcnt(0)
	s_barrier
	v_readfirstlane_b32 s2, v6
	v_readfirstlane_b32 s3, v7
	s_mov_b64 s[6:7], exec
	v_readlane_b32 s8, v50, 26
	v_readlane_b32 s9, v50, 27
	s_and_b64 s[8:9], s[6:7], s[8:9]
	s_mov_b64 exec, s[8:9]
	s_cbranch_execz .LBB117_144
; %bb.143:                              ;   in Loop: Header=BB117_25 Depth=1
	v_mov_b32_e32 v2, v3
	ds_write_b64 v32, v[2:3]
.LBB117_144:                            ;   in Loop: Header=BB117_25 Depth=1
	s_or_b64 exec, exec, s[6:7]
	s_lshl_b64 s[6:7], 1, s44
	s_and_b64 s[8:9], s[72:73], s[20:21]
	s_or_b64 s[72:73], s[8:9], s[6:7]
	s_or_b64 s[64:65], s[64:65], s[12:13]
	s_cmp_eq_u64 s[2:3], 0
	s_waitcnt lgkmcnt(0)
	s_barrier
	s_cbranch_scc1 .LBB117_162
; %bb.145:                              ;   in Loop: Header=BB117_25 Depth=1
	v_readlane_b32 s6, v50, 32
	s_add_u32 s22, s6, s2
	v_readlane_b32 s6, v50, 33
	s_addc_u32 s7, s6, s3
	s_mov_b32 s6, s79
	s_cmp_lg_u64 s[6:7], 0
	s_cbranch_scc0 .LBB117_207
; %bb.146:                              ;   in Loop: Header=BB117_25 Depth=1
	v_cvt_f32_u32_e32 v2, s85
	s_sub_u32 s6, 0, s85
	s_subb_u32 s8, 0, 0
	v_mac_f32_e32 v2, 0, v38
	v_rcp_f32_e32 v2, v2
	v_mul_f32_e32 v2, 0x5f7ffffc, v2
	v_mul_f32_e32 v4, 0x2f800000, v2
	v_trunc_f32_e32 v4, v4
	v_mac_f32_e32 v2, 0xcf800000, v4
	v_cvt_u32_f32_e32 v4, v4
	v_cvt_u32_f32_e32 v2, v2
	v_readfirstlane_b32 s9, v4
	v_readfirstlane_b32 s23, v2
	s_mul_i32 s24, s6, s9
	s_mul_hi_u32 s28, s6, s23
	s_mul_i32 s25, s8, s23
	s_add_i32 s24, s28, s24
	s_mul_i32 s29, s6, s23
	s_add_i32 s24, s24, s25
	s_mul_hi_u32 s28, s23, s29
	s_mul_hi_u32 s25, s23, s24
	s_mul_i32 s23, s23, s24
	s_add_u32 s23, s28, s23
	s_addc_u32 s25, 0, s25
	s_mul_hi_u32 s30, s9, s29
	s_mul_i32 s29, s9, s29
	s_add_u32 s23, s23, s29
	s_mul_hi_u32 s28, s9, s24
	s_addc_u32 s23, s25, s30
	s_addc_u32 s25, s28, 0
	s_mul_i32 s24, s9, s24
	s_add_u32 s23, s23, s24
	s_addc_u32 s24, 0, s25
	v_add_co_u32_e32 v2, vcc, s23, v2
	s_cmp_lg_u64 vcc, 0
	s_addc_u32 s9, s9, s24
	v_readfirstlane_b32 s24, v2
	s_mul_i32 s23, s6, s9
	s_mul_hi_u32 s25, s6, s24
	s_add_i32 s23, s25, s23
	s_mul_i32 s8, s8, s24
	s_add_i32 s23, s23, s8
	s_mul_i32 s6, s6, s24
	s_mul_hi_u32 s25, s9, s6
	s_mul_i32 s28, s9, s6
	s_mul_i32 s30, s24, s23
	s_mul_hi_u32 s6, s24, s6
	s_mul_hi_u32 s29, s24, s23
	s_add_u32 s6, s6, s30
	s_addc_u32 s24, 0, s29
	s_add_u32 s6, s6, s28
	s_mul_hi_u32 s8, s9, s23
	s_addc_u32 s6, s24, s25
	s_addc_u32 s8, s8, 0
	s_mul_i32 s23, s9, s23
	s_add_u32 s6, s6, s23
	s_addc_u32 s8, 0, s8
	v_add_co_u32_e32 v2, vcc, s6, v2
	s_cmp_lg_u64 vcc, 0
	s_addc_u32 s6, s9, s8
	v_readfirstlane_b32 s23, v2
	s_mul_i32 s9, s22, s6
	s_mul_hi_u32 s24, s22, s23
	s_mul_hi_u32 s8, s22, s6
	s_add_u32 s9, s24, s9
	s_addc_u32 s8, 0, s8
	s_mul_hi_u32 s25, s7, s23
	s_mul_i32 s23, s7, s23
	s_add_u32 s9, s9, s23
	s_mul_hi_u32 s24, s7, s6
	s_addc_u32 s8, s8, s25
	s_addc_u32 s9, s24, 0
	s_mul_i32 s6, s7, s6
	s_add_u32 s6, s8, s6
	s_addc_u32 s8, 0, s9
	s_mul_hi_u32 s9, s85, s6
	s_mul_i32 s6, s85, s6
	s_mul_i32 s8, s85, s8
	v_mov_b32_e32 v2, s6
	s_add_i32 s9, s9, s8
	v_sub_co_u32_e32 v2, vcc, s22, v2
	s_cmp_lg_u64 vcc, 0
	s_subb_u32 s6, s7, s9
	v_subrev_co_u32_e32 v4, vcc, s85, v2
	s_cmp_lg_u64 vcc, 0
	s_subb_u32 s8, s6, 0
	v_subrev_co_u32_e32 v6, vcc, s85, v4
	s_cmp_lg_u64 vcc, 0
	s_subb_u32 s9, s8, 0
	v_cmp_le_u32_e32 vcc, s85, v4
	s_cmp_eq_u32 s8, 0
	v_cndmask_b32_e64 v7, 0, -1, vcc
	s_cselect_b64 vcc, -1, 0
	v_cndmask_b32_e32 v7, -1, v7, vcc
	v_mov_b32_e32 v8, s8
	v_mov_b32_e32 v9, s9
	v_cmp_ne_u32_e32 vcc, 0, v7
	v_cndmask_b32_e32 v7, v8, v9, vcc
	v_cndmask_b32_e32 v4, v4, v6, vcc
	v_cmp_le_u32_e32 vcc, s85, v2
	s_cmp_eq_u32 s6, 0
	v_cndmask_b32_e64 v6, 0, -1, vcc
	s_cselect_b64 vcc, -1, 0
	v_cndmask_b32_e32 v6, -1, v6, vcc
	v_mov_b32_e32 v8, s6
	v_cmp_ne_u32_e32 vcc, 0, v6
	v_cndmask_b32_e32 v7, v8, v7, vcc
	v_cndmask_b32_e32 v6, v2, v4, vcc
	s_cbranch_execnz .LBB117_148
.LBB117_147:                            ;   in Loop: Header=BB117_25 Depth=1
	v_cvt_f32_u32_e32 v2, s85
	s_sub_i32 s6, 0, s85
	v_rcp_iflag_f32_e32 v2, v2
	v_mul_f32_e32 v2, 0x4f7ffffe, v2
	v_cvt_u32_f32_e32 v2, v2
	v_mul_lo_u32 v4, s6, v2
	v_mul_hi_u32 v4, v2, v4
	v_add_u32_e32 v2, v2, v4
	v_mul_hi_u32 v2, s22, v2
	v_mul_lo_u32 v2, v2, s85
	v_sub_u32_e32 v2, s22, v2
	v_subrev_u32_e32 v4, s85, v2
	v_cmp_le_u32_e32 vcc, s85, v2
	v_cndmask_b32_e32 v2, v2, v4, vcc
	v_subrev_u32_e32 v4, s85, v2
	v_cmp_le_u32_e32 vcc, s85, v2
	v_cndmask_b32_e32 v2, v2, v4, vcc
	v_pk_mov_b32 v[6:7], v[2:3], v[2:3] op_sel:[0,1]
.LBB117_148:                            ;   in Loop: Header=BB117_25 Depth=1
	v_mov_b32_e32 v2, s7
	v_sub_co_u32_e32 v10, vcc, s22, v6
	v_subb_co_u32_e32 v11, vcc, v2, v7, vcc
	v_cmp_gt_u64_e32 vcc, v[10:11], v[0:1]
	s_mov_b64 s[6:7], 0
                                        ; implicit-def: $vgpr8_vgpr9
	s_and_saveexec_b64 s[8:9], vcc
	s_cbranch_execz .LBB117_164
; %bb.149:                              ;   in Loop: Header=BB117_25 Depth=1
	s_mov_b64 s[24:25], 0
	v_mov_b32_e32 v2, v31
	v_pk_mov_b32 v[12:13], v[0:1], v[0:1] op_sel:[0,1]
                                        ; implicit-def: $sgpr22_sgpr23
	s_branch .LBB117_151
.LBB117_150:                            ;   in Loop: Header=BB117_151 Depth=2
	s_or_b64 exec, exec, s[6:7]
	s_waitcnt lgkmcnt(0)
	s_barrier
	ds_read_b128 v[6:9], v3 offset:3072
	v_mov_b32_e32 v4, s26
	v_add_co_u32_e64 v12, s[6:7], s85, v12
	v_addc_co_u32_e64 v13, s[6:7], v13, v4, s[6:7]
	s_waitcnt lgkmcnt(0)
	v_cmp_neq_f64_e32 vcc, 0, v[6:7]
	v_cmp_ge_u64_e64 s[6:7], v[12:13], v[10:11]
	s_or_b64 s[6:7], s[6:7], vcc
	s_and_b64 s[6:7], exec, s[6:7]
	s_or_b64 s[24:25], s[6:7], s[24:25]
	s_andn2_b64 s[6:7], s[22:23], exec
	s_and_b64 s[22:23], vcc, exec
	v_add_u32_e32 v2, s1, v2
	s_or_b64 s[22:23], s[6:7], s[22:23]
	s_barrier
	s_andn2_b64 exec, exec, s[24:25]
	s_cbranch_execz .LBB117_163
.LBB117_151:                            ;   Parent Loop BB117_25 Depth=1
                                        ; =>  This Inner Loop Header: Depth=2
	v_cmp_gt_u64_e32 vcc, s[2:3], v[12:13]
	v_pk_mov_b32 v[6:7], 0, 0
	s_and_saveexec_b64 s[6:7], vcc
	s_cbranch_execz .LBB117_153
; %bb.152:                              ;   in Loop: Header=BB117_151 Depth=2
	ds_read_b64 v[6:7], v2
.LBB117_153:                            ;   in Loop: Header=BB117_151 Depth=2
	s_or_b64 exec, exec, s[6:7]
	s_and_saveexec_b64 s[6:7], vcc
	s_cbranch_execz .LBB117_150
; %bb.154:                              ;   in Loop: Header=BB117_151 Depth=2
	s_waitcnt lgkmcnt(0)
	v_ashrrev_i32_e32 v4, 31, v7
	v_or_b32_e32 v8, 0x80000000, v4
	v_xor_b32_e32 v8, v8, v7
	v_xor_b32_e32 v4, v4, v6
	v_cmp_o_f64_e32 vcc, v[6:7], v[6:7]
	v_cndmask_b32_e32 v8, -1, v8, vcc
	v_cndmask_b32_e32 v4, -1, v4, vcc
	v_and_b32_e32 v9, s65, v8
	v_and_b32_e32 v8, s64, v4
	v_cmp_eq_u64_e32 vcc, s[72:73], v[8:9]
	s_and_b64 exec, exec, vcc
	s_cbranch_execz .LBB117_150
; %bb.155:                              ;   in Loop: Header=BB117_151 Depth=2
	v_mov_b32_e32 v4, v3
	ds_write_b128 v3, v[4:7] offset:3072
	s_branch .LBB117_150
.LBB117_156:                            ;   in Loop: Header=BB117_25 Depth=1
                                        ; implicit-def: $sgpr24_sgpr25
                                        ; implicit-def: $sgpr28_sgpr29
                                        ; implicit-def: $sgpr22_sgpr23
	s_branch .LBB117_178
.LBB117_157:                            ;   in Loop: Header=BB117_25 Depth=1
                                        ; implicit-def: $vgpr6_vgpr7
	s_branch .LBB117_102
.LBB117_158:                            ;   in Loop: Header=BB117_25 Depth=1
	s_or_b64 exec, exec, s[2:3]
	s_waitcnt lgkmcnt(0)
	s_barrier
	s_mov_b64 s[2:3], exec
	v_readlane_b32 s6, v50, 16
	v_readlane_b32 s7, v50, 17
	s_and_b64 s[6:7], s[2:3], s[6:7]
	s_mov_b64 exec, s[6:7]
	s_cbranch_execz .LBB117_160
; %bb.159:                              ;   in Loop: Header=BB117_25 Depth=1
	s_waitcnt vmcnt(0)
	ds_read_b32 v6, v3 offset:5144
	s_waitcnt lgkmcnt(0)
	v_ashrrev_i32_e32 v7, 31, v6
	ds_write_b64 v3, v[6:7] offset:5120
.LBB117_160:                            ;   in Loop: Header=BB117_25 Depth=1
	s_or_b64 exec, exec, s[2:3]
	s_waitcnt lgkmcnt(0)
	s_barrier
	s_mov_b64 s[2:3], -1
	s_and_b64 vcc, exec, s[74:75]
	s_cbranch_vccnz .LBB117_43
	s_branch .LBB117_53
.LBB117_161:                            ;   in Loop: Header=BB117_25 Depth=1
                                        ; implicit-def: $vgpr6_vgpr7
	s_branch .LBB117_117
.LBB117_162:                            ;   in Loop: Header=BB117_25 Depth=1
	s_mov_b64 s[24:25], -1
	s_mov_b64 s[6:7], 0
                                        ; implicit-def: $sgpr22_sgpr23
                                        ; implicit-def: $vgpr8_vgpr9
	s_mov_b64 s[28:29], s[24:25]
	s_cbranch_execnz .LBB117_165
	s_branch .LBB117_178
.LBB117_163:                            ;   in Loop: Header=BB117_25 Depth=1
	s_or_b64 exec, exec, s[24:25]
	s_and_b64 s[6:7], s[22:23], exec
.LBB117_164:                            ;   in Loop: Header=BB117_25 Depth=1
	s_or_b64 exec, exec, s[8:9]
	s_mov_b64 s[22:23], -1
	s_mov_b64 s[24:25], 0
	s_mov_b64 s[28:29], s[24:25]
	s_branch .LBB117_178
.LBB117_165:                            ;   in Loop: Header=BB117_25 Depth=1
	s_mov_b32 s86, s79
	s_cmp_lg_u64 s[86:87], 0
	s_cbranch_scc0 .LBB117_208
; %bb.166:                              ;   in Loop: Header=BB117_25 Depth=1
	v_cvt_f32_u32_e32 v2, s85
	s_sub_u32 s2, 0, s85
	s_subb_u32 s3, 0, 0
	v_mac_f32_e32 v2, 0, v38
	v_rcp_f32_e32 v2, v2
	v_mul_f32_e32 v2, 0x5f7ffffc, v2
	v_mul_f32_e32 v4, 0x2f800000, v2
	v_trunc_f32_e32 v4, v4
	v_mac_f32_e32 v2, 0xcf800000, v4
	v_cvt_u32_f32_e32 v4, v4
	v_cvt_u32_f32_e32 v2, v2
	v_readfirstlane_b32 s6, v4
	v_readfirstlane_b32 s7, v2
	s_mul_i32 s8, s2, s6
	s_mul_hi_u32 s22, s2, s7
	s_mul_i32 s9, s3, s7
	s_add_i32 s8, s22, s8
	s_mul_i32 s23, s2, s7
	s_add_i32 s8, s8, s9
	s_mul_hi_u32 s22, s7, s23
	s_mul_hi_u32 s9, s7, s8
	s_mul_i32 s7, s7, s8
	s_add_u32 s7, s22, s7
	s_addc_u32 s9, 0, s9
	s_mul_hi_u32 s24, s6, s23
	s_mul_i32 s23, s6, s23
	s_add_u32 s7, s7, s23
	s_mul_hi_u32 s22, s6, s8
	s_addc_u32 s7, s9, s24
	s_addc_u32 s9, s22, 0
	s_mul_i32 s8, s6, s8
	s_add_u32 s7, s7, s8
	s_addc_u32 s8, 0, s9
	v_add_co_u32_e32 v2, vcc, s7, v2
	s_cmp_lg_u64 vcc, 0
	s_addc_u32 s6, s6, s8
	v_readfirstlane_b32 s8, v2
	s_mul_i32 s7, s2, s6
	s_mul_hi_u32 s9, s2, s8
	s_add_i32 s7, s9, s7
	s_mul_i32 s3, s3, s8
	s_add_i32 s7, s7, s3
	s_mul_i32 s2, s2, s8
	s_mul_hi_u32 s9, s6, s2
	s_mul_i32 s22, s6, s2
	s_mul_i32 s24, s8, s7
	s_mul_hi_u32 s2, s8, s2
	s_mul_hi_u32 s23, s8, s7
	s_add_u32 s2, s2, s24
	s_addc_u32 s8, 0, s23
	s_add_u32 s2, s2, s22
	s_mul_hi_u32 s3, s6, s7
	s_addc_u32 s2, s8, s9
	s_addc_u32 s3, s3, 0
	s_mul_i32 s7, s6, s7
	s_add_u32 s2, s2, s7
	s_addc_u32 s3, 0, s3
	v_add_co_u32_e32 v2, vcc, s2, v2
	s_cmp_lg_u64 vcc, 0
	s_addc_u32 s2, s6, s3
	v_readfirstlane_b32 s7, v2
	s_mul_i32 s6, s27, s2
	s_mul_hi_u32 s8, s27, s7
	s_mul_hi_u32 s3, s27, s2
	s_add_u32 s6, s8, s6
	s_addc_u32 s3, 0, s3
	s_mul_hi_u32 s9, s87, s7
	s_mul_i32 s7, s87, s7
	s_add_u32 s6, s6, s7
	s_mul_hi_u32 s8, s87, s2
	s_addc_u32 s3, s3, s9
	s_addc_u32 s6, s8, 0
	s_mul_i32 s2, s87, s2
	s_add_u32 s2, s3, s2
	s_addc_u32 s3, 0, s6
	s_mul_hi_u32 s6, s85, s2
	s_mul_i32 s2, s85, s2
	s_mul_i32 s3, s85, s3
	v_mov_b32_e32 v2, s2
	s_add_i32 s6, s6, s3
	v_sub_co_u32_e32 v2, vcc, s27, v2
	s_cmp_lg_u64 vcc, 0
	s_subb_u32 s2, s87, s6
	v_subrev_co_u32_e32 v4, vcc, s85, v2
	s_cmp_lg_u64 vcc, 0
	s_subb_u32 s3, s2, 0
	v_subrev_co_u32_e32 v6, vcc, s85, v4
	s_cmp_lg_u64 vcc, 0
	s_subb_u32 s6, s3, 0
	v_cmp_le_u32_e32 vcc, s85, v4
	s_cmp_eq_u32 s3, 0
	v_cndmask_b32_e64 v7, 0, -1, vcc
	s_cselect_b64 vcc, -1, 0
	v_cndmask_b32_e32 v7, -1, v7, vcc
	v_mov_b32_e32 v8, s3
	v_mov_b32_e32 v9, s6
	v_cmp_ne_u32_e32 vcc, 0, v7
	v_cndmask_b32_e32 v7, v8, v9, vcc
	v_cndmask_b32_e32 v4, v4, v6, vcc
	v_cmp_le_u32_e32 vcc, s85, v2
	s_cmp_eq_u32 s2, 0
	v_cndmask_b32_e64 v6, 0, -1, vcc
	s_cselect_b64 vcc, -1, 0
	v_cndmask_b32_e32 v6, -1, v6, vcc
	v_mov_b32_e32 v8, s2
	v_cmp_ne_u32_e32 vcc, 0, v6
	v_cndmask_b32_e32 v7, v8, v7, vcc
	v_cndmask_b32_e32 v6, v2, v4, vcc
	s_cbranch_execnz .LBB117_168
.LBB117_167:                            ;   in Loop: Header=BB117_25 Depth=1
	v_cvt_f32_u32_e32 v2, s85
	s_sub_i32 s2, 0, s85
	v_rcp_iflag_f32_e32 v2, v2
	v_mul_f32_e32 v2, 0x4f7ffffe, v2
	v_cvt_u32_f32_e32 v2, v2
	v_mul_lo_u32 v4, s2, v2
	v_mul_hi_u32 v4, v2, v4
	v_add_u32_e32 v2, v2, v4
	v_mul_hi_u32 v2, s27, v2
	v_mul_lo_u32 v2, v2, s85
	v_sub_u32_e32 v2, s27, v2
	v_subrev_u32_e32 v4, s85, v2
	v_cmp_le_u32_e32 vcc, s85, v2
	v_cndmask_b32_e32 v2, v2, v4, vcc
	v_subrev_u32_e32 v4, s85, v2
	v_cmp_le_u32_e32 vcc, s85, v2
	v_cndmask_b32_e32 v2, v2, v4, vcc
	v_pk_mov_b32 v[6:7], v[2:3], v[2:3] op_sel:[0,1]
.LBB117_168:                            ;   in Loop: Header=BB117_25 Depth=1
	v_mov_b32_e32 v2, s87
	v_sub_co_u32_e32 v10, vcc, s27, v6
	v_subb_co_u32_e32 v11, vcc, v2, v7, vcc
	v_cmp_gt_u64_e32 vcc, v[10:11], v[0:1]
	s_mov_b64 s[6:7], 0
                                        ; implicit-def: $vgpr8_vgpr9
	s_and_saveexec_b64 s[2:3], vcc
	s_cbranch_execz .LBB117_177
; %bb.169:                              ;   in Loop: Header=BB117_25 Depth=1
	s_mov_b64 s[22:23], 0
	v_pk_mov_b32 v[12:13], v[0:1], v[0:1] op_sel:[0,1]
                                        ; implicit-def: $sgpr8_sgpr9
	s_branch .LBB117_171
.LBB117_170:                            ;   in Loop: Header=BB117_171 Depth=2
	s_or_b64 exec, exec, s[6:7]
	s_waitcnt lgkmcnt(0)
	s_barrier
	s_waitcnt vmcnt(0)
	ds_read_b128 v[6:9], v3 offset:3072
	v_mov_b32_e32 v2, s26
	v_add_co_u32_e64 v12, s[6:7], s85, v12
	v_addc_co_u32_e64 v13, s[6:7], v13, v2, s[6:7]
	s_waitcnt lgkmcnt(0)
	v_cmp_neq_f64_e32 vcc, 0, v[6:7]
	v_cmp_ge_u64_e64 s[6:7], v[12:13], v[10:11]
	s_or_b64 s[6:7], s[6:7], vcc
	s_and_b64 s[6:7], exec, s[6:7]
	s_or_b64 s[22:23], s[6:7], s[22:23]
	s_andn2_b64 s[6:7], s[8:9], exec
	s_and_b64 s[8:9], vcc, exec
	s_or_b64 s[8:9], s[6:7], s[8:9]
	s_barrier
	s_andn2_b64 exec, exec, s[22:23]
	s_cbranch_execz .LBB117_176
.LBB117_171:                            ;   Parent Loop BB117_25 Depth=1
                                        ; =>  This Inner Loop Header: Depth=2
	v_cmp_gt_u64_e32 vcc, s[52:53], v[12:13]
	v_pk_mov_b32 v[6:7], 0, 0
	s_and_saveexec_b64 s[24:25], vcc
	s_cbranch_execz .LBB117_173
; %bb.172:                              ;   in Loop: Header=BB117_171 Depth=2
	v_mul_lo_u32 v2, v13, s68
	v_mul_lo_u32 v4, v12, s69
	v_mad_u64_u32 v[6:7], s[6:7], v12, s68, 0
	v_add3_u32 v7, v7, v4, v2
	v_lshlrev_b64 v[6:7], 3, v[6:7]
	v_mov_b32_e32 v2, s84
	v_add_co_u32_e64 v6, s[6:7], s33, v6
	v_addc_co_u32_e64 v7, s[6:7], v2, v7, s[6:7]
	global_load_dwordx2 v[6:7], v[6:7], off
.LBB117_173:                            ;   in Loop: Header=BB117_171 Depth=2
	s_or_b64 exec, exec, s[24:25]
	s_and_saveexec_b64 s[6:7], vcc
	s_cbranch_execz .LBB117_170
; %bb.174:                              ;   in Loop: Header=BB117_171 Depth=2
	s_waitcnt vmcnt(0)
	v_ashrrev_i32_e32 v2, 31, v7
	v_or_b32_e32 v4, 0x80000000, v2
	v_xor_b32_e32 v4, v4, v7
	v_xor_b32_e32 v2, v2, v6
	v_cmp_o_f64_e32 vcc, v[6:7], v[6:7]
	v_cndmask_b32_e32 v4, -1, v4, vcc
	v_cndmask_b32_e32 v2, -1, v2, vcc
	v_and_b32_e32 v9, s65, v4
	v_and_b32_e32 v8, s64, v2
	v_cmp_eq_u64_e32 vcc, s[72:73], v[8:9]
	s_and_b64 exec, exec, vcc
	s_cbranch_execz .LBB117_170
; %bb.175:                              ;   in Loop: Header=BB117_171 Depth=2
	v_mov_b32_e32 v4, v3
	ds_write_b128 v3, v[4:7] offset:3072
	s_branch .LBB117_170
.LBB117_176:                            ;   in Loop: Header=BB117_25 Depth=1
	s_or_b64 exec, exec, s[22:23]
	s_and_b64 s[6:7], s[8:9], exec
.LBB117_177:                            ;   in Loop: Header=BB117_25 Depth=1
	s_or_b64 exec, exec, s[2:3]
	s_mov_b64 s[28:29], -1
	s_mov_b64 s[24:25], 0
	s_mov_b64 s[22:23], 0
.LBB117_178:                            ;   in Loop: Header=BB117_25 Depth=1
	s_mov_b64 s[2:3], 0
                                        ; implicit-def: $sgpr48
	s_and_saveexec_b64 s[30:31], s[6:7]
	s_cbranch_execz .LBB117_289
; %bb.179:                              ;   in Loop: Header=BB117_25 Depth=1
	s_xor_b64 s[2:3], s[36:37], -1
	s_andn2_b64 vcc, exec, s[2:3]
	s_mov_b32 s48, 1
	s_cbranch_vccnz .LBB117_190
; %bb.180:                              ;   in Loop: Header=BB117_25 Depth=1
	s_waitcnt vmcnt(0)
	v_pk_mov_b32 v[6:7], s[34:35], s[34:35] op_sel:[0,1]
	v_cmp_gt_u64_e32 vcc, s[82:83], v[6:7]
	s_mov_b64 s[2:3], -1
                                        ; implicit-def: $sgpr48
                                        ; implicit-def: $sgpr6_sgpr7
                                        ; implicit-def: $sgpr8_sgpr9
	s_cbranch_vccnz .LBB117_186
; %bb.181:                              ;   in Loop: Header=BB117_25 Depth=1
	ds_read_b64 v[6:7], v3 offset:5120
	s_waitcnt lgkmcnt(0)
	v_cmp_ne_u64_e32 vcc, 0, v[6:7]
	s_cbranch_vccnz .LBB117_185
; %bb.182:                              ;   in Loop: Header=BB117_25 Depth=1
	s_mov_b64 s[2:3], exec
	v_readlane_b32 s6, v50, 16
	v_readlane_b32 s7, v50, 17
	s_and_b64 s[6:7], s[2:3], s[6:7]
	s_mov_b64 exec, s[6:7]
	s_cbranch_execz .LBB117_184
; %bb.183:                              ;   in Loop: Header=BB117_25 Depth=1
	v_pk_mov_b32 v[6:7], s[34:35], s[34:35] op_sel:[0,1]
	ds_write_b64 v3, v[6:7] offset:5128
.LBB117_184:                            ;   in Loop: Header=BB117_25 Depth=1
	s_or_b64 exec, exec, s[2:3]
	s_waitcnt lgkmcnt(0)
	s_barrier
.LBB117_185:                            ;   in Loop: Header=BB117_25 Depth=1
	s_lshl_b64 s[2:3], 1, s44
	s_and_b64 s[6:7], s[72:73], s[20:21]
	s_or_b64 s[6:7], s[6:7], s[2:3]
	s_or_b64 s[8:9], s[64:65], s[12:13]
	s_mov_b64 s[2:3], 0
	s_mov_b32 s48, 8
.LBB117_186:                            ;   in Loop: Header=BB117_25 Depth=1
	s_andn2_b64 vcc, exec, s[2:3]
	s_cbranch_vccnz .LBB117_188
; %bb.187:                              ;   in Loop: Header=BB117_25 Depth=1
	s_sub_u32 s82, s82, s34
	s_subb_u32 s83, s83, s35
	s_mov_b64 s[2:3], -1
	s_mov_b32 s48, 0
	s_mov_b64 s[6:7], s[72:73]
	s_mov_b64 s[8:9], s[64:65]
.LBB117_188:                            ;   in Loop: Header=BB117_25 Depth=1
	s_mov_b64 s[64:65], s[8:9]
	s_mov_b64 s[72:73], s[6:7]
	s_andn2_b64 vcc, exec, s[2:3]
	s_mov_b64 s[2:3], -1
	s_cbranch_vccz .LBB117_191
.LBB117_189:                            ;   in Loop: Header=BB117_25 Depth=1
                                        ; implicit-def: $sgpr36_sgpr37
                                        ; implicit-def: $sgpr38_sgpr39
                                        ; implicit-def: $sgpr34_sgpr35
	s_branch .LBB117_288
.LBB117_190:                            ;   in Loop: Header=BB117_25 Depth=1
	s_mov_b64 s[82:83], 1
	s_mov_b64 s[2:3], -1
	s_cbranch_execnz .LBB117_189
.LBB117_191:                            ;   in Loop: Header=BB117_25 Depth=1
	s_cmp_eq_u64 s[18:19], 1
	s_cselect_b64 s[2:3], -1, 0
	s_cmp_eq_u64 s[82:83], 1
	s_cselect_b64 s[6:7], -1, 0
	s_and_b64 s[42:43], s[2:3], s[6:7]
	s_mov_b64 s[6:7], -1
	s_and_b64 vcc, exec, s[42:43]
	s_cbranch_vccz .LBB117_206
; %bb.192:                              ;   in Loop: Header=BB117_25 Depth=1
	s_waitcnt vmcnt(0)
	ds_read_b64 v[6:7], v3 offset:5120
	s_waitcnt lgkmcnt(0)
	s_barrier
	v_readfirstlane_b32 s2, v6
	v_readfirstlane_b32 s3, v7
	s_mov_b64 s[6:7], exec
	v_readlane_b32 s8, v50, 26
	v_readlane_b32 s9, v50, 27
	s_and_b64 s[8:9], s[6:7], s[8:9]
	s_mov_b64 exec, s[8:9]
	s_cbranch_execz .LBB117_194
; %bb.193:                              ;   in Loop: Header=BB117_25 Depth=1
	v_mov_b32_e32 v2, v3
	ds_write_b64 v32, v[2:3]
.LBB117_194:                            ;   in Loop: Header=BB117_25 Depth=1
	s_or_b64 exec, exec, s[6:7]
	s_lshl_b64 s[6:7], 2, s44
	s_and_b64 s[8:9], s[72:73], s[20:21]
	s_or_b64 s[72:73], s[8:9], s[6:7]
	s_or_b64 s[64:65], s[64:65], s[12:13]
	s_cmp_eq_u64 s[2:3], 0
	s_waitcnt lgkmcnt(0)
	s_barrier
	s_cbranch_scc1 .LBB117_209
; %bb.195:                              ;   in Loop: Header=BB117_25 Depth=1
	v_readlane_b32 s6, v50, 32
	s_add_u32 s34, s6, s2
	v_readlane_b32 s6, v50, 33
	s_addc_u32 s7, s6, s3
	s_mov_b32 s6, s79
	s_cmp_lg_u64 s[6:7], 0
	s_cbranch_scc0 .LBB117_254
; %bb.196:                              ;   in Loop: Header=BB117_25 Depth=1
	v_cvt_f32_u32_e32 v2, s85
	s_sub_u32 s6, 0, s85
	s_subb_u32 s8, 0, 0
	v_mac_f32_e32 v2, 0, v38
	v_rcp_f32_e32 v2, v2
	v_mul_f32_e32 v2, 0x5f7ffffc, v2
	v_mul_f32_e32 v4, 0x2f800000, v2
	v_trunc_f32_e32 v4, v4
	v_mac_f32_e32 v2, 0xcf800000, v4
	v_cvt_u32_f32_e32 v4, v4
	v_cvt_u32_f32_e32 v2, v2
	v_readfirstlane_b32 s9, v4
	v_readfirstlane_b32 s35, v2
	s_mul_i32 s36, s6, s9
	s_mul_hi_u32 s38, s6, s35
	s_mul_i32 s37, s8, s35
	s_add_i32 s36, s38, s36
	s_mul_i32 s39, s6, s35
	s_add_i32 s36, s36, s37
	s_mul_hi_u32 s38, s35, s39
	s_mul_hi_u32 s37, s35, s36
	s_mul_i32 s35, s35, s36
	s_add_u32 s35, s38, s35
	s_addc_u32 s37, 0, s37
	s_mul_hi_u32 s40, s9, s39
	s_mul_i32 s39, s9, s39
	s_add_u32 s35, s35, s39
	s_mul_hi_u32 s38, s9, s36
	s_addc_u32 s35, s37, s40
	s_addc_u32 s37, s38, 0
	s_mul_i32 s36, s9, s36
	s_add_u32 s35, s35, s36
	s_addc_u32 s36, 0, s37
	v_add_co_u32_e32 v2, vcc, s35, v2
	s_cmp_lg_u64 vcc, 0
	s_addc_u32 s9, s9, s36
	v_readfirstlane_b32 s36, v2
	s_mul_i32 s35, s6, s9
	s_mul_hi_u32 s37, s6, s36
	s_add_i32 s35, s37, s35
	s_mul_i32 s8, s8, s36
	s_add_i32 s35, s35, s8
	s_mul_i32 s6, s6, s36
	s_mul_hi_u32 s37, s9, s6
	s_mul_i32 s38, s9, s6
	s_mul_i32 s40, s36, s35
	s_mul_hi_u32 s6, s36, s6
	s_mul_hi_u32 s39, s36, s35
	s_add_u32 s6, s6, s40
	s_addc_u32 s36, 0, s39
	s_add_u32 s6, s6, s38
	s_mul_hi_u32 s8, s9, s35
	s_addc_u32 s6, s36, s37
	s_addc_u32 s8, s8, 0
	s_mul_i32 s35, s9, s35
	s_add_u32 s6, s6, s35
	s_addc_u32 s8, 0, s8
	v_add_co_u32_e32 v2, vcc, s6, v2
	s_cmp_lg_u64 vcc, 0
	s_addc_u32 s6, s9, s8
	v_readfirstlane_b32 s35, v2
	s_mul_i32 s9, s34, s6
	s_mul_hi_u32 s36, s34, s35
	s_mul_hi_u32 s8, s34, s6
	s_add_u32 s9, s36, s9
	s_addc_u32 s8, 0, s8
	s_mul_hi_u32 s37, s7, s35
	s_mul_i32 s35, s7, s35
	s_add_u32 s9, s9, s35
	s_mul_hi_u32 s36, s7, s6
	s_addc_u32 s8, s8, s37
	s_addc_u32 s9, s36, 0
	s_mul_i32 s6, s7, s6
	s_add_u32 s6, s8, s6
	s_addc_u32 s8, 0, s9
	s_mul_hi_u32 s9, s85, s6
	s_mul_i32 s6, s85, s6
	s_mul_i32 s8, s85, s8
	v_mov_b32_e32 v2, s6
	s_add_i32 s9, s9, s8
	v_sub_co_u32_e32 v2, vcc, s34, v2
	s_cmp_lg_u64 vcc, 0
	s_subb_u32 s6, s7, s9
	v_subrev_co_u32_e32 v4, vcc, s85, v2
	s_cmp_lg_u64 vcc, 0
	s_subb_u32 s8, s6, 0
	v_subrev_co_u32_e32 v6, vcc, s85, v4
	s_cmp_lg_u64 vcc, 0
	s_subb_u32 s9, s8, 0
	v_cmp_le_u32_e32 vcc, s85, v4
	s_cmp_eq_u32 s8, 0
	v_cndmask_b32_e64 v7, 0, -1, vcc
	s_cselect_b64 vcc, -1, 0
	v_cndmask_b32_e32 v7, -1, v7, vcc
	v_mov_b32_e32 v8, s8
	v_mov_b32_e32 v9, s9
	v_cmp_ne_u32_e32 vcc, 0, v7
	v_cndmask_b32_e32 v7, v8, v9, vcc
	v_cndmask_b32_e32 v4, v4, v6, vcc
	v_cmp_le_u32_e32 vcc, s85, v2
	s_cmp_eq_u32 s6, 0
	v_cndmask_b32_e64 v6, 0, -1, vcc
	s_cselect_b64 vcc, -1, 0
	v_cndmask_b32_e32 v6, -1, v6, vcc
	v_mov_b32_e32 v8, s6
	v_cmp_ne_u32_e32 vcc, 0, v6
	v_cndmask_b32_e32 v7, v8, v7, vcc
	v_cndmask_b32_e32 v6, v2, v4, vcc
	s_cbranch_execnz .LBB117_198
.LBB117_197:                            ;   in Loop: Header=BB117_25 Depth=1
	v_cvt_f32_u32_e32 v2, s85
	s_sub_i32 s6, 0, s85
	v_rcp_iflag_f32_e32 v2, v2
	v_mul_f32_e32 v2, 0x4f7ffffe, v2
	v_cvt_u32_f32_e32 v2, v2
	v_mul_lo_u32 v4, s6, v2
	v_mul_hi_u32 v4, v2, v4
	v_add_u32_e32 v2, v2, v4
	v_mul_hi_u32 v2, s34, v2
	v_mul_lo_u32 v2, v2, s85
	v_sub_u32_e32 v2, s34, v2
	v_subrev_u32_e32 v4, s85, v2
	v_cmp_le_u32_e32 vcc, s85, v2
	v_cndmask_b32_e32 v2, v2, v4, vcc
	v_subrev_u32_e32 v4, s85, v2
	v_cmp_le_u32_e32 vcc, s85, v2
	v_cndmask_b32_e32 v2, v2, v4, vcc
	v_pk_mov_b32 v[6:7], v[2:3], v[2:3] op_sel:[0,1]
.LBB117_198:                            ;   in Loop: Header=BB117_25 Depth=1
	v_mov_b32_e32 v2, s7
	v_sub_co_u32_e32 v10, vcc, s34, v6
	v_subb_co_u32_e32 v11, vcc, v2, v7, vcc
	v_cmp_gt_u64_e32 vcc, v[10:11], v[0:1]
	s_mov_b64 s[6:7], 0
                                        ; implicit-def: $vgpr8_vgpr9
	s_and_saveexec_b64 s[8:9], vcc
	s_cbranch_execz .LBB117_211
; %bb.199:                              ;   in Loop: Header=BB117_25 Depth=1
	s_mov_b64 s[36:37], 0
	v_mov_b32_e32 v2, v31
	v_pk_mov_b32 v[12:13], v[0:1], v[0:1] op_sel:[0,1]
                                        ; implicit-def: $sgpr34_sgpr35
	s_branch .LBB117_201
.LBB117_200:                            ;   in Loop: Header=BB117_201 Depth=2
	s_or_b64 exec, exec, s[6:7]
	s_waitcnt lgkmcnt(0)
	s_barrier
	ds_read_b128 v[6:9], v3 offset:3072
	v_mov_b32_e32 v4, s26
	v_add_co_u32_e64 v12, s[6:7], s85, v12
	v_addc_co_u32_e64 v13, s[6:7], v13, v4, s[6:7]
	s_waitcnt lgkmcnt(0)
	v_cmp_neq_f64_e32 vcc, 0, v[6:7]
	v_cmp_ge_u64_e64 s[6:7], v[12:13], v[10:11]
	s_or_b64 s[6:7], s[6:7], vcc
	s_and_b64 s[6:7], exec, s[6:7]
	s_or_b64 s[36:37], s[6:7], s[36:37]
	s_andn2_b64 s[6:7], s[34:35], exec
	s_and_b64 s[34:35], vcc, exec
	v_add_u32_e32 v2, s1, v2
	s_or_b64 s[34:35], s[6:7], s[34:35]
	s_barrier
	s_andn2_b64 exec, exec, s[36:37]
	s_cbranch_execz .LBB117_210
.LBB117_201:                            ;   Parent Loop BB117_25 Depth=1
                                        ; =>  This Inner Loop Header: Depth=2
	v_cmp_gt_u64_e32 vcc, s[2:3], v[12:13]
	v_pk_mov_b32 v[6:7], 0, 0
	s_and_saveexec_b64 s[6:7], vcc
	s_cbranch_execz .LBB117_203
; %bb.202:                              ;   in Loop: Header=BB117_201 Depth=2
	ds_read_b64 v[6:7], v2
.LBB117_203:                            ;   in Loop: Header=BB117_201 Depth=2
	s_or_b64 exec, exec, s[6:7]
	s_and_saveexec_b64 s[6:7], vcc
	s_cbranch_execz .LBB117_200
; %bb.204:                              ;   in Loop: Header=BB117_201 Depth=2
	s_waitcnt lgkmcnt(0)
	v_ashrrev_i32_e32 v4, 31, v7
	v_or_b32_e32 v8, 0x80000000, v4
	v_xor_b32_e32 v8, v8, v7
	v_xor_b32_e32 v4, v4, v6
	v_cmp_o_f64_e32 vcc, v[6:7], v[6:7]
	v_cndmask_b32_e32 v8, -1, v8, vcc
	v_cndmask_b32_e32 v4, -1, v4, vcc
	v_and_b32_e32 v9, s65, v8
	v_and_b32_e32 v8, s64, v4
	v_cmp_eq_u64_e32 vcc, s[72:73], v[8:9]
	s_and_b64 exec, exec, vcc
	s_cbranch_execz .LBB117_200
; %bb.205:                              ;   in Loop: Header=BB117_201 Depth=2
	v_mov_b32_e32 v4, v3
	ds_write_b128 v3, v[4:7] offset:3072
	s_branch .LBB117_200
.LBB117_206:                            ;   in Loop: Header=BB117_25 Depth=1
                                        ; implicit-def: $sgpr34_sgpr35
                                        ; implicit-def: $sgpr38_sgpr39
                                        ; implicit-def: $sgpr36_sgpr37
	s_branch .LBB117_225
.LBB117_207:                            ;   in Loop: Header=BB117_25 Depth=1
                                        ; implicit-def: $vgpr6_vgpr7
	s_branch .LBB117_147
.LBB117_208:                            ;   in Loop: Header=BB117_25 Depth=1
                                        ; implicit-def: $vgpr6_vgpr7
	s_branch .LBB117_167
.LBB117_209:                            ;   in Loop: Header=BB117_25 Depth=1
	s_mov_b64 s[34:35], -1
	s_mov_b64 s[6:7], 0
                                        ; implicit-def: $sgpr36_sgpr37
                                        ; implicit-def: $vgpr8_vgpr9
	s_mov_b64 s[38:39], s[34:35]
	s_cbranch_execnz .LBB117_212
	s_branch .LBB117_225
.LBB117_210:                            ;   in Loop: Header=BB117_25 Depth=1
	s_or_b64 exec, exec, s[36:37]
	s_and_b64 s[6:7], s[34:35], exec
.LBB117_211:                            ;   in Loop: Header=BB117_25 Depth=1
	s_or_b64 exec, exec, s[8:9]
	s_mov_b64 s[36:37], -1
	s_mov_b64 s[34:35], 0
	s_mov_b64 s[38:39], s[34:35]
	s_branch .LBB117_225
.LBB117_212:                            ;   in Loop: Header=BB117_25 Depth=1
	s_mov_b32 s86, s79
	s_cmp_lg_u64 s[86:87], 0
	s_cbranch_scc0 .LBB117_255
; %bb.213:                              ;   in Loop: Header=BB117_25 Depth=1
	v_cvt_f32_u32_e32 v2, s85
	s_sub_u32 s2, 0, s85
	s_subb_u32 s3, 0, 0
	v_mac_f32_e32 v2, 0, v38
	v_rcp_f32_e32 v2, v2
	v_mul_f32_e32 v2, 0x5f7ffffc, v2
	v_mul_f32_e32 v4, 0x2f800000, v2
	v_trunc_f32_e32 v4, v4
	v_mac_f32_e32 v2, 0xcf800000, v4
	v_cvt_u32_f32_e32 v4, v4
	v_cvt_u32_f32_e32 v2, v2
	v_readfirstlane_b32 s6, v4
	v_readfirstlane_b32 s7, v2
	s_mul_i32 s8, s2, s6
	s_mul_hi_u32 s34, s2, s7
	s_mul_i32 s9, s3, s7
	s_add_i32 s8, s34, s8
	s_mul_i32 s35, s2, s7
	s_add_i32 s8, s8, s9
	s_mul_hi_u32 s34, s7, s35
	s_mul_hi_u32 s9, s7, s8
	s_mul_i32 s7, s7, s8
	s_add_u32 s7, s34, s7
	s_addc_u32 s9, 0, s9
	s_mul_hi_u32 s36, s6, s35
	s_mul_i32 s35, s6, s35
	s_add_u32 s7, s7, s35
	s_mul_hi_u32 s34, s6, s8
	s_addc_u32 s7, s9, s36
	s_addc_u32 s9, s34, 0
	s_mul_i32 s8, s6, s8
	s_add_u32 s7, s7, s8
	s_addc_u32 s8, 0, s9
	v_add_co_u32_e32 v2, vcc, s7, v2
	s_cmp_lg_u64 vcc, 0
	s_addc_u32 s6, s6, s8
	v_readfirstlane_b32 s8, v2
	s_mul_i32 s7, s2, s6
	s_mul_hi_u32 s9, s2, s8
	s_add_i32 s7, s9, s7
	s_mul_i32 s3, s3, s8
	s_add_i32 s7, s7, s3
	s_mul_i32 s2, s2, s8
	s_mul_hi_u32 s9, s6, s2
	s_mul_i32 s34, s6, s2
	s_mul_i32 s36, s8, s7
	s_mul_hi_u32 s2, s8, s2
	s_mul_hi_u32 s35, s8, s7
	s_add_u32 s2, s2, s36
	s_addc_u32 s8, 0, s35
	s_add_u32 s2, s2, s34
	s_mul_hi_u32 s3, s6, s7
	s_addc_u32 s2, s8, s9
	s_addc_u32 s3, s3, 0
	s_mul_i32 s7, s6, s7
	s_add_u32 s2, s2, s7
	s_addc_u32 s3, 0, s3
	v_add_co_u32_e32 v2, vcc, s2, v2
	s_cmp_lg_u64 vcc, 0
	s_addc_u32 s2, s6, s3
	v_readfirstlane_b32 s7, v2
	s_mul_i32 s6, s27, s2
	s_mul_hi_u32 s8, s27, s7
	s_mul_hi_u32 s3, s27, s2
	s_add_u32 s6, s8, s6
	s_addc_u32 s3, 0, s3
	s_mul_hi_u32 s9, s87, s7
	s_mul_i32 s7, s87, s7
	s_add_u32 s6, s6, s7
	s_mul_hi_u32 s8, s87, s2
	s_addc_u32 s3, s3, s9
	s_addc_u32 s6, s8, 0
	s_mul_i32 s2, s87, s2
	s_add_u32 s2, s3, s2
	s_addc_u32 s3, 0, s6
	s_mul_hi_u32 s6, s85, s2
	s_mul_i32 s2, s85, s2
	s_mul_i32 s3, s85, s3
	v_mov_b32_e32 v2, s2
	s_add_i32 s6, s6, s3
	v_sub_co_u32_e32 v2, vcc, s27, v2
	s_cmp_lg_u64 vcc, 0
	s_subb_u32 s2, s87, s6
	v_subrev_co_u32_e32 v4, vcc, s85, v2
	s_cmp_lg_u64 vcc, 0
	s_subb_u32 s3, s2, 0
	v_subrev_co_u32_e32 v6, vcc, s85, v4
	s_cmp_lg_u64 vcc, 0
	s_subb_u32 s6, s3, 0
	v_cmp_le_u32_e32 vcc, s85, v4
	s_cmp_eq_u32 s3, 0
	v_cndmask_b32_e64 v7, 0, -1, vcc
	s_cselect_b64 vcc, -1, 0
	v_cndmask_b32_e32 v7, -1, v7, vcc
	v_mov_b32_e32 v8, s3
	v_mov_b32_e32 v9, s6
	v_cmp_ne_u32_e32 vcc, 0, v7
	v_cndmask_b32_e32 v7, v8, v9, vcc
	v_cndmask_b32_e32 v4, v4, v6, vcc
	v_cmp_le_u32_e32 vcc, s85, v2
	s_cmp_eq_u32 s2, 0
	v_cndmask_b32_e64 v6, 0, -1, vcc
	s_cselect_b64 vcc, -1, 0
	v_cndmask_b32_e32 v6, -1, v6, vcc
	v_mov_b32_e32 v8, s2
	v_cmp_ne_u32_e32 vcc, 0, v6
	v_cndmask_b32_e32 v7, v8, v7, vcc
	v_cndmask_b32_e32 v6, v2, v4, vcc
	s_cbranch_execnz .LBB117_215
.LBB117_214:                            ;   in Loop: Header=BB117_25 Depth=1
	v_cvt_f32_u32_e32 v2, s85
	s_sub_i32 s2, 0, s85
	v_rcp_iflag_f32_e32 v2, v2
	v_mul_f32_e32 v2, 0x4f7ffffe, v2
	v_cvt_u32_f32_e32 v2, v2
	v_mul_lo_u32 v4, s2, v2
	v_mul_hi_u32 v4, v2, v4
	v_add_u32_e32 v2, v2, v4
	v_mul_hi_u32 v2, s27, v2
	v_mul_lo_u32 v2, v2, s85
	v_sub_u32_e32 v2, s27, v2
	v_subrev_u32_e32 v4, s85, v2
	v_cmp_le_u32_e32 vcc, s85, v2
	v_cndmask_b32_e32 v2, v2, v4, vcc
	v_subrev_u32_e32 v4, s85, v2
	v_cmp_le_u32_e32 vcc, s85, v2
	v_cndmask_b32_e32 v2, v2, v4, vcc
	v_pk_mov_b32 v[6:7], v[2:3], v[2:3] op_sel:[0,1]
.LBB117_215:                            ;   in Loop: Header=BB117_25 Depth=1
	v_mov_b32_e32 v2, s87
	v_sub_co_u32_e32 v10, vcc, s27, v6
	v_subb_co_u32_e32 v11, vcc, v2, v7, vcc
	v_cmp_gt_u64_e32 vcc, v[10:11], v[0:1]
	s_mov_b64 s[6:7], 0
                                        ; implicit-def: $vgpr8_vgpr9
	s_and_saveexec_b64 s[2:3], vcc
	s_cbranch_execz .LBB117_224
; %bb.216:                              ;   in Loop: Header=BB117_25 Depth=1
	s_mov_b64 s[34:35], 0
	v_pk_mov_b32 v[12:13], v[0:1], v[0:1] op_sel:[0,1]
                                        ; implicit-def: $sgpr8_sgpr9
	s_branch .LBB117_218
.LBB117_217:                            ;   in Loop: Header=BB117_218 Depth=2
	s_or_b64 exec, exec, s[6:7]
	s_waitcnt lgkmcnt(0)
	s_barrier
	s_waitcnt vmcnt(0)
	ds_read_b128 v[6:9], v3 offset:3072
	v_mov_b32_e32 v2, s26
	v_add_co_u32_e64 v12, s[6:7], s85, v12
	v_addc_co_u32_e64 v13, s[6:7], v13, v2, s[6:7]
	s_waitcnt lgkmcnt(0)
	v_cmp_neq_f64_e32 vcc, 0, v[6:7]
	v_cmp_ge_u64_e64 s[6:7], v[12:13], v[10:11]
	s_or_b64 s[6:7], s[6:7], vcc
	s_and_b64 s[6:7], exec, s[6:7]
	s_or_b64 s[34:35], s[6:7], s[34:35]
	s_andn2_b64 s[6:7], s[8:9], exec
	s_and_b64 s[8:9], vcc, exec
	s_or_b64 s[8:9], s[6:7], s[8:9]
	s_barrier
	s_andn2_b64 exec, exec, s[34:35]
	s_cbranch_execz .LBB117_223
.LBB117_218:                            ;   Parent Loop BB117_25 Depth=1
                                        ; =>  This Inner Loop Header: Depth=2
	v_cmp_gt_u64_e32 vcc, s[52:53], v[12:13]
	v_pk_mov_b32 v[6:7], 0, 0
	s_and_saveexec_b64 s[36:37], vcc
	s_cbranch_execz .LBB117_220
; %bb.219:                              ;   in Loop: Header=BB117_218 Depth=2
	v_mul_lo_u32 v2, v13, s68
	v_mul_lo_u32 v4, v12, s69
	v_mad_u64_u32 v[6:7], s[6:7], v12, s68, 0
	v_add3_u32 v7, v7, v4, v2
	v_lshlrev_b64 v[6:7], 3, v[6:7]
	v_mov_b32_e32 v2, s84
	v_add_co_u32_e64 v6, s[6:7], s33, v6
	v_addc_co_u32_e64 v7, s[6:7], v2, v7, s[6:7]
	global_load_dwordx2 v[6:7], v[6:7], off
.LBB117_220:                            ;   in Loop: Header=BB117_218 Depth=2
	s_or_b64 exec, exec, s[36:37]
	s_and_saveexec_b64 s[6:7], vcc
	s_cbranch_execz .LBB117_217
; %bb.221:                              ;   in Loop: Header=BB117_218 Depth=2
	s_waitcnt vmcnt(0)
	v_ashrrev_i32_e32 v2, 31, v7
	v_or_b32_e32 v4, 0x80000000, v2
	v_xor_b32_e32 v4, v4, v7
	v_xor_b32_e32 v2, v2, v6
	v_cmp_o_f64_e32 vcc, v[6:7], v[6:7]
	v_cndmask_b32_e32 v4, -1, v4, vcc
	v_cndmask_b32_e32 v2, -1, v2, vcc
	v_and_b32_e32 v9, s65, v4
	v_and_b32_e32 v8, s64, v2
	v_cmp_eq_u64_e32 vcc, s[72:73], v[8:9]
	s_and_b64 exec, exec, vcc
	s_cbranch_execz .LBB117_217
; %bb.222:                              ;   in Loop: Header=BB117_218 Depth=2
	v_mov_b32_e32 v4, v3
	ds_write_b128 v3, v[4:7] offset:3072
	s_branch .LBB117_217
.LBB117_223:                            ;   in Loop: Header=BB117_25 Depth=1
	s_or_b64 exec, exec, s[34:35]
	s_and_b64 s[6:7], s[8:9], exec
.LBB117_224:                            ;   in Loop: Header=BB117_25 Depth=1
	s_or_b64 exec, exec, s[2:3]
	s_mov_b64 s[38:39], -1
	s_mov_b64 s[34:35], 0
	s_mov_b64 s[36:37], 0
.LBB117_225:                            ;   in Loop: Header=BB117_25 Depth=1
	s_mov_b64 s[2:3], 0
                                        ; implicit-def: $sgpr48
	s_and_saveexec_b64 s[40:41], s[6:7]
	s_cbranch_execz .LBB117_287
; %bb.226:                              ;   in Loop: Header=BB117_25 Depth=1
	s_xor_b64 s[2:3], s[42:43], -1
	s_andn2_b64 vcc, exec, s[2:3]
	s_mov_b32 s48, 1
	s_cbranch_vccnz .LBB117_237
; %bb.227:                              ;   in Loop: Header=BB117_25 Depth=1
	s_waitcnt vmcnt(0)
	v_pk_mov_b32 v[6:7], s[18:19], s[18:19] op_sel:[0,1]
	v_cmp_gt_u64_e32 vcc, s[82:83], v[6:7]
	s_mov_b64 s[2:3], -1
                                        ; implicit-def: $sgpr48
                                        ; implicit-def: $sgpr6_sgpr7
                                        ; implicit-def: $sgpr8_sgpr9
	s_cbranch_vccnz .LBB117_233
; %bb.228:                              ;   in Loop: Header=BB117_25 Depth=1
	ds_read_b64 v[6:7], v3 offset:5120
	s_waitcnt lgkmcnt(0)
	v_cmp_ne_u64_e32 vcc, 0, v[6:7]
	s_cbranch_vccnz .LBB117_232
; %bb.229:                              ;   in Loop: Header=BB117_25 Depth=1
	s_mov_b64 s[2:3], exec
	v_readlane_b32 s6, v50, 16
	v_readlane_b32 s7, v50, 17
	s_and_b64 s[6:7], s[2:3], s[6:7]
	s_mov_b64 exec, s[6:7]
	s_cbranch_execz .LBB117_231
; %bb.230:                              ;   in Loop: Header=BB117_25 Depth=1
	v_pk_mov_b32 v[6:7], s[18:19], s[18:19] op_sel:[0,1]
	ds_write_b64 v3, v[6:7] offset:5128
.LBB117_231:                            ;   in Loop: Header=BB117_25 Depth=1
	s_or_b64 exec, exec, s[2:3]
	s_waitcnt lgkmcnt(0)
	s_barrier
.LBB117_232:                            ;   in Loop: Header=BB117_25 Depth=1
	s_lshl_b64 s[2:3], 2, s44
	s_and_b64 s[6:7], s[72:73], s[20:21]
	s_or_b64 s[6:7], s[6:7], s[2:3]
	s_or_b64 s[8:9], s[64:65], s[12:13]
	s_mov_b64 s[2:3], 0
	s_mov_b32 s48, 8
.LBB117_233:                            ;   in Loop: Header=BB117_25 Depth=1
	s_andn2_b64 vcc, exec, s[2:3]
	s_cbranch_vccnz .LBB117_235
; %bb.234:                              ;   in Loop: Header=BB117_25 Depth=1
	s_sub_u32 s82, s82, s18
	s_subb_u32 s83, s83, s19
	s_mov_b64 s[2:3], -1
	s_mov_b32 s48, 0
	s_mov_b64 s[6:7], s[72:73]
	s_mov_b64 s[8:9], s[64:65]
.LBB117_235:                            ;   in Loop: Header=BB117_25 Depth=1
	s_mov_b64 s[64:65], s[8:9]
	s_mov_b64 s[72:73], s[6:7]
	s_andn2_b64 vcc, exec, s[2:3]
	s_mov_b64 s[44:45], -1
	s_cbranch_vccz .LBB117_238
.LBB117_236:                            ;   in Loop: Header=BB117_25 Depth=1
                                        ; implicit-def: $sgpr2_sgpr3
                                        ; implicit-def: $sgpr8_sgpr9
                                        ; implicit-def: $sgpr6_sgpr7
	s_branch .LBB117_286
.LBB117_237:                            ;   in Loop: Header=BB117_25 Depth=1
	s_mov_b64 s[82:83], 1
	s_mov_b64 s[44:45], -1
	s_cbranch_execnz .LBB117_236
.LBB117_238:                            ;   in Loop: Header=BB117_25 Depth=1
	s_cmp_eq_u64 s[10:11], 1
	s_cselect_b64 s[2:3], -1, 0
	s_cmp_eq_u64 s[82:83], 1
	s_cselect_b64 s[6:7], -1, 0
	s_and_b64 s[18:19], s[2:3], s[6:7]
	s_mov_b64 s[20:21], -1
	s_and_b64 vcc, exec, s[18:19]
	s_cbranch_vccz .LBB117_253
; %bb.239:                              ;   in Loop: Header=BB117_25 Depth=1
	s_waitcnt vmcnt(0)
	ds_read_b64 v[6:7], v3 offset:5120
	s_waitcnt lgkmcnt(0)
	s_barrier
	v_readfirstlane_b32 s2, v6
	v_readfirstlane_b32 s3, v7
	s_mov_b64 s[6:7], exec
	v_readlane_b32 s8, v50, 26
	v_readlane_b32 s9, v50, 27
	s_and_b64 s[8:9], s[6:7], s[8:9]
	s_mov_b64 exec, s[8:9]
	s_cbranch_execz .LBB117_241
; %bb.240:                              ;   in Loop: Header=BB117_25 Depth=1
	v_mov_b32_e32 v2, v3
	ds_write_b64 v32, v[2:3]
.LBB117_241:                            ;   in Loop: Header=BB117_25 Depth=1
	s_or_b64 exec, exec, s[6:7]
	s_or_b64 s[72:73], s[72:73], s[12:13]
	s_or_b64 s[64:65], s[64:65], s[12:13]
	s_cmp_eq_u64 s[2:3], 0
	s_waitcnt lgkmcnt(0)
	s_barrier
	s_cbranch_scc1 .LBB117_256
; %bb.242:                              ;   in Loop: Header=BB117_25 Depth=1
	v_readlane_b32 s6, v50, 32
	s_add_u32 s20, s6, s2
	v_readlane_b32 s6, v50, 33
	s_addc_u32 s7, s6, s3
	s_mov_b32 s6, s79
	s_cmp_lg_u64 s[6:7], 0
	s_cbranch_scc0 .LBB117_292
; %bb.243:                              ;   in Loop: Header=BB117_25 Depth=1
	v_cvt_f32_u32_e32 v2, s85
	s_sub_u32 s6, 0, s85
	s_subb_u32 s8, 0, 0
	v_mac_f32_e32 v2, 0, v38
	v_rcp_f32_e32 v2, v2
	v_mul_f32_e32 v2, 0x5f7ffffc, v2
	v_mul_f32_e32 v4, 0x2f800000, v2
	v_trunc_f32_e32 v4, v4
	v_mac_f32_e32 v2, 0xcf800000, v4
	v_cvt_u32_f32_e32 v4, v4
	v_cvt_u32_f32_e32 v2, v2
	v_readfirstlane_b32 s9, v4
	v_readfirstlane_b32 s21, v2
	s_mul_i32 s42, s6, s9
	s_mul_hi_u32 s44, s6, s21
	s_mul_i32 s43, s8, s21
	s_add_i32 s42, s44, s42
	s_mul_i32 s45, s6, s21
	s_add_i32 s42, s42, s43
	s_mul_hi_u32 s44, s21, s45
	s_mul_hi_u32 s43, s21, s42
	s_mul_i32 s21, s21, s42
	s_add_u32 s21, s44, s21
	s_addc_u32 s43, 0, s43
	s_mul_hi_u32 s46, s9, s45
	s_mul_i32 s45, s9, s45
	s_add_u32 s21, s21, s45
	s_mul_hi_u32 s44, s9, s42
	s_addc_u32 s21, s43, s46
	s_addc_u32 s43, s44, 0
	s_mul_i32 s42, s9, s42
	s_add_u32 s21, s21, s42
	s_addc_u32 s42, 0, s43
	v_add_co_u32_e32 v2, vcc, s21, v2
	s_cmp_lg_u64 vcc, 0
	s_addc_u32 s9, s9, s42
	v_readfirstlane_b32 s42, v2
	s_mul_i32 s21, s6, s9
	s_mul_hi_u32 s43, s6, s42
	s_add_i32 s21, s43, s21
	s_mul_i32 s8, s8, s42
	s_add_i32 s21, s21, s8
	s_mul_i32 s6, s6, s42
	s_mul_hi_u32 s43, s9, s6
	s_mul_i32 s44, s9, s6
	s_mul_i32 s46, s42, s21
	s_mul_hi_u32 s6, s42, s6
	s_mul_hi_u32 s45, s42, s21
	s_add_u32 s6, s6, s46
	s_addc_u32 s42, 0, s45
	s_add_u32 s6, s6, s44
	s_mul_hi_u32 s8, s9, s21
	s_addc_u32 s6, s42, s43
	s_addc_u32 s8, s8, 0
	s_mul_i32 s21, s9, s21
	s_add_u32 s6, s6, s21
	s_addc_u32 s8, 0, s8
	v_add_co_u32_e32 v2, vcc, s6, v2
	s_cmp_lg_u64 vcc, 0
	s_addc_u32 s6, s9, s8
	v_readfirstlane_b32 s21, v2
	s_mul_i32 s9, s20, s6
	s_mul_hi_u32 s42, s20, s21
	s_mul_hi_u32 s8, s20, s6
	s_add_u32 s9, s42, s9
	s_addc_u32 s8, 0, s8
	s_mul_hi_u32 s43, s7, s21
	s_mul_i32 s21, s7, s21
	s_add_u32 s9, s9, s21
	s_mul_hi_u32 s42, s7, s6
	s_addc_u32 s8, s8, s43
	s_addc_u32 s9, s42, 0
	s_mul_i32 s6, s7, s6
	s_add_u32 s6, s8, s6
	s_addc_u32 s8, 0, s9
	s_mul_hi_u32 s9, s85, s6
	s_mul_i32 s6, s85, s6
	s_mul_i32 s8, s85, s8
	v_mov_b32_e32 v2, s6
	s_add_i32 s9, s9, s8
	v_sub_co_u32_e32 v2, vcc, s20, v2
	s_cmp_lg_u64 vcc, 0
	s_subb_u32 s6, s7, s9
	v_subrev_co_u32_e32 v4, vcc, s85, v2
	s_cmp_lg_u64 vcc, 0
	s_subb_u32 s8, s6, 0
	v_subrev_co_u32_e32 v6, vcc, s85, v4
	s_cmp_lg_u64 vcc, 0
	s_subb_u32 s9, s8, 0
	v_cmp_le_u32_e32 vcc, s85, v4
	s_cmp_eq_u32 s8, 0
	v_cndmask_b32_e64 v7, 0, -1, vcc
	s_cselect_b64 vcc, -1, 0
	v_cndmask_b32_e32 v7, -1, v7, vcc
	v_mov_b32_e32 v8, s8
	v_mov_b32_e32 v9, s9
	v_cmp_ne_u32_e32 vcc, 0, v7
	v_cndmask_b32_e32 v7, v8, v9, vcc
	v_cndmask_b32_e32 v4, v4, v6, vcc
	v_cmp_le_u32_e32 vcc, s85, v2
	s_cmp_eq_u32 s6, 0
	v_cndmask_b32_e64 v6, 0, -1, vcc
	s_cselect_b64 vcc, -1, 0
	v_cndmask_b32_e32 v6, -1, v6, vcc
	v_mov_b32_e32 v8, s6
	v_cmp_ne_u32_e32 vcc, 0, v6
	v_cndmask_b32_e32 v7, v8, v7, vcc
	v_cndmask_b32_e32 v6, v2, v4, vcc
	s_cbranch_execnz .LBB117_245
.LBB117_244:                            ;   in Loop: Header=BB117_25 Depth=1
	v_cvt_f32_u32_e32 v2, s85
	s_sub_i32 s6, 0, s85
	v_rcp_iflag_f32_e32 v2, v2
	v_mul_f32_e32 v2, 0x4f7ffffe, v2
	v_cvt_u32_f32_e32 v2, v2
	v_mul_lo_u32 v4, s6, v2
	v_mul_hi_u32 v4, v2, v4
	v_add_u32_e32 v2, v2, v4
	v_mul_hi_u32 v2, s20, v2
	v_mul_lo_u32 v2, v2, s85
	v_sub_u32_e32 v2, s20, v2
	v_subrev_u32_e32 v4, s85, v2
	v_cmp_le_u32_e32 vcc, s85, v2
	v_cndmask_b32_e32 v2, v2, v4, vcc
	v_subrev_u32_e32 v4, s85, v2
	v_cmp_le_u32_e32 vcc, s85, v2
	v_cndmask_b32_e32 v2, v2, v4, vcc
	v_pk_mov_b32 v[6:7], v[2:3], v[2:3] op_sel:[0,1]
.LBB117_245:                            ;   in Loop: Header=BB117_25 Depth=1
	v_mov_b32_e32 v2, s7
	v_sub_co_u32_e32 v10, vcc, s20, v6
	v_subb_co_u32_e32 v11, vcc, v2, v7, vcc
	v_cmp_gt_u64_e32 vcc, v[10:11], v[0:1]
	s_mov_b64 s[20:21], 0
                                        ; implicit-def: $vgpr8_vgpr9
	s_and_saveexec_b64 s[8:9], vcc
	s_cbranch_execz .LBB117_258
; %bb.246:                              ;   in Loop: Header=BB117_25 Depth=1
	s_mov_b64 s[42:43], 0
	v_mov_b32_e32 v2, v31
	v_pk_mov_b32 v[12:13], v[0:1], v[0:1] op_sel:[0,1]
                                        ; implicit-def: $sgpr20_sgpr21
	s_branch .LBB117_248
.LBB117_247:                            ;   in Loop: Header=BB117_248 Depth=2
	s_or_b64 exec, exec, s[6:7]
	s_waitcnt lgkmcnt(0)
	s_barrier
	ds_read_b128 v[6:9], v3 offset:3072
	v_mov_b32_e32 v4, s26
	v_add_co_u32_e64 v12, s[6:7], s85, v12
	v_addc_co_u32_e64 v13, s[6:7], v13, v4, s[6:7]
	s_waitcnt lgkmcnt(0)
	v_cmp_neq_f64_e32 vcc, 0, v[6:7]
	v_cmp_ge_u64_e64 s[6:7], v[12:13], v[10:11]
	s_or_b64 s[6:7], s[6:7], vcc
	s_and_b64 s[6:7], exec, s[6:7]
	s_or_b64 s[42:43], s[6:7], s[42:43]
	s_andn2_b64 s[6:7], s[20:21], exec
	s_and_b64 s[20:21], vcc, exec
	v_add_u32_e32 v2, s1, v2
	s_or_b64 s[20:21], s[6:7], s[20:21]
	s_barrier
	s_andn2_b64 exec, exec, s[42:43]
	s_cbranch_execz .LBB117_257
.LBB117_248:                            ;   Parent Loop BB117_25 Depth=1
                                        ; =>  This Inner Loop Header: Depth=2
	v_cmp_gt_u64_e32 vcc, s[2:3], v[12:13]
	v_pk_mov_b32 v[6:7], 0, 0
	s_and_saveexec_b64 s[6:7], vcc
	s_cbranch_execz .LBB117_250
; %bb.249:                              ;   in Loop: Header=BB117_248 Depth=2
	ds_read_b64 v[6:7], v2
.LBB117_250:                            ;   in Loop: Header=BB117_248 Depth=2
	s_or_b64 exec, exec, s[6:7]
	s_and_saveexec_b64 s[6:7], vcc
	s_cbranch_execz .LBB117_247
; %bb.251:                              ;   in Loop: Header=BB117_248 Depth=2
	s_waitcnt lgkmcnt(0)
	v_ashrrev_i32_e32 v4, 31, v7
	v_or_b32_e32 v8, 0x80000000, v4
	v_xor_b32_e32 v8, v8, v7
	v_xor_b32_e32 v4, v4, v6
	v_cmp_o_f64_e32 vcc, v[6:7], v[6:7]
	v_cndmask_b32_e32 v8, -1, v8, vcc
	v_cndmask_b32_e32 v4, -1, v4, vcc
	v_and_b32_e32 v9, s65, v8
	v_and_b32_e32 v8, s64, v4
	v_cmp_eq_u64_e32 vcc, s[72:73], v[8:9]
	s_and_b64 exec, exec, vcc
	s_cbranch_execz .LBB117_247
; %bb.252:                              ;   in Loop: Header=BB117_248 Depth=2
	v_mov_b32_e32 v4, v3
	ds_write_b128 v3, v[4:7] offset:3072
	s_branch .LBB117_247
.LBB117_253:                            ;   in Loop: Header=BB117_25 Depth=1
                                        ; implicit-def: $sgpr2_sgpr3
                                        ; implicit-def: $sgpr8_sgpr9
                                        ; implicit-def: $sgpr6_sgpr7
	s_branch .LBB117_272
.LBB117_254:                            ;   in Loop: Header=BB117_25 Depth=1
                                        ; implicit-def: $vgpr6_vgpr7
	s_branch .LBB117_197
.LBB117_255:                            ;   in Loop: Header=BB117_25 Depth=1
                                        ; implicit-def: $vgpr6_vgpr7
	s_branch .LBB117_214
.LBB117_256:                            ;   in Loop: Header=BB117_25 Depth=1
	s_mov_b64 s[2:3], -1
	s_mov_b64 s[20:21], 0
                                        ; implicit-def: $sgpr6_sgpr7
                                        ; implicit-def: $vgpr8_vgpr9
	s_mov_b64 s[8:9], s[2:3]
	s_cbranch_execnz .LBB117_259
	s_branch .LBB117_272
.LBB117_257:                            ;   in Loop: Header=BB117_25 Depth=1
	s_or_b64 exec, exec, s[42:43]
	s_and_b64 s[20:21], s[20:21], exec
.LBB117_258:                            ;   in Loop: Header=BB117_25 Depth=1
	s_or_b64 exec, exec, s[8:9]
	s_mov_b64 s[6:7], -1
	s_mov_b64 s[2:3], 0
	s_mov_b64 s[8:9], s[2:3]
	s_branch .LBB117_272
.LBB117_259:                            ;   in Loop: Header=BB117_25 Depth=1
	s_mov_b32 s86, s79
	s_cmp_lg_u64 s[86:87], 0
	s_cbranch_scc0 .LBB117_293
; %bb.260:                              ;   in Loop: Header=BB117_25 Depth=1
	v_cvt_f32_u32_e32 v2, s85
	s_sub_u32 s2, 0, s85
	s_subb_u32 s3, 0, 0
	v_mac_f32_e32 v2, 0, v38
	v_rcp_f32_e32 v2, v2
	v_mul_f32_e32 v2, 0x5f7ffffc, v2
	v_mul_f32_e32 v4, 0x2f800000, v2
	v_trunc_f32_e32 v4, v4
	v_mac_f32_e32 v2, 0xcf800000, v4
	v_cvt_u32_f32_e32 v4, v4
	v_cvt_u32_f32_e32 v2, v2
	v_readfirstlane_b32 s6, v4
	v_readfirstlane_b32 s7, v2
	s_mul_i32 s8, s2, s6
	s_mul_hi_u32 s20, s2, s7
	s_mul_i32 s9, s3, s7
	s_add_i32 s8, s20, s8
	s_mul_i32 s21, s2, s7
	s_add_i32 s8, s8, s9
	s_mul_hi_u32 s20, s7, s21
	s_mul_hi_u32 s9, s7, s8
	s_mul_i32 s7, s7, s8
	s_add_u32 s7, s20, s7
	s_addc_u32 s9, 0, s9
	s_mul_hi_u32 s42, s6, s21
	s_mul_i32 s21, s6, s21
	s_add_u32 s7, s7, s21
	s_mul_hi_u32 s20, s6, s8
	s_addc_u32 s7, s9, s42
	s_addc_u32 s9, s20, 0
	s_mul_i32 s8, s6, s8
	s_add_u32 s7, s7, s8
	s_addc_u32 s8, 0, s9
	v_add_co_u32_e32 v2, vcc, s7, v2
	s_cmp_lg_u64 vcc, 0
	s_addc_u32 s6, s6, s8
	v_readfirstlane_b32 s8, v2
	s_mul_i32 s7, s2, s6
	s_mul_hi_u32 s9, s2, s8
	s_add_i32 s7, s9, s7
	s_mul_i32 s3, s3, s8
	s_add_i32 s7, s7, s3
	s_mul_i32 s2, s2, s8
	s_mul_hi_u32 s9, s6, s2
	s_mul_i32 s20, s6, s2
	s_mul_i32 s42, s8, s7
	s_mul_hi_u32 s2, s8, s2
	s_mul_hi_u32 s21, s8, s7
	s_add_u32 s2, s2, s42
	s_addc_u32 s8, 0, s21
	s_add_u32 s2, s2, s20
	s_mul_hi_u32 s3, s6, s7
	s_addc_u32 s2, s8, s9
	s_addc_u32 s3, s3, 0
	s_mul_i32 s7, s6, s7
	s_add_u32 s2, s2, s7
	s_addc_u32 s3, 0, s3
	v_add_co_u32_e32 v2, vcc, s2, v2
	s_cmp_lg_u64 vcc, 0
	s_addc_u32 s2, s6, s3
	v_readfirstlane_b32 s7, v2
	s_mul_i32 s6, s27, s2
	s_mul_hi_u32 s8, s27, s7
	s_mul_hi_u32 s3, s27, s2
	s_add_u32 s6, s8, s6
	s_addc_u32 s3, 0, s3
	s_mul_hi_u32 s9, s87, s7
	s_mul_i32 s7, s87, s7
	s_add_u32 s6, s6, s7
	s_mul_hi_u32 s8, s87, s2
	s_addc_u32 s3, s3, s9
	s_addc_u32 s6, s8, 0
	s_mul_i32 s2, s87, s2
	s_add_u32 s2, s3, s2
	s_addc_u32 s3, 0, s6
	s_mul_hi_u32 s6, s85, s2
	s_mul_i32 s2, s85, s2
	s_mul_i32 s3, s85, s3
	v_mov_b32_e32 v2, s2
	s_add_i32 s6, s6, s3
	v_sub_co_u32_e32 v2, vcc, s27, v2
	s_cmp_lg_u64 vcc, 0
	s_subb_u32 s2, s87, s6
	v_subrev_co_u32_e32 v4, vcc, s85, v2
	s_cmp_lg_u64 vcc, 0
	s_subb_u32 s3, s2, 0
	v_subrev_co_u32_e32 v6, vcc, s85, v4
	s_cmp_lg_u64 vcc, 0
	s_subb_u32 s6, s3, 0
	v_cmp_le_u32_e32 vcc, s85, v4
	s_cmp_eq_u32 s3, 0
	v_cndmask_b32_e64 v7, 0, -1, vcc
	s_cselect_b64 vcc, -1, 0
	v_cndmask_b32_e32 v7, -1, v7, vcc
	v_mov_b32_e32 v8, s3
	v_mov_b32_e32 v9, s6
	v_cmp_ne_u32_e32 vcc, 0, v7
	v_cndmask_b32_e32 v7, v8, v9, vcc
	v_cndmask_b32_e32 v4, v4, v6, vcc
	v_cmp_le_u32_e32 vcc, s85, v2
	s_cmp_eq_u32 s2, 0
	v_cndmask_b32_e64 v6, 0, -1, vcc
	s_cselect_b64 vcc, -1, 0
	v_cndmask_b32_e32 v6, -1, v6, vcc
	v_mov_b32_e32 v8, s2
	v_cmp_ne_u32_e32 vcc, 0, v6
	v_cndmask_b32_e32 v7, v8, v7, vcc
	v_cndmask_b32_e32 v6, v2, v4, vcc
	s_cbranch_execnz .LBB117_262
.LBB117_261:                            ;   in Loop: Header=BB117_25 Depth=1
	v_cvt_f32_u32_e32 v2, s85
	s_sub_i32 s2, 0, s85
	v_rcp_iflag_f32_e32 v2, v2
	v_mul_f32_e32 v2, 0x4f7ffffe, v2
	v_cvt_u32_f32_e32 v2, v2
	v_mul_lo_u32 v4, s2, v2
	v_mul_hi_u32 v4, v2, v4
	v_add_u32_e32 v2, v2, v4
	v_mul_hi_u32 v2, s27, v2
	v_mul_lo_u32 v2, v2, s85
	v_sub_u32_e32 v2, s27, v2
	v_subrev_u32_e32 v4, s85, v2
	v_cmp_le_u32_e32 vcc, s85, v2
	v_cndmask_b32_e32 v2, v2, v4, vcc
	v_subrev_u32_e32 v4, s85, v2
	v_cmp_le_u32_e32 vcc, s85, v2
	v_cndmask_b32_e32 v2, v2, v4, vcc
	v_pk_mov_b32 v[6:7], v[2:3], v[2:3] op_sel:[0,1]
.LBB117_262:                            ;   in Loop: Header=BB117_25 Depth=1
	v_mov_b32_e32 v2, s87
	v_sub_co_u32_e32 v10, vcc, s27, v6
	v_subb_co_u32_e32 v11, vcc, v2, v7, vcc
	v_cmp_gt_u64_e32 vcc, v[10:11], v[0:1]
	s_mov_b64 s[20:21], 0
                                        ; implicit-def: $vgpr8_vgpr9
	s_and_saveexec_b64 s[2:3], vcc
	s_cbranch_execz .LBB117_271
; %bb.263:                              ;   in Loop: Header=BB117_25 Depth=1
	v_pk_mov_b32 v[12:13], v[0:1], v[0:1] op_sel:[0,1]
                                        ; implicit-def: $sgpr8_sgpr9
	s_branch .LBB117_265
.LBB117_264:                            ;   in Loop: Header=BB117_265 Depth=2
	s_or_b64 exec, exec, s[6:7]
	s_waitcnt lgkmcnt(0)
	s_barrier
	s_waitcnt vmcnt(0)
	ds_read_b128 v[6:9], v3 offset:3072
	v_mov_b32_e32 v2, s26
	v_add_co_u32_e64 v12, s[6:7], s85, v12
	v_addc_co_u32_e64 v13, s[6:7], v13, v2, s[6:7]
	s_waitcnt lgkmcnt(0)
	v_cmp_neq_f64_e32 vcc, 0, v[6:7]
	v_cmp_ge_u64_e64 s[6:7], v[12:13], v[10:11]
	s_or_b64 s[6:7], s[6:7], vcc
	s_and_b64 s[6:7], exec, s[6:7]
	s_or_b64 s[20:21], s[6:7], s[20:21]
	s_andn2_b64 s[6:7], s[8:9], exec
	s_and_b64 s[8:9], vcc, exec
	s_or_b64 s[8:9], s[6:7], s[8:9]
	s_barrier
	s_andn2_b64 exec, exec, s[20:21]
	s_cbranch_execz .LBB117_270
.LBB117_265:                            ;   Parent Loop BB117_25 Depth=1
                                        ; =>  This Inner Loop Header: Depth=2
	v_cmp_gt_u64_e32 vcc, s[52:53], v[12:13]
	v_pk_mov_b32 v[6:7], 0, 0
	s_and_saveexec_b64 s[42:43], vcc
	s_cbranch_execz .LBB117_267
; %bb.266:                              ;   in Loop: Header=BB117_265 Depth=2
	v_mul_lo_u32 v2, v13, s68
	v_mul_lo_u32 v4, v12, s69
	v_mad_u64_u32 v[6:7], s[6:7], v12, s68, 0
	v_add3_u32 v7, v7, v4, v2
	v_lshlrev_b64 v[6:7], 3, v[6:7]
	v_mov_b32_e32 v2, s84
	v_add_co_u32_e64 v6, s[6:7], s33, v6
	v_addc_co_u32_e64 v7, s[6:7], v2, v7, s[6:7]
	global_load_dwordx2 v[6:7], v[6:7], off
.LBB117_267:                            ;   in Loop: Header=BB117_265 Depth=2
	s_or_b64 exec, exec, s[42:43]
	s_and_saveexec_b64 s[6:7], vcc
	s_cbranch_execz .LBB117_264
; %bb.268:                              ;   in Loop: Header=BB117_265 Depth=2
	s_waitcnt vmcnt(0)
	v_ashrrev_i32_e32 v2, 31, v7
	v_or_b32_e32 v4, 0x80000000, v2
	v_xor_b32_e32 v4, v4, v7
	v_xor_b32_e32 v2, v2, v6
	v_cmp_o_f64_e32 vcc, v[6:7], v[6:7]
	v_cndmask_b32_e32 v4, -1, v4, vcc
	v_cndmask_b32_e32 v2, -1, v2, vcc
	v_and_b32_e32 v9, s65, v4
	v_and_b32_e32 v8, s64, v2
	v_cmp_eq_u64_e32 vcc, s[72:73], v[8:9]
	s_and_b64 exec, exec, vcc
	s_cbranch_execz .LBB117_264
; %bb.269:                              ;   in Loop: Header=BB117_265 Depth=2
	v_mov_b32_e32 v4, v3
	ds_write_b128 v3, v[4:7] offset:3072
	s_branch .LBB117_264
.LBB117_270:                            ;   in Loop: Header=BB117_25 Depth=1
	s_or_b64 exec, exec, s[20:21]
	s_and_b64 s[20:21], s[8:9], exec
.LBB117_271:                            ;   in Loop: Header=BB117_25 Depth=1
	s_or_b64 exec, exec, s[2:3]
	s_mov_b64 s[8:9], -1
	s_mov_b64 s[2:3], 0
	s_mov_b64 s[6:7], 0
.LBB117_272:                            ;   in Loop: Header=BB117_25 Depth=1
	s_mov_b64 s[44:45], 0
                                        ; implicit-def: $sgpr48
                                        ; implicit-def: $sgpr46_sgpr47
	s_and_saveexec_b64 s[42:43], s[20:21]
	s_cbranch_execz .LBB117_285
; %bb.273:                              ;   in Loop: Header=BB117_25 Depth=1
	s_xor_b64 s[18:19], s[18:19], -1
	s_mov_b64 s[46:47], 1
	s_andn2_b64 vcc, exec, s[18:19]
	s_mov_b32 s48, 1
	s_cbranch_vccnz .LBB117_284
; %bb.274:                              ;   in Loop: Header=BB117_25 Depth=1
	s_waitcnt vmcnt(0)
	v_pk_mov_b32 v[6:7], s[10:11], s[10:11] op_sel:[0,1]
	v_cmp_gt_u64_e32 vcc, s[82:83], v[6:7]
	s_cbranch_vccnz .LBB117_280
; %bb.275:                              ;   in Loop: Header=BB117_25 Depth=1
	ds_read_b64 v[6:7], v3 offset:5120
	s_waitcnt lgkmcnt(0)
	v_cmp_ne_u64_e32 vcc, 0, v[6:7]
	s_cbranch_vccnz .LBB117_279
; %bb.276:                              ;   in Loop: Header=BB117_25 Depth=1
	s_mov_b64 s[18:19], exec
	v_readlane_b32 s20, v50, 16
	v_readlane_b32 s21, v50, 17
	s_and_b64 s[20:21], s[18:19], s[20:21]
	s_mov_b64 exec, s[20:21]
	s_cbranch_execz .LBB117_278
; %bb.277:                              ;   in Loop: Header=BB117_25 Depth=1
	v_pk_mov_b32 v[6:7], s[10:11], s[10:11] op_sel:[0,1]
	ds_write_b64 v3, v[6:7] offset:5128
.LBB117_278:                            ;   in Loop: Header=BB117_25 Depth=1
	s_or_b64 exec, exec, s[18:19]
	s_waitcnt lgkmcnt(0)
	s_barrier
.LBB117_279:                            ;   in Loop: Header=BB117_25 Depth=1
	s_or_b64 s[18:19], s[72:73], s[12:13]
	s_or_b64 s[12:13], s[64:65], s[12:13]
	s_mov_b64 s[20:21], 0
	s_mov_b32 s48, 8
	s_branch .LBB117_281
.LBB117_280:                            ;   in Loop: Header=BB117_25 Depth=1
	s_mov_b64 s[20:21], -1
                                        ; implicit-def: $sgpr48
                                        ; implicit-def: $sgpr18_sgpr19
                                        ; implicit-def: $sgpr12_sgpr13
.LBB117_281:                            ;   in Loop: Header=BB117_25 Depth=1
	s_andn2_b64 vcc, exec, s[20:21]
	s_cbranch_vccnz .LBB117_283
; %bb.282:                              ;   in Loop: Header=BB117_25 Depth=1
	s_sub_u32 s82, s82, s10
	s_subb_u32 s83, s83, s11
	s_mov_b32 s48, 8
	s_mov_b64 s[18:19], s[72:73]
	s_mov_b64 s[12:13], s[64:65]
.LBB117_283:                            ;   in Loop: Header=BB117_25 Depth=1
	s_mov_b64 s[46:47], s[82:83]
	s_mov_b64 s[72:73], s[18:19]
	;; [unrolled: 1-line block ×3, first 2 shown]
.LBB117_284:                            ;   in Loop: Header=BB117_25 Depth=1
	s_mov_b64 s[44:45], exec
.LBB117_285:                            ;   in Loop: Header=BB117_25 Depth=1
	s_or_b64 exec, exec, s[42:43]
	s_mov_b64 s[82:83], s[46:47]
.LBB117_286:                            ;   in Loop: Header=BB117_25 Depth=1
	s_andn2_b64 s[10:11], s[34:35], exec
	s_and_b64 s[2:3], s[2:3], exec
	s_or_b64 s[34:35], s[10:11], s[2:3]
	s_andn2_b64 s[2:3], s[38:39], exec
	s_and_b64 s[8:9], s[8:9], exec
	s_or_b64 s[38:39], s[2:3], s[8:9]
	;; [unrolled: 3-line block ×3, first 2 shown]
	s_and_b64 s[2:3], s[44:45], exec
.LBB117_287:                            ;   in Loop: Header=BB117_25 Depth=1
	s_or_b64 exec, exec, s[40:41]
.LBB117_288:                            ;   in Loop: Header=BB117_25 Depth=1
	s_andn2_b64 s[6:7], s[24:25], exec
	s_and_b64 s[8:9], s[34:35], exec
	s_or_b64 s[24:25], s[6:7], s[8:9]
	s_andn2_b64 s[6:7], s[28:29], exec
	s_and_b64 s[8:9], s[38:39], exec
	s_or_b64 s[28:29], s[6:7], s[8:9]
	;; [unrolled: 3-line block ×3, first 2 shown]
	s_and_b64 s[2:3], s[2:3], exec
.LBB117_289:                            ;   in Loop: Header=BB117_25 Depth=1
	s_or_b64 exec, exec, s[30:31]
	s_and_saveexec_b64 s[6:7], s[2:3]
	s_xor_b64 s[2:3], exec, s[6:7]
	s_cbranch_execz .LBB117_23
.LBB117_290:                            ;   in Loop: Header=BB117_25 Depth=1
	s_and_b32 s6, s48, -9
	s_cmp_eq_u32 s6, 0
	s_cbranch_scc1 .LBB117_21
; %bb.291:                              ;   in Loop: Header=BB117_25 Depth=1
	s_mov_b64 s[6:7], -1
                                        ; implicit-def: $sgpr64_sgpr65
                                        ; implicit-def: $sgpr82_sgpr83
                                        ; implicit-def: $sgpr80
                                        ; implicit-def: $sgpr81
	s_mov_b64 s[8:9], -1
	s_branch .LBB117_22
.LBB117_292:                            ;   in Loop: Header=BB117_25 Depth=1
                                        ; implicit-def: $vgpr6_vgpr7
	s_branch .LBB117_244
.LBB117_293:                            ;   in Loop: Header=BB117_25 Depth=1
                                        ; implicit-def: $vgpr6_vgpr7
	s_branch .LBB117_261
.LBB117_294:
	s_or_b64 exec, exec, s[94:95]
	s_xor_b64 s[8:9], s[76:77], -1
	s_xor_b64 s[0:1], s[56:57], -1
	;; [unrolled: 1-line block ×3, first 2 shown]
	s_mov_b64 s[4:5], 0
	s_and_saveexec_b64 s[2:3], s[0:1]
	s_xor_b64 s[2:3], exec, s[2:3]
	s_cbranch_execnz .LBB117_299
; %bb.295:
	s_andn2_saveexec_b64 s[0:1], s[2:3]
	s_cbranch_execnz .LBB117_312
.LBB117_296:
	s_or_b64 exec, exec, s[0:1]
	s_and_saveexec_b64 s[0:1], s[4:5]
.LBB117_297:
	; divergent unreachable
.LBB117_298:
	s_endpgm
.LBB117_299:
	s_and_saveexec_b64 s[0:1], s[8:9]
	s_xor_b64 s[4:5], exec, s[0:1]
	s_cbranch_execz .LBB117_310
; %bb.300:
	s_and_saveexec_b64 s[0:1], s[6:7]
	s_xor_b64 s[6:7], exec, s[0:1]
; %bb.301:
	v_lshrrev_b32_e32 v2, 31, v7
	v_add_co_u32_e32 v2, vcc, -1, v2
	v_addc_co_u32_e64 v3, s[0:1], 0, -1, vcc
	v_or_b32_e32 v3, 0x80000000, v3
	v_xor_b32_e32 v9, v3, v7
	v_xor_b32_e32 v8, v2, v6
; %bb.302:
	s_or_b64 exec, exec, s[6:7]
	v_readlane_b32 s6, v50, 6
	v_readlane_b32 s0, v50, 4
	;; [unrolled: 1-line block ×4, first 2 shown]
	s_mov_b32 s8, s0
	s_mul_i32 s0, s0, s7
	s_mul_hi_u32 s1, s8, s6
	s_add_i32 s1, s1, s0
	s_mul_i32 s0, s8, s6
	v_readlane_b32 s6, v50, 12
	v_readlane_b32 s12, v50, 22
	;; [unrolled: 1-line block ×3, first 2 shown]
	s_sub_u32 s0, s6, s0
	v_readlane_b32 s14, v50, 24
	v_readlane_b32 s15, v50, 25
	s_subb_u32 s1, 0, s1
	s_mul_i32 s6, s0, s15
	s_mul_hi_u32 s7, s0, s14
	v_readlane_b32 s13, v50, 23
	s_add_i32 s6, s7, s6
	s_mul_i32 s1, s1, s14
	s_add_i32 s1, s6, s1
	s_mul_i32 s6, s8, s13
	s_mul_hi_u32 s7, s8, s12
	s_add_i32 s7, s7, s6
	s_mul_i32 s6, s8, s12
	s_lshl_b64 s[6:7], s[6:7], 3
	v_readlane_b32 s8, v50, 10
	s_mul_i32 s0, s0, s14
	v_readlane_b32 s9, v50, 11
	s_add_u32 s6, s8, s6
	s_addc_u32 s7, s9, s7
	s_lshl_b64 s[0:1], s[0:1], 3
	s_add_u32 s0, s6, s0
	s_addc_u32 s1, s7, s1
	v_mov_b32_e32 v2, 0
	global_store_dwordx2 v2, v[8:9], s[0:1]
	s_mov_b64 s[6:7], exec
	v_readlane_b32 s0, v50, 14
	v_readlane_b32 s1, v50, 15
	s_and_b64 s[0:1], s[6:7], s[0:1]
	s_mov_b64 exec, s[0:1]
	s_cbranch_execz .LBB117_309
; %bb.303:
	v_cmp_u_f64_e32 vcc, v[8:9], v[8:9]
	s_mov_b64 s[8:9], 0
	v_mov_b32_e32 v4, s84
	s_xor_b64 s[12:13], vcc, -1
                                        ; implicit-def: $sgpr10_sgpr11
                                        ; implicit-def: $sgpr16_sgpr17
                                        ; implicit-def: $sgpr14_sgpr15
	s_branch .LBB117_305
.LBB117_304:                            ;   in Loop: Header=BB117_305 Depth=1
	s_or_b64 exec, exec, s[0:1]
	s_and_b64 s[0:1], exec, s[16:17]
	s_or_b64 s[8:9], s[0:1], s[8:9]
	s_andn2_b64 s[0:1], s[10:11], exec
	s_and_b64 s[10:11], s[14:15], exec
	s_or_b64 s[10:11], s[0:1], s[10:11]
	s_andn2_b64 exec, exec, s[8:9]
	s_cbranch_execz .LBB117_307
.LBB117_305:                            ; =>This Inner Loop Header: Depth=1
	v_pk_mov_b32 v[2:3], v[0:1], v[0:1] op_sel:[0,1]
	v_mul_lo_u32 v5, v3, s68
	v_mul_lo_u32 v6, v2, s69
	v_mad_u64_u32 v[0:1], s[0:1], v2, s68, 0
	v_add3_u32 v1, v1, v6, v5
	v_lshlrev_b64 v[0:1], 3, v[0:1]
	v_add_co_u32_e32 v0, vcc, s33, v0
	v_addc_co_u32_e32 v1, vcc, v4, v1, vcc
	global_load_dwordx2 v[0:1], v[0:1], off
	s_or_b64 s[14:15], s[14:15], exec
	s_or_b64 s[16:17], s[16:17], exec
	s_waitcnt vmcnt(0)
	v_cmp_o_f64_e64 s[0:1], v[0:1], v[0:1]
	v_cmp_neq_f64_e32 vcc, v[0:1], v[8:9]
	s_or_b64 s[0:1], s[0:1], s[12:13]
	s_and_b64 s[18:19], vcc, s[0:1]
                                        ; implicit-def: $vgpr0_vgpr1
	s_and_saveexec_b64 s[0:1], s[18:19]
	s_cbranch_execz .LBB117_304
; %bb.306:                              ;   in Loop: Header=BB117_305 Depth=1
	v_mov_b32_e32 v1, s26
	v_add_co_u32_e32 v0, vcc, s85, v2
	v_addc_co_u32_e32 v1, vcc, v3, v1, vcc
	v_cmp_le_u64_e32 vcc, s[52:53], v[0:1]
	s_andn2_b64 s[16:17], s[16:17], exec
	s_and_b64 s[18:19], vcc, exec
	s_andn2_b64 s[14:15], s[14:15], exec
	s_or_b64 s[16:17], s[16:17], s[18:19]
	s_branch .LBB117_304
.LBB117_307:
	s_or_b64 exec, exec, s[8:9]
	s_and_saveexec_b64 s[0:1], s[10:11]
	s_xor_b64 s[0:1], exec, s[0:1]
	s_cbranch_execz .LBB117_309
; %bb.308:
	v_readlane_b32 s8, v50, 0
	v_readlane_b32 s0, v50, 2
	;; [unrolled: 1-line block ×4, first 2 shown]
	s_mov_b32 s10, s0
	s_mul_i32 s0, s0, s9
	s_mul_hi_u32 s1, s10, s8
	s_add_i32 s1, s1, s0
	s_mul_i32 s0, s10, s8
	v_readlane_b32 s8, v50, 12
	v_readlane_b32 s12, v50, 18
	;; [unrolled: 1-line block ×3, first 2 shown]
	s_sub_u32 s0, s8, s0
	v_readlane_b32 s14, v50, 20
	v_readlane_b32 s15, v50, 21
	s_subb_u32 s1, 0, s1
	s_mul_i32 s8, s0, s15
	s_mul_hi_u32 s9, s0, s14
	v_readlane_b32 s13, v50, 19
	s_add_i32 s8, s9, s8
	s_mul_i32 s1, s1, s14
	s_add_i32 s1, s8, s1
	s_mul_i32 s8, s10, s13
	s_mul_hi_u32 s9, s10, s12
	s_add_i32 s9, s9, s8
	s_mul_i32 s8, s10, s12
	s_lshl_b64 s[8:9], s[8:9], 3
	v_readlane_b32 s10, v50, 8
	s_mul_i32 s0, s0, s14
	v_readlane_b32 s11, v50, 9
	s_add_u32 s8, s10, s8
	s_addc_u32 s9, s11, s9
	s_lshl_b64 s[0:1], s[0:1], 3
	s_add_u32 s0, s8, s0
	s_addc_u32 s1, s9, s1
	v_mov_b32_e32 v0, 0
	global_store_dwordx2 v0, v[2:3], s[0:1]
.LBB117_309:
	s_or_b64 exec, exec, s[6:7]
.LBB117_310:
	s_or_saveexec_b64 s[0:1], s[4:5]
	s_mov_b64 s[4:5], 0
	s_xor_b64 exec, exec, s[0:1]
	s_cbranch_execnz .LBB117_313
.LBB117_311:
	s_or_b64 exec, exec, s[0:1]
	s_and_b64 s[4:5], s[4:5], exec
	s_andn2_saveexec_b64 s[0:1], s[2:3]
	s_cbranch_execz .LBB117_296
.LBB117_312:
	s_or_b64 s[4:5], s[4:5], exec
	s_trap 2
	s_or_b64 exec, exec, s[0:1]
	s_and_saveexec_b64 s[0:1], s[4:5]
	s_cbranch_execnz .LBB117_297
	s_branch .LBB117_298
.LBB117_313:
	s_mov_b64 s[4:5], exec
	s_trap 2
	s_branch .LBB117_311
	.section	.rodata,"a",@progbits
	.p2align	6, 0x0
	.amdhsa_kernel _ZN2at6native12_GLOBAL__N_112gatherMedianIdmLi2EEEvNS_4cuda6detail10TensorInfoIT_T0_EENS5_IlS7_EENS5_IKS6_S7_EES7_S7_S7_b
		.amdhsa_group_segment_fixed_size 5152
		.amdhsa_private_segment_fixed_size 0
		.amdhsa_kernarg_size 1536
		.amdhsa_user_sgpr_count 6
		.amdhsa_user_sgpr_private_segment_buffer 1
		.amdhsa_user_sgpr_dispatch_ptr 0
		.amdhsa_user_sgpr_queue_ptr 0
		.amdhsa_user_sgpr_kernarg_segment_ptr 1
		.amdhsa_user_sgpr_dispatch_id 0
		.amdhsa_user_sgpr_flat_scratch_init 0
		.amdhsa_user_sgpr_kernarg_preload_length 0
		.amdhsa_user_sgpr_kernarg_preload_offset 0
		.amdhsa_user_sgpr_private_segment_size 0
		.amdhsa_uses_dynamic_stack 0
		.amdhsa_system_sgpr_private_segment_wavefront_offset 0
		.amdhsa_system_sgpr_workgroup_id_x 1
		.amdhsa_system_sgpr_workgroup_id_y 1
		.amdhsa_system_sgpr_workgroup_id_z 1
		.amdhsa_system_sgpr_workgroup_info 0
		.amdhsa_system_vgpr_workitem_id 0
		.amdhsa_next_free_vgpr 51
		.amdhsa_next_free_sgpr 96
		.amdhsa_accum_offset 52
		.amdhsa_reserve_vcc 1
		.amdhsa_reserve_flat_scratch 0
		.amdhsa_float_round_mode_32 0
		.amdhsa_float_round_mode_16_64 0
		.amdhsa_float_denorm_mode_32 3
		.amdhsa_float_denorm_mode_16_64 3
		.amdhsa_dx10_clamp 1
		.amdhsa_ieee_mode 1
		.amdhsa_fp16_overflow 0
		.amdhsa_tg_split 0
		.amdhsa_exception_fp_ieee_invalid_op 0
		.amdhsa_exception_fp_denorm_src 0
		.amdhsa_exception_fp_ieee_div_zero 0
		.amdhsa_exception_fp_ieee_overflow 0
		.amdhsa_exception_fp_ieee_underflow 0
		.amdhsa_exception_fp_ieee_inexact 0
		.amdhsa_exception_int_div_zero 0
	.end_amdhsa_kernel
	.section	.text._ZN2at6native12_GLOBAL__N_112gatherMedianIdmLi2EEEvNS_4cuda6detail10TensorInfoIT_T0_EENS5_IlS7_EENS5_IKS6_S7_EES7_S7_S7_b,"axG",@progbits,_ZN2at6native12_GLOBAL__N_112gatherMedianIdmLi2EEEvNS_4cuda6detail10TensorInfoIT_T0_EENS5_IlS7_EENS5_IKS6_S7_EES7_S7_S7_b,comdat
.Lfunc_end117:
	.size	_ZN2at6native12_GLOBAL__N_112gatherMedianIdmLi2EEEvNS_4cuda6detail10TensorInfoIT_T0_EENS5_IlS7_EENS5_IKS6_S7_EES7_S7_S7_b, .Lfunc_end117-_ZN2at6native12_GLOBAL__N_112gatherMedianIdmLi2EEEvNS_4cuda6detail10TensorInfoIT_T0_EENS5_IlS7_EENS5_IKS6_S7_EES7_S7_S7_b
                                        ; -- End function
	.section	.AMDGPU.csdata,"",@progbits
; Kernel info:
; codeLenInByte = 17200
; NumSgprs: 100
; NumVgprs: 51
; NumAgprs: 0
; TotalNumVgprs: 51
; ScratchSize: 0
; MemoryBound: 0
; FloatMode: 240
; IeeeMode: 1
; LDSByteSize: 5152 bytes/workgroup (compile time only)
; SGPRBlocks: 12
; VGPRBlocks: 6
; NumSGPRsForWavesPerEU: 100
; NumVGPRsForWavesPerEU: 51
; AccumOffset: 52
; Occupancy: 8
; WaveLimiterHint : 1
; COMPUTE_PGM_RSRC2:SCRATCH_EN: 0
; COMPUTE_PGM_RSRC2:USER_SGPR: 6
; COMPUTE_PGM_RSRC2:TRAP_HANDLER: 0
; COMPUTE_PGM_RSRC2:TGID_X_EN: 1
; COMPUTE_PGM_RSRC2:TGID_Y_EN: 1
; COMPUTE_PGM_RSRC2:TGID_Z_EN: 1
; COMPUTE_PGM_RSRC2:TIDIG_COMP_CNT: 0
; COMPUTE_PGM_RSRC3_GFX90A:ACCUM_OFFSET: 12
; COMPUTE_PGM_RSRC3_GFX90A:TG_SPLIT: 0
	.section	.text._ZN2at6native12_GLOBAL__N_112gatherMedianIdmLi3EEEvNS_4cuda6detail10TensorInfoIT_T0_EENS5_IlS7_EENS5_IKS6_S7_EES7_S7_S7_b,"axG",@progbits,_ZN2at6native12_GLOBAL__N_112gatherMedianIdmLi3EEEvNS_4cuda6detail10TensorInfoIT_T0_EENS5_IlS7_EENS5_IKS6_S7_EES7_S7_S7_b,comdat
	.globl	_ZN2at6native12_GLOBAL__N_112gatherMedianIdmLi3EEEvNS_4cuda6detail10TensorInfoIT_T0_EENS5_IlS7_EENS5_IKS6_S7_EES7_S7_S7_b ; -- Begin function _ZN2at6native12_GLOBAL__N_112gatherMedianIdmLi3EEEvNS_4cuda6detail10TensorInfoIT_T0_EENS5_IlS7_EENS5_IKS6_S7_EES7_S7_S7_b
	.p2align	8
	.type	_ZN2at6native12_GLOBAL__N_112gatherMedianIdmLi3EEEvNS_4cuda6detail10TensorInfoIT_T0_EENS5_IlS7_EENS5_IKS6_S7_EES7_S7_S7_b,@function
_ZN2at6native12_GLOBAL__N_112gatherMedianIdmLi3EEEvNS_4cuda6detail10TensorInfoIT_T0_EENS5_IlS7_EENS5_IKS6_S7_EES7_S7_S7_b: ; @_ZN2at6native12_GLOBAL__N_112gatherMedianIdmLi3EEEvNS_4cuda6detail10TensorInfoIT_T0_EENS5_IlS7_EENS5_IKS6_S7_EES7_S7_S7_b
; %bb.0:
	s_load_dwordx4 s[52:55], s[4:5], 0x4e0
	s_load_dwordx2 s[12:13], s[4:5], 0x500
	s_add_u32 s14, s4, 0x500
	s_addc_u32 s15, s5, 0
	s_mov_b32 s25, 0
	s_waitcnt lgkmcnt(0)
	v_mov_b32_e32 v2, s54
	s_mul_i32 s0, s13, s8
	s_add_i32 s0, s0, s7
	s_mul_i32 s0, s0, s12
	v_mov_b32_e32 v3, s55
	s_add_i32 s24, s0, s6
	v_cmp_ge_u64_e32 vcc, s[24:25], v[2:3]
	s_cbranch_vccnz .LBB118_304
; %bb.1:
	s_load_dwordx4 s[8:11], s[4:5], 0x10
	s_mov_b64 s[18:19], 0
	s_mov_b64 s[16:17], 0
	s_waitcnt lgkmcnt(0)
	v_pk_mov_b32 v[2:3], s[10:11], s[10:11] op_sel:[0,1]
	v_cmp_lt_u64_e32 vcc, s[24:25], v[2:3]
	s_cbranch_vccnz .LBB118_3
; %bb.2:
	v_cvt_f32_u32_e32 v1, s10
	s_sub_i32 s0, 0, s10
	s_mov_b32 s17, 0
	v_rcp_iflag_f32_e32 v1, v1
	v_mul_f32_e32 v1, 0x4f7ffffe, v1
	v_cvt_u32_f32_e32 v1, v1
	v_readfirstlane_b32 s1, v1
	s_mul_i32 s0, s0, s1
	s_mul_hi_u32 s0, s1, s0
	s_add_i32 s1, s1, s0
	s_mul_hi_u32 s0, s24, s1
	s_mul_i32 s2, s0, s10
	s_sub_i32 s2, s24, s2
	s_add_i32 s1, s0, 1
	s_sub_i32 s3, s2, s10
	s_cmp_ge_u32 s2, s10
	s_cselect_b32 s0, s1, s0
	s_cselect_b32 s2, s3, s2
	s_add_i32 s1, s0, 1
	s_cmp_ge_u32 s2, s10
	s_cselect_b32 s16, s1, s0
.LBB118_3:
	s_load_dwordx4 s[20:23], s[4:5], 0x1b0
                                        ; implicit-def: $vgpr50 : SGPR spill to VGPR lane
	v_pk_mov_b32 v[2:3], s[8:9], s[8:9] op_sel:[0,1]
	v_cmp_lt_u64_e32 vcc, s[16:17], v[2:3]
	s_and_b64 vcc, exec, vcc
	s_waitcnt lgkmcnt(0)
	v_writelane_b32 v50, s20, 0
	v_writelane_b32 v50, s21, 1
	;; [unrolled: 1-line block ×4, first 2 shown]
	s_cbranch_vccnz .LBB118_5
; %bb.4:
	v_cvt_f32_u32_e32 v1, s8
	s_sub_i32 s0, 0, s8
	s_load_dwordx4 s[20:23], s[4:5], 0x1b0
	v_rcp_iflag_f32_e32 v1, v1
	v_mul_f32_e32 v1, 0x4f7ffffe, v1
	v_cvt_u32_f32_e32 v1, v1
	v_readfirstlane_b32 s1, v1
	s_mul_i32 s0, s0, s1
	s_mul_hi_u32 s0, s1, s0
	s_add_i32 s1, s1, s0
	s_mul_hi_u32 s0, s16, s1
	s_mul_i32 s2, s0, s8
	s_sub_i32 s2, s16, s2
	s_add_i32 s1, s0, 1
	s_sub_i32 s3, s2, s8
	s_cmp_ge_u32 s2, s8
	s_cselect_b32 s0, s1, s0
	s_cselect_b32 s2, s3, s2
	s_add_i32 s1, s0, 1
	s_cmp_ge_u32 s2, s8
	s_cselect_b32 s18, s1, s0
.LBB118_5:
	v_writelane_b32 v50, s18, 4
	v_writelane_b32 v50, s19, 5
	;; [unrolled: 1-line block ×8, first 2 shown]
	s_waitcnt lgkmcnt(0)
	v_pk_mov_b32 v[2:3], s[22:23], s[22:23] op_sel:[0,1]
	s_mov_b64 s[0:1], 0
	v_cmp_lt_u64_e32 vcc, s[24:25], v[2:3]
	v_writelane_b32 v50, s0, 12
	v_writelane_b32 v50, s1, 13
	s_mov_b64 s[0:1], 0
	s_cbranch_vccnz .LBB118_7
; %bb.6:
	v_cvt_f32_u32_e32 v1, s22
	s_sub_i32 s0, 0, s22
	s_mov_b32 s9, 0
	v_rcp_iflag_f32_e32 v1, v1
	v_mul_f32_e32 v1, 0x4f7ffffe, v1
	v_cvt_u32_f32_e32 v1, v1
	v_readfirstlane_b32 s1, v1
	s_mul_i32 s0, s0, s1
	s_mul_hi_u32 s0, s1, s0
	s_add_i32 s1, s1, s0
	s_mul_hi_u32 s0, s24, s1
	s_mul_i32 s2, s0, s22
	s_sub_i32 s2, s24, s2
	s_add_i32 s1, s0, 1
	s_sub_i32 s3, s2, s22
	s_cmp_ge_u32 s2, s22
	s_cselect_b32 s0, s1, s0
	s_cselect_b32 s2, s3, s2
	s_add_i32 s1, s0, 1
	s_cmp_ge_u32 s2, s22
	s_cselect_b32 s8, s1, s0
	s_mov_b64 s[0:1], s[8:9]
.LBB118_7:
	s_load_dwordx2 s[76:77], s[4:5], 0x4f0
	s_load_dwordx2 s[16:17], s[4:5], 0x420
	s_mov_b64 s[18:19], s[0:1]
	s_load_dwordx4 s[0:3], s[4:5], 0x410
	s_load_dwordx4 s[8:11], s[4:5], 0x350
	v_pk_mov_b32 v[2:3], s[20:21], s[20:21] op_sel:[0,1]
	v_writelane_b32 v50, s18, 14
	v_cmp_lt_u64_e32 vcc, s[18:19], v[2:3]
	v_writelane_b32 v50, s19, 15
	s_cbranch_vccnz .LBB118_9
; %bb.8:
	s_load_dwordx4 s[20:23], s[4:5], 0x1b0
	s_waitcnt lgkmcnt(0)
	v_readlane_b32 s22, v50, 14
	v_readlane_b32 s23, v50, 15
	v_cvt_f32_u32_e32 v1, s20
	s_sub_i32 s7, 0, s20
	v_rcp_iflag_f32_e32 v1, v1
	v_mul_f32_e32 v1, 0x4f7ffffe, v1
	v_cvt_u32_f32_e32 v1, v1
	v_readfirstlane_b32 s13, v1
	s_mul_i32 s7, s7, s13
	s_mul_hi_u32 s7, s13, s7
	s_add_i32 s13, s13, s7
	s_mul_hi_u32 s7, s22, s13
	s_mul_i32 s18, s7, s20
	s_sub_i32 s18, s22, s18
	s_add_i32 s13, s7, 1
	s_sub_i32 s19, s18, s20
	s_cmp_ge_u32 s18, s20
	s_cselect_b32 s7, s13, s7
	s_cselect_b32 s18, s19, s18
	s_add_i32 s13, s7, 1
	s_cmp_ge_u32 s18, s20
	s_cselect_b32 s18, s13, s7
	v_writelane_b32 v50, s18, 12
	v_writelane_b32 v50, s19, 13
.LBB118_9:
	s_load_dwordx2 s[18:19], s[4:5], 0x340
	s_waitcnt lgkmcnt(0)
	v_pk_mov_b32 v[2:3], s[10:11], s[10:11] op_sel:[0,1]
	v_cmp_lt_u64_e32 vcc, s[24:25], v[2:3]
	s_mov_b64 s[20:21], 0
	s_mov_b64 s[22:23], 0
	s_cbranch_vccnz .LBB118_11
; %bb.10:
	v_cvt_f32_u32_e32 v1, s10
	s_sub_i32 s7, 0, s10
	s_mov_b32 s23, 0
	v_rcp_iflag_f32_e32 v1, v1
	v_mul_f32_e32 v1, 0x4f7ffffe, v1
	v_cvt_u32_f32_e32 v1, v1
	v_readfirstlane_b32 s13, v1
	s_mul_i32 s7, s7, s13
	s_mul_hi_u32 s7, s13, s7
	s_add_i32 s13, s13, s7
	s_mul_hi_u32 s7, s24, s13
	s_mul_i32 s21, s7, s10
	s_sub_i32 s21, s24, s21
	s_add_i32 s13, s7, 1
	s_sub_i32 s22, s21, s10
	s_cmp_ge_u32 s21, s10
	s_cselect_b32 s7, s13, s7
	s_cselect_b32 s21, s22, s21
	s_add_i32 s13, s7, 1
	s_cmp_ge_u32 s21, s10
	s_cselect_b32 s22, s13, s7
.LBB118_11:
	s_load_dwordx2 s[26:27], s[4:5], 0x280
	s_load_dwordx4 s[28:31], s[4:5], 0x270
	v_pk_mov_b32 v[2:3], s[8:9], s[8:9] op_sel:[0,1]
	v_cmp_lt_u64_e32 vcc, s[22:23], v[2:3]
	s_and_b64 vcc, exec, vcc
	s_waitcnt lgkmcnt(0)
	v_writelane_b32 v50, s26, 16
	v_writelane_b32 v50, s27, 17
	;; [unrolled: 1-line block ×4, first 2 shown]
	s_load_dwordx2 s[26:27], s[4:5], 0xe0
	v_writelane_b32 v50, s30, 20
	v_writelane_b32 v50, s31, 21
	s_load_dwordx4 s[28:31], s[4:5], 0xd0
	s_waitcnt lgkmcnt(0)
	v_writelane_b32 v50, s26, 22
	v_writelane_b32 v50, s27, 23
	;; [unrolled: 1-line block ×6, first 2 shown]
	s_cbranch_vccnz .LBB118_13
; %bb.12:
	v_cvt_f32_u32_e32 v1, s8
	s_sub_i32 s7, 0, s8
	v_rcp_iflag_f32_e32 v1, v1
	v_mul_f32_e32 v1, 0x4f7ffffe, v1
	v_cvt_u32_f32_e32 v1, v1
	v_readfirstlane_b32 s13, v1
	s_mul_i32 s7, s7, s13
	s_mul_hi_u32 s7, s13, s7
	s_add_i32 s13, s13, s7
	s_mul_hi_u32 s7, s22, s13
	s_mul_i32 s20, s7, s8
	s_sub_i32 s20, s22, s20
	s_add_i32 s13, s7, 1
	s_sub_i32 s21, s20, s8
	s_cmp_ge_u32 s20, s8
	s_cselect_b32 s7, s13, s7
	s_cselect_b32 s20, s21, s20
	s_add_i32 s13, s7, 1
	s_cmp_ge_u32 s20, s8
	s_cselect_b32 s20, s13, s7
.LBB118_13:
	s_load_dwordx2 s[26:27], s[4:5], 0x1a0
	s_mul_i32 s7, s22, s11
	s_mul_hi_u32 s11, s22, s10
	s_add_i32 s11, s11, s7
	s_mul_i32 s7, s22, s10
	s_waitcnt lgkmcnt(0)
	v_writelane_b32 v50, s26, 28
	v_writelane_b32 v50, s27, 29
	s_load_dwordx2 s[26:27], s[4:5], 0x0
	s_mov_b32 s10, s24
	s_sub_u32 s7, s24, s7
	s_mul_hi_u32 s13, s7, s16
	s_mul_i32 s1, s20, s1
	s_waitcnt lgkmcnt(0)
	v_writelane_b32 v50, s26, 30
	v_writelane_b32 v50, s27, 31
	;; [unrolled: 1-line block ×4, first 2 shown]
	s_subb_u32 s10, 0, s11
	s_mul_i32 s11, s7, s17
	s_add_i32 s11, s13, s11
	s_mul_i32 s10, s10, s16
	s_add_i32 s11, s11, s10
	s_mul_i32 s10, s7, s16
	s_mul_i32 s7, s20, s9
	s_mul_hi_u32 s9, s20, s8
	s_add_i32 s9, s9, s7
	s_mul_i32 s7, s20, s8
	s_sub_u32 s7, s22, s7
	s_subb_u32 s8, s23, s9
	s_mul_i32 s3, s7, s3
	s_mul_hi_u32 s9, s7, s2
	s_mul_i32 s8, s8, s2
	s_mul_i32 s2, s7, s2
	s_mul_hi_u32 s7, s20, s0
	s_add_i32 s3, s9, s3
	s_add_i32 s1, s7, s1
	s_mul_i32 s0, s20, s0
	s_add_i32 s3, s3, s8
	s_lshl_b64 s[0:1], s[0:1], 3
	s_add_u32 s7, s18, s0
	s_addc_u32 s8, s19, s1
	s_lshl_b64 s[0:1], s[2:3], 3
	s_add_u32 s2, s7, s0
	s_addc_u32 s3, s8, s1
	s_lshl_b64 s[0:1], s[10:11], 3
	s_add_u32 s33, s2, s0
	s_addc_u32 s84, s3, s1
	v_mov_b32_e32 v1, 0
	v_pk_mov_b32 v[2:3], 0, 0
	v_cmp_gt_u64_e64 s[0:1], s[52:53], v[0:1]
	s_mov_b64 s[2:3], exec
	v_writelane_b32 v50, s0, 34
	v_writelane_b32 v50, s1, 35
	s_and_b64 s[0:1], s[2:3], s[0:1]
	s_mov_b64 exec, s[0:1]
	s_cbranch_execz .LBB118_17
; %bb.14:
	s_load_dword s0, s[14:15], 0xc
	s_mov_b32 s1, 0
	s_mov_b64 s[8:9], 0
	v_pk_mov_b32 v[2:3], 0, 0
	v_mov_b32_e32 v6, s84
	s_waitcnt lgkmcnt(0)
	s_and_b32 s0, s0, 0xffff
	v_mov_b32_e32 v7, s1
	v_pk_mov_b32 v[4:5], v[0:1], v[0:1] op_sel:[0,1]
.LBB118_15:                             ; =>This Inner Loop Header: Depth=1
	v_mul_lo_u32 v10, v5, s76
	v_mul_lo_u32 v11, v4, s77
	v_mad_u64_u32 v[8:9], s[10:11], v4, s76, 0
	v_add3_u32 v9, v9, v11, v10
	v_lshlrev_b64 v[8:9], 3, v[8:9]
	v_add_co_u32_e32 v8, vcc, s33, v8
	v_addc_co_u32_e32 v9, vcc, v6, v9, vcc
	global_load_dwordx2 v[8:9], v[8:9], off
	v_add_co_u32_e32 v4, vcc, s0, v4
	v_addc_co_u32_e32 v5, vcc, v5, v7, vcc
	v_cmp_le_u64_e32 vcc, s[52:53], v[4:5]
	s_or_b64 s[8:9], vcc, s[8:9]
	s_waitcnt vmcnt(0)
	v_cmp_u_f64_e32 vcc, v[8:9], v[8:9]
	v_cndmask_b32_e64 v8, 0, 1, vcc
	v_add_co_u32_e32 v2, vcc, v2, v8
	v_addc_co_u32_e32 v3, vcc, 0, v3, vcc
	s_andn2_b64 exec, exec, s[8:9]
	s_cbranch_execnz .LBB118_15
; %bb.16:
	s_or_b64 exec, exec, s[8:9]
.LBB118_17:
	s_or_b64 exec, exec, s[2:3]
	v_cmp_eq_u32_e64 s[0:1], 0, v0
	s_mov_b64 s[2:3], exec
	v_writelane_b32 v50, s0, 36
	v_writelane_b32 v50, s1, 37
	s_and_b64 s[0:1], s[2:3], s[0:1]
	s_mov_b64 exec, s[0:1]
	s_cbranch_execz .LBB118_19
; %bb.18:
	v_mov_b32_e32 v4, 0
	v_mov_b32_e32 v5, v4
	ds_write_b64 v4, v[4:5] offset:5136
.LBB118_19:
	s_or_b64 exec, exec, s[2:3]
	s_mov_b64 s[8:9], 0
	v_cmp_ne_u64_e32 vcc, 0, v[2:3]
	s_waitcnt lgkmcnt(0)
	s_barrier
	s_and_saveexec_b64 s[2:3], vcc
	s_cbranch_execz .LBB118_24
; %bb.20:
	s_mov_b64 s[10:11], exec
.LBB118_21:                             ; =>This Inner Loop Header: Depth=1
	s_ff1_i32_b64 s0, s[10:11]
	v_readlane_b32 s7, v2, s0
	v_readlane_b32 s1, v3, s0
	s_add_u32 s8, s8, s7
	s_addc_u32 s9, s9, s1
	s_lshl_b64 s[0:1], 1, s0
	s_andn2_b64 s[10:11], s[10:11], s[0:1]
	s_cmp_lg_u64 s[10:11], 0
	s_cbranch_scc1 .LBB118_21
; %bb.22:
	v_mbcnt_lo_u32_b32 v2, exec_lo, 0
	v_mbcnt_hi_u32_b32 v2, exec_hi, v2
	v_cmp_eq_u32_e32 vcc, 0, v2
	s_and_saveexec_b64 s[0:1], vcc
	s_xor_b64 s[0:1], exec, s[0:1]
	s_cbranch_execz .LBB118_24
; %bb.23:
	v_mov_b32_e32 v4, 0
	v_pk_mov_b32 v[2:3], s[8:9], s[8:9] op_sel:[0,1]
	ds_add_u64 v4, v[2:3] offset:5136
.LBB118_24:
	s_or_b64 exec, exec, s[2:3]
	v_mov_b32_e32 v3, 0
	s_waitcnt lgkmcnt(0)
	s_barrier
	ds_read_b64 v[4:5], v3 offset:5136
	s_waitcnt lgkmcnt(0)
	v_readfirstlane_b32 s2, v4
	v_readfirstlane_b32 s3, v5
	s_mov_b64 s[8:9], exec
	v_readlane_b32 s0, v50, 36
	v_readlane_b32 s1, v50, 37
	s_and_b64 s[0:1], s[8:9], s[0:1]
	s_mov_b64 exec, s[0:1]
	s_cbranch_execz .LBB118_26
; %bb.25:
	v_mov_b32_e32 v4, s52
	v_mov_b32_e32 v5, s53
	;; [unrolled: 1-line block ×3, first 2 shown]
	ds_write_b32 v3, v3 offset:5144
	ds_write_b128 v3, v[2:5] offset:5120
.LBB118_26:
	s_or_b64 exec, exec, s[8:9]
	s_load_dword s4, s[4:5], 0x4f8
	v_cmp_lt_i64_e64 s[0:1], s[2:3], 1
	v_mov_b32_e32 v4, 0x180
	v_mov_b32_e32 v5, 0
	v_mbcnt_lo_u32_b32 v2, -1, 0
	s_waitcnt lgkmcnt(0)
	s_bitcmp1_b32 s4, 0
	s_cselect_b64 s[4:5], -1, 0
	s_not_b64 s[2:3], s[2:3]
	s_or_b64 s[0:1], s[4:5], s[0:1]
	s_add_u32 s2, s2, s52
	s_addc_u32 s3, s3, s53
	s_lshr_b64 s[2:3], s[2:3], 1
	s_add_u32 s2, s2, 1
	s_addc_u32 s3, s3, 0
	s_and_b64 s[0:1], s[0:1], exec
	v_cmp_gt_u32_e64 s[0:1], 2, v0
	v_writelane_b32 v50, s0, 38
	v_writelane_b32 v50, s1, 39
	v_cmp_gt_u64_e64 s[0:1], s[52:53], v[4:5]
	v_writelane_b32 v50, s0, 40
	v_writelane_b32 v50, s1, 41
	v_mad_u64_u32 v[4:5], s[0:1], v0, s76, 0
	v_mbcnt_hi_u32_b32 v30, -1, v2
	v_mov_b32_e32 v2, v5
	v_mad_u64_u32 v[6:7], s[0:1], v0, s77, v[2:3]
	s_barrier
	s_load_dword s0, s[14:15], 0xc
	v_cmp_gt_u32_e32 vcc, 64, v0
	v_cmp_gt_i32_e64 s[8:9], 4, v30
	s_cselect_b32 s95, s3, s53
	s_cselect_b32 s94, s2, s52
	s_and_b64 s[54:55], vcc, s[8:9]
	s_waitcnt lgkmcnt(0)
	s_and_b32 s85, s0, 0xffff
	s_bfe_u32 s1, s0, 0xa0006
	v_cmp_gt_u16_e64 s[2:3], s0, 63
	v_writelane_b32 v50, s2, 42
	s_add_u32 s0, s85, -1
	v_writelane_b32 v50, s3, 43
	s_addc_u32 s2, 0, -1
	s_add_u32 s27, s0, s52
	s_addc_u32 s83, s2, s53
	s_cmp_lt_u32 s6, s12
	v_writelane_b32 v50, s0, 44
	s_cselect_b32 s0, 12, 18
	s_add_u32 s64, s14, s0
	v_writelane_b32 v50, s2, 45
	s_addc_u32 s65, s15, 0
	s_add_i32 s0, s1, -1
	s_bfe_u32 s2, s85, 0x30006
	s_cmp_gt_u32 s0, 6
	s_cselect_b64 s[6:7], -1, 0
	v_writelane_b32 v50, s6, 46
	s_and_b32 s0, s1, 0x3f8
	v_mov_b32_e32 v5, v6
	v_writelane_b32 v50, s7, 47
	s_cmp_lg_u32 s2, 0
	v_lshlrev_b64 v[4:5], 3, v[4:5]
	v_lshrrev_b32_e32 v2, 4, v0
	v_writelane_b32 v50, s2, 48
	s_cselect_b64 s[2:3], -1, 0
	v_mov_b32_e32 v33, s84
	v_add_co_u32_e32 v18, vcc, s33, v4
	v_and_b32_e32 v34, 60, v2
	v_lshlrev_b32_e32 v2, 2, v30
	v_writelane_b32 v50, s2, 49
	s_mov_b32 s91, 0
	v_lshlrev_b32_e32 v31, 3, v0
	v_addc_co_u32_e32 v19, vcc, v33, v5, vcc
	v_and_b32_e32 v35, 0x100, v2
	v_lshlrev_b64 v[4:5], v30, -1
	v_writelane_b32 v50, s3, 50
	v_mov_b32_e32 v2, 0xc00
	v_cmp_eq_u32_e64 s[4:5], 0, v30
	v_add_u32_e32 v32, 0xc00, v31
	v_lshlrev_b32_e32 v20, 2, v0
	v_mov_b32_e32 v21, v3
	v_not_b32_e32 v23, v5
	v_not_b32_e32 v22, v4
	s_mov_b32 s26, s91
	v_lshlrev_b32_e32 v36, 5, v0
	v_lshl_or_b32 v37, v30, 3, v2
	s_lshl_b32 s1, s85, 3
	s_mov_b32 s92, 62
	s_mov_b64 s[86:87], 0
	v_pk_mov_b32 v[8:9], 0, 0
	v_mov_b32_e32 v5, 0x3ff00000
	v_mov_b32_e32 v38, 0x4f800000
	s_mov_b32 s93, 0
	s_mov_b64 s[60:61], 0
	s_mov_b64 s[72:73], 0
	v_writelane_b32 v50, s54, 51
                                        ; implicit-def: $sgpr70_sgpr71
                                        ; implicit-def: $sgpr80_sgpr81
                                        ; implicit-def: $sgpr74_sgpr75
                                        ; implicit-def: $sgpr68_sgpr69
                                        ; implicit-def: $sgpr56_sgpr57
                                        ; implicit-def: $sgpr58_sgpr59
	v_writelane_b32 v50, s55, 52
	s_branch .LBB118_31
.LBB118_27:                             ;   in Loop: Header=BB118_31 Depth=1
	s_xor_b32 s93, s93, 1
	s_add_i32 s10, s92, -2
	s_cmp_eq_u32 s92, 0
	s_mov_b64 s[6:7], 0
	s_cselect_b64 s[8:9], -1, 0
	s_mov_b32 s92, s10
.LBB118_28:                             ;   in Loop: Header=BB118_31 Depth=1
	s_andn2_b64 s[10:11], s[24:25], exec
	s_and_b64 s[6:7], s[6:7], exec
	s_or_b64 s[24:25], s[10:11], s[6:7]
	s_andn2_b64 s[28:29], s[28:29], exec
	s_andn2_b64 s[22:23], s[22:23], exec
	s_orn2_b64 s[16:17], s[8:9], exec
.LBB118_29:                             ;   in Loop: Header=BB118_31 Depth=1
	s_or_b64 exec, exec, s[2:3]
	s_andn2_b64 s[2:3], s[58:59], exec
	s_and_b64 s[6:7], s[24:25], exec
	s_or_b64 s[58:59], s[2:3], s[6:7]
	s_andn2_b64 s[2:3], s[56:57], exec
	s_and_b64 s[6:7], s[28:29], exec
	s_or_b64 s[56:57], s[2:3], s[6:7]
	;; [unrolled: 3-line block ×3, first 2 shown]
	s_orn2_b64 s[22:23], s[16:17], exec
.LBB118_30:                             ;   in Loop: Header=BB118_31 Depth=1
	s_or_b64 exec, exec, s[14:15]
	s_and_b64 s[2:3], exec, s[22:23]
	s_or_b64 s[86:87], s[2:3], s[86:87]
	s_andn2_b64 s[2:3], s[74:75], exec
	s_and_b64 s[6:7], s[58:59], exec
	s_or_b64 s[74:75], s[2:3], s[6:7]
	s_andn2_b64 s[2:3], s[80:81], exec
	s_and_b64 s[6:7], s[56:57], exec
	;; [unrolled: 3-line block ×3, first 2 shown]
	s_waitcnt vmcnt(0)
	v_pk_mov_b32 v[6:7], s[60:61], s[60:61] op_sel:[0,1]
	s_or_b64 s[70:71], s[2:3], s[6:7]
	s_andn2_b64 exec, exec, s[86:87]
	s_cbranch_execz .LBB118_300
.LBB118_31:                             ; =>This Loop Header: Depth=1
                                        ;     Child Loop BB118_39 Depth 2
                                        ;     Child Loop BB118_54 Depth 2
	;; [unrolled: 1-line block ×16, first 2 shown]
	ds_read_b128 v[10:13], v3 offset:5120
	s_waitcnt lgkmcnt(0)
	v_readfirstlane_b32 s63, v11
	v_readfirstlane_b32 s62, v10
	s_cmp_lg_u64 s[62:63], 0
	s_cbranch_scc1 .LBB118_61
; %bb.32:                               ;   in Loop: Header=BB118_31 Depth=1
	v_readlane_b32 s2, v50, 40
	v_readlane_b32 s3, v50, 41
	s_and_b64 vcc, exec, s[2:3]
	s_cbranch_vccz .LBB118_47
; %bb.33:                               ;   in Loop: Header=BB118_31 Depth=1
	s_mov_b64 s[2:3], 0x181
	v_cmp_gt_u64_e32 vcc, s[2:3], v[12:13]
	s_mov_b64 s[62:63], 0
	s_mov_b64 s[2:3], 0
	s_cbranch_vccz .LBB118_48
; %bb.34:                               ;   in Loop: Header=BB118_31 Depth=1
	v_pk_mov_b32 v[6:7], 0, 0
	s_mov_b64 s[2:3], exec
	v_readlane_b32 s6, v50, 34
	v_readlane_b32 s7, v50, 35
	s_and_b64 s[6:7], s[2:3], s[6:7]
	s_mov_b64 exec, s[6:7]
	s_cbranch_execz .LBB118_36
; %bb.35:                               ;   in Loop: Header=BB118_31 Depth=1
	global_load_dwordx2 v[6:7], v[18:19], off
.LBB118_36:                             ;   in Loop: Header=BB118_31 Depth=1
	s_or_b64 exec, exec, s[2:3]
	s_mov_b64 s[2:3], exec
	v_readlane_b32 s6, v50, 34
	v_readlane_b32 s7, v50, 35
	s_and_b64 s[6:7], s[2:3], s[6:7]
	s_mov_b64 exec, s[6:7]
	s_cbranch_execz .LBB118_164
; %bb.37:                               ;   in Loop: Header=BB118_31 Depth=1
	global_load_ushort v2, v3, s[64:65]
	s_mov_b64 s[8:9], 0
	v_pk_mov_b32 v[10:11], v[0:1], v[0:1] op_sel:[0,1]
	s_branch .LBB118_39
.LBB118_38:                             ;   in Loop: Header=BB118_39 Depth=2
	s_or_b64 exec, exec, s[6:7]
	s_waitcnt vmcnt(0)
	v_pk_mov_b32 v[6:7], v[12:13], v[12:13] op_sel:[0,1]
	s_andn2_b64 exec, exec, s[8:9]
	s_cbranch_execz .LBB118_164
.LBB118_39:                             ;   Parent Loop BB118_31 Depth=1
                                        ; =>  This Inner Loop Header: Depth=2
	s_waitcnt vmcnt(0)
	v_add_co_u32_sdwa v10, vcc, v10, v2 dst_sel:DWORD dst_unused:UNUSED_PAD src0_sel:DWORD src1_sel:WORD_0
	v_addc_co_u32_e32 v11, vcc, 0, v11, vcc
	v_cmp_gt_u64_e64 s[6:7], s[52:53], v[10:11]
	v_cmp_le_u64_e32 vcc, s[52:53], v[10:11]
	v_pk_mov_b32 v[12:13], 0, 0
	s_and_saveexec_b64 s[10:11], s[6:7]
	s_cbranch_execz .LBB118_41
; %bb.40:                               ;   in Loop: Header=BB118_39 Depth=2
	s_waitcnt lgkmcnt(0)
	v_mul_lo_u32 v4, v11, s76
	v_mul_lo_u32 v14, v10, s77
	v_mad_u64_u32 v[12:13], s[6:7], v10, s76, 0
	v_add3_u32 v13, v13, v14, v4
	v_lshlrev_b64 v[12:13], 3, v[12:13]
	v_add_co_u32_e64 v12, s[6:7], s33, v12
	v_addc_co_u32_e64 v13, s[6:7], v33, v13, s[6:7]
	global_load_dwordx2 v[12:13], v[12:13], off
.LBB118_41:                             ;   in Loop: Header=BB118_39 Depth=2
	s_or_b64 exec, exec, s[10:11]
	s_waitcnt lgkmcnt(0)
	v_ashrrev_i32_e32 v4, 31, v7
	v_or_b32_e32 v14, 0x80000000, v4
	v_xor_b32_e32 v14, v14, v7
	v_xor_b32_e32 v4, v4, v6
	v_cmp_o_f64_e64 s[6:7], v[6:7], v[6:7]
	v_cndmask_b32_e64 v14, -1, v14, s[6:7]
	v_cndmask_b32_e64 v4, -1, v4, s[6:7]
	v_and_b32_e32 v15, s73, v14
	v_and_b32_e32 v14, s72, v4
	v_cmp_eq_u64_e64 s[10:11], s[60:61], v[14:15]
	s_cmp_lg_u64 s[10:11], 0
	s_cselect_b64 s[6:7], -1, 0
	s_and_b64 s[6:7], s[4:5], s[6:7]
	v_mov_b32_e32 v4, 0
	s_and_saveexec_b64 s[12:13], s[6:7]
	s_cbranch_execz .LBB118_45
; %bb.42:                               ;   in Loop: Header=BB118_39 Depth=2
	s_mov_b64 s[16:17], exec
	v_mbcnt_lo_u32_b32 v4, s16, 0
	v_mbcnt_hi_u32_b32 v4, s17, v4
	s_bcnt1_i32_b64 s18, s[10:11]
	v_cmp_eq_u32_e64 s[6:7], 0, v4
                                        ; implicit-def: $vgpr14
	s_and_saveexec_b64 s[14:15], s[6:7]
	s_cbranch_execz .LBB118_44
; %bb.43:                               ;   in Loop: Header=BB118_39 Depth=2
	s_bcnt1_i32_b64 s6, s[16:17]
	s_mul_i32 s6, s18, s6
	v_mov_b32_e32 v14, s6
	ds_add_rtn_u32 v14, v3, v14 offset:5144
.LBB118_44:                             ;   in Loop: Header=BB118_39 Depth=2
	s_or_b64 exec, exec, s[14:15]
	s_waitcnt lgkmcnt(0)
	v_readfirstlane_b32 s6, v14
	v_mov_b32_e32 v14, s6
	v_mad_u32_u24 v4, s18, v4, v14
.LBB118_45:                             ;   in Loop: Header=BB118_39 Depth=2
	s_or_b64 exec, exec, s[12:13]
	ds_bpermute_b32 v4, v35, v4
	s_and_b64 s[6:7], exec, vcc
	s_or_b64 s[8:9], s[6:7], s[8:9]
	s_and_saveexec_b64 s[6:7], s[10:11]
	s_cbranch_execz .LBB118_38
; %bb.46:                               ;   in Loop: Header=BB118_39 Depth=2
	v_and_b32_e32 v15, s10, v22
	v_and_b32_e32 v14, s11, v23
	v_bcnt_u32_b32 v15, v15, 0
	v_bcnt_u32_b32 v14, v14, v15
	v_lshlrev_b32_e32 v14, 3, v14
	s_waitcnt lgkmcnt(0)
	v_lshl_add_u32 v4, v4, 3, v14
	ds_write_b64 v4, v[6:7]
	s_branch .LBB118_38
.LBB118_47:                             ;   in Loop: Header=BB118_31 Depth=1
	s_mov_b64 s[62:63], -1
	s_mov_b64 s[2:3], 0
.LBB118_48:                             ;   in Loop: Header=BB118_31 Depth=1
	s_and_b64 vcc, exec, s[62:63]
	s_cbranch_vccz .LBB118_59
.LBB118_49:                             ;   in Loop: Header=BB118_31 Depth=1
	s_waitcnt vmcnt(0)
	v_pk_mov_b32 v[6:7], 0, 0
	s_mov_b64 s[2:3], exec
	v_readlane_b32 s6, v50, 34
	v_readlane_b32 s7, v50, 35
	s_and_b64 s[6:7], s[2:3], s[6:7]
	s_mov_b64 exec, s[6:7]
	s_cbranch_execz .LBB118_51
; %bb.50:                               ;   in Loop: Header=BB118_31 Depth=1
	global_load_dwordx2 v[6:7], v[18:19], off
.LBB118_51:                             ;   in Loop: Header=BB118_31 Depth=1
	s_or_b64 exec, exec, s[2:3]
	s_mov_b64 s[2:3], exec
	v_readlane_b32 s6, v50, 34
	v_readlane_b32 s7, v50, 35
	s_and_b64 s[6:7], s[2:3], s[6:7]
	s_mov_b64 exec, s[6:7]
	s_cbranch_execz .LBB118_56
; %bb.52:                               ;   in Loop: Header=BB118_31 Depth=1
	global_load_ushort v4, v3, s[64:65]
	s_mov_b64 s[8:9], 0
	v_mov_b32_e32 v2, v31
	v_pk_mov_b32 v[10:11], v[0:1], v[0:1] op_sel:[0,1]
	s_waitcnt vmcnt(0)
	v_and_b32_e32 v4, 0xffff, v4
	v_lshlrev_b32_e32 v14, 3, v4
	s_branch .LBB118_54
.LBB118_53:                             ;   in Loop: Header=BB118_54 Depth=2
	s_or_b64 exec, exec, s[10:11]
	s_and_b64 s[6:7], exec, vcc
	s_or_b64 s[8:9], s[6:7], s[8:9]
	ds_write_b64 v2, v[6:7]
	v_add_u32_e32 v2, v2, v14
	s_waitcnt vmcnt(0)
	v_pk_mov_b32 v[6:7], v[12:13], v[12:13] op_sel:[0,1]
	s_andn2_b64 exec, exec, s[8:9]
	s_cbranch_execz .LBB118_56
.LBB118_54:                             ;   Parent Loop BB118_31 Depth=1
                                        ; =>  This Inner Loop Header: Depth=2
	v_add_co_u32_e32 v10, vcc, v10, v4
	v_addc_co_u32_e32 v11, vcc, 0, v11, vcc
	v_cmp_gt_u64_e64 s[6:7], s[52:53], v[10:11]
	v_cmp_le_u64_e32 vcc, s[52:53], v[10:11]
	v_pk_mov_b32 v[12:13], 0, 0
	s_and_saveexec_b64 s[10:11], s[6:7]
	s_cbranch_execz .LBB118_53
; %bb.55:                               ;   in Loop: Header=BB118_54 Depth=2
	v_mul_lo_u32 v15, v11, s76
	v_mul_lo_u32 v16, v10, s77
	v_mad_u64_u32 v[12:13], s[6:7], v10, s76, 0
	v_add3_u32 v13, v13, v16, v15
	v_lshlrev_b64 v[12:13], 3, v[12:13]
	v_mov_b32_e32 v15, s84
	v_add_co_u32_e64 v12, s[6:7], s33, v12
	v_addc_co_u32_e64 v13, s[6:7], v15, v13, s[6:7]
	global_load_dwordx2 v[12:13], v[12:13], off
	s_branch .LBB118_53
.LBB118_56:                             ;   in Loop: Header=BB118_31 Depth=1
	s_or_b64 exec, exec, s[2:3]
	s_waitcnt lgkmcnt(0)
	s_barrier
	s_mov_b64 s[2:3], exec
	v_readlane_b32 s6, v50, 36
	v_readlane_b32 s7, v50, 37
	s_and_b64 s[6:7], s[2:3], s[6:7]
	s_mov_b64 exec, s[6:7]
	s_cbranch_execz .LBB118_58
; %bb.57:                               ;   in Loop: Header=BB118_31 Depth=1
	s_waitcnt vmcnt(0)
	v_pk_mov_b32 v[6:7], s[52:53], s[52:53] op_sel:[0,1]
	ds_write_b64 v3, v[6:7] offset:5120
.LBB118_58:                             ;   in Loop: Header=BB118_31 Depth=1
	s_or_b64 exec, exec, s[2:3]
	s_mov_b64 s[2:3], -1
	s_waitcnt lgkmcnt(0)
	s_barrier
                                        ; implicit-def: $sgpr62_sgpr63
.LBB118_59:                             ;   in Loop: Header=BB118_31 Depth=1
	s_and_b64 vcc, exec, s[2:3]
	s_cbranch_vccz .LBB118_61
; %bb.60:                               ;   in Loop: Header=BB118_31 Depth=1
	s_waitcnt vmcnt(0)
	ds_read_b64 v[6:7], v3 offset:5120
	s_waitcnt lgkmcnt(0)
	v_readfirstlane_b32 s62, v6
.LBB118_61:                             ;   in Loop: Header=BB118_31 Depth=1
	s_cmp_lt_i32 s62, 1
	s_cbranch_scc0 .LBB118_76
; %bb.62:                               ;   in Loop: Header=BB118_31 Depth=1
	global_load_ushort v4, v3, s[64:65]
	s_mov_b32 s2, s91
	s_waitcnt vmcnt(0)
	v_readfirstlane_b32 s3, v4
	s_and_b32 s3, 0xffff, s3
	s_lshl_b32 s63, s3, 2
	s_mov_b32 s3, s53
	s_cmp_lg_u64 s[2:3], 0
	s_cbranch_scc0 .LBB118_96
; %bb.63:                               ;   in Loop: Header=BB118_31 Depth=1
	v_cvt_f32_u32_e32 v2, s63
	s_sub_u32 s2, 0, s63
	s_subb_u32 s3, 0, 0
	v_mac_f32_e32 v2, 0, v38
	v_rcp_f32_e32 v2, v2
	v_mul_f32_e32 v2, 0x5f7ffffc, v2
	v_mul_f32_e32 v6, 0x2f800000, v2
	v_trunc_f32_e32 v6, v6
	v_mac_f32_e32 v2, 0xcf800000, v6
	v_cvt_u32_f32_e32 v6, v6
	v_cvt_u32_f32_e32 v2, v2
	v_readfirstlane_b32 s6, v6
	v_readfirstlane_b32 s7, v2
	s_mul_i32 s8, s2, s6
	s_mul_hi_u32 s10, s2, s7
	s_mul_i32 s9, s3, s7
	s_add_i32 s8, s10, s8
	s_mul_i32 s11, s2, s7
	s_add_i32 s8, s8, s9
	s_mul_hi_u32 s10, s7, s11
	s_mul_hi_u32 s9, s7, s8
	s_mul_i32 s7, s7, s8
	s_add_u32 s7, s10, s7
	s_addc_u32 s9, 0, s9
	s_mul_hi_u32 s12, s6, s11
	s_mul_i32 s11, s6, s11
	s_add_u32 s7, s7, s11
	s_mul_hi_u32 s10, s6, s8
	s_addc_u32 s7, s9, s12
	s_addc_u32 s9, s10, 0
	s_mul_i32 s8, s6, s8
	s_add_u32 s7, s7, s8
	s_addc_u32 s8, 0, s9
	v_add_co_u32_e32 v2, vcc, s7, v2
	s_cmp_lg_u64 vcc, 0
	s_addc_u32 s6, s6, s8
	v_readfirstlane_b32 s8, v2
	s_mul_i32 s7, s2, s6
	s_mul_hi_u32 s9, s2, s8
	s_add_i32 s7, s9, s7
	s_mul_i32 s3, s3, s8
	s_add_i32 s7, s7, s3
	s_mul_i32 s2, s2, s8
	s_mul_hi_u32 s9, s6, s2
	s_mul_i32 s10, s6, s2
	s_mul_i32 s12, s8, s7
	s_mul_hi_u32 s2, s8, s2
	s_mul_hi_u32 s11, s8, s7
	s_add_u32 s2, s2, s12
	s_addc_u32 s8, 0, s11
	s_add_u32 s2, s2, s10
	s_mul_hi_u32 s3, s6, s7
	s_addc_u32 s2, s8, s9
	s_addc_u32 s3, s3, 0
	s_mul_i32 s7, s6, s7
	s_add_u32 s2, s2, s7
	s_addc_u32 s3, 0, s3
	v_add_co_u32_e32 v2, vcc, s2, v2
	s_cmp_lg_u64 vcc, 0
	s_addc_u32 s2, s6, s3
	v_readfirstlane_b32 s7, v2
	s_mul_i32 s6, s52, s2
	s_mul_hi_u32 s8, s52, s7
	s_mul_hi_u32 s3, s52, s2
	s_add_u32 s6, s8, s6
	s_addc_u32 s3, 0, s3
	s_mul_hi_u32 s9, s53, s7
	s_mul_i32 s7, s53, s7
	s_add_u32 s6, s6, s7
	s_mul_hi_u32 s8, s53, s2
	s_addc_u32 s3, s3, s9
	s_addc_u32 s6, s8, 0
	s_mul_i32 s2, s53, s2
	s_add_u32 s2, s3, s2
	s_addc_u32 s3, 0, s6
	s_mul_hi_u32 s6, s63, s2
	s_mul_i32 s2, s63, s2
	s_mul_i32 s3, s63, s3
	v_mov_b32_e32 v2, s2
	s_add_i32 s6, s6, s3
	v_sub_co_u32_e32 v2, vcc, s52, v2
	s_cmp_lg_u64 vcc, 0
	s_subb_u32 s2, s53, s6
	v_subrev_co_u32_e32 v6, vcc, s63, v2
	s_cmp_lg_u64 vcc, 0
	s_subb_u32 s3, s2, 0
	v_subrev_co_u32_e32 v7, vcc, s63, v6
	s_cmp_lg_u64 vcc, 0
	s_subb_u32 s6, s3, 0
	v_cmp_le_u32_e32 vcc, s63, v6
	s_cmp_eq_u32 s3, 0
	v_cndmask_b32_e64 v10, 0, -1, vcc
	s_cselect_b64 vcc, -1, 0
	v_cndmask_b32_e32 v10, -1, v10, vcc
	v_mov_b32_e32 v11, s3
	v_mov_b32_e32 v12, s6
	v_cmp_ne_u32_e32 vcc, 0, v10
	v_cndmask_b32_e32 v10, v11, v12, vcc
	v_cndmask_b32_e32 v6, v6, v7, vcc
	v_cmp_le_u32_e32 vcc, s63, v2
	s_cmp_eq_u32 s2, 0
	v_cndmask_b32_e64 v7, 0, -1, vcc
	s_cselect_b64 vcc, -1, 0
	v_cndmask_b32_e32 v7, -1, v7, vcc
	v_mov_b32_e32 v11, s2
	v_cmp_ne_u32_e32 vcc, 0, v7
	v_cndmask_b32_e32 v7, v11, v10, vcc
	v_cndmask_b32_e32 v6, v2, v6, vcc
	s_cbranch_execnz .LBB118_65
.LBB118_64:                             ;   in Loop: Header=BB118_31 Depth=1
	v_cvt_f32_u32_e32 v2, s63
	s_sub_i32 s2, 0, s63
	v_rcp_iflag_f32_e32 v2, v2
	v_mul_f32_e32 v2, 0x4f7ffffe, v2
	v_cvt_u32_f32_e32 v2, v2
	v_mul_lo_u32 v6, s2, v2
	v_mul_hi_u32 v6, v2, v6
	v_add_u32_e32 v2, v2, v6
	v_mul_hi_u32 v2, s52, v2
	v_mul_lo_u32 v2, v2, s63
	v_sub_u32_e32 v2, s52, v2
	v_subrev_u32_e32 v6, s63, v2
	v_cmp_le_u32_e32 vcc, s63, v2
	v_cndmask_b32_e32 v2, v2, v6, vcc
	v_subrev_u32_e32 v6, s63, v2
	v_cmp_le_u32_e32 vcc, s63, v2
	v_cndmask_b32_e32 v2, v2, v6, vcc
	v_pk_mov_b32 v[6:7], v[2:3], v[2:3] op_sel:[0,1]
.LBB118_65:                             ;   in Loop: Header=BB118_31 Depth=1
	v_mov_b32_e32 v2, s53
	v_sub_co_u32_e32 v6, vcc, s52, v6
	v_subb_co_u32_e32 v7, vcc, v2, v7, vcc
	v_pk_mov_b32 v[10:11], 0, 0
	v_cmp_gt_u64_e32 vcc, v[6:7], v[20:21]
	s_mov_b64 s[78:79], 0
	v_pk_mov_b32 v[12:13], v[10:11], v[10:11] op_sel:[0,1]
	v_pk_mov_b32 v[14:15], v[10:11], v[10:11] op_sel:[0,1]
	;; [unrolled: 1-line block ×3, first 2 shown]
	s_and_saveexec_b64 s[50:51], vcc
	s_cbranch_execz .LBB118_69
; %bb.66:                               ;   in Loop: Header=BB118_31 Depth=1
	s_and_b32 s82, s92, 0xfe
	s_mov_b64 s[66:67], 0
	s_mov_b64 s[88:89], 0
	;; [unrolled: 1-line block ×4, first 2 shown]
	v_pk_mov_b32 v[24:25], v[20:21], v[20:21] op_sel:[0,1]
.LBB118_67:                             ;   Parent Loop BB118_31 Depth=1
                                        ; =>  This Inner Loop Header: Depth=2
	v_mul_lo_u32 v2, v25, s76
	v_mul_lo_u32 v10, v24, s77
	v_mad_u64_u32 v[16:17], s[2:3], v24, s76, 0
	v_add3_u32 v17, v17, v10, v2
	v_lshlrev_b64 v[16:17], 3, v[16:17]
	v_mov_b32_e32 v12, s84
	v_add_co_u32_e64 v16, s[6:7], s33, v16
	s_lshl_b64 s[2:3], s[76:77], 3
	v_addc_co_u32_e64 v17, s[6:7], v12, v17, s[6:7]
	v_mov_b32_e32 v2, s3
	global_load_dwordx2 v[26:27], v[16:17], off
	v_add_co_u32_e64 v16, s[6:7], s2, v16
	v_addc_co_u32_e64 v17, s[6:7], v17, v2, s[6:7]
	global_load_dwordx2 v[28:29], v[16:17], off
	v_add_co_u32_e64 v16, s[6:7], s2, v16
	v_addc_co_u32_e64 v17, s[6:7], v17, v2, s[6:7]
	;; [unrolled: 3-line block ×3, first 2 shown]
	global_load_dwordx2 v[16:17], v[16:17], off
	v_mov_b32_e32 v15, v3
	v_mov_b32_e32 v13, v3
	v_mov_b32_e32 v11, v3
	v_add_co_u32_e32 v24, vcc, s63, v24
	v_addc_co_u32_e32 v25, vcc, 0, v25, vcc
	v_cmp_ge_u64_e32 vcc, v[24:25], v[6:7]
	s_waitcnt vmcnt(3)
	v_ashrrev_i32_e32 v2, 31, v27
	v_or_b32_e32 v10, 0x80000000, v2
	v_xor_b32_e32 v2, v2, v26
	v_cmp_o_f64_e64 s[6:7], v[26:27], v[26:27]
	v_xor_b32_e32 v10, v10, v27
	s_waitcnt vmcnt(2)
	v_ashrrev_i32_e32 v12, 31, v29
	v_or_b32_e32 v14, 0x80000000, v12
	v_xor_b32_e32 v12, v12, v28
	v_cndmask_b32_e64 v26, -1, v2, s[6:7]
	v_cmp_o_f64_e64 s[10:11], v[28:29], v[28:29]
	s_waitcnt vmcnt(1)
	v_ashrrev_i32_e32 v39, 31, v41
	v_cndmask_b32_e64 v27, -1, v10, s[6:7]
	v_xor_b32_e32 v2, v14, v29
	v_or_b32_e32 v10, 0x80000000, v39
	v_xor_b32_e32 v14, v39, v40
	s_waitcnt vmcnt(0)
	v_ashrrev_i32_e32 v39, 31, v17
	v_cndmask_b32_e64 v28, -1, v12, s[10:11]
	v_and_b32_e32 v42, s72, v26
	v_cmp_o_f64_e64 s[6:7], v[40:41], v[40:41]
	v_cndmask_b32_e64 v29, -1, v2, s[10:11]
	v_xor_b32_e32 v2, v10, v41
	v_or_b32_e32 v10, 0x80000000, v39
	v_and_b32_e32 v43, s73, v27
	v_lshrrev_b64 v[26:27], s82, v[26:27]
	v_xor_b32_e32 v12, v39, v16
	v_cndmask_b32_e64 v40, -1, v14, s[6:7]
	v_cmp_o_f64_e64 s[12:13], v[16:17], v[16:17]
	v_cndmask_b32_e64 v41, -1, v2, s[6:7]
	v_xor_b32_e32 v10, v10, v17
	v_and_b32_e32 v2, 3, v26
	v_lshrrev_b64 v[16:17], s82, v[28:29]
	v_and_b32_e32 v44, s72, v28
	v_cmp_eq_u64_e64 s[10:11], s[60:61], v[42:43]
	v_and_b32_e32 v45, s73, v29
	v_cndmask_b32_e64 v26, -1, v12, s[12:13]
	v_cndmask_b32_e64 v27, -1, v10, s[12:13]
	v_and_b32_e32 v14, 3, v16
	v_lshrrev_b64 v[16:17], s82, v[40:41]
	v_cmp_eq_u64_e64 s[6:7], 0, v[2:3]
	v_and_b32_e32 v28, s72, v40
	v_cmp_eq_u64_e64 s[12:13], s[60:61], v[44:45]
	v_and_b32_e32 v29, s73, v41
	v_and_b32_e32 v12, 3, v16
	v_lshrrev_b64 v[16:17], s82, v[26:27]
	v_cmp_eq_u64_e64 s[24:25], 0, v[14:15]
	s_and_b64 s[2:3], s[10:11], s[6:7]
	v_cmp_eq_u64_e64 s[28:29], 1, v[2:3]
	v_cmp_eq_u64_e64 s[30:31], 2, v[2:3]
	;; [unrolled: 1-line block ×3, first 2 shown]
	v_and_b32_e32 v40, s72, v26
	v_cmp_eq_u64_e64 s[14:15], s[60:61], v[28:29]
	v_and_b32_e32 v41, s73, v27
	v_cndmask_b32_e64 v2, 0, 1, s[2:3]
	v_and_b32_e32 v10, 3, v16
	v_cmp_eq_u64_e64 s[6:7], 0, v[12:13]
	s_and_b64 s[2:3], s[12:13], s[24:25]
	v_cmp_eq_u64_e64 s[18:19], s[60:61], v[40:41]
	v_cmp_ne_u32_e64 s[42:43], 0, v2
	v_cndmask_b32_e64 v2, 0, 1, s[2:3]
	v_cmp_eq_u64_e64 s[44:45], 0, v[10:11]
	s_and_b64 s[2:3], s[14:15], s[6:7]
	s_bcnt1_i32_b64 s90, s[42:43]
	v_cmp_ne_u32_e64 s[42:43], 0, v2
	v_cndmask_b32_e64 v2, 0, 1, s[2:3]
	s_and_b64 s[2:3], s[18:19], s[44:45]
	v_cmp_ne_u32_e64 s[6:7], 0, v2
	v_cndmask_b32_e64 v2, 0, 1, s[2:3]
	s_bcnt1_i32_b64 s2, s[6:7]
	v_cmp_ne_u32_e64 s[6:7], 0, v2
	s_bcnt1_i32_b64 s42, s[42:43]
	s_bcnt1_i32_b64 s3, s[6:7]
	s_add_u32 s6, s90, s54
	s_addc_u32 s7, 0, s55
	s_add_u32 s6, s6, s42
	s_addc_u32 s7, s7, 0
	;; [unrolled: 2-line block ×3, first 2 shown]
	s_add_u32 s54, s2, s3
	v_cmp_eq_u64_e64 s[34:35], 1, v[14:15]
	s_addc_u32 s55, s6, 0
	s_and_b64 s[2:3], s[10:11], s[28:29]
	v_cmp_eq_u64_e64 s[38:39], 1, v[12:13]
	v_cndmask_b32_e64 v2, 0, 1, s[2:3]
	s_and_b64 s[2:3], s[12:13], s[34:35]
	v_cmp_eq_u64_e64 s[40:41], 2, v[12:13]
	v_cmp_eq_u64_e64 s[22:23], 3, v[12:13]
	;; [unrolled: 1-line block ×3, first 2 shown]
	v_cndmask_b32_e64 v12, 0, 1, s[2:3]
	s_and_b64 s[2:3], s[14:15], s[38:39]
	v_cndmask_b32_e64 v13, 0, 1, s[2:3]
	s_and_b64 s[2:3], s[18:19], s[46:47]
	v_cmp_eq_u64_e64 s[36:37], 2, v[14:15]
	v_cmp_eq_u64_e64 s[20:21], 3, v[14:15]
	v_cndmask_b32_e64 v14, 0, 1, s[2:3]
	v_cmp_ne_u32_e64 s[6:7], 0, v2
	v_cmp_ne_u32_e64 s[28:29], 0, v12
	;; [unrolled: 1-line block ×4, first 2 shown]
	s_bcnt1_i32_b64 s2, s[6:7]
	s_bcnt1_i32_b64 s3, s[28:29]
	;; [unrolled: 1-line block ×4, first 2 shown]
	s_add_u32 s2, s2, s8
	s_addc_u32 s8, 0, s9
	s_add_u32 s2, s2, s3
	s_addc_u32 s3, s8, 0
	;; [unrolled: 2-line block ×4, first 2 shown]
	s_and_b64 s[2:3], s[10:11], s[30:31]
	v_cndmask_b32_e64 v2, 0, 1, s[2:3]
	s_and_b64 s[2:3], s[12:13], s[36:37]
	v_cmp_eq_u64_e64 s[48:49], 2, v[10:11]
	v_cndmask_b32_e64 v14, 0, 1, s[2:3]
	s_and_b64 s[2:3], s[14:15], s[40:41]
	v_cndmask_b32_e64 v15, 0, 1, s[2:3]
	s_and_b64 s[2:3], s[18:19], s[48:49]
	v_cndmask_b32_e64 v16, 0, 1, s[2:3]
	v_cmp_ne_u32_e64 s[6:7], 0, v2
	v_cmp_ne_u32_e64 s[28:29], 0, v14
	;; [unrolled: 1-line block ×4, first 2 shown]
	s_bcnt1_i32_b64 s2, s[6:7]
	s_bcnt1_i32_b64 s3, s[28:29]
	;; [unrolled: 1-line block ×4, first 2 shown]
	s_add_u32 s2, s2, s88
	s_addc_u32 s28, 0, s89
	s_add_u32 s2, s2, s3
	s_addc_u32 s3, s28, 0
	;; [unrolled: 2-line block ×4, first 2 shown]
	s_and_b64 s[2:3], s[10:11], s[16:17]
	v_cndmask_b32_e64 v2, 0, 1, s[2:3]
	s_and_b64 s[2:3], s[12:13], s[20:21]
	v_cmp_eq_u64_e64 s[24:25], 3, v[10:11]
	v_cndmask_b32_e64 v16, 0, 1, s[2:3]
	s_and_b64 s[2:3], s[14:15], s[22:23]
	v_cndmask_b32_e64 v17, 0, 1, s[2:3]
	s_and_b64 s[2:3], s[18:19], s[24:25]
	v_cndmask_b32_e64 v26, 0, 1, s[2:3]
	v_cmp_ne_u32_e64 s[6:7], 0, v2
	v_cmp_ne_u32_e64 s[10:11], 0, v16
	;; [unrolled: 1-line block ×4, first 2 shown]
	s_bcnt1_i32_b64 s2, s[6:7]
	s_bcnt1_i32_b64 s3, s[10:11]
	s_bcnt1_i32_b64 s6, s[12:13]
	s_bcnt1_i32_b64 s7, s[14:15]
	s_add_u32 s2, s2, s66
	s_addc_u32 s10, 0, s67
	s_add_u32 s2, s2, s3
	s_addc_u32 s3, s10, 0
	;; [unrolled: 2-line block ×4, first 2 shown]
	v_pk_mov_b32 v[10:11], s[54:55], s[54:55] op_sel:[0,1]
	v_pk_mov_b32 v[12:13], s[8:9], s[8:9] op_sel:[0,1]
	v_pk_mov_b32 v[14:15], s[88:89], s[88:89] op_sel:[0,1]
	s_or_b64 s[78:79], vcc, s[78:79]
	v_pk_mov_b32 v[16:17], s[66:67], s[66:67] op_sel:[0,1]
	s_andn2_b64 exec, exec, s[78:79]
	s_cbranch_execnz .LBB118_67
; %bb.68:                               ;   in Loop: Header=BB118_31 Depth=1
	s_or_b64 exec, exec, s[78:79]
	v_readlane_b32 s54, v50, 51
	v_readlane_b32 s55, v50, 52
.LBB118_69:                             ;   in Loop: Header=BB118_31 Depth=1
	s_or_b64 exec, exec, s[50:51]
	v_add_co_u32_e32 v6, vcc, v6, v0
	v_addc_co_u32_e32 v7, vcc, 0, v7, vcc
	v_cmp_gt_u64_e32 vcc, s[52:53], v[6:7]
	v_pk_mov_b32 v[24:25], 0, 0
	s_and_saveexec_b64 s[2:3], vcc
	s_cbranch_execz .LBB118_71
; %bb.70:                               ;   in Loop: Header=BB118_31 Depth=1
	v_mul_lo_u32 v2, v7, s76
	v_mul_lo_u32 v26, v6, s77
	v_mad_u64_u32 v[24:25], s[6:7], v6, s76, 0
	v_add3_u32 v25, v25, v26, v2
	v_lshlrev_b64 v[24:25], 3, v[24:25]
	v_mov_b32_e32 v2, s84
	v_add_co_u32_e64 v24, s[6:7], s33, v24
	v_addc_co_u32_e64 v25, s[6:7], v2, v25, s[6:7]
	global_load_dwordx2 v[24:25], v[24:25], off
.LBB118_71:                             ;   in Loop: Header=BB118_31 Depth=1
	s_or_b64 exec, exec, s[2:3]
	s_and_saveexec_b64 s[2:3], vcc
	s_cbranch_execz .LBB118_78
; %bb.72:                               ;   in Loop: Header=BB118_31 Depth=1
	s_and_b32 s12, s92, 0xfe
	s_mov_b64 s[8:9], 0
	s_branch .LBB118_74
.LBB118_73:                             ;   in Loop: Header=BB118_74 Depth=2
	s_or_b64 exec, exec, s[10:11]
	s_waitcnt vmcnt(0)
	v_ashrrev_i32_e32 v2, 31, v25
	v_or_b32_e32 v28, 0x80000000, v2
	s_and_b64 s[6:7], exec, vcc
	v_xor_b32_e32 v28, v28, v25
	v_xor_b32_e32 v2, v2, v24
	v_cmp_o_f64_e32 vcc, v[24:25], v[24:25]
	v_cndmask_b32_e32 v25, -1, v28, vcc
	v_cndmask_b32_e32 v24, -1, v2, vcc
	v_and_b32_e32 v29, s73, v25
	v_and_b32_e32 v28, s72, v24
	v_lshrrev_b64 v[24:25], s12, v[24:25]
	v_and_b32_e32 v2, 3, v24
	s_or_b64 s[8:9], s[6:7], s[8:9]
	v_cmp_eq_u64_e32 vcc, s[60:61], v[28:29]
	v_cmp_eq_u64_e64 s[6:7], 0, v[2:3]
	s_and_b64 s[6:7], vcc, s[6:7]
	v_cndmask_b32_e64 v24, 0, 1, s[6:7]
	v_cmp_ne_u32_e64 s[6:7], 0, v24
	s_bcnt1_i32_b64 s6, s[6:7]
	v_add_co_u32_e64 v10, s[6:7], s6, v10
	v_addc_co_u32_e64 v11, s[6:7], 0, v11, s[6:7]
	v_cmp_eq_u64_e64 s[6:7], 1, v[2:3]
	s_and_b64 s[6:7], vcc, s[6:7]
	v_cndmask_b32_e64 v24, 0, 1, s[6:7]
	v_cmp_ne_u32_e64 s[6:7], 0, v24
	s_bcnt1_i32_b64 s6, s[6:7]
	v_add_co_u32_e64 v12, s[6:7], s6, v12
	v_addc_co_u32_e64 v13, s[6:7], 0, v13, s[6:7]
	;; [unrolled: 7-line block ×3, first 2 shown]
	v_cmp_eq_u64_e64 s[6:7], 3, v[2:3]
	s_and_b64 s[6:7], vcc, s[6:7]
	v_cndmask_b32_e64 v2, 0, 1, s[6:7]
	v_cmp_ne_u32_e32 vcc, 0, v2
	s_bcnt1_i32_b64 s6, vcc
	v_add_co_u32_e32 v16, vcc, s6, v16
	v_addc_co_u32_e32 v17, vcc, 0, v17, vcc
	v_pk_mov_b32 v[24:25], v[26:27], v[26:27] op_sel:[0,1]
	s_andn2_b64 exec, exec, s[8:9]
	s_cbranch_execz .LBB118_77
.LBB118_74:                             ;   Parent Loop BB118_31 Depth=1
                                        ; =>  This Inner Loop Header: Depth=2
	v_add_co_u32_sdwa v6, vcc, v6, v4 dst_sel:DWORD dst_unused:UNUSED_PAD src0_sel:DWORD src1_sel:WORD_0
	v_addc_co_u32_e32 v7, vcc, 0, v7, vcc
	v_cmp_gt_u64_e64 s[6:7], s[52:53], v[6:7]
	v_cmp_le_u64_e32 vcc, s[52:53], v[6:7]
	v_pk_mov_b32 v[26:27], 0, 0
	s_and_saveexec_b64 s[10:11], s[6:7]
	s_cbranch_execz .LBB118_73
; %bb.75:                               ;   in Loop: Header=BB118_74 Depth=2
	v_mul_lo_u32 v2, v7, s76
	v_mul_lo_u32 v28, v6, s77
	v_mad_u64_u32 v[26:27], s[6:7], v6, s76, 0
	v_add3_u32 v27, v27, v28, v2
	v_lshlrev_b64 v[26:27], 3, v[26:27]
	v_mov_b32_e32 v2, s84
	v_add_co_u32_e64 v26, s[6:7], s33, v26
	v_addc_co_u32_e64 v27, s[6:7], v2, v27, s[6:7]
	global_load_dwordx2 v[26:27], v[26:27], off
	s_branch .LBB118_73
.LBB118_76:                             ;   in Loop: Header=BB118_31 Depth=1
                                        ; implicit-def: $vgpr16_vgpr17
                                        ; implicit-def: $vgpr12_vgpr13
	s_cbranch_execnz .LBB118_79
	s_branch .LBB118_88
.LBB118_77:                             ;   in Loop: Header=BB118_31 Depth=1
	s_or_b64 exec, exec, s[8:9]
.LBB118_78:                             ;   in Loop: Header=BB118_31 Depth=1
	s_or_b64 exec, exec, s[2:3]
	s_branch .LBB118_88
.LBB118_79:                             ;   in Loop: Header=BB118_31 Depth=1
	global_load_ushort v2, v3, s[64:65]
	v_pk_mov_b32 v[10:11], 0, 0
	s_mov_b64 s[66:67], 0
	v_pk_mov_b32 v[12:13], v[10:11], v[10:11] op_sel:[0,1]
	v_pk_mov_b32 v[14:15], v[10:11], v[10:11] op_sel:[0,1]
	;; [unrolled: 1-line block ×3, first 2 shown]
	s_waitcnt vmcnt(0)
	v_readfirstlane_b32 s2, v2
	s_and_b32 s2, 0xffff, s2
	s_lshl_b32 s63, s2, 2
	v_cvt_f32_u32_e32 v4, s63
	s_sub_i32 s2, 0, s63
	v_rcp_iflag_f32_e32 v4, v4
	v_mul_f32_e32 v4, 0x4f7ffffe, v4
	v_cvt_u32_f32_e32 v6, v4
	v_and_b32_e32 v4, 0xffff, v2
	v_readfirstlane_b32 s3, v6
	s_mul_i32 s2, s2, s3
	s_mul_hi_u32 s2, s3, s2
	s_add_i32 s3, s3, s2
	s_mul_hi_u32 s2, s62, s3
	s_mul_i32 s2, s2, s63
	s_sub_i32 s2, s62, s2
	s_sub_i32 s3, s2, s63
	s_cmp_ge_u32 s2, s63
	s_cselect_b32 s2, s3, s2
	s_sub_i32 s3, s2, s63
	s_cmp_ge_u32 s2, s63
	s_cselect_b32 s2, s3, s2
	s_sub_i32 s90, s62, s2
	v_cmp_gt_u32_e32 vcc, s90, v20
	s_and_saveexec_b64 s[8:9], vcc
	s_cbranch_execz .LBB118_83
; %bb.80:                               ;   in Loop: Header=BB118_31 Depth=1
	s_and_b32 s82, s92, 0xfe
	v_lshlrev_b32_e32 v39, 5, v4
	v_mov_b32_e32 v40, v36
	s_mov_b64 s[54:55], 0
	s_mov_b64 s[78:79], 0
	;; [unrolled: 1-line block ×4, first 2 shown]
	v_pk_mov_b32 v[6:7], v[20:21], v[20:21] op_sel:[0,1]
.LBB118_81:                             ;   Parent Loop BB118_31 Depth=1
                                        ; =>  This Inner Loop Header: Depth=2
	ds_read_b128 v[14:17], v40
	ds_read_b128 v[10:13], v40 offset:16
	v_mov_b32_e32 v25, v3
	v_mov_b32_e32 v27, v3
	;; [unrolled: 1-line block ×3, first 2 shown]
	s_waitcnt lgkmcnt(1)
	v_ashrrev_i32_e32 v2, 31, v15
	v_ashrrev_i32_e32 v24, 31, v17
	s_waitcnt lgkmcnt(0)
	v_ashrrev_i32_e32 v26, 31, v11
	v_ashrrev_i32_e32 v28, 31, v13
	v_xor_b32_e32 v41, v24, v16
	v_cmp_o_f64_e64 s[6:7], v[16:17], v[16:17]
	v_xor_b32_e32 v16, v26, v10
	v_cmp_o_f64_e64 s[10:11], v[10:11], v[10:11]
	v_or_b32_e32 v10, 0x80000000, v2
	v_xor_b32_e32 v42, v28, v12
	v_cmp_o_f64_e64 s[12:13], v[12:13], v[12:13]
	v_xor_b32_e32 v2, v2, v14
	v_or_b32_e32 v12, 0x80000000, v24
	v_or_b32_e32 v24, 0x80000000, v26
	v_cmp_o_f64_e64 s[14:15], v[14:15], v[14:15]
	v_xor_b32_e32 v15, v10, v15
	v_or_b32_e32 v26, 0x80000000, v28
	v_xor_b32_e32 v17, v12, v17
	v_xor_b32_e32 v24, v24, v11
	v_cndmask_b32_e64 v10, -1, v2, s[14:15]
	v_cndmask_b32_e64 v11, -1, v15, s[14:15]
	v_xor_b32_e32 v26, v26, v13
	v_cndmask_b32_e64 v12, -1, v41, s[6:7]
	v_cndmask_b32_e64 v14, -1, v16, s[10:11]
	;; [unrolled: 1-line block ×4, first 2 shown]
	v_and_b32_e32 v42, s72, v10
	v_and_b32_e32 v43, s73, v11
	v_lshrrev_b64 v[10:11], s82, v[10:11]
	v_cndmask_b32_e64 v15, -1, v24, s[10:11]
	v_and_b32_e32 v44, s72, v12
	v_and_b32_e32 v45, s73, v13
	v_lshrrev_b64 v[12:13], s82, v[12:13]
	v_and_b32_e32 v2, 3, v10
	v_cndmask_b32_e64 v17, -1, v26, s[12:13]
	v_and_b32_e32 v46, s72, v14
	v_and_b32_e32 v47, s73, v15
	v_lshrrev_b64 v[14:15], s82, v[14:15]
	v_cmp_eq_u64_e64 s[16:17], s[60:61], v[42:43]
	v_and_b32_e32 v24, 3, v12
	v_cmp_eq_u64_e64 s[6:7], 0, v[2:3]
	v_and_b32_e32 v48, s72, v16
	v_and_b32_e32 v49, s73, v17
	v_lshrrev_b64 v[16:17], s82, v[16:17]
	v_cmp_eq_u64_e64 s[14:15], s[60:61], v[44:45]
	v_and_b32_e32 v26, 3, v14
	v_cmp_eq_u64_e64 s[28:29], 0, v[24:25]
	s_and_b64 s[6:7], s[16:17], s[6:7]
	v_cmp_eq_u64_e64 s[12:13], s[60:61], v[46:47]
	v_and_b32_e32 v28, 3, v16
	v_cmp_eq_u64_e64 s[30:31], 0, v[26:27]
	v_cmp_eq_u64_e64 s[36:37], 1, v[2:3]
	;; [unrolled: 1-line block ×4, first 2 shown]
	v_cndmask_b32_e64 v2, 0, 1, s[6:7]
	s_and_b64 s[6:7], s[14:15], s[28:29]
	v_cmp_eq_u64_e64 s[10:11], s[60:61], v[48:49]
	v_cmp_eq_u64_e64 s[34:35], 0, v[28:29]
	v_cndmask_b32_e64 v10, 0, 1, s[6:7]
	s_and_b64 s[6:7], s[12:13], s[30:31]
	v_cndmask_b32_e64 v11, 0, 1, s[6:7]
	s_and_b64 s[6:7], s[10:11], s[34:35]
	v_cndmask_b32_e64 v12, 0, 1, s[6:7]
	v_cmp_ne_u32_e64 s[6:7], 0, v2
	v_cmp_ne_u32_e64 s[28:29], 0, v10
	v_cmp_ne_u32_e64 s[30:31], 0, v11
	v_cmp_ne_u32_e64 s[34:35], 0, v12
	s_bcnt1_i32_b64 s6, s[6:7]
	s_bcnt1_i32_b64 s7, s[28:29]
	s_bcnt1_i32_b64 s28, s[30:31]
	s_bcnt1_i32_b64 s29, s[34:35]
	s_add_u32 s2, s6, s2
	s_addc_u32 s3, 0, s3
	s_add_u32 s2, s2, s7
	s_addc_u32 s3, s3, 0
	s_add_u32 s2, s2, s28
	s_addc_u32 s3, s3, 0
	s_add_u32 s2, s2, s29
	v_cmp_eq_u64_e64 s[38:39], 1, v[24:25]
	s_addc_u32 s3, s3, 0
	s_and_b64 s[6:7], s[16:17], s[36:37]
	v_cmp_eq_u64_e64 s[40:41], 1, v[26:27]
	v_cndmask_b32_e64 v2, 0, 1, s[6:7]
	s_and_b64 s[6:7], s[14:15], s[38:39]
	v_cmp_eq_u64_e64 s[42:43], 1, v[28:29]
	v_cndmask_b32_e64 v12, 0, 1, s[6:7]
	s_and_b64 s[6:7], s[12:13], s[40:41]
	v_cndmask_b32_e64 v13, 0, 1, s[6:7]
	s_and_b64 s[6:7], s[10:11], s[42:43]
	v_cndmask_b32_e64 v14, 0, 1, s[6:7]
	v_cmp_ne_u32_e64 s[6:7], 0, v2
	v_cmp_ne_u32_e64 s[28:29], 0, v12
	v_cmp_ne_u32_e64 s[30:31], 0, v13
	v_cmp_ne_u32_e64 s[34:35], 0, v14
	s_bcnt1_i32_b64 s6, s[6:7]
	s_bcnt1_i32_b64 s7, s[28:29]
	s_bcnt1_i32_b64 s28, s[30:31]
	s_bcnt1_i32_b64 s29, s[34:35]
	s_add_u32 s6, s6, s88
	s_addc_u32 s30, 0, s89
	s_add_u32 s6, s6, s7
	s_addc_u32 s7, s30, 0
	s_add_u32 s6, s6, s28
	s_addc_u32 s7, s7, 0
	s_add_u32 s88, s6, s29
	v_cmp_eq_u64_e64 s[46:47], 2, v[24:25]
	s_addc_u32 s89, s7, 0
	s_and_b64 s[6:7], s[16:17], s[44:45]
	v_cmp_eq_u64_e64 s[48:49], 2, v[26:27]
	v_cndmask_b32_e64 v2, 0, 1, s[6:7]
	s_and_b64 s[6:7], s[14:15], s[46:47]
	;; [unrolled: 27-line block ×3, first 2 shown]
	v_cmp_eq_u64_e64 s[18:19], 3, v[28:29]
	v_cndmask_b32_e64 v16, 0, 1, s[6:7]
	s_and_b64 s[6:7], s[12:13], s[20:21]
	v_cndmask_b32_e64 v17, 0, 1, s[6:7]
	s_and_b64 s[6:7], s[10:11], s[18:19]
	v_cndmask_b32_e64 v24, 0, 1, s[6:7]
	v_cmp_ne_u32_e64 s[6:7], 0, v2
	v_cmp_ne_u32_e64 s[10:11], 0, v16
	;; [unrolled: 1-line block ×4, first 2 shown]
	s_bcnt1_i32_b64 s6, s[6:7]
	s_bcnt1_i32_b64 s7, s[10:11]
	;; [unrolled: 1-line block ×4, first 2 shown]
	s_add_u32 s6, s6, s54
	s_addc_u32 s12, 0, s55
	s_add_u32 s6, s6, s7
	s_addc_u32 s7, s12, 0
	s_add_u32 s6, s6, s10
	v_add_co_u32_e32 v6, vcc, s63, v6
	s_addc_u32 s7, s7, 0
	v_addc_co_u32_e32 v7, vcc, 0, v7, vcc
	s_add_u32 s54, s6, s11
	v_cmp_le_u64_e32 vcc, s[90:91], v[6:7]
	s_addc_u32 s55, s7, 0
	v_add_u32_e32 v40, v40, v39
	v_pk_mov_b32 v[10:11], s[2:3], s[2:3] op_sel:[0,1]
	v_pk_mov_b32 v[12:13], s[88:89], s[88:89] op_sel:[0,1]
	;; [unrolled: 1-line block ×3, first 2 shown]
	s_or_b64 s[66:67], vcc, s[66:67]
	v_pk_mov_b32 v[16:17], s[54:55], s[54:55] op_sel:[0,1]
	s_andn2_b64 exec, exec, s[66:67]
	s_cbranch_execnz .LBB118_81
; %bb.82:                               ;   in Loop: Header=BB118_31 Depth=1
	s_or_b64 exec, exec, s[66:67]
	v_readlane_b32 s54, v50, 51
	v_readlane_b32 s55, v50, 52
.LBB118_83:                             ;   in Loop: Header=BB118_31 Depth=1
	s_or_b64 exec, exec, s[8:9]
	v_add_u32_e32 v2, s90, v0
	v_cmp_gt_u32_e32 vcc, s62, v2
	s_and_saveexec_b64 s[2:3], vcc
	s_cbranch_execz .LBB118_87
; %bb.84:                               ;   in Loop: Header=BB118_31 Depth=1
	s_and_b32 s90, s62, 0x7fffffff
	s_and_b32 s18, s92, 0xfe
	v_lshlrev_b32_e32 v24, 3, v2
	v_lshlrev_b32_e32 v25, 3, v4
	s_mov_b64 s[8:9], 0
	v_pk_mov_b32 v[6:7], v[2:3], v[2:3] op_sel:[0,1]
.LBB118_85:                             ;   Parent Loop BB118_31 Depth=1
                                        ; =>  This Inner Loop Header: Depth=2
	ds_read_b64 v[26:27], v24
	v_add_co_u32_e32 v6, vcc, v6, v4
	v_addc_co_u32_e32 v7, vcc, 0, v7, vcc
	s_waitcnt lgkmcnt(0)
	v_ashrrev_i32_e32 v2, 31, v27
	v_or_b32_e32 v28, 0x80000000, v2
	v_xor_b32_e32 v2, v2, v26
	v_cmp_o_f64_e64 s[6:7], v[26:27], v[26:27]
	v_xor_b32_e32 v27, v28, v27
	v_cndmask_b32_e64 v26, -1, v2, s[6:7]
	v_cndmask_b32_e64 v27, -1, v27, s[6:7]
	v_and_b32_e32 v28, s72, v26
	v_and_b32_e32 v29, s73, v27
	v_lshrrev_b64 v[26:27], s18, v[26:27]
	v_and_b32_e32 v2, 3, v26
	v_cmp_eq_u64_e64 s[6:7], s[60:61], v[28:29]
	v_cmp_eq_u64_e64 s[10:11], 0, v[2:3]
	;; [unrolled: 1-line block ×3, first 2 shown]
	s_and_b64 s[10:11], s[6:7], s[10:11]
	v_cmp_eq_u64_e64 s[14:15], 2, v[2:3]
	v_cmp_eq_u64_e64 s[16:17], 3, v[2:3]
	v_cndmask_b32_e64 v2, 0, 1, s[10:11]
	s_and_b64 s[10:11], s[6:7], s[12:13]
	v_cndmask_b32_e64 v26, 0, 1, s[10:11]
	s_and_b64 s[10:11], s[6:7], s[14:15]
	s_and_b64 s[6:7], s[6:7], s[16:17]
	v_cndmask_b32_e64 v27, 0, 1, s[10:11]
	v_cndmask_b32_e64 v28, 0, 1, s[6:7]
	v_cmp_ne_u32_e64 s[6:7], 0, v2
	v_cmp_ne_u32_e64 s[10:11], 0, v26
	;; [unrolled: 1-line block ×4, first 2 shown]
	v_cmp_le_u64_e32 vcc, s[90:91], v[6:7]
	s_bcnt1_i32_b64 s6, s[6:7]
	s_bcnt1_i32_b64 s7, s[10:11]
	;; [unrolled: 1-line block ×4, first 2 shown]
	s_or_b64 s[8:9], vcc, s[8:9]
	v_add_co_u32_e32 v10, vcc, s6, v10
	v_addc_co_u32_e32 v11, vcc, 0, v11, vcc
	v_add_co_u32_e32 v12, vcc, s7, v12
	v_addc_co_u32_e32 v13, vcc, 0, v13, vcc
	;; [unrolled: 2-line block ×3, first 2 shown]
	v_add_co_u32_e32 v16, vcc, s11, v16
	v_add_u32_e32 v24, v24, v25
	v_addc_co_u32_e32 v17, vcc, 0, v17, vcc
	s_andn2_b64 exec, exec, s[8:9]
	s_cbranch_execnz .LBB118_85
; %bb.86:                               ;   in Loop: Header=BB118_31 Depth=1
	s_or_b64 exec, exec, s[8:9]
.LBB118_87:                             ;   in Loop: Header=BB118_31 Depth=1
	s_or_b64 exec, exec, s[2:3]
.LBB118_88:                             ;   in Loop: Header=BB118_31 Depth=1
	s_lshl_b32 s6, s93, 6
	s_and_saveexec_b64 s[2:3], s[4:5]
	s_cbranch_execz .LBB118_90
; %bb.89:                               ;   in Loop: Header=BB118_31 Depth=1
	v_or_b32_e32 v2, s6, v34
	v_lshlrev_b32_e32 v2, 3, v2
	ds_write_b128 v2, v[10:13] offset:3072
	ds_write_b128 v2, v[14:17] offset:3088
.LBB118_90:                             ;   in Loop: Header=BB118_31 Depth=1
	s_or_b64 exec, exec, s[2:3]
	s_waitcnt lgkmcnt(0)
	s_barrier
	s_and_saveexec_b64 s[2:3], s[54:55]
	s_cbranch_execz .LBB118_102
; %bb.91:                               ;   in Loop: Header=BB118_31 Depth=1
	v_readlane_b32 s8, v50, 42
	v_readlane_b32 s9, v50, 43
	s_andn2_b64 vcc, exec, s[8:9]
	s_waitcnt vmcnt(0)
	v_pk_mov_b32 v[6:7], 0, 0
	s_cbranch_vccnz .LBB118_101
; %bb.92:                               ;   in Loop: Header=BB118_31 Depth=1
	v_readlane_b32 s8, v50, 46
	v_readlane_b32 s9, v50, 47
	s_andn2_b64 vcc, exec, s[8:9]
	s_cbranch_vccnz .LBB118_97
; %bb.93:                               ;   in Loop: Header=BB118_31 Depth=1
	v_lshl_add_u32 v2, s93, 9, v37
	s_mov_b32 s7, 0
	v_pk_mov_b32 v[6:7], 0, 0
.LBB118_94:                             ;   Parent Loop BB118_31 Depth=1
                                        ; =>  This Inner Loop Header: Depth=2
	ds_read2_b64 v[10:13], v2 offset1:4
	ds_read2_b64 v[14:17], v2 offset0:8 offset1:12
	ds_read2_b64 v[24:27], v2 offset0:16 offset1:20
	;; [unrolled: 1-line block ×3, first 2 shown]
	s_add_i32 s7, s7, 8
	s_waitcnt lgkmcnt(3)
	v_add_co_u32_e32 v4, vcc, v10, v6
	v_addc_co_u32_e32 v6, vcc, v11, v7, vcc
	v_add_co_u32_e32 v4, vcc, v12, v4
	v_addc_co_u32_e32 v6, vcc, v13, v6, vcc
	s_waitcnt lgkmcnt(2)
	v_add_co_u32_e32 v4, vcc, v14, v4
	v_addc_co_u32_e32 v6, vcc, v15, v6, vcc
	v_add_co_u32_e32 v4, vcc, v16, v4
	v_addc_co_u32_e32 v6, vcc, v17, v6, vcc
	;; [unrolled: 5-line block ×3, first 2 shown]
	s_waitcnt lgkmcnt(0)
	v_add_co_u32_e32 v4, vcc, v40, v4
	v_addc_co_u32_e32 v7, vcc, v41, v6, vcc
	v_add_co_u32_e32 v6, vcc, v42, v4
	v_add_u32_e32 v2, 0x100, v2
	s_cmp_eq_u32 s0, s7
	v_addc_co_u32_e32 v7, vcc, v43, v7, vcc
	s_cbranch_scc0 .LBB118_94
; %bb.95:                               ;   in Loop: Header=BB118_31 Depth=1
	s_mov_b32 s7, s0
	s_branch .LBB118_98
.LBB118_96:                             ;   in Loop: Header=BB118_31 Depth=1
                                        ; implicit-def: $vgpr6_vgpr7
	s_branch .LBB118_64
.LBB118_97:                             ;   in Loop: Header=BB118_31 Depth=1
	s_mov_b32 s7, 0
	v_pk_mov_b32 v[6:7], 0, 0
.LBB118_98:                             ;   in Loop: Header=BB118_31 Depth=1
	v_readlane_b32 s8, v50, 49
	v_readlane_b32 s9, v50, 50
	s_andn2_b64 vcc, exec, s[8:9]
	s_cbranch_vccnz .LBB118_101
; %bb.99:                               ;   in Loop: Header=BB118_31 Depth=1
	s_lshl_b32 s8, s93, 9
	s_lshl_b32 s7, s7, 5
	s_add_i32 s8, s8, s7
	v_add_u32_e32 v2, s8, v37
	v_readlane_b32 s7, v50, 48
.LBB118_100:                            ;   Parent Loop BB118_31 Depth=1
                                        ; =>  This Inner Loop Header: Depth=2
	ds_read_b64 v[10:11], v2
	s_add_i32 s7, s7, -1
	v_add_u32_e32 v2, 32, v2
	s_cmp_lg_u32 s7, 0
	s_waitcnt lgkmcnt(0)
	v_add_co_u32_e32 v6, vcc, v10, v6
	v_addc_co_u32_e32 v7, vcc, v11, v7, vcc
	s_cbranch_scc1 .LBB118_100
.LBB118_101:                            ;   in Loop: Header=BB118_31 Depth=1
	v_add_lshl_u32 v2, s6, v30, 3
	ds_write_b64 v2, v[6:7] offset:3072
.LBB118_102:                            ;   in Loop: Header=BB118_31 Depth=1
	s_or_b64 exec, exec, s[2:3]
	s_lshl_b32 s2, s6, 3
	v_mov_b32_e32 v2, s2
	s_waitcnt lgkmcnt(0)
	s_barrier
	ds_read_b128 v[10:13], v2 offset:3072
	ds_read_b128 v[14:17], v2 offset:3088
	s_and_b32 s44, s92, 0xfe
	s_lshl_b64 s[12:13], 3, s44
	s_not_b64 s[20:21], s[12:13]
	s_waitcnt lgkmcnt(1)
	v_readfirstlane_b32 s17, v11
	v_readfirstlane_b32 s16, v10
	s_cmp_eq_u64 s[16:17], 1
	s_cselect_b64 s[2:3], -1, 0
	s_cmp_eq_u64 s[94:95], 1
	s_cselect_b64 s[6:7], -1, 0
	s_and_b64 s[24:25], s[2:3], s[6:7]
	v_readfirstlane_b32 s34, v12
	v_readfirstlane_b32 s35, v13
	s_waitcnt lgkmcnt(0)
	v_readfirstlane_b32 s18, v14
	v_readfirstlane_b32 s19, v15
	;; [unrolled: 1-line block ×4, first 2 shown]
	s_mov_b64 s[22:23], -1
	s_and_b64 vcc, exec, s[24:25]
	s_cbranch_vccz .LBB118_117
; %bb.103:                              ;   in Loop: Header=BB118_31 Depth=1
	s_waitcnt vmcnt(0)
	ds_read_b64 v[6:7], v3 offset:5120
	s_waitcnt lgkmcnt(0)
	s_barrier
	v_readfirstlane_b32 s2, v6
	v_readfirstlane_b32 s3, v7
	s_mov_b64 s[6:7], exec
	v_readlane_b32 s8, v50, 38
	v_readlane_b32 s9, v50, 39
	s_and_b64 s[8:9], s[6:7], s[8:9]
	s_mov_b64 exec, s[8:9]
	s_cbranch_execz .LBB118_105
; %bb.104:                              ;   in Loop: Header=BB118_31 Depth=1
	v_mov_b32_e32 v2, v3
	ds_write_b64 v32, v[2:3]
.LBB118_105:                            ;   in Loop: Header=BB118_31 Depth=1
	s_or_b64 exec, exec, s[6:7]
	s_and_b64 s[60:61], s[60:61], s[20:21]
	s_or_b64 s[72:73], s[72:73], s[12:13]
	s_cmp_eq_u64 s[2:3], 0
	s_waitcnt lgkmcnt(0)
	s_barrier
	s_cbranch_scc1 .LBB118_118
; %bb.106:                              ;   in Loop: Header=BB118_31 Depth=1
	v_readlane_b32 s6, v50, 44
	s_add_u32 s14, s6, s2
	v_readlane_b32 s6, v50, 45
	s_addc_u32 s7, s6, s3
	s_mov_b32 s6, s91
	s_cmp_lg_u64 s[6:7], 0
	s_cbranch_scc0 .LBB118_163
; %bb.107:                              ;   in Loop: Header=BB118_31 Depth=1
	v_cvt_f32_u32_e32 v2, s85
	s_sub_u32 s6, 0, s85
	s_subb_u32 s8, 0, 0
	v_mac_f32_e32 v2, 0, v38
	v_rcp_f32_e32 v2, v2
	v_mul_f32_e32 v2, 0x5f7ffffc, v2
	v_mul_f32_e32 v4, 0x2f800000, v2
	v_trunc_f32_e32 v4, v4
	v_mac_f32_e32 v2, 0xcf800000, v4
	v_cvt_u32_f32_e32 v4, v4
	v_cvt_u32_f32_e32 v2, v2
	v_readfirstlane_b32 s9, v4
	v_readfirstlane_b32 s15, v2
	s_mul_i32 s28, s6, s9
	s_mul_hi_u32 s30, s6, s15
	s_mul_i32 s29, s8, s15
	s_add_i32 s28, s30, s28
	s_mul_i32 s31, s6, s15
	s_add_i32 s28, s28, s29
	s_mul_hi_u32 s30, s15, s31
	s_mul_hi_u32 s29, s15, s28
	s_mul_i32 s15, s15, s28
	s_add_u32 s15, s30, s15
	s_addc_u32 s29, 0, s29
	s_mul_hi_u32 s36, s9, s31
	s_mul_i32 s31, s9, s31
	s_add_u32 s15, s15, s31
	s_mul_hi_u32 s30, s9, s28
	s_addc_u32 s15, s29, s36
	s_addc_u32 s29, s30, 0
	s_mul_i32 s28, s9, s28
	s_add_u32 s15, s15, s28
	s_addc_u32 s28, 0, s29
	v_add_co_u32_e32 v2, vcc, s15, v2
	s_cmp_lg_u64 vcc, 0
	s_addc_u32 s9, s9, s28
	v_readfirstlane_b32 s28, v2
	s_mul_i32 s15, s6, s9
	s_mul_hi_u32 s29, s6, s28
	s_add_i32 s15, s29, s15
	s_mul_i32 s8, s8, s28
	s_add_i32 s15, s15, s8
	s_mul_i32 s6, s6, s28
	s_mul_hi_u32 s29, s9, s6
	s_mul_i32 s30, s9, s6
	s_mul_i32 s36, s28, s15
	s_mul_hi_u32 s6, s28, s6
	s_mul_hi_u32 s31, s28, s15
	s_add_u32 s6, s6, s36
	s_addc_u32 s28, 0, s31
	s_add_u32 s6, s6, s30
	s_mul_hi_u32 s8, s9, s15
	s_addc_u32 s6, s28, s29
	s_addc_u32 s8, s8, 0
	s_mul_i32 s15, s9, s15
	s_add_u32 s6, s6, s15
	s_addc_u32 s8, 0, s8
	v_add_co_u32_e32 v2, vcc, s6, v2
	s_cmp_lg_u64 vcc, 0
	s_addc_u32 s6, s9, s8
	v_readfirstlane_b32 s15, v2
	s_mul_i32 s9, s14, s6
	s_mul_hi_u32 s28, s14, s15
	s_mul_hi_u32 s8, s14, s6
	s_add_u32 s9, s28, s9
	s_addc_u32 s8, 0, s8
	s_mul_hi_u32 s29, s7, s15
	s_mul_i32 s15, s7, s15
	s_add_u32 s9, s9, s15
	s_mul_hi_u32 s28, s7, s6
	s_addc_u32 s8, s8, s29
	s_addc_u32 s9, s28, 0
	s_mul_i32 s6, s7, s6
	s_add_u32 s6, s8, s6
	s_addc_u32 s8, 0, s9
	s_mul_hi_u32 s9, s85, s6
	s_mul_i32 s6, s85, s6
	s_mul_i32 s8, s85, s8
	v_mov_b32_e32 v2, s6
	s_add_i32 s9, s9, s8
	v_sub_co_u32_e32 v2, vcc, s14, v2
	s_cmp_lg_u64 vcc, 0
	s_subb_u32 s6, s7, s9
	v_subrev_co_u32_e32 v4, vcc, s85, v2
	s_cmp_lg_u64 vcc, 0
	s_subb_u32 s8, s6, 0
	v_subrev_co_u32_e32 v6, vcc, s85, v4
	s_cmp_lg_u64 vcc, 0
	s_subb_u32 s9, s8, 0
	v_cmp_le_u32_e32 vcc, s85, v4
	s_cmp_eq_u32 s8, 0
	v_cndmask_b32_e64 v7, 0, -1, vcc
	s_cselect_b64 vcc, -1, 0
	v_cndmask_b32_e32 v7, -1, v7, vcc
	v_mov_b32_e32 v8, s8
	v_mov_b32_e32 v9, s9
	v_cmp_ne_u32_e32 vcc, 0, v7
	v_cndmask_b32_e32 v7, v8, v9, vcc
	v_cndmask_b32_e32 v4, v4, v6, vcc
	v_cmp_le_u32_e32 vcc, s85, v2
	s_cmp_eq_u32 s6, 0
	v_cndmask_b32_e64 v6, 0, -1, vcc
	s_cselect_b64 vcc, -1, 0
	v_cndmask_b32_e32 v6, -1, v6, vcc
	v_mov_b32_e32 v8, s6
	v_cmp_ne_u32_e32 vcc, 0, v6
	v_cndmask_b32_e32 v7, v8, v7, vcc
	v_cndmask_b32_e32 v6, v2, v4, vcc
	s_cbranch_execnz .LBB118_109
.LBB118_108:                            ;   in Loop: Header=BB118_31 Depth=1
	v_cvt_f32_u32_e32 v2, s85
	s_sub_i32 s6, 0, s85
	v_rcp_iflag_f32_e32 v2, v2
	v_mul_f32_e32 v2, 0x4f7ffffe, v2
	v_cvt_u32_f32_e32 v2, v2
	v_mul_lo_u32 v4, s6, v2
	v_mul_hi_u32 v4, v2, v4
	v_add_u32_e32 v2, v2, v4
	v_mul_hi_u32 v2, s14, v2
	v_mul_lo_u32 v2, v2, s85
	v_sub_u32_e32 v2, s14, v2
	v_subrev_u32_e32 v4, s85, v2
	v_cmp_le_u32_e32 vcc, s85, v2
	v_cndmask_b32_e32 v2, v2, v4, vcc
	v_subrev_u32_e32 v4, s85, v2
	v_cmp_le_u32_e32 vcc, s85, v2
	v_cndmask_b32_e32 v2, v2, v4, vcc
	v_pk_mov_b32 v[6:7], v[2:3], v[2:3] op_sel:[0,1]
.LBB118_109:                            ;   in Loop: Header=BB118_31 Depth=1
	v_mov_b32_e32 v2, s7
	v_sub_co_u32_e32 v10, vcc, s14, v6
	v_subb_co_u32_e32 v11, vcc, v2, v7, vcc
	v_cmp_gt_u64_e32 vcc, v[10:11], v[0:1]
	s_mov_b64 s[6:7], 0
                                        ; implicit-def: $vgpr8_vgpr9
	s_and_saveexec_b64 s[8:9], vcc
	s_cbranch_execz .LBB118_120
; %bb.110:                              ;   in Loop: Header=BB118_31 Depth=1
	s_mov_b64 s[28:29], 0
	v_mov_b32_e32 v2, v31
	v_pk_mov_b32 v[12:13], v[0:1], v[0:1] op_sel:[0,1]
                                        ; implicit-def: $sgpr14_sgpr15
	s_branch .LBB118_112
.LBB118_111:                            ;   in Loop: Header=BB118_112 Depth=2
	s_or_b64 exec, exec, s[6:7]
	s_waitcnt lgkmcnt(0)
	s_barrier
	ds_read_b128 v[6:9], v3 offset:3072
	v_mov_b32_e32 v4, s26
	v_add_co_u32_e64 v12, s[6:7], s85, v12
	v_addc_co_u32_e64 v13, s[6:7], v13, v4, s[6:7]
	s_waitcnt lgkmcnt(0)
	v_cmp_neq_f64_e32 vcc, 0, v[6:7]
	v_cmp_ge_u64_e64 s[6:7], v[12:13], v[10:11]
	s_or_b64 s[6:7], s[6:7], vcc
	s_and_b64 s[6:7], exec, s[6:7]
	s_or_b64 s[28:29], s[6:7], s[28:29]
	s_andn2_b64 s[6:7], s[14:15], exec
	s_and_b64 s[14:15], vcc, exec
	v_add_u32_e32 v2, s1, v2
	s_or_b64 s[14:15], s[6:7], s[14:15]
	s_barrier
	s_andn2_b64 exec, exec, s[28:29]
	s_cbranch_execz .LBB118_119
.LBB118_112:                            ;   Parent Loop BB118_31 Depth=1
                                        ; =>  This Inner Loop Header: Depth=2
	v_cmp_gt_u64_e32 vcc, s[2:3], v[12:13]
	v_pk_mov_b32 v[6:7], 0, 0
	s_and_saveexec_b64 s[6:7], vcc
	s_cbranch_execz .LBB118_114
; %bb.113:                              ;   in Loop: Header=BB118_112 Depth=2
	ds_read_b64 v[6:7], v2
.LBB118_114:                            ;   in Loop: Header=BB118_112 Depth=2
	s_or_b64 exec, exec, s[6:7]
	s_and_saveexec_b64 s[6:7], vcc
	s_cbranch_execz .LBB118_111
; %bb.115:                              ;   in Loop: Header=BB118_112 Depth=2
	s_waitcnt lgkmcnt(0)
	v_ashrrev_i32_e32 v4, 31, v7
	v_or_b32_e32 v8, 0x80000000, v4
	v_xor_b32_e32 v8, v8, v7
	v_xor_b32_e32 v4, v4, v6
	v_cmp_o_f64_e32 vcc, v[6:7], v[6:7]
	v_cndmask_b32_e32 v8, -1, v8, vcc
	v_cndmask_b32_e32 v4, -1, v4, vcc
	v_and_b32_e32 v9, s73, v8
	v_and_b32_e32 v8, s72, v4
	v_cmp_eq_u64_e32 vcc, s[60:61], v[8:9]
	s_and_b64 exec, exec, vcc
	s_cbranch_execz .LBB118_111
; %bb.116:                              ;   in Loop: Header=BB118_112 Depth=2
	v_mov_b32_e32 v4, v3
	ds_write_b128 v3, v[4:7] offset:3072
	s_branch .LBB118_111
.LBB118_117:                            ;   in Loop: Header=BB118_31 Depth=1
	s_mov_b64 s[6:7], -1
                                        ; implicit-def: $sgpr2_sgpr3
                                        ; implicit-def: $sgpr14_sgpr15
                                        ; implicit-def: $sgpr8_sgpr9
	s_branch .LBB118_134
.LBB118_118:                            ;   in Loop: Header=BB118_31 Depth=1
	s_mov_b64 s[2:3], -1
	s_mov_b64 s[6:7], 0
                                        ; implicit-def: $sgpr8_sgpr9
                                        ; implicit-def: $vgpr8_vgpr9
	s_mov_b64 s[14:15], s[2:3]
	s_cbranch_execnz .LBB118_121
	s_branch .LBB118_134
.LBB118_119:                            ;   in Loop: Header=BB118_31 Depth=1
	s_or_b64 exec, exec, s[28:29]
	s_and_b64 s[6:7], s[14:15], exec
.LBB118_120:                            ;   in Loop: Header=BB118_31 Depth=1
	s_or_b64 exec, exec, s[8:9]
	s_mov_b64 s[8:9], -1
	s_mov_b64 s[2:3], 0
	s_mov_b64 s[14:15], s[2:3]
	s_branch .LBB118_134
.LBB118_121:                            ;   in Loop: Header=BB118_31 Depth=1
	s_mov_b32 s82, s91
	s_cmp_lg_u64 s[82:83], 0
	s_cbranch_scc0 .LBB118_167
; %bb.122:                              ;   in Loop: Header=BB118_31 Depth=1
	v_cvt_f32_u32_e32 v2, s85
	s_sub_u32 s2, 0, s85
	s_subb_u32 s3, 0, 0
	v_mac_f32_e32 v2, 0, v38
	v_rcp_f32_e32 v2, v2
	v_mul_f32_e32 v2, 0x5f7ffffc, v2
	v_mul_f32_e32 v4, 0x2f800000, v2
	v_trunc_f32_e32 v4, v4
	v_mac_f32_e32 v2, 0xcf800000, v4
	v_cvt_u32_f32_e32 v4, v4
	v_cvt_u32_f32_e32 v2, v2
	v_readfirstlane_b32 s6, v4
	v_readfirstlane_b32 s7, v2
	s_mul_i32 s8, s2, s6
	s_mul_hi_u32 s14, s2, s7
	s_mul_i32 s9, s3, s7
	s_add_i32 s8, s14, s8
	s_mul_i32 s15, s2, s7
	s_add_i32 s8, s8, s9
	s_mul_hi_u32 s14, s7, s15
	s_mul_hi_u32 s9, s7, s8
	s_mul_i32 s7, s7, s8
	s_add_u32 s7, s14, s7
	s_addc_u32 s9, 0, s9
	s_mul_hi_u32 s28, s6, s15
	s_mul_i32 s15, s6, s15
	s_add_u32 s7, s7, s15
	s_mul_hi_u32 s14, s6, s8
	s_addc_u32 s7, s9, s28
	s_addc_u32 s9, s14, 0
	s_mul_i32 s8, s6, s8
	s_add_u32 s7, s7, s8
	s_addc_u32 s8, 0, s9
	v_add_co_u32_e32 v2, vcc, s7, v2
	s_cmp_lg_u64 vcc, 0
	s_addc_u32 s6, s6, s8
	v_readfirstlane_b32 s8, v2
	s_mul_i32 s7, s2, s6
	s_mul_hi_u32 s9, s2, s8
	s_add_i32 s7, s9, s7
	s_mul_i32 s3, s3, s8
	s_add_i32 s7, s7, s3
	s_mul_i32 s2, s2, s8
	s_mul_hi_u32 s9, s6, s2
	s_mul_i32 s14, s6, s2
	s_mul_i32 s28, s8, s7
	s_mul_hi_u32 s2, s8, s2
	s_mul_hi_u32 s15, s8, s7
	s_add_u32 s2, s2, s28
	s_addc_u32 s8, 0, s15
	s_add_u32 s2, s2, s14
	s_mul_hi_u32 s3, s6, s7
	s_addc_u32 s2, s8, s9
	s_addc_u32 s3, s3, 0
	s_mul_i32 s7, s6, s7
	s_add_u32 s2, s2, s7
	s_addc_u32 s3, 0, s3
	v_add_co_u32_e32 v2, vcc, s2, v2
	s_cmp_lg_u64 vcc, 0
	s_addc_u32 s2, s6, s3
	v_readfirstlane_b32 s7, v2
	s_mul_i32 s6, s27, s2
	s_mul_hi_u32 s8, s27, s7
	s_mul_hi_u32 s3, s27, s2
	s_add_u32 s6, s8, s6
	s_addc_u32 s3, 0, s3
	s_mul_hi_u32 s9, s83, s7
	s_mul_i32 s7, s83, s7
	s_add_u32 s6, s6, s7
	s_mul_hi_u32 s8, s83, s2
	s_addc_u32 s3, s3, s9
	s_addc_u32 s6, s8, 0
	s_mul_i32 s2, s83, s2
	s_add_u32 s2, s3, s2
	s_addc_u32 s3, 0, s6
	s_mul_hi_u32 s6, s85, s2
	s_mul_i32 s2, s85, s2
	s_mul_i32 s3, s85, s3
	v_mov_b32_e32 v2, s2
	s_add_i32 s6, s6, s3
	v_sub_co_u32_e32 v2, vcc, s27, v2
	s_cmp_lg_u64 vcc, 0
	s_subb_u32 s2, s83, s6
	v_subrev_co_u32_e32 v4, vcc, s85, v2
	s_cmp_lg_u64 vcc, 0
	s_subb_u32 s3, s2, 0
	v_subrev_co_u32_e32 v6, vcc, s85, v4
	s_cmp_lg_u64 vcc, 0
	s_subb_u32 s6, s3, 0
	v_cmp_le_u32_e32 vcc, s85, v4
	s_cmp_eq_u32 s3, 0
	v_cndmask_b32_e64 v7, 0, -1, vcc
	s_cselect_b64 vcc, -1, 0
	v_cndmask_b32_e32 v7, -1, v7, vcc
	v_mov_b32_e32 v8, s3
	v_mov_b32_e32 v9, s6
	v_cmp_ne_u32_e32 vcc, 0, v7
	v_cndmask_b32_e32 v7, v8, v9, vcc
	v_cndmask_b32_e32 v4, v4, v6, vcc
	v_cmp_le_u32_e32 vcc, s85, v2
	s_cmp_eq_u32 s2, 0
	v_cndmask_b32_e64 v6, 0, -1, vcc
	s_cselect_b64 vcc, -1, 0
	v_cndmask_b32_e32 v6, -1, v6, vcc
	v_mov_b32_e32 v8, s2
	v_cmp_ne_u32_e32 vcc, 0, v6
	v_cndmask_b32_e32 v7, v8, v7, vcc
	v_cndmask_b32_e32 v6, v2, v4, vcc
	s_cbranch_execnz .LBB118_124
.LBB118_123:                            ;   in Loop: Header=BB118_31 Depth=1
	v_cvt_f32_u32_e32 v2, s85
	s_sub_i32 s2, 0, s85
	v_rcp_iflag_f32_e32 v2, v2
	v_mul_f32_e32 v2, 0x4f7ffffe, v2
	v_cvt_u32_f32_e32 v2, v2
	v_mul_lo_u32 v4, s2, v2
	v_mul_hi_u32 v4, v2, v4
	v_add_u32_e32 v2, v2, v4
	v_mul_hi_u32 v2, s27, v2
	v_mul_lo_u32 v2, v2, s85
	v_sub_u32_e32 v2, s27, v2
	v_subrev_u32_e32 v4, s85, v2
	v_cmp_le_u32_e32 vcc, s85, v2
	v_cndmask_b32_e32 v2, v2, v4, vcc
	v_subrev_u32_e32 v4, s85, v2
	v_cmp_le_u32_e32 vcc, s85, v2
	v_cndmask_b32_e32 v2, v2, v4, vcc
	v_pk_mov_b32 v[6:7], v[2:3], v[2:3] op_sel:[0,1]
.LBB118_124:                            ;   in Loop: Header=BB118_31 Depth=1
	v_mov_b32_e32 v2, s83
	v_sub_co_u32_e32 v10, vcc, s27, v6
	v_subb_co_u32_e32 v11, vcc, v2, v7, vcc
	v_cmp_gt_u64_e32 vcc, v[10:11], v[0:1]
	s_mov_b64 s[6:7], 0
                                        ; implicit-def: $vgpr8_vgpr9
	s_and_saveexec_b64 s[2:3], vcc
	s_cbranch_execz .LBB118_133
; %bb.125:                              ;   in Loop: Header=BB118_31 Depth=1
	s_mov_b64 s[14:15], 0
	v_pk_mov_b32 v[12:13], v[0:1], v[0:1] op_sel:[0,1]
                                        ; implicit-def: $sgpr8_sgpr9
	s_branch .LBB118_127
.LBB118_126:                            ;   in Loop: Header=BB118_127 Depth=2
	s_or_b64 exec, exec, s[6:7]
	s_waitcnt lgkmcnt(0)
	s_barrier
	s_waitcnt vmcnt(0)
	ds_read_b128 v[6:9], v3 offset:3072
	v_mov_b32_e32 v2, s26
	v_add_co_u32_e64 v12, s[6:7], s85, v12
	v_addc_co_u32_e64 v13, s[6:7], v13, v2, s[6:7]
	s_waitcnt lgkmcnt(0)
	v_cmp_neq_f64_e32 vcc, 0, v[6:7]
	v_cmp_ge_u64_e64 s[6:7], v[12:13], v[10:11]
	s_or_b64 s[6:7], s[6:7], vcc
	s_and_b64 s[6:7], exec, s[6:7]
	s_or_b64 s[14:15], s[6:7], s[14:15]
	s_andn2_b64 s[6:7], s[8:9], exec
	s_and_b64 s[8:9], vcc, exec
	s_or_b64 s[8:9], s[6:7], s[8:9]
	s_barrier
	s_andn2_b64 exec, exec, s[14:15]
	s_cbranch_execz .LBB118_132
.LBB118_127:                            ;   Parent Loop BB118_31 Depth=1
                                        ; =>  This Inner Loop Header: Depth=2
	v_cmp_gt_u64_e32 vcc, s[52:53], v[12:13]
	v_pk_mov_b32 v[6:7], 0, 0
	s_and_saveexec_b64 s[28:29], vcc
	s_cbranch_execz .LBB118_129
; %bb.128:                              ;   in Loop: Header=BB118_127 Depth=2
	v_mul_lo_u32 v2, v13, s76
	v_mul_lo_u32 v4, v12, s77
	v_mad_u64_u32 v[6:7], s[6:7], v12, s76, 0
	v_add3_u32 v7, v7, v4, v2
	v_lshlrev_b64 v[6:7], 3, v[6:7]
	v_mov_b32_e32 v2, s84
	v_add_co_u32_e64 v6, s[6:7], s33, v6
	v_addc_co_u32_e64 v7, s[6:7], v2, v7, s[6:7]
	global_load_dwordx2 v[6:7], v[6:7], off
.LBB118_129:                            ;   in Loop: Header=BB118_127 Depth=2
	s_or_b64 exec, exec, s[28:29]
	s_and_saveexec_b64 s[6:7], vcc
	s_cbranch_execz .LBB118_126
; %bb.130:                              ;   in Loop: Header=BB118_127 Depth=2
	s_waitcnt vmcnt(0)
	v_ashrrev_i32_e32 v2, 31, v7
	v_or_b32_e32 v4, 0x80000000, v2
	v_xor_b32_e32 v4, v4, v7
	v_xor_b32_e32 v2, v2, v6
	v_cmp_o_f64_e32 vcc, v[6:7], v[6:7]
	v_cndmask_b32_e32 v4, -1, v4, vcc
	v_cndmask_b32_e32 v2, -1, v2, vcc
	v_and_b32_e32 v9, s73, v4
	v_and_b32_e32 v8, s72, v2
	v_cmp_eq_u64_e32 vcc, s[60:61], v[8:9]
	s_and_b64 exec, exec, vcc
	s_cbranch_execz .LBB118_126
; %bb.131:                              ;   in Loop: Header=BB118_127 Depth=2
	v_mov_b32_e32 v4, v3
	ds_write_b128 v3, v[4:7] offset:3072
	s_branch .LBB118_126
.LBB118_132:                            ;   in Loop: Header=BB118_31 Depth=1
	s_or_b64 exec, exec, s[14:15]
	s_and_b64 s[6:7], s[8:9], exec
.LBB118_133:                            ;   in Loop: Header=BB118_31 Depth=1
	s_or_b64 exec, exec, s[2:3]
	s_mov_b64 s[14:15], -1
	s_mov_b64 s[2:3], 0
	s_mov_b64 s[8:9], 0
.LBB118_134:                            ;   in Loop: Header=BB118_31 Depth=1
	s_andn2_b64 s[28:29], s[58:59], exec
	s_and_b64 s[2:3], s[2:3], exec
	s_or_b64 s[58:59], s[28:29], s[2:3]
	s_andn2_b64 s[2:3], s[56:57], exec
	s_and_b64 s[14:15], s[14:15], exec
	s_or_b64 s[56:57], s[2:3], s[14:15]
	;; [unrolled: 3-line block ×3, first 2 shown]
	s_and_saveexec_b64 s[14:15], s[6:7]
	s_cbranch_execz .LBB118_30
; %bb.135:                              ;   in Loop: Header=BB118_31 Depth=1
	s_xor_b64 s[2:3], s[24:25], -1
	s_andn2_b64 vcc, exec, s[2:3]
	s_mov_b32 s48, 1
	s_cbranch_vccnz .LBB118_146
; %bb.136:                              ;   in Loop: Header=BB118_31 Depth=1
	s_waitcnt vmcnt(0)
	v_pk_mov_b32 v[6:7], s[16:17], s[16:17] op_sel:[0,1]
	v_cmp_gt_u64_e32 vcc, s[94:95], v[6:7]
	s_mov_b64 s[2:3], -1
                                        ; implicit-def: $sgpr48
                                        ; implicit-def: $sgpr6_sgpr7
                                        ; implicit-def: $sgpr8_sgpr9
	s_cbranch_vccnz .LBB118_142
; %bb.137:                              ;   in Loop: Header=BB118_31 Depth=1
	ds_read_b64 v[6:7], v3 offset:5120
	s_waitcnt lgkmcnt(0)
	v_cmp_ne_u64_e32 vcc, 0, v[6:7]
	s_cbranch_vccnz .LBB118_141
; %bb.138:                              ;   in Loop: Header=BB118_31 Depth=1
	s_mov_b64 s[2:3], exec
	v_readlane_b32 s6, v50, 36
	v_readlane_b32 s7, v50, 37
	s_and_b64 s[6:7], s[2:3], s[6:7]
	s_mov_b64 exec, s[6:7]
	s_cbranch_execz .LBB118_140
; %bb.139:                              ;   in Loop: Header=BB118_31 Depth=1
	v_pk_mov_b32 v[6:7], s[16:17], s[16:17] op_sel:[0,1]
	ds_write_b64 v3, v[6:7] offset:5128
.LBB118_140:                            ;   in Loop: Header=BB118_31 Depth=1
	s_or_b64 exec, exec, s[2:3]
	s_waitcnt lgkmcnt(0)
	s_barrier
.LBB118_141:                            ;   in Loop: Header=BB118_31 Depth=1
	s_and_b64 s[6:7], s[60:61], s[20:21]
	s_or_b64 s[8:9], s[72:73], s[12:13]
	s_mov_b64 s[2:3], 0
	s_mov_b32 s48, 8
.LBB118_142:                            ;   in Loop: Header=BB118_31 Depth=1
	s_andn2_b64 vcc, exec, s[2:3]
	s_cbranch_vccnz .LBB118_144
; %bb.143:                              ;   in Loop: Header=BB118_31 Depth=1
	s_sub_u32 s94, s94, s16
	s_subb_u32 s95, s95, s17
	s_mov_b64 s[2:3], -1
	s_mov_b32 s48, 0
	s_mov_b64 s[6:7], s[60:61]
	s_mov_b64 s[8:9], s[72:73]
.LBB118_144:                            ;   in Loop: Header=BB118_31 Depth=1
	s_mov_b64 s[72:73], s[8:9]
	s_mov_b64 s[60:61], s[6:7]
	s_mov_b64 s[16:17], -1
	s_and_b64 vcc, exec, s[2:3]
	s_cbranch_vccnz .LBB118_147
.LBB118_145:                            ;   in Loop: Header=BB118_31 Depth=1
	s_mov_b64 s[2:3], -1
                                        ; implicit-def: $sgpr22_sgpr23
                                        ; implicit-def: $sgpr28_sgpr29
                                        ; implicit-def: $sgpr24_sgpr25
	s_and_saveexec_b64 s[6:7], s[2:3]
	s_xor_b64 s[2:3], exec, s[6:7]
	s_cbranch_execz .LBB118_29
	s_branch .LBB118_296
.LBB118_146:                            ;   in Loop: Header=BB118_31 Depth=1
	s_mov_b64 s[94:95], 1
	s_mov_b64 s[16:17], -1
	s_branch .LBB118_145
.LBB118_147:                            ;   in Loop: Header=BB118_31 Depth=1
	s_cmp_eq_u64 s[34:35], 1
	s_cselect_b64 s[2:3], -1, 0
	s_cmp_eq_u64 s[94:95], 1
	s_cselect_b64 s[6:7], -1, 0
	s_and_b64 s[36:37], s[2:3], s[6:7]
	s_mov_b64 s[6:7], -1
	s_and_b64 vcc, exec, s[36:37]
	s_cbranch_vccz .LBB118_162
; %bb.148:                              ;   in Loop: Header=BB118_31 Depth=1
	s_waitcnt vmcnt(0)
	ds_read_b64 v[6:7], v3 offset:5120
	s_waitcnt lgkmcnt(0)
	s_barrier
	v_readfirstlane_b32 s2, v6
	v_readfirstlane_b32 s3, v7
	s_mov_b64 s[6:7], exec
	v_readlane_b32 s8, v50, 38
	v_readlane_b32 s9, v50, 39
	s_and_b64 s[8:9], s[6:7], s[8:9]
	s_mov_b64 exec, s[8:9]
	s_cbranch_execz .LBB118_150
; %bb.149:                              ;   in Loop: Header=BB118_31 Depth=1
	v_mov_b32_e32 v2, v3
	ds_write_b64 v32, v[2:3]
.LBB118_150:                            ;   in Loop: Header=BB118_31 Depth=1
	s_or_b64 exec, exec, s[6:7]
	s_lshl_b64 s[6:7], 1, s44
	s_and_b64 s[8:9], s[60:61], s[20:21]
	s_or_b64 s[60:61], s[8:9], s[6:7]
	s_or_b64 s[72:73], s[72:73], s[12:13]
	s_cmp_eq_u64 s[2:3], 0
	s_waitcnt lgkmcnt(0)
	s_barrier
	s_cbranch_scc1 .LBB118_168
; %bb.151:                              ;   in Loop: Header=BB118_31 Depth=1
	v_readlane_b32 s6, v50, 44
	s_add_u32 s22, s6, s2
	v_readlane_b32 s6, v50, 45
	s_addc_u32 s7, s6, s3
	s_mov_b32 s6, s91
	s_cmp_lg_u64 s[6:7], 0
	s_cbranch_scc0 .LBB118_213
; %bb.152:                              ;   in Loop: Header=BB118_31 Depth=1
	v_cvt_f32_u32_e32 v2, s85
	s_sub_u32 s6, 0, s85
	s_subb_u32 s8, 0, 0
	v_mac_f32_e32 v2, 0, v38
	v_rcp_f32_e32 v2, v2
	v_mul_f32_e32 v2, 0x5f7ffffc, v2
	v_mul_f32_e32 v4, 0x2f800000, v2
	v_trunc_f32_e32 v4, v4
	v_mac_f32_e32 v2, 0xcf800000, v4
	v_cvt_u32_f32_e32 v4, v4
	v_cvt_u32_f32_e32 v2, v2
	v_readfirstlane_b32 s9, v4
	v_readfirstlane_b32 s23, v2
	s_mul_i32 s24, s6, s9
	s_mul_hi_u32 s28, s6, s23
	s_mul_i32 s25, s8, s23
	s_add_i32 s24, s28, s24
	s_mul_i32 s29, s6, s23
	s_add_i32 s24, s24, s25
	s_mul_hi_u32 s28, s23, s29
	s_mul_hi_u32 s25, s23, s24
	s_mul_i32 s23, s23, s24
	s_add_u32 s23, s28, s23
	s_addc_u32 s25, 0, s25
	s_mul_hi_u32 s30, s9, s29
	s_mul_i32 s29, s9, s29
	s_add_u32 s23, s23, s29
	s_mul_hi_u32 s28, s9, s24
	s_addc_u32 s23, s25, s30
	s_addc_u32 s25, s28, 0
	s_mul_i32 s24, s9, s24
	s_add_u32 s23, s23, s24
	s_addc_u32 s24, 0, s25
	v_add_co_u32_e32 v2, vcc, s23, v2
	s_cmp_lg_u64 vcc, 0
	s_addc_u32 s9, s9, s24
	v_readfirstlane_b32 s24, v2
	s_mul_i32 s23, s6, s9
	s_mul_hi_u32 s25, s6, s24
	s_add_i32 s23, s25, s23
	s_mul_i32 s8, s8, s24
	s_add_i32 s23, s23, s8
	s_mul_i32 s6, s6, s24
	s_mul_hi_u32 s25, s9, s6
	s_mul_i32 s28, s9, s6
	s_mul_i32 s30, s24, s23
	s_mul_hi_u32 s6, s24, s6
	s_mul_hi_u32 s29, s24, s23
	s_add_u32 s6, s6, s30
	s_addc_u32 s24, 0, s29
	s_add_u32 s6, s6, s28
	s_mul_hi_u32 s8, s9, s23
	s_addc_u32 s6, s24, s25
	s_addc_u32 s8, s8, 0
	s_mul_i32 s23, s9, s23
	s_add_u32 s6, s6, s23
	s_addc_u32 s8, 0, s8
	v_add_co_u32_e32 v2, vcc, s6, v2
	s_cmp_lg_u64 vcc, 0
	s_addc_u32 s6, s9, s8
	v_readfirstlane_b32 s23, v2
	s_mul_i32 s9, s22, s6
	s_mul_hi_u32 s24, s22, s23
	s_mul_hi_u32 s8, s22, s6
	s_add_u32 s9, s24, s9
	s_addc_u32 s8, 0, s8
	s_mul_hi_u32 s25, s7, s23
	s_mul_i32 s23, s7, s23
	s_add_u32 s9, s9, s23
	s_mul_hi_u32 s24, s7, s6
	s_addc_u32 s8, s8, s25
	s_addc_u32 s9, s24, 0
	s_mul_i32 s6, s7, s6
	s_add_u32 s6, s8, s6
	s_addc_u32 s8, 0, s9
	s_mul_hi_u32 s9, s85, s6
	s_mul_i32 s6, s85, s6
	s_mul_i32 s8, s85, s8
	v_mov_b32_e32 v2, s6
	s_add_i32 s9, s9, s8
	v_sub_co_u32_e32 v2, vcc, s22, v2
	s_cmp_lg_u64 vcc, 0
	s_subb_u32 s6, s7, s9
	v_subrev_co_u32_e32 v4, vcc, s85, v2
	s_cmp_lg_u64 vcc, 0
	s_subb_u32 s8, s6, 0
	v_subrev_co_u32_e32 v6, vcc, s85, v4
	s_cmp_lg_u64 vcc, 0
	s_subb_u32 s9, s8, 0
	v_cmp_le_u32_e32 vcc, s85, v4
	s_cmp_eq_u32 s8, 0
	v_cndmask_b32_e64 v7, 0, -1, vcc
	s_cselect_b64 vcc, -1, 0
	v_cndmask_b32_e32 v7, -1, v7, vcc
	v_mov_b32_e32 v8, s8
	v_mov_b32_e32 v9, s9
	v_cmp_ne_u32_e32 vcc, 0, v7
	v_cndmask_b32_e32 v7, v8, v9, vcc
	v_cndmask_b32_e32 v4, v4, v6, vcc
	v_cmp_le_u32_e32 vcc, s85, v2
	s_cmp_eq_u32 s6, 0
	v_cndmask_b32_e64 v6, 0, -1, vcc
	s_cselect_b64 vcc, -1, 0
	v_cndmask_b32_e32 v6, -1, v6, vcc
	v_mov_b32_e32 v8, s6
	v_cmp_ne_u32_e32 vcc, 0, v6
	v_cndmask_b32_e32 v7, v8, v7, vcc
	v_cndmask_b32_e32 v6, v2, v4, vcc
	s_cbranch_execnz .LBB118_154
.LBB118_153:                            ;   in Loop: Header=BB118_31 Depth=1
	v_cvt_f32_u32_e32 v2, s85
	s_sub_i32 s6, 0, s85
	v_rcp_iflag_f32_e32 v2, v2
	v_mul_f32_e32 v2, 0x4f7ffffe, v2
	v_cvt_u32_f32_e32 v2, v2
	v_mul_lo_u32 v4, s6, v2
	v_mul_hi_u32 v4, v2, v4
	v_add_u32_e32 v2, v2, v4
	v_mul_hi_u32 v2, s22, v2
	v_mul_lo_u32 v2, v2, s85
	v_sub_u32_e32 v2, s22, v2
	v_subrev_u32_e32 v4, s85, v2
	v_cmp_le_u32_e32 vcc, s85, v2
	v_cndmask_b32_e32 v2, v2, v4, vcc
	v_subrev_u32_e32 v4, s85, v2
	v_cmp_le_u32_e32 vcc, s85, v2
	v_cndmask_b32_e32 v2, v2, v4, vcc
	v_pk_mov_b32 v[6:7], v[2:3], v[2:3] op_sel:[0,1]
.LBB118_154:                            ;   in Loop: Header=BB118_31 Depth=1
	v_mov_b32_e32 v2, s7
	v_sub_co_u32_e32 v10, vcc, s22, v6
	v_subb_co_u32_e32 v11, vcc, v2, v7, vcc
	v_cmp_gt_u64_e32 vcc, v[10:11], v[0:1]
	s_mov_b64 s[6:7], 0
                                        ; implicit-def: $vgpr8_vgpr9
	s_and_saveexec_b64 s[8:9], vcc
	s_cbranch_execz .LBB118_170
; %bb.155:                              ;   in Loop: Header=BB118_31 Depth=1
	s_mov_b64 s[24:25], 0
	v_mov_b32_e32 v2, v31
	v_pk_mov_b32 v[12:13], v[0:1], v[0:1] op_sel:[0,1]
                                        ; implicit-def: $sgpr22_sgpr23
	s_branch .LBB118_157
.LBB118_156:                            ;   in Loop: Header=BB118_157 Depth=2
	s_or_b64 exec, exec, s[6:7]
	s_waitcnt lgkmcnt(0)
	s_barrier
	ds_read_b128 v[6:9], v3 offset:3072
	v_mov_b32_e32 v4, s26
	v_add_co_u32_e64 v12, s[6:7], s85, v12
	v_addc_co_u32_e64 v13, s[6:7], v13, v4, s[6:7]
	s_waitcnt lgkmcnt(0)
	v_cmp_neq_f64_e32 vcc, 0, v[6:7]
	v_cmp_ge_u64_e64 s[6:7], v[12:13], v[10:11]
	s_or_b64 s[6:7], s[6:7], vcc
	s_and_b64 s[6:7], exec, s[6:7]
	s_or_b64 s[24:25], s[6:7], s[24:25]
	s_andn2_b64 s[6:7], s[22:23], exec
	s_and_b64 s[22:23], vcc, exec
	v_add_u32_e32 v2, s1, v2
	s_or_b64 s[22:23], s[6:7], s[22:23]
	s_barrier
	s_andn2_b64 exec, exec, s[24:25]
	s_cbranch_execz .LBB118_169
.LBB118_157:                            ;   Parent Loop BB118_31 Depth=1
                                        ; =>  This Inner Loop Header: Depth=2
	v_cmp_gt_u64_e32 vcc, s[2:3], v[12:13]
	v_pk_mov_b32 v[6:7], 0, 0
	s_and_saveexec_b64 s[6:7], vcc
	s_cbranch_execz .LBB118_159
; %bb.158:                              ;   in Loop: Header=BB118_157 Depth=2
	ds_read_b64 v[6:7], v2
.LBB118_159:                            ;   in Loop: Header=BB118_157 Depth=2
	s_or_b64 exec, exec, s[6:7]
	s_and_saveexec_b64 s[6:7], vcc
	s_cbranch_execz .LBB118_156
; %bb.160:                              ;   in Loop: Header=BB118_157 Depth=2
	s_waitcnt lgkmcnt(0)
	v_ashrrev_i32_e32 v4, 31, v7
	v_or_b32_e32 v8, 0x80000000, v4
	v_xor_b32_e32 v8, v8, v7
	v_xor_b32_e32 v4, v4, v6
	v_cmp_o_f64_e32 vcc, v[6:7], v[6:7]
	v_cndmask_b32_e32 v8, -1, v8, vcc
	v_cndmask_b32_e32 v4, -1, v4, vcc
	v_and_b32_e32 v9, s73, v8
	v_and_b32_e32 v8, s72, v4
	v_cmp_eq_u64_e32 vcc, s[60:61], v[8:9]
	s_and_b64 exec, exec, vcc
	s_cbranch_execz .LBB118_156
; %bb.161:                              ;   in Loop: Header=BB118_157 Depth=2
	v_mov_b32_e32 v4, v3
	ds_write_b128 v3, v[4:7] offset:3072
	s_branch .LBB118_156
.LBB118_162:                            ;   in Loop: Header=BB118_31 Depth=1
                                        ; implicit-def: $sgpr24_sgpr25
                                        ; implicit-def: $sgpr28_sgpr29
                                        ; implicit-def: $sgpr22_sgpr23
	s_branch .LBB118_184
.LBB118_163:                            ;   in Loop: Header=BB118_31 Depth=1
                                        ; implicit-def: $vgpr6_vgpr7
	s_branch .LBB118_108
.LBB118_164:                            ;   in Loop: Header=BB118_31 Depth=1
	s_or_b64 exec, exec, s[2:3]
	s_waitcnt lgkmcnt(0)
	s_barrier
	s_mov_b64 s[2:3], exec
	v_readlane_b32 s6, v50, 36
	v_readlane_b32 s7, v50, 37
	s_and_b64 s[6:7], s[2:3], s[6:7]
	s_mov_b64 exec, s[6:7]
	s_cbranch_execz .LBB118_166
; %bb.165:                              ;   in Loop: Header=BB118_31 Depth=1
	s_waitcnt vmcnt(0)
	ds_read_b32 v6, v3 offset:5144
	s_waitcnt lgkmcnt(0)
	v_ashrrev_i32_e32 v7, 31, v6
	ds_write_b64 v3, v[6:7] offset:5120
.LBB118_166:                            ;   in Loop: Header=BB118_31 Depth=1
	s_or_b64 exec, exec, s[2:3]
	s_waitcnt lgkmcnt(0)
	s_barrier
	s_mov_b64 s[2:3], -1
	s_and_b64 vcc, exec, s[62:63]
	s_cbranch_vccnz .LBB118_49
	s_branch .LBB118_59
.LBB118_167:                            ;   in Loop: Header=BB118_31 Depth=1
                                        ; implicit-def: $vgpr6_vgpr7
	s_branch .LBB118_123
.LBB118_168:                            ;   in Loop: Header=BB118_31 Depth=1
	s_mov_b64 s[24:25], -1
	s_mov_b64 s[6:7], 0
                                        ; implicit-def: $sgpr22_sgpr23
                                        ; implicit-def: $vgpr8_vgpr9
	s_mov_b64 s[28:29], s[24:25]
	s_cbranch_execnz .LBB118_171
	s_branch .LBB118_184
.LBB118_169:                            ;   in Loop: Header=BB118_31 Depth=1
	s_or_b64 exec, exec, s[24:25]
	s_and_b64 s[6:7], s[22:23], exec
.LBB118_170:                            ;   in Loop: Header=BB118_31 Depth=1
	s_or_b64 exec, exec, s[8:9]
	s_mov_b64 s[22:23], -1
	s_mov_b64 s[24:25], 0
	s_mov_b64 s[28:29], s[24:25]
	s_branch .LBB118_184
.LBB118_171:                            ;   in Loop: Header=BB118_31 Depth=1
	s_mov_b32 s82, s91
	s_cmp_lg_u64 s[82:83], 0
	s_cbranch_scc0 .LBB118_214
; %bb.172:                              ;   in Loop: Header=BB118_31 Depth=1
	v_cvt_f32_u32_e32 v2, s85
	s_sub_u32 s2, 0, s85
	s_subb_u32 s3, 0, 0
	v_mac_f32_e32 v2, 0, v38
	v_rcp_f32_e32 v2, v2
	v_mul_f32_e32 v2, 0x5f7ffffc, v2
	v_mul_f32_e32 v4, 0x2f800000, v2
	v_trunc_f32_e32 v4, v4
	v_mac_f32_e32 v2, 0xcf800000, v4
	v_cvt_u32_f32_e32 v4, v4
	v_cvt_u32_f32_e32 v2, v2
	v_readfirstlane_b32 s6, v4
	v_readfirstlane_b32 s7, v2
	s_mul_i32 s8, s2, s6
	s_mul_hi_u32 s22, s2, s7
	s_mul_i32 s9, s3, s7
	s_add_i32 s8, s22, s8
	s_mul_i32 s23, s2, s7
	s_add_i32 s8, s8, s9
	s_mul_hi_u32 s22, s7, s23
	s_mul_hi_u32 s9, s7, s8
	s_mul_i32 s7, s7, s8
	s_add_u32 s7, s22, s7
	s_addc_u32 s9, 0, s9
	s_mul_hi_u32 s24, s6, s23
	s_mul_i32 s23, s6, s23
	s_add_u32 s7, s7, s23
	s_mul_hi_u32 s22, s6, s8
	s_addc_u32 s7, s9, s24
	s_addc_u32 s9, s22, 0
	s_mul_i32 s8, s6, s8
	s_add_u32 s7, s7, s8
	s_addc_u32 s8, 0, s9
	v_add_co_u32_e32 v2, vcc, s7, v2
	s_cmp_lg_u64 vcc, 0
	s_addc_u32 s6, s6, s8
	v_readfirstlane_b32 s8, v2
	s_mul_i32 s7, s2, s6
	s_mul_hi_u32 s9, s2, s8
	s_add_i32 s7, s9, s7
	s_mul_i32 s3, s3, s8
	s_add_i32 s7, s7, s3
	s_mul_i32 s2, s2, s8
	s_mul_hi_u32 s9, s6, s2
	s_mul_i32 s22, s6, s2
	s_mul_i32 s24, s8, s7
	s_mul_hi_u32 s2, s8, s2
	s_mul_hi_u32 s23, s8, s7
	s_add_u32 s2, s2, s24
	s_addc_u32 s8, 0, s23
	s_add_u32 s2, s2, s22
	s_mul_hi_u32 s3, s6, s7
	s_addc_u32 s2, s8, s9
	s_addc_u32 s3, s3, 0
	s_mul_i32 s7, s6, s7
	s_add_u32 s2, s2, s7
	s_addc_u32 s3, 0, s3
	v_add_co_u32_e32 v2, vcc, s2, v2
	s_cmp_lg_u64 vcc, 0
	s_addc_u32 s2, s6, s3
	v_readfirstlane_b32 s7, v2
	s_mul_i32 s6, s27, s2
	s_mul_hi_u32 s8, s27, s7
	s_mul_hi_u32 s3, s27, s2
	s_add_u32 s6, s8, s6
	s_addc_u32 s3, 0, s3
	s_mul_hi_u32 s9, s83, s7
	s_mul_i32 s7, s83, s7
	s_add_u32 s6, s6, s7
	s_mul_hi_u32 s8, s83, s2
	s_addc_u32 s3, s3, s9
	s_addc_u32 s6, s8, 0
	s_mul_i32 s2, s83, s2
	s_add_u32 s2, s3, s2
	s_addc_u32 s3, 0, s6
	s_mul_hi_u32 s6, s85, s2
	s_mul_i32 s2, s85, s2
	s_mul_i32 s3, s85, s3
	v_mov_b32_e32 v2, s2
	s_add_i32 s6, s6, s3
	v_sub_co_u32_e32 v2, vcc, s27, v2
	s_cmp_lg_u64 vcc, 0
	s_subb_u32 s2, s83, s6
	v_subrev_co_u32_e32 v4, vcc, s85, v2
	s_cmp_lg_u64 vcc, 0
	s_subb_u32 s3, s2, 0
	v_subrev_co_u32_e32 v6, vcc, s85, v4
	s_cmp_lg_u64 vcc, 0
	s_subb_u32 s6, s3, 0
	v_cmp_le_u32_e32 vcc, s85, v4
	s_cmp_eq_u32 s3, 0
	v_cndmask_b32_e64 v7, 0, -1, vcc
	s_cselect_b64 vcc, -1, 0
	v_cndmask_b32_e32 v7, -1, v7, vcc
	v_mov_b32_e32 v8, s3
	v_mov_b32_e32 v9, s6
	v_cmp_ne_u32_e32 vcc, 0, v7
	v_cndmask_b32_e32 v7, v8, v9, vcc
	v_cndmask_b32_e32 v4, v4, v6, vcc
	v_cmp_le_u32_e32 vcc, s85, v2
	s_cmp_eq_u32 s2, 0
	v_cndmask_b32_e64 v6, 0, -1, vcc
	s_cselect_b64 vcc, -1, 0
	v_cndmask_b32_e32 v6, -1, v6, vcc
	v_mov_b32_e32 v8, s2
	v_cmp_ne_u32_e32 vcc, 0, v6
	v_cndmask_b32_e32 v7, v8, v7, vcc
	v_cndmask_b32_e32 v6, v2, v4, vcc
	s_cbranch_execnz .LBB118_174
.LBB118_173:                            ;   in Loop: Header=BB118_31 Depth=1
	v_cvt_f32_u32_e32 v2, s85
	s_sub_i32 s2, 0, s85
	v_rcp_iflag_f32_e32 v2, v2
	v_mul_f32_e32 v2, 0x4f7ffffe, v2
	v_cvt_u32_f32_e32 v2, v2
	v_mul_lo_u32 v4, s2, v2
	v_mul_hi_u32 v4, v2, v4
	v_add_u32_e32 v2, v2, v4
	v_mul_hi_u32 v2, s27, v2
	v_mul_lo_u32 v2, v2, s85
	v_sub_u32_e32 v2, s27, v2
	v_subrev_u32_e32 v4, s85, v2
	v_cmp_le_u32_e32 vcc, s85, v2
	v_cndmask_b32_e32 v2, v2, v4, vcc
	v_subrev_u32_e32 v4, s85, v2
	v_cmp_le_u32_e32 vcc, s85, v2
	v_cndmask_b32_e32 v2, v2, v4, vcc
	v_pk_mov_b32 v[6:7], v[2:3], v[2:3] op_sel:[0,1]
.LBB118_174:                            ;   in Loop: Header=BB118_31 Depth=1
	v_mov_b32_e32 v2, s83
	v_sub_co_u32_e32 v10, vcc, s27, v6
	v_subb_co_u32_e32 v11, vcc, v2, v7, vcc
	v_cmp_gt_u64_e32 vcc, v[10:11], v[0:1]
	s_mov_b64 s[6:7], 0
                                        ; implicit-def: $vgpr8_vgpr9
	s_and_saveexec_b64 s[2:3], vcc
	s_cbranch_execz .LBB118_183
; %bb.175:                              ;   in Loop: Header=BB118_31 Depth=1
	s_mov_b64 s[22:23], 0
	v_pk_mov_b32 v[12:13], v[0:1], v[0:1] op_sel:[0,1]
                                        ; implicit-def: $sgpr8_sgpr9
	s_branch .LBB118_177
.LBB118_176:                            ;   in Loop: Header=BB118_177 Depth=2
	s_or_b64 exec, exec, s[6:7]
	s_waitcnt lgkmcnt(0)
	s_barrier
	s_waitcnt vmcnt(0)
	ds_read_b128 v[6:9], v3 offset:3072
	v_mov_b32_e32 v2, s26
	v_add_co_u32_e64 v12, s[6:7], s85, v12
	v_addc_co_u32_e64 v13, s[6:7], v13, v2, s[6:7]
	s_waitcnt lgkmcnt(0)
	v_cmp_neq_f64_e32 vcc, 0, v[6:7]
	v_cmp_ge_u64_e64 s[6:7], v[12:13], v[10:11]
	s_or_b64 s[6:7], s[6:7], vcc
	s_and_b64 s[6:7], exec, s[6:7]
	s_or_b64 s[22:23], s[6:7], s[22:23]
	s_andn2_b64 s[6:7], s[8:9], exec
	s_and_b64 s[8:9], vcc, exec
	s_or_b64 s[8:9], s[6:7], s[8:9]
	s_barrier
	s_andn2_b64 exec, exec, s[22:23]
	s_cbranch_execz .LBB118_182
.LBB118_177:                            ;   Parent Loop BB118_31 Depth=1
                                        ; =>  This Inner Loop Header: Depth=2
	v_cmp_gt_u64_e32 vcc, s[52:53], v[12:13]
	v_pk_mov_b32 v[6:7], 0, 0
	s_and_saveexec_b64 s[24:25], vcc
	s_cbranch_execz .LBB118_179
; %bb.178:                              ;   in Loop: Header=BB118_177 Depth=2
	v_mul_lo_u32 v2, v13, s76
	v_mul_lo_u32 v4, v12, s77
	v_mad_u64_u32 v[6:7], s[6:7], v12, s76, 0
	v_add3_u32 v7, v7, v4, v2
	v_lshlrev_b64 v[6:7], 3, v[6:7]
	v_mov_b32_e32 v2, s84
	v_add_co_u32_e64 v6, s[6:7], s33, v6
	v_addc_co_u32_e64 v7, s[6:7], v2, v7, s[6:7]
	global_load_dwordx2 v[6:7], v[6:7], off
.LBB118_179:                            ;   in Loop: Header=BB118_177 Depth=2
	s_or_b64 exec, exec, s[24:25]
	s_and_saveexec_b64 s[6:7], vcc
	s_cbranch_execz .LBB118_176
; %bb.180:                              ;   in Loop: Header=BB118_177 Depth=2
	s_waitcnt vmcnt(0)
	v_ashrrev_i32_e32 v2, 31, v7
	v_or_b32_e32 v4, 0x80000000, v2
	v_xor_b32_e32 v4, v4, v7
	v_xor_b32_e32 v2, v2, v6
	v_cmp_o_f64_e32 vcc, v[6:7], v[6:7]
	v_cndmask_b32_e32 v4, -1, v4, vcc
	v_cndmask_b32_e32 v2, -1, v2, vcc
	v_and_b32_e32 v9, s73, v4
	v_and_b32_e32 v8, s72, v2
	v_cmp_eq_u64_e32 vcc, s[60:61], v[8:9]
	s_and_b64 exec, exec, vcc
	s_cbranch_execz .LBB118_176
; %bb.181:                              ;   in Loop: Header=BB118_177 Depth=2
	v_mov_b32_e32 v4, v3
	ds_write_b128 v3, v[4:7] offset:3072
	s_branch .LBB118_176
.LBB118_182:                            ;   in Loop: Header=BB118_31 Depth=1
	s_or_b64 exec, exec, s[22:23]
	s_and_b64 s[6:7], s[8:9], exec
.LBB118_183:                            ;   in Loop: Header=BB118_31 Depth=1
	s_or_b64 exec, exec, s[2:3]
	s_mov_b64 s[28:29], -1
	s_mov_b64 s[24:25], 0
	s_mov_b64 s[22:23], 0
.LBB118_184:                            ;   in Loop: Header=BB118_31 Depth=1
	s_mov_b64 s[2:3], 0
                                        ; implicit-def: $sgpr48
	s_and_saveexec_b64 s[30:31], s[6:7]
	s_cbranch_execz .LBB118_295
; %bb.185:                              ;   in Loop: Header=BB118_31 Depth=1
	s_xor_b64 s[2:3], s[36:37], -1
	s_andn2_b64 vcc, exec, s[2:3]
	s_mov_b32 s48, 1
	s_cbranch_vccnz .LBB118_196
; %bb.186:                              ;   in Loop: Header=BB118_31 Depth=1
	s_waitcnt vmcnt(0)
	v_pk_mov_b32 v[6:7], s[34:35], s[34:35] op_sel:[0,1]
	v_cmp_gt_u64_e32 vcc, s[94:95], v[6:7]
	s_mov_b64 s[2:3], -1
                                        ; implicit-def: $sgpr48
                                        ; implicit-def: $sgpr6_sgpr7
                                        ; implicit-def: $sgpr8_sgpr9
	s_cbranch_vccnz .LBB118_192
; %bb.187:                              ;   in Loop: Header=BB118_31 Depth=1
	ds_read_b64 v[6:7], v3 offset:5120
	s_waitcnt lgkmcnt(0)
	v_cmp_ne_u64_e32 vcc, 0, v[6:7]
	s_cbranch_vccnz .LBB118_191
; %bb.188:                              ;   in Loop: Header=BB118_31 Depth=1
	s_mov_b64 s[2:3], exec
	v_readlane_b32 s6, v50, 36
	v_readlane_b32 s7, v50, 37
	s_and_b64 s[6:7], s[2:3], s[6:7]
	s_mov_b64 exec, s[6:7]
	s_cbranch_execz .LBB118_190
; %bb.189:                              ;   in Loop: Header=BB118_31 Depth=1
	v_pk_mov_b32 v[6:7], s[34:35], s[34:35] op_sel:[0,1]
	ds_write_b64 v3, v[6:7] offset:5128
.LBB118_190:                            ;   in Loop: Header=BB118_31 Depth=1
	s_or_b64 exec, exec, s[2:3]
	s_waitcnt lgkmcnt(0)
	s_barrier
.LBB118_191:                            ;   in Loop: Header=BB118_31 Depth=1
	s_lshl_b64 s[2:3], 1, s44
	s_and_b64 s[6:7], s[60:61], s[20:21]
	s_or_b64 s[6:7], s[6:7], s[2:3]
	s_or_b64 s[8:9], s[72:73], s[12:13]
	s_mov_b64 s[2:3], 0
	s_mov_b32 s48, 8
.LBB118_192:                            ;   in Loop: Header=BB118_31 Depth=1
	s_andn2_b64 vcc, exec, s[2:3]
	s_cbranch_vccnz .LBB118_194
; %bb.193:                              ;   in Loop: Header=BB118_31 Depth=1
	s_sub_u32 s94, s94, s34
	s_subb_u32 s95, s95, s35
	s_mov_b64 s[2:3], -1
	s_mov_b32 s48, 0
	s_mov_b64 s[6:7], s[60:61]
	s_mov_b64 s[8:9], s[72:73]
.LBB118_194:                            ;   in Loop: Header=BB118_31 Depth=1
	s_mov_b64 s[72:73], s[8:9]
	s_mov_b64 s[60:61], s[6:7]
	s_andn2_b64 vcc, exec, s[2:3]
	s_mov_b64 s[2:3], -1
	s_cbranch_vccz .LBB118_197
.LBB118_195:                            ;   in Loop: Header=BB118_31 Depth=1
                                        ; implicit-def: $sgpr36_sgpr37
                                        ; implicit-def: $sgpr38_sgpr39
                                        ; implicit-def: $sgpr34_sgpr35
	s_branch .LBB118_294
.LBB118_196:                            ;   in Loop: Header=BB118_31 Depth=1
	s_mov_b64 s[94:95], 1
	s_mov_b64 s[2:3], -1
	s_cbranch_execnz .LBB118_195
.LBB118_197:                            ;   in Loop: Header=BB118_31 Depth=1
	s_cmp_eq_u64 s[18:19], 1
	s_cselect_b64 s[2:3], -1, 0
	s_cmp_eq_u64 s[94:95], 1
	s_cselect_b64 s[6:7], -1, 0
	s_and_b64 s[42:43], s[2:3], s[6:7]
	s_mov_b64 s[6:7], -1
	s_and_b64 vcc, exec, s[42:43]
	s_cbranch_vccz .LBB118_212
; %bb.198:                              ;   in Loop: Header=BB118_31 Depth=1
	s_waitcnt vmcnt(0)
	ds_read_b64 v[6:7], v3 offset:5120
	s_waitcnt lgkmcnt(0)
	s_barrier
	v_readfirstlane_b32 s2, v6
	v_readfirstlane_b32 s3, v7
	s_mov_b64 s[6:7], exec
	v_readlane_b32 s8, v50, 38
	v_readlane_b32 s9, v50, 39
	s_and_b64 s[8:9], s[6:7], s[8:9]
	s_mov_b64 exec, s[8:9]
	s_cbranch_execz .LBB118_200
; %bb.199:                              ;   in Loop: Header=BB118_31 Depth=1
	v_mov_b32_e32 v2, v3
	ds_write_b64 v32, v[2:3]
.LBB118_200:                            ;   in Loop: Header=BB118_31 Depth=1
	s_or_b64 exec, exec, s[6:7]
	s_lshl_b64 s[6:7], 2, s44
	s_and_b64 s[8:9], s[60:61], s[20:21]
	s_or_b64 s[60:61], s[8:9], s[6:7]
	s_or_b64 s[72:73], s[72:73], s[12:13]
	s_cmp_eq_u64 s[2:3], 0
	s_waitcnt lgkmcnt(0)
	s_barrier
	s_cbranch_scc1 .LBB118_215
; %bb.201:                              ;   in Loop: Header=BB118_31 Depth=1
	v_readlane_b32 s6, v50, 44
	s_add_u32 s34, s6, s2
	v_readlane_b32 s6, v50, 45
	s_addc_u32 s7, s6, s3
	s_mov_b32 s6, s91
	s_cmp_lg_u64 s[6:7], 0
	s_cbranch_scc0 .LBB118_260
; %bb.202:                              ;   in Loop: Header=BB118_31 Depth=1
	v_cvt_f32_u32_e32 v2, s85
	s_sub_u32 s6, 0, s85
	s_subb_u32 s8, 0, 0
	v_mac_f32_e32 v2, 0, v38
	v_rcp_f32_e32 v2, v2
	v_mul_f32_e32 v2, 0x5f7ffffc, v2
	v_mul_f32_e32 v4, 0x2f800000, v2
	v_trunc_f32_e32 v4, v4
	v_mac_f32_e32 v2, 0xcf800000, v4
	v_cvt_u32_f32_e32 v4, v4
	v_cvt_u32_f32_e32 v2, v2
	v_readfirstlane_b32 s9, v4
	v_readfirstlane_b32 s35, v2
	s_mul_i32 s36, s6, s9
	s_mul_hi_u32 s38, s6, s35
	s_mul_i32 s37, s8, s35
	s_add_i32 s36, s38, s36
	s_mul_i32 s39, s6, s35
	s_add_i32 s36, s36, s37
	s_mul_hi_u32 s38, s35, s39
	s_mul_hi_u32 s37, s35, s36
	s_mul_i32 s35, s35, s36
	s_add_u32 s35, s38, s35
	s_addc_u32 s37, 0, s37
	s_mul_hi_u32 s40, s9, s39
	s_mul_i32 s39, s9, s39
	s_add_u32 s35, s35, s39
	s_mul_hi_u32 s38, s9, s36
	s_addc_u32 s35, s37, s40
	s_addc_u32 s37, s38, 0
	s_mul_i32 s36, s9, s36
	s_add_u32 s35, s35, s36
	s_addc_u32 s36, 0, s37
	v_add_co_u32_e32 v2, vcc, s35, v2
	s_cmp_lg_u64 vcc, 0
	s_addc_u32 s9, s9, s36
	v_readfirstlane_b32 s36, v2
	s_mul_i32 s35, s6, s9
	s_mul_hi_u32 s37, s6, s36
	s_add_i32 s35, s37, s35
	s_mul_i32 s8, s8, s36
	s_add_i32 s35, s35, s8
	s_mul_i32 s6, s6, s36
	s_mul_hi_u32 s37, s9, s6
	s_mul_i32 s38, s9, s6
	s_mul_i32 s40, s36, s35
	s_mul_hi_u32 s6, s36, s6
	s_mul_hi_u32 s39, s36, s35
	s_add_u32 s6, s6, s40
	s_addc_u32 s36, 0, s39
	s_add_u32 s6, s6, s38
	s_mul_hi_u32 s8, s9, s35
	s_addc_u32 s6, s36, s37
	s_addc_u32 s8, s8, 0
	s_mul_i32 s35, s9, s35
	s_add_u32 s6, s6, s35
	s_addc_u32 s8, 0, s8
	v_add_co_u32_e32 v2, vcc, s6, v2
	s_cmp_lg_u64 vcc, 0
	s_addc_u32 s6, s9, s8
	v_readfirstlane_b32 s35, v2
	s_mul_i32 s9, s34, s6
	s_mul_hi_u32 s36, s34, s35
	s_mul_hi_u32 s8, s34, s6
	s_add_u32 s9, s36, s9
	s_addc_u32 s8, 0, s8
	s_mul_hi_u32 s37, s7, s35
	s_mul_i32 s35, s7, s35
	s_add_u32 s9, s9, s35
	s_mul_hi_u32 s36, s7, s6
	s_addc_u32 s8, s8, s37
	s_addc_u32 s9, s36, 0
	s_mul_i32 s6, s7, s6
	s_add_u32 s6, s8, s6
	s_addc_u32 s8, 0, s9
	s_mul_hi_u32 s9, s85, s6
	s_mul_i32 s6, s85, s6
	s_mul_i32 s8, s85, s8
	v_mov_b32_e32 v2, s6
	s_add_i32 s9, s9, s8
	v_sub_co_u32_e32 v2, vcc, s34, v2
	s_cmp_lg_u64 vcc, 0
	s_subb_u32 s6, s7, s9
	v_subrev_co_u32_e32 v4, vcc, s85, v2
	s_cmp_lg_u64 vcc, 0
	s_subb_u32 s8, s6, 0
	v_subrev_co_u32_e32 v6, vcc, s85, v4
	s_cmp_lg_u64 vcc, 0
	s_subb_u32 s9, s8, 0
	v_cmp_le_u32_e32 vcc, s85, v4
	s_cmp_eq_u32 s8, 0
	v_cndmask_b32_e64 v7, 0, -1, vcc
	s_cselect_b64 vcc, -1, 0
	v_cndmask_b32_e32 v7, -1, v7, vcc
	v_mov_b32_e32 v8, s8
	v_mov_b32_e32 v9, s9
	v_cmp_ne_u32_e32 vcc, 0, v7
	v_cndmask_b32_e32 v7, v8, v9, vcc
	v_cndmask_b32_e32 v4, v4, v6, vcc
	v_cmp_le_u32_e32 vcc, s85, v2
	s_cmp_eq_u32 s6, 0
	v_cndmask_b32_e64 v6, 0, -1, vcc
	s_cselect_b64 vcc, -1, 0
	v_cndmask_b32_e32 v6, -1, v6, vcc
	v_mov_b32_e32 v8, s6
	v_cmp_ne_u32_e32 vcc, 0, v6
	v_cndmask_b32_e32 v7, v8, v7, vcc
	v_cndmask_b32_e32 v6, v2, v4, vcc
	s_cbranch_execnz .LBB118_204
.LBB118_203:                            ;   in Loop: Header=BB118_31 Depth=1
	v_cvt_f32_u32_e32 v2, s85
	s_sub_i32 s6, 0, s85
	v_rcp_iflag_f32_e32 v2, v2
	v_mul_f32_e32 v2, 0x4f7ffffe, v2
	v_cvt_u32_f32_e32 v2, v2
	v_mul_lo_u32 v4, s6, v2
	v_mul_hi_u32 v4, v2, v4
	v_add_u32_e32 v2, v2, v4
	v_mul_hi_u32 v2, s34, v2
	v_mul_lo_u32 v2, v2, s85
	v_sub_u32_e32 v2, s34, v2
	v_subrev_u32_e32 v4, s85, v2
	v_cmp_le_u32_e32 vcc, s85, v2
	v_cndmask_b32_e32 v2, v2, v4, vcc
	v_subrev_u32_e32 v4, s85, v2
	v_cmp_le_u32_e32 vcc, s85, v2
	v_cndmask_b32_e32 v2, v2, v4, vcc
	v_pk_mov_b32 v[6:7], v[2:3], v[2:3] op_sel:[0,1]
.LBB118_204:                            ;   in Loop: Header=BB118_31 Depth=1
	v_mov_b32_e32 v2, s7
	v_sub_co_u32_e32 v10, vcc, s34, v6
	v_subb_co_u32_e32 v11, vcc, v2, v7, vcc
	v_cmp_gt_u64_e32 vcc, v[10:11], v[0:1]
	s_mov_b64 s[6:7], 0
                                        ; implicit-def: $vgpr8_vgpr9
	s_and_saveexec_b64 s[8:9], vcc
	s_cbranch_execz .LBB118_217
; %bb.205:                              ;   in Loop: Header=BB118_31 Depth=1
	s_mov_b64 s[36:37], 0
	v_mov_b32_e32 v2, v31
	v_pk_mov_b32 v[12:13], v[0:1], v[0:1] op_sel:[0,1]
                                        ; implicit-def: $sgpr34_sgpr35
	s_branch .LBB118_207
.LBB118_206:                            ;   in Loop: Header=BB118_207 Depth=2
	s_or_b64 exec, exec, s[6:7]
	s_waitcnt lgkmcnt(0)
	s_barrier
	ds_read_b128 v[6:9], v3 offset:3072
	v_mov_b32_e32 v4, s26
	v_add_co_u32_e64 v12, s[6:7], s85, v12
	v_addc_co_u32_e64 v13, s[6:7], v13, v4, s[6:7]
	s_waitcnt lgkmcnt(0)
	v_cmp_neq_f64_e32 vcc, 0, v[6:7]
	v_cmp_ge_u64_e64 s[6:7], v[12:13], v[10:11]
	s_or_b64 s[6:7], s[6:7], vcc
	s_and_b64 s[6:7], exec, s[6:7]
	s_or_b64 s[36:37], s[6:7], s[36:37]
	s_andn2_b64 s[6:7], s[34:35], exec
	s_and_b64 s[34:35], vcc, exec
	v_add_u32_e32 v2, s1, v2
	s_or_b64 s[34:35], s[6:7], s[34:35]
	s_barrier
	s_andn2_b64 exec, exec, s[36:37]
	s_cbranch_execz .LBB118_216
.LBB118_207:                            ;   Parent Loop BB118_31 Depth=1
                                        ; =>  This Inner Loop Header: Depth=2
	v_cmp_gt_u64_e32 vcc, s[2:3], v[12:13]
	v_pk_mov_b32 v[6:7], 0, 0
	s_and_saveexec_b64 s[6:7], vcc
	s_cbranch_execz .LBB118_209
; %bb.208:                              ;   in Loop: Header=BB118_207 Depth=2
	ds_read_b64 v[6:7], v2
.LBB118_209:                            ;   in Loop: Header=BB118_207 Depth=2
	s_or_b64 exec, exec, s[6:7]
	s_and_saveexec_b64 s[6:7], vcc
	s_cbranch_execz .LBB118_206
; %bb.210:                              ;   in Loop: Header=BB118_207 Depth=2
	s_waitcnt lgkmcnt(0)
	v_ashrrev_i32_e32 v4, 31, v7
	v_or_b32_e32 v8, 0x80000000, v4
	v_xor_b32_e32 v8, v8, v7
	v_xor_b32_e32 v4, v4, v6
	v_cmp_o_f64_e32 vcc, v[6:7], v[6:7]
	v_cndmask_b32_e32 v8, -1, v8, vcc
	v_cndmask_b32_e32 v4, -1, v4, vcc
	v_and_b32_e32 v9, s73, v8
	v_and_b32_e32 v8, s72, v4
	v_cmp_eq_u64_e32 vcc, s[60:61], v[8:9]
	s_and_b64 exec, exec, vcc
	s_cbranch_execz .LBB118_206
; %bb.211:                              ;   in Loop: Header=BB118_207 Depth=2
	v_mov_b32_e32 v4, v3
	ds_write_b128 v3, v[4:7] offset:3072
	s_branch .LBB118_206
.LBB118_212:                            ;   in Loop: Header=BB118_31 Depth=1
                                        ; implicit-def: $sgpr34_sgpr35
                                        ; implicit-def: $sgpr38_sgpr39
                                        ; implicit-def: $sgpr36_sgpr37
	s_branch .LBB118_231
.LBB118_213:                            ;   in Loop: Header=BB118_31 Depth=1
                                        ; implicit-def: $vgpr6_vgpr7
	s_branch .LBB118_153
.LBB118_214:                            ;   in Loop: Header=BB118_31 Depth=1
                                        ; implicit-def: $vgpr6_vgpr7
	s_branch .LBB118_173
.LBB118_215:                            ;   in Loop: Header=BB118_31 Depth=1
	s_mov_b64 s[34:35], -1
	s_mov_b64 s[6:7], 0
                                        ; implicit-def: $sgpr36_sgpr37
                                        ; implicit-def: $vgpr8_vgpr9
	s_mov_b64 s[38:39], s[34:35]
	s_cbranch_execnz .LBB118_218
	s_branch .LBB118_231
.LBB118_216:                            ;   in Loop: Header=BB118_31 Depth=1
	s_or_b64 exec, exec, s[36:37]
	s_and_b64 s[6:7], s[34:35], exec
.LBB118_217:                            ;   in Loop: Header=BB118_31 Depth=1
	s_or_b64 exec, exec, s[8:9]
	s_mov_b64 s[36:37], -1
	s_mov_b64 s[34:35], 0
	s_mov_b64 s[38:39], s[34:35]
	s_branch .LBB118_231
.LBB118_218:                            ;   in Loop: Header=BB118_31 Depth=1
	s_mov_b32 s82, s91
	s_cmp_lg_u64 s[82:83], 0
	s_cbranch_scc0 .LBB118_261
; %bb.219:                              ;   in Loop: Header=BB118_31 Depth=1
	v_cvt_f32_u32_e32 v2, s85
	s_sub_u32 s2, 0, s85
	s_subb_u32 s3, 0, 0
	v_mac_f32_e32 v2, 0, v38
	v_rcp_f32_e32 v2, v2
	v_mul_f32_e32 v2, 0x5f7ffffc, v2
	v_mul_f32_e32 v4, 0x2f800000, v2
	v_trunc_f32_e32 v4, v4
	v_mac_f32_e32 v2, 0xcf800000, v4
	v_cvt_u32_f32_e32 v4, v4
	v_cvt_u32_f32_e32 v2, v2
	v_readfirstlane_b32 s6, v4
	v_readfirstlane_b32 s7, v2
	s_mul_i32 s8, s2, s6
	s_mul_hi_u32 s34, s2, s7
	s_mul_i32 s9, s3, s7
	s_add_i32 s8, s34, s8
	s_mul_i32 s35, s2, s7
	s_add_i32 s8, s8, s9
	s_mul_hi_u32 s34, s7, s35
	s_mul_hi_u32 s9, s7, s8
	s_mul_i32 s7, s7, s8
	s_add_u32 s7, s34, s7
	s_addc_u32 s9, 0, s9
	s_mul_hi_u32 s36, s6, s35
	s_mul_i32 s35, s6, s35
	s_add_u32 s7, s7, s35
	s_mul_hi_u32 s34, s6, s8
	s_addc_u32 s7, s9, s36
	s_addc_u32 s9, s34, 0
	s_mul_i32 s8, s6, s8
	s_add_u32 s7, s7, s8
	s_addc_u32 s8, 0, s9
	v_add_co_u32_e32 v2, vcc, s7, v2
	s_cmp_lg_u64 vcc, 0
	s_addc_u32 s6, s6, s8
	v_readfirstlane_b32 s8, v2
	s_mul_i32 s7, s2, s6
	s_mul_hi_u32 s9, s2, s8
	s_add_i32 s7, s9, s7
	s_mul_i32 s3, s3, s8
	s_add_i32 s7, s7, s3
	s_mul_i32 s2, s2, s8
	s_mul_hi_u32 s9, s6, s2
	s_mul_i32 s34, s6, s2
	s_mul_i32 s36, s8, s7
	s_mul_hi_u32 s2, s8, s2
	s_mul_hi_u32 s35, s8, s7
	s_add_u32 s2, s2, s36
	s_addc_u32 s8, 0, s35
	s_add_u32 s2, s2, s34
	s_mul_hi_u32 s3, s6, s7
	s_addc_u32 s2, s8, s9
	s_addc_u32 s3, s3, 0
	s_mul_i32 s7, s6, s7
	s_add_u32 s2, s2, s7
	s_addc_u32 s3, 0, s3
	v_add_co_u32_e32 v2, vcc, s2, v2
	s_cmp_lg_u64 vcc, 0
	s_addc_u32 s2, s6, s3
	v_readfirstlane_b32 s7, v2
	s_mul_i32 s6, s27, s2
	s_mul_hi_u32 s8, s27, s7
	s_mul_hi_u32 s3, s27, s2
	s_add_u32 s6, s8, s6
	s_addc_u32 s3, 0, s3
	s_mul_hi_u32 s9, s83, s7
	s_mul_i32 s7, s83, s7
	s_add_u32 s6, s6, s7
	s_mul_hi_u32 s8, s83, s2
	s_addc_u32 s3, s3, s9
	s_addc_u32 s6, s8, 0
	s_mul_i32 s2, s83, s2
	s_add_u32 s2, s3, s2
	s_addc_u32 s3, 0, s6
	s_mul_hi_u32 s6, s85, s2
	s_mul_i32 s2, s85, s2
	s_mul_i32 s3, s85, s3
	v_mov_b32_e32 v2, s2
	s_add_i32 s6, s6, s3
	v_sub_co_u32_e32 v2, vcc, s27, v2
	s_cmp_lg_u64 vcc, 0
	s_subb_u32 s2, s83, s6
	v_subrev_co_u32_e32 v4, vcc, s85, v2
	s_cmp_lg_u64 vcc, 0
	s_subb_u32 s3, s2, 0
	v_subrev_co_u32_e32 v6, vcc, s85, v4
	s_cmp_lg_u64 vcc, 0
	s_subb_u32 s6, s3, 0
	v_cmp_le_u32_e32 vcc, s85, v4
	s_cmp_eq_u32 s3, 0
	v_cndmask_b32_e64 v7, 0, -1, vcc
	s_cselect_b64 vcc, -1, 0
	v_cndmask_b32_e32 v7, -1, v7, vcc
	v_mov_b32_e32 v8, s3
	v_mov_b32_e32 v9, s6
	v_cmp_ne_u32_e32 vcc, 0, v7
	v_cndmask_b32_e32 v7, v8, v9, vcc
	v_cndmask_b32_e32 v4, v4, v6, vcc
	v_cmp_le_u32_e32 vcc, s85, v2
	s_cmp_eq_u32 s2, 0
	v_cndmask_b32_e64 v6, 0, -1, vcc
	s_cselect_b64 vcc, -1, 0
	v_cndmask_b32_e32 v6, -1, v6, vcc
	v_mov_b32_e32 v8, s2
	v_cmp_ne_u32_e32 vcc, 0, v6
	v_cndmask_b32_e32 v7, v8, v7, vcc
	v_cndmask_b32_e32 v6, v2, v4, vcc
	s_cbranch_execnz .LBB118_221
.LBB118_220:                            ;   in Loop: Header=BB118_31 Depth=1
	v_cvt_f32_u32_e32 v2, s85
	s_sub_i32 s2, 0, s85
	v_rcp_iflag_f32_e32 v2, v2
	v_mul_f32_e32 v2, 0x4f7ffffe, v2
	v_cvt_u32_f32_e32 v2, v2
	v_mul_lo_u32 v4, s2, v2
	v_mul_hi_u32 v4, v2, v4
	v_add_u32_e32 v2, v2, v4
	v_mul_hi_u32 v2, s27, v2
	v_mul_lo_u32 v2, v2, s85
	v_sub_u32_e32 v2, s27, v2
	v_subrev_u32_e32 v4, s85, v2
	v_cmp_le_u32_e32 vcc, s85, v2
	v_cndmask_b32_e32 v2, v2, v4, vcc
	v_subrev_u32_e32 v4, s85, v2
	v_cmp_le_u32_e32 vcc, s85, v2
	v_cndmask_b32_e32 v2, v2, v4, vcc
	v_pk_mov_b32 v[6:7], v[2:3], v[2:3] op_sel:[0,1]
.LBB118_221:                            ;   in Loop: Header=BB118_31 Depth=1
	v_mov_b32_e32 v2, s83
	v_sub_co_u32_e32 v10, vcc, s27, v6
	v_subb_co_u32_e32 v11, vcc, v2, v7, vcc
	v_cmp_gt_u64_e32 vcc, v[10:11], v[0:1]
	s_mov_b64 s[6:7], 0
                                        ; implicit-def: $vgpr8_vgpr9
	s_and_saveexec_b64 s[2:3], vcc
	s_cbranch_execz .LBB118_230
; %bb.222:                              ;   in Loop: Header=BB118_31 Depth=1
	s_mov_b64 s[34:35], 0
	v_pk_mov_b32 v[12:13], v[0:1], v[0:1] op_sel:[0,1]
                                        ; implicit-def: $sgpr8_sgpr9
	s_branch .LBB118_224
.LBB118_223:                            ;   in Loop: Header=BB118_224 Depth=2
	s_or_b64 exec, exec, s[6:7]
	s_waitcnt lgkmcnt(0)
	s_barrier
	s_waitcnt vmcnt(0)
	ds_read_b128 v[6:9], v3 offset:3072
	v_mov_b32_e32 v2, s26
	v_add_co_u32_e64 v12, s[6:7], s85, v12
	v_addc_co_u32_e64 v13, s[6:7], v13, v2, s[6:7]
	s_waitcnt lgkmcnt(0)
	v_cmp_neq_f64_e32 vcc, 0, v[6:7]
	v_cmp_ge_u64_e64 s[6:7], v[12:13], v[10:11]
	s_or_b64 s[6:7], s[6:7], vcc
	s_and_b64 s[6:7], exec, s[6:7]
	s_or_b64 s[34:35], s[6:7], s[34:35]
	s_andn2_b64 s[6:7], s[8:9], exec
	s_and_b64 s[8:9], vcc, exec
	s_or_b64 s[8:9], s[6:7], s[8:9]
	s_barrier
	s_andn2_b64 exec, exec, s[34:35]
	s_cbranch_execz .LBB118_229
.LBB118_224:                            ;   Parent Loop BB118_31 Depth=1
                                        ; =>  This Inner Loop Header: Depth=2
	v_cmp_gt_u64_e32 vcc, s[52:53], v[12:13]
	v_pk_mov_b32 v[6:7], 0, 0
	s_and_saveexec_b64 s[36:37], vcc
	s_cbranch_execz .LBB118_226
; %bb.225:                              ;   in Loop: Header=BB118_224 Depth=2
	v_mul_lo_u32 v2, v13, s76
	v_mul_lo_u32 v4, v12, s77
	v_mad_u64_u32 v[6:7], s[6:7], v12, s76, 0
	v_add3_u32 v7, v7, v4, v2
	v_lshlrev_b64 v[6:7], 3, v[6:7]
	v_mov_b32_e32 v2, s84
	v_add_co_u32_e64 v6, s[6:7], s33, v6
	v_addc_co_u32_e64 v7, s[6:7], v2, v7, s[6:7]
	global_load_dwordx2 v[6:7], v[6:7], off
.LBB118_226:                            ;   in Loop: Header=BB118_224 Depth=2
	s_or_b64 exec, exec, s[36:37]
	s_and_saveexec_b64 s[6:7], vcc
	s_cbranch_execz .LBB118_223
; %bb.227:                              ;   in Loop: Header=BB118_224 Depth=2
	s_waitcnt vmcnt(0)
	v_ashrrev_i32_e32 v2, 31, v7
	v_or_b32_e32 v4, 0x80000000, v2
	v_xor_b32_e32 v4, v4, v7
	v_xor_b32_e32 v2, v2, v6
	v_cmp_o_f64_e32 vcc, v[6:7], v[6:7]
	v_cndmask_b32_e32 v4, -1, v4, vcc
	v_cndmask_b32_e32 v2, -1, v2, vcc
	v_and_b32_e32 v9, s73, v4
	v_and_b32_e32 v8, s72, v2
	v_cmp_eq_u64_e32 vcc, s[60:61], v[8:9]
	s_and_b64 exec, exec, vcc
	s_cbranch_execz .LBB118_223
; %bb.228:                              ;   in Loop: Header=BB118_224 Depth=2
	v_mov_b32_e32 v4, v3
	ds_write_b128 v3, v[4:7] offset:3072
	s_branch .LBB118_223
.LBB118_229:                            ;   in Loop: Header=BB118_31 Depth=1
	s_or_b64 exec, exec, s[34:35]
	s_and_b64 s[6:7], s[8:9], exec
.LBB118_230:                            ;   in Loop: Header=BB118_31 Depth=1
	s_or_b64 exec, exec, s[2:3]
	s_mov_b64 s[38:39], -1
	s_mov_b64 s[34:35], 0
	s_mov_b64 s[36:37], 0
.LBB118_231:                            ;   in Loop: Header=BB118_31 Depth=1
	s_mov_b64 s[2:3], 0
                                        ; implicit-def: $sgpr48
	s_and_saveexec_b64 s[40:41], s[6:7]
	s_cbranch_execz .LBB118_293
; %bb.232:                              ;   in Loop: Header=BB118_31 Depth=1
	s_xor_b64 s[2:3], s[42:43], -1
	s_andn2_b64 vcc, exec, s[2:3]
	s_mov_b32 s48, 1
	s_cbranch_vccnz .LBB118_243
; %bb.233:                              ;   in Loop: Header=BB118_31 Depth=1
	s_waitcnt vmcnt(0)
	v_pk_mov_b32 v[6:7], s[18:19], s[18:19] op_sel:[0,1]
	v_cmp_gt_u64_e32 vcc, s[94:95], v[6:7]
	s_mov_b64 s[2:3], -1
                                        ; implicit-def: $sgpr48
                                        ; implicit-def: $sgpr6_sgpr7
                                        ; implicit-def: $sgpr8_sgpr9
	s_cbranch_vccnz .LBB118_239
; %bb.234:                              ;   in Loop: Header=BB118_31 Depth=1
	ds_read_b64 v[6:7], v3 offset:5120
	s_waitcnt lgkmcnt(0)
	v_cmp_ne_u64_e32 vcc, 0, v[6:7]
	s_cbranch_vccnz .LBB118_238
; %bb.235:                              ;   in Loop: Header=BB118_31 Depth=1
	s_mov_b64 s[2:3], exec
	v_readlane_b32 s6, v50, 36
	v_readlane_b32 s7, v50, 37
	s_and_b64 s[6:7], s[2:3], s[6:7]
	s_mov_b64 exec, s[6:7]
	s_cbranch_execz .LBB118_237
; %bb.236:                              ;   in Loop: Header=BB118_31 Depth=1
	v_pk_mov_b32 v[6:7], s[18:19], s[18:19] op_sel:[0,1]
	ds_write_b64 v3, v[6:7] offset:5128
.LBB118_237:                            ;   in Loop: Header=BB118_31 Depth=1
	s_or_b64 exec, exec, s[2:3]
	s_waitcnt lgkmcnt(0)
	s_barrier
.LBB118_238:                            ;   in Loop: Header=BB118_31 Depth=1
	s_lshl_b64 s[2:3], 2, s44
	s_and_b64 s[6:7], s[60:61], s[20:21]
	s_or_b64 s[6:7], s[6:7], s[2:3]
	s_or_b64 s[8:9], s[72:73], s[12:13]
	s_mov_b64 s[2:3], 0
	s_mov_b32 s48, 8
.LBB118_239:                            ;   in Loop: Header=BB118_31 Depth=1
	s_andn2_b64 vcc, exec, s[2:3]
	s_cbranch_vccnz .LBB118_241
; %bb.240:                              ;   in Loop: Header=BB118_31 Depth=1
	s_sub_u32 s94, s94, s18
	s_subb_u32 s95, s95, s19
	s_mov_b64 s[2:3], -1
	s_mov_b32 s48, 0
	s_mov_b64 s[6:7], s[60:61]
	s_mov_b64 s[8:9], s[72:73]
.LBB118_241:                            ;   in Loop: Header=BB118_31 Depth=1
	s_mov_b64 s[72:73], s[8:9]
	s_mov_b64 s[60:61], s[6:7]
	s_andn2_b64 vcc, exec, s[2:3]
	s_mov_b64 s[44:45], -1
	s_cbranch_vccz .LBB118_244
.LBB118_242:                            ;   in Loop: Header=BB118_31 Depth=1
                                        ; implicit-def: $sgpr2_sgpr3
                                        ; implicit-def: $sgpr8_sgpr9
                                        ; implicit-def: $sgpr6_sgpr7
	s_branch .LBB118_292
.LBB118_243:                            ;   in Loop: Header=BB118_31 Depth=1
	s_mov_b64 s[94:95], 1
	s_mov_b64 s[44:45], -1
	s_cbranch_execnz .LBB118_242
.LBB118_244:                            ;   in Loop: Header=BB118_31 Depth=1
	s_cmp_eq_u64 s[10:11], 1
	s_cselect_b64 s[2:3], -1, 0
	s_cmp_eq_u64 s[94:95], 1
	s_cselect_b64 s[6:7], -1, 0
	s_and_b64 s[18:19], s[2:3], s[6:7]
	s_mov_b64 s[20:21], -1
	s_and_b64 vcc, exec, s[18:19]
	s_cbranch_vccz .LBB118_259
; %bb.245:                              ;   in Loop: Header=BB118_31 Depth=1
	s_waitcnt vmcnt(0)
	ds_read_b64 v[6:7], v3 offset:5120
	s_waitcnt lgkmcnt(0)
	s_barrier
	v_readfirstlane_b32 s2, v6
	v_readfirstlane_b32 s3, v7
	s_mov_b64 s[6:7], exec
	v_readlane_b32 s8, v50, 38
	v_readlane_b32 s9, v50, 39
	s_and_b64 s[8:9], s[6:7], s[8:9]
	s_mov_b64 exec, s[8:9]
	s_cbranch_execz .LBB118_247
; %bb.246:                              ;   in Loop: Header=BB118_31 Depth=1
	v_mov_b32_e32 v2, v3
	ds_write_b64 v32, v[2:3]
.LBB118_247:                            ;   in Loop: Header=BB118_31 Depth=1
	s_or_b64 exec, exec, s[6:7]
	s_or_b64 s[60:61], s[60:61], s[12:13]
	s_or_b64 s[72:73], s[72:73], s[12:13]
	s_cmp_eq_u64 s[2:3], 0
	s_waitcnt lgkmcnt(0)
	s_barrier
	s_cbranch_scc1 .LBB118_262
; %bb.248:                              ;   in Loop: Header=BB118_31 Depth=1
	v_readlane_b32 s6, v50, 44
	s_add_u32 s20, s6, s2
	v_readlane_b32 s6, v50, 45
	s_addc_u32 s7, s6, s3
	s_mov_b32 s6, s91
	s_cmp_lg_u64 s[6:7], 0
	s_cbranch_scc0 .LBB118_298
; %bb.249:                              ;   in Loop: Header=BB118_31 Depth=1
	v_cvt_f32_u32_e32 v2, s85
	s_sub_u32 s6, 0, s85
	s_subb_u32 s8, 0, 0
	v_mac_f32_e32 v2, 0, v38
	v_rcp_f32_e32 v2, v2
	v_mul_f32_e32 v2, 0x5f7ffffc, v2
	v_mul_f32_e32 v4, 0x2f800000, v2
	v_trunc_f32_e32 v4, v4
	v_mac_f32_e32 v2, 0xcf800000, v4
	v_cvt_u32_f32_e32 v4, v4
	v_cvt_u32_f32_e32 v2, v2
	v_readfirstlane_b32 s9, v4
	v_readfirstlane_b32 s21, v2
	s_mul_i32 s42, s6, s9
	s_mul_hi_u32 s44, s6, s21
	s_mul_i32 s43, s8, s21
	s_add_i32 s42, s44, s42
	s_mul_i32 s45, s6, s21
	s_add_i32 s42, s42, s43
	s_mul_hi_u32 s44, s21, s45
	s_mul_hi_u32 s43, s21, s42
	s_mul_i32 s21, s21, s42
	s_add_u32 s21, s44, s21
	s_addc_u32 s43, 0, s43
	s_mul_hi_u32 s46, s9, s45
	s_mul_i32 s45, s9, s45
	s_add_u32 s21, s21, s45
	s_mul_hi_u32 s44, s9, s42
	s_addc_u32 s21, s43, s46
	s_addc_u32 s43, s44, 0
	s_mul_i32 s42, s9, s42
	s_add_u32 s21, s21, s42
	s_addc_u32 s42, 0, s43
	v_add_co_u32_e32 v2, vcc, s21, v2
	s_cmp_lg_u64 vcc, 0
	s_addc_u32 s9, s9, s42
	v_readfirstlane_b32 s42, v2
	s_mul_i32 s21, s6, s9
	s_mul_hi_u32 s43, s6, s42
	s_add_i32 s21, s43, s21
	s_mul_i32 s8, s8, s42
	s_add_i32 s21, s21, s8
	s_mul_i32 s6, s6, s42
	s_mul_hi_u32 s43, s9, s6
	s_mul_i32 s44, s9, s6
	s_mul_i32 s46, s42, s21
	s_mul_hi_u32 s6, s42, s6
	s_mul_hi_u32 s45, s42, s21
	s_add_u32 s6, s6, s46
	s_addc_u32 s42, 0, s45
	s_add_u32 s6, s6, s44
	s_mul_hi_u32 s8, s9, s21
	s_addc_u32 s6, s42, s43
	s_addc_u32 s8, s8, 0
	s_mul_i32 s21, s9, s21
	s_add_u32 s6, s6, s21
	s_addc_u32 s8, 0, s8
	v_add_co_u32_e32 v2, vcc, s6, v2
	s_cmp_lg_u64 vcc, 0
	s_addc_u32 s6, s9, s8
	v_readfirstlane_b32 s21, v2
	s_mul_i32 s9, s20, s6
	s_mul_hi_u32 s42, s20, s21
	s_mul_hi_u32 s8, s20, s6
	s_add_u32 s9, s42, s9
	s_addc_u32 s8, 0, s8
	s_mul_hi_u32 s43, s7, s21
	s_mul_i32 s21, s7, s21
	s_add_u32 s9, s9, s21
	s_mul_hi_u32 s42, s7, s6
	s_addc_u32 s8, s8, s43
	s_addc_u32 s9, s42, 0
	s_mul_i32 s6, s7, s6
	s_add_u32 s6, s8, s6
	s_addc_u32 s8, 0, s9
	s_mul_hi_u32 s9, s85, s6
	s_mul_i32 s6, s85, s6
	s_mul_i32 s8, s85, s8
	v_mov_b32_e32 v2, s6
	s_add_i32 s9, s9, s8
	v_sub_co_u32_e32 v2, vcc, s20, v2
	s_cmp_lg_u64 vcc, 0
	s_subb_u32 s6, s7, s9
	v_subrev_co_u32_e32 v4, vcc, s85, v2
	s_cmp_lg_u64 vcc, 0
	s_subb_u32 s8, s6, 0
	v_subrev_co_u32_e32 v6, vcc, s85, v4
	s_cmp_lg_u64 vcc, 0
	s_subb_u32 s9, s8, 0
	v_cmp_le_u32_e32 vcc, s85, v4
	s_cmp_eq_u32 s8, 0
	v_cndmask_b32_e64 v7, 0, -1, vcc
	s_cselect_b64 vcc, -1, 0
	v_cndmask_b32_e32 v7, -1, v7, vcc
	v_mov_b32_e32 v8, s8
	v_mov_b32_e32 v9, s9
	v_cmp_ne_u32_e32 vcc, 0, v7
	v_cndmask_b32_e32 v7, v8, v9, vcc
	v_cndmask_b32_e32 v4, v4, v6, vcc
	v_cmp_le_u32_e32 vcc, s85, v2
	s_cmp_eq_u32 s6, 0
	v_cndmask_b32_e64 v6, 0, -1, vcc
	s_cselect_b64 vcc, -1, 0
	v_cndmask_b32_e32 v6, -1, v6, vcc
	v_mov_b32_e32 v8, s6
	v_cmp_ne_u32_e32 vcc, 0, v6
	v_cndmask_b32_e32 v7, v8, v7, vcc
	v_cndmask_b32_e32 v6, v2, v4, vcc
	s_cbranch_execnz .LBB118_251
.LBB118_250:                            ;   in Loop: Header=BB118_31 Depth=1
	v_cvt_f32_u32_e32 v2, s85
	s_sub_i32 s6, 0, s85
	v_rcp_iflag_f32_e32 v2, v2
	v_mul_f32_e32 v2, 0x4f7ffffe, v2
	v_cvt_u32_f32_e32 v2, v2
	v_mul_lo_u32 v4, s6, v2
	v_mul_hi_u32 v4, v2, v4
	v_add_u32_e32 v2, v2, v4
	v_mul_hi_u32 v2, s20, v2
	v_mul_lo_u32 v2, v2, s85
	v_sub_u32_e32 v2, s20, v2
	v_subrev_u32_e32 v4, s85, v2
	v_cmp_le_u32_e32 vcc, s85, v2
	v_cndmask_b32_e32 v2, v2, v4, vcc
	v_subrev_u32_e32 v4, s85, v2
	v_cmp_le_u32_e32 vcc, s85, v2
	v_cndmask_b32_e32 v2, v2, v4, vcc
	v_pk_mov_b32 v[6:7], v[2:3], v[2:3] op_sel:[0,1]
.LBB118_251:                            ;   in Loop: Header=BB118_31 Depth=1
	v_mov_b32_e32 v2, s7
	v_sub_co_u32_e32 v10, vcc, s20, v6
	v_subb_co_u32_e32 v11, vcc, v2, v7, vcc
	v_cmp_gt_u64_e32 vcc, v[10:11], v[0:1]
	s_mov_b64 s[20:21], 0
                                        ; implicit-def: $vgpr8_vgpr9
	s_and_saveexec_b64 s[8:9], vcc
	s_cbranch_execz .LBB118_264
; %bb.252:                              ;   in Loop: Header=BB118_31 Depth=1
	s_mov_b64 s[42:43], 0
	v_mov_b32_e32 v2, v31
	v_pk_mov_b32 v[12:13], v[0:1], v[0:1] op_sel:[0,1]
                                        ; implicit-def: $sgpr20_sgpr21
	s_branch .LBB118_254
.LBB118_253:                            ;   in Loop: Header=BB118_254 Depth=2
	s_or_b64 exec, exec, s[6:7]
	s_waitcnt lgkmcnt(0)
	s_barrier
	ds_read_b128 v[6:9], v3 offset:3072
	v_mov_b32_e32 v4, s26
	v_add_co_u32_e64 v12, s[6:7], s85, v12
	v_addc_co_u32_e64 v13, s[6:7], v13, v4, s[6:7]
	s_waitcnt lgkmcnt(0)
	v_cmp_neq_f64_e32 vcc, 0, v[6:7]
	v_cmp_ge_u64_e64 s[6:7], v[12:13], v[10:11]
	s_or_b64 s[6:7], s[6:7], vcc
	s_and_b64 s[6:7], exec, s[6:7]
	s_or_b64 s[42:43], s[6:7], s[42:43]
	s_andn2_b64 s[6:7], s[20:21], exec
	s_and_b64 s[20:21], vcc, exec
	v_add_u32_e32 v2, s1, v2
	s_or_b64 s[20:21], s[6:7], s[20:21]
	s_barrier
	s_andn2_b64 exec, exec, s[42:43]
	s_cbranch_execz .LBB118_263
.LBB118_254:                            ;   Parent Loop BB118_31 Depth=1
                                        ; =>  This Inner Loop Header: Depth=2
	v_cmp_gt_u64_e32 vcc, s[2:3], v[12:13]
	v_pk_mov_b32 v[6:7], 0, 0
	s_and_saveexec_b64 s[6:7], vcc
	s_cbranch_execz .LBB118_256
; %bb.255:                              ;   in Loop: Header=BB118_254 Depth=2
	ds_read_b64 v[6:7], v2
.LBB118_256:                            ;   in Loop: Header=BB118_254 Depth=2
	s_or_b64 exec, exec, s[6:7]
	s_and_saveexec_b64 s[6:7], vcc
	s_cbranch_execz .LBB118_253
; %bb.257:                              ;   in Loop: Header=BB118_254 Depth=2
	s_waitcnt lgkmcnt(0)
	v_ashrrev_i32_e32 v4, 31, v7
	v_or_b32_e32 v8, 0x80000000, v4
	v_xor_b32_e32 v8, v8, v7
	v_xor_b32_e32 v4, v4, v6
	v_cmp_o_f64_e32 vcc, v[6:7], v[6:7]
	v_cndmask_b32_e32 v8, -1, v8, vcc
	v_cndmask_b32_e32 v4, -1, v4, vcc
	v_and_b32_e32 v9, s73, v8
	v_and_b32_e32 v8, s72, v4
	v_cmp_eq_u64_e32 vcc, s[60:61], v[8:9]
	s_and_b64 exec, exec, vcc
	s_cbranch_execz .LBB118_253
; %bb.258:                              ;   in Loop: Header=BB118_254 Depth=2
	v_mov_b32_e32 v4, v3
	ds_write_b128 v3, v[4:7] offset:3072
	s_branch .LBB118_253
.LBB118_259:                            ;   in Loop: Header=BB118_31 Depth=1
                                        ; implicit-def: $sgpr2_sgpr3
                                        ; implicit-def: $sgpr8_sgpr9
                                        ; implicit-def: $sgpr6_sgpr7
	s_branch .LBB118_278
.LBB118_260:                            ;   in Loop: Header=BB118_31 Depth=1
                                        ; implicit-def: $vgpr6_vgpr7
	s_branch .LBB118_203
.LBB118_261:                            ;   in Loop: Header=BB118_31 Depth=1
                                        ; implicit-def: $vgpr6_vgpr7
	s_branch .LBB118_220
.LBB118_262:                            ;   in Loop: Header=BB118_31 Depth=1
	s_mov_b64 s[2:3], -1
	s_mov_b64 s[20:21], 0
                                        ; implicit-def: $sgpr6_sgpr7
                                        ; implicit-def: $vgpr8_vgpr9
	s_mov_b64 s[8:9], s[2:3]
	s_cbranch_execnz .LBB118_265
	s_branch .LBB118_278
.LBB118_263:                            ;   in Loop: Header=BB118_31 Depth=1
	s_or_b64 exec, exec, s[42:43]
	s_and_b64 s[20:21], s[20:21], exec
.LBB118_264:                            ;   in Loop: Header=BB118_31 Depth=1
	s_or_b64 exec, exec, s[8:9]
	s_mov_b64 s[6:7], -1
	s_mov_b64 s[2:3], 0
	s_mov_b64 s[8:9], s[2:3]
	s_branch .LBB118_278
.LBB118_265:                            ;   in Loop: Header=BB118_31 Depth=1
	s_mov_b32 s82, s91
	s_cmp_lg_u64 s[82:83], 0
	s_cbranch_scc0 .LBB118_299
; %bb.266:                              ;   in Loop: Header=BB118_31 Depth=1
	v_cvt_f32_u32_e32 v2, s85
	s_sub_u32 s2, 0, s85
	s_subb_u32 s3, 0, 0
	v_mac_f32_e32 v2, 0, v38
	v_rcp_f32_e32 v2, v2
	v_mul_f32_e32 v2, 0x5f7ffffc, v2
	v_mul_f32_e32 v4, 0x2f800000, v2
	v_trunc_f32_e32 v4, v4
	v_mac_f32_e32 v2, 0xcf800000, v4
	v_cvt_u32_f32_e32 v4, v4
	v_cvt_u32_f32_e32 v2, v2
	v_readfirstlane_b32 s6, v4
	v_readfirstlane_b32 s7, v2
	s_mul_i32 s8, s2, s6
	s_mul_hi_u32 s20, s2, s7
	s_mul_i32 s9, s3, s7
	s_add_i32 s8, s20, s8
	s_mul_i32 s21, s2, s7
	s_add_i32 s8, s8, s9
	s_mul_hi_u32 s20, s7, s21
	s_mul_hi_u32 s9, s7, s8
	s_mul_i32 s7, s7, s8
	s_add_u32 s7, s20, s7
	s_addc_u32 s9, 0, s9
	s_mul_hi_u32 s42, s6, s21
	s_mul_i32 s21, s6, s21
	s_add_u32 s7, s7, s21
	s_mul_hi_u32 s20, s6, s8
	s_addc_u32 s7, s9, s42
	s_addc_u32 s9, s20, 0
	s_mul_i32 s8, s6, s8
	s_add_u32 s7, s7, s8
	s_addc_u32 s8, 0, s9
	v_add_co_u32_e32 v2, vcc, s7, v2
	s_cmp_lg_u64 vcc, 0
	s_addc_u32 s6, s6, s8
	v_readfirstlane_b32 s8, v2
	s_mul_i32 s7, s2, s6
	s_mul_hi_u32 s9, s2, s8
	s_add_i32 s7, s9, s7
	s_mul_i32 s3, s3, s8
	s_add_i32 s7, s7, s3
	s_mul_i32 s2, s2, s8
	s_mul_hi_u32 s9, s6, s2
	s_mul_i32 s20, s6, s2
	s_mul_i32 s42, s8, s7
	s_mul_hi_u32 s2, s8, s2
	s_mul_hi_u32 s21, s8, s7
	s_add_u32 s2, s2, s42
	s_addc_u32 s8, 0, s21
	s_add_u32 s2, s2, s20
	s_mul_hi_u32 s3, s6, s7
	s_addc_u32 s2, s8, s9
	s_addc_u32 s3, s3, 0
	s_mul_i32 s7, s6, s7
	s_add_u32 s2, s2, s7
	s_addc_u32 s3, 0, s3
	v_add_co_u32_e32 v2, vcc, s2, v2
	s_cmp_lg_u64 vcc, 0
	s_addc_u32 s2, s6, s3
	v_readfirstlane_b32 s7, v2
	s_mul_i32 s6, s27, s2
	s_mul_hi_u32 s8, s27, s7
	s_mul_hi_u32 s3, s27, s2
	s_add_u32 s6, s8, s6
	s_addc_u32 s3, 0, s3
	s_mul_hi_u32 s9, s83, s7
	s_mul_i32 s7, s83, s7
	s_add_u32 s6, s6, s7
	s_mul_hi_u32 s8, s83, s2
	s_addc_u32 s3, s3, s9
	s_addc_u32 s6, s8, 0
	s_mul_i32 s2, s83, s2
	s_add_u32 s2, s3, s2
	s_addc_u32 s3, 0, s6
	s_mul_hi_u32 s6, s85, s2
	s_mul_i32 s2, s85, s2
	s_mul_i32 s3, s85, s3
	v_mov_b32_e32 v2, s2
	s_add_i32 s6, s6, s3
	v_sub_co_u32_e32 v2, vcc, s27, v2
	s_cmp_lg_u64 vcc, 0
	s_subb_u32 s2, s83, s6
	v_subrev_co_u32_e32 v4, vcc, s85, v2
	s_cmp_lg_u64 vcc, 0
	s_subb_u32 s3, s2, 0
	v_subrev_co_u32_e32 v6, vcc, s85, v4
	s_cmp_lg_u64 vcc, 0
	s_subb_u32 s6, s3, 0
	v_cmp_le_u32_e32 vcc, s85, v4
	s_cmp_eq_u32 s3, 0
	v_cndmask_b32_e64 v7, 0, -1, vcc
	s_cselect_b64 vcc, -1, 0
	v_cndmask_b32_e32 v7, -1, v7, vcc
	v_mov_b32_e32 v8, s3
	v_mov_b32_e32 v9, s6
	v_cmp_ne_u32_e32 vcc, 0, v7
	v_cndmask_b32_e32 v7, v8, v9, vcc
	v_cndmask_b32_e32 v4, v4, v6, vcc
	v_cmp_le_u32_e32 vcc, s85, v2
	s_cmp_eq_u32 s2, 0
	v_cndmask_b32_e64 v6, 0, -1, vcc
	s_cselect_b64 vcc, -1, 0
	v_cndmask_b32_e32 v6, -1, v6, vcc
	v_mov_b32_e32 v8, s2
	v_cmp_ne_u32_e32 vcc, 0, v6
	v_cndmask_b32_e32 v7, v8, v7, vcc
	v_cndmask_b32_e32 v6, v2, v4, vcc
	s_cbranch_execnz .LBB118_268
.LBB118_267:                            ;   in Loop: Header=BB118_31 Depth=1
	v_cvt_f32_u32_e32 v2, s85
	s_sub_i32 s2, 0, s85
	v_rcp_iflag_f32_e32 v2, v2
	v_mul_f32_e32 v2, 0x4f7ffffe, v2
	v_cvt_u32_f32_e32 v2, v2
	v_mul_lo_u32 v4, s2, v2
	v_mul_hi_u32 v4, v2, v4
	v_add_u32_e32 v2, v2, v4
	v_mul_hi_u32 v2, s27, v2
	v_mul_lo_u32 v2, v2, s85
	v_sub_u32_e32 v2, s27, v2
	v_subrev_u32_e32 v4, s85, v2
	v_cmp_le_u32_e32 vcc, s85, v2
	v_cndmask_b32_e32 v2, v2, v4, vcc
	v_subrev_u32_e32 v4, s85, v2
	v_cmp_le_u32_e32 vcc, s85, v2
	v_cndmask_b32_e32 v2, v2, v4, vcc
	v_pk_mov_b32 v[6:7], v[2:3], v[2:3] op_sel:[0,1]
.LBB118_268:                            ;   in Loop: Header=BB118_31 Depth=1
	v_mov_b32_e32 v2, s83
	v_sub_co_u32_e32 v10, vcc, s27, v6
	v_subb_co_u32_e32 v11, vcc, v2, v7, vcc
	v_cmp_gt_u64_e32 vcc, v[10:11], v[0:1]
	s_mov_b64 s[20:21], 0
                                        ; implicit-def: $vgpr8_vgpr9
	s_and_saveexec_b64 s[2:3], vcc
	s_cbranch_execz .LBB118_277
; %bb.269:                              ;   in Loop: Header=BB118_31 Depth=1
	v_pk_mov_b32 v[12:13], v[0:1], v[0:1] op_sel:[0,1]
                                        ; implicit-def: $sgpr8_sgpr9
	s_branch .LBB118_271
.LBB118_270:                            ;   in Loop: Header=BB118_271 Depth=2
	s_or_b64 exec, exec, s[6:7]
	s_waitcnt lgkmcnt(0)
	s_barrier
	s_waitcnt vmcnt(0)
	ds_read_b128 v[6:9], v3 offset:3072
	v_mov_b32_e32 v2, s26
	v_add_co_u32_e64 v12, s[6:7], s85, v12
	v_addc_co_u32_e64 v13, s[6:7], v13, v2, s[6:7]
	s_waitcnt lgkmcnt(0)
	v_cmp_neq_f64_e32 vcc, 0, v[6:7]
	v_cmp_ge_u64_e64 s[6:7], v[12:13], v[10:11]
	s_or_b64 s[6:7], s[6:7], vcc
	s_and_b64 s[6:7], exec, s[6:7]
	s_or_b64 s[20:21], s[6:7], s[20:21]
	s_andn2_b64 s[6:7], s[8:9], exec
	s_and_b64 s[8:9], vcc, exec
	s_or_b64 s[8:9], s[6:7], s[8:9]
	s_barrier
	s_andn2_b64 exec, exec, s[20:21]
	s_cbranch_execz .LBB118_276
.LBB118_271:                            ;   Parent Loop BB118_31 Depth=1
                                        ; =>  This Inner Loop Header: Depth=2
	v_cmp_gt_u64_e32 vcc, s[52:53], v[12:13]
	v_pk_mov_b32 v[6:7], 0, 0
	s_and_saveexec_b64 s[42:43], vcc
	s_cbranch_execz .LBB118_273
; %bb.272:                              ;   in Loop: Header=BB118_271 Depth=2
	v_mul_lo_u32 v2, v13, s76
	v_mul_lo_u32 v4, v12, s77
	v_mad_u64_u32 v[6:7], s[6:7], v12, s76, 0
	v_add3_u32 v7, v7, v4, v2
	v_lshlrev_b64 v[6:7], 3, v[6:7]
	v_mov_b32_e32 v2, s84
	v_add_co_u32_e64 v6, s[6:7], s33, v6
	v_addc_co_u32_e64 v7, s[6:7], v2, v7, s[6:7]
	global_load_dwordx2 v[6:7], v[6:7], off
.LBB118_273:                            ;   in Loop: Header=BB118_271 Depth=2
	s_or_b64 exec, exec, s[42:43]
	s_and_saveexec_b64 s[6:7], vcc
	s_cbranch_execz .LBB118_270
; %bb.274:                              ;   in Loop: Header=BB118_271 Depth=2
	s_waitcnt vmcnt(0)
	v_ashrrev_i32_e32 v2, 31, v7
	v_or_b32_e32 v4, 0x80000000, v2
	v_xor_b32_e32 v4, v4, v7
	v_xor_b32_e32 v2, v2, v6
	v_cmp_o_f64_e32 vcc, v[6:7], v[6:7]
	v_cndmask_b32_e32 v4, -1, v4, vcc
	v_cndmask_b32_e32 v2, -1, v2, vcc
	v_and_b32_e32 v9, s73, v4
	v_and_b32_e32 v8, s72, v2
	v_cmp_eq_u64_e32 vcc, s[60:61], v[8:9]
	s_and_b64 exec, exec, vcc
	s_cbranch_execz .LBB118_270
; %bb.275:                              ;   in Loop: Header=BB118_271 Depth=2
	v_mov_b32_e32 v4, v3
	ds_write_b128 v3, v[4:7] offset:3072
	s_branch .LBB118_270
.LBB118_276:                            ;   in Loop: Header=BB118_31 Depth=1
	s_or_b64 exec, exec, s[20:21]
	s_and_b64 s[20:21], s[8:9], exec
.LBB118_277:                            ;   in Loop: Header=BB118_31 Depth=1
	s_or_b64 exec, exec, s[2:3]
	s_mov_b64 s[8:9], -1
	s_mov_b64 s[2:3], 0
	s_mov_b64 s[6:7], 0
.LBB118_278:                            ;   in Loop: Header=BB118_31 Depth=1
	s_mov_b64 s[44:45], 0
                                        ; implicit-def: $sgpr48
                                        ; implicit-def: $sgpr46_sgpr47
	s_and_saveexec_b64 s[42:43], s[20:21]
	s_cbranch_execz .LBB118_291
; %bb.279:                              ;   in Loop: Header=BB118_31 Depth=1
	s_xor_b64 s[18:19], s[18:19], -1
	s_mov_b64 s[46:47], 1
	s_andn2_b64 vcc, exec, s[18:19]
	s_mov_b32 s48, 1
	s_cbranch_vccnz .LBB118_290
; %bb.280:                              ;   in Loop: Header=BB118_31 Depth=1
	s_waitcnt vmcnt(0)
	v_pk_mov_b32 v[6:7], s[10:11], s[10:11] op_sel:[0,1]
	v_cmp_gt_u64_e32 vcc, s[94:95], v[6:7]
	s_cbranch_vccnz .LBB118_286
; %bb.281:                              ;   in Loop: Header=BB118_31 Depth=1
	ds_read_b64 v[6:7], v3 offset:5120
	s_waitcnt lgkmcnt(0)
	v_cmp_ne_u64_e32 vcc, 0, v[6:7]
	s_cbranch_vccnz .LBB118_285
; %bb.282:                              ;   in Loop: Header=BB118_31 Depth=1
	s_mov_b64 s[18:19], exec
	v_readlane_b32 s20, v50, 36
	v_readlane_b32 s21, v50, 37
	s_and_b64 s[20:21], s[18:19], s[20:21]
	s_mov_b64 exec, s[20:21]
	s_cbranch_execz .LBB118_284
; %bb.283:                              ;   in Loop: Header=BB118_31 Depth=1
	v_pk_mov_b32 v[6:7], s[10:11], s[10:11] op_sel:[0,1]
	ds_write_b64 v3, v[6:7] offset:5128
.LBB118_284:                            ;   in Loop: Header=BB118_31 Depth=1
	s_or_b64 exec, exec, s[18:19]
	s_waitcnt lgkmcnt(0)
	s_barrier
.LBB118_285:                            ;   in Loop: Header=BB118_31 Depth=1
	s_or_b64 s[18:19], s[60:61], s[12:13]
	s_or_b64 s[12:13], s[72:73], s[12:13]
	s_mov_b64 s[20:21], 0
	s_mov_b32 s48, 8
	s_branch .LBB118_287
.LBB118_286:                            ;   in Loop: Header=BB118_31 Depth=1
	s_mov_b64 s[20:21], -1
                                        ; implicit-def: $sgpr48
                                        ; implicit-def: $sgpr18_sgpr19
                                        ; implicit-def: $sgpr12_sgpr13
.LBB118_287:                            ;   in Loop: Header=BB118_31 Depth=1
	s_andn2_b64 vcc, exec, s[20:21]
	s_cbranch_vccnz .LBB118_289
; %bb.288:                              ;   in Loop: Header=BB118_31 Depth=1
	s_sub_u32 s94, s94, s10
	s_subb_u32 s95, s95, s11
	s_mov_b32 s48, 8
	s_mov_b64 s[18:19], s[60:61]
	s_mov_b64 s[12:13], s[72:73]
.LBB118_289:                            ;   in Loop: Header=BB118_31 Depth=1
	s_mov_b64 s[46:47], s[94:95]
	s_mov_b64 s[60:61], s[18:19]
	;; [unrolled: 1-line block ×3, first 2 shown]
.LBB118_290:                            ;   in Loop: Header=BB118_31 Depth=1
	s_mov_b64 s[44:45], exec
.LBB118_291:                            ;   in Loop: Header=BB118_31 Depth=1
	s_or_b64 exec, exec, s[42:43]
	s_mov_b64 s[94:95], s[46:47]
.LBB118_292:                            ;   in Loop: Header=BB118_31 Depth=1
	s_andn2_b64 s[10:11], s[34:35], exec
	s_and_b64 s[2:3], s[2:3], exec
	s_or_b64 s[34:35], s[10:11], s[2:3]
	s_andn2_b64 s[2:3], s[38:39], exec
	s_and_b64 s[8:9], s[8:9], exec
	s_or_b64 s[38:39], s[2:3], s[8:9]
	;; [unrolled: 3-line block ×3, first 2 shown]
	s_and_b64 s[2:3], s[44:45], exec
.LBB118_293:                            ;   in Loop: Header=BB118_31 Depth=1
	s_or_b64 exec, exec, s[40:41]
.LBB118_294:                            ;   in Loop: Header=BB118_31 Depth=1
	s_andn2_b64 s[6:7], s[24:25], exec
	s_and_b64 s[8:9], s[34:35], exec
	s_or_b64 s[24:25], s[6:7], s[8:9]
	s_andn2_b64 s[6:7], s[28:29], exec
	s_and_b64 s[8:9], s[38:39], exec
	s_or_b64 s[28:29], s[6:7], s[8:9]
	;; [unrolled: 3-line block ×3, first 2 shown]
	s_and_b64 s[2:3], s[2:3], exec
.LBB118_295:                            ;   in Loop: Header=BB118_31 Depth=1
	s_or_b64 exec, exec, s[30:31]
	s_and_saveexec_b64 s[6:7], s[2:3]
	s_xor_b64 s[2:3], exec, s[6:7]
	s_cbranch_execz .LBB118_29
.LBB118_296:                            ;   in Loop: Header=BB118_31 Depth=1
	s_and_b32 s6, s48, -9
	s_cmp_eq_u32 s6, 0
	s_cbranch_scc1 .LBB118_27
; %bb.297:                              ;   in Loop: Header=BB118_31 Depth=1
	s_mov_b64 s[6:7], -1
                                        ; implicit-def: $sgpr72_sgpr73
                                        ; implicit-def: $sgpr94_sgpr95
                                        ; implicit-def: $sgpr92
                                        ; implicit-def: $sgpr93
	s_mov_b64 s[8:9], -1
	s_branch .LBB118_28
.LBB118_298:                            ;   in Loop: Header=BB118_31 Depth=1
                                        ; implicit-def: $vgpr6_vgpr7
	s_branch .LBB118_250
.LBB118_299:                            ;   in Loop: Header=BB118_31 Depth=1
                                        ; implicit-def: $vgpr6_vgpr7
	s_branch .LBB118_267
.LBB118_300:
	s_or_b64 exec, exec, s[86:87]
	s_xor_b64 s[8:9], s[80:81], -1
	s_xor_b64 s[0:1], s[70:71], -1
	;; [unrolled: 1-line block ×3, first 2 shown]
	s_mov_b64 s[4:5], 0
	s_and_saveexec_b64 s[2:3], s[0:1]
	s_xor_b64 s[2:3], exec, s[2:3]
	s_cbranch_execnz .LBB118_305
; %bb.301:
	s_andn2_saveexec_b64 s[0:1], s[2:3]
	s_cbranch_execnz .LBB118_318
.LBB118_302:
	s_or_b64 exec, exec, s[0:1]
	s_and_saveexec_b64 s[0:1], s[4:5]
.LBB118_303:
	; divergent unreachable
.LBB118_304:
	s_endpgm
.LBB118_305:
	s_and_saveexec_b64 s[0:1], s[8:9]
	s_xor_b64 s[4:5], exec, s[0:1]
	s_cbranch_execz .LBB118_316
; %bb.306:
	s_and_saveexec_b64 s[0:1], s[6:7]
	s_xor_b64 s[6:7], exec, s[0:1]
; %bb.307:
	v_lshrrev_b32_e32 v2, 31, v7
	v_add_co_u32_e32 v2, vcc, -1, v2
	v_addc_co_u32_e64 v3, s[0:1], 0, -1, vcc
	v_or_b32_e32 v3, 0x80000000, v3
	v_xor_b32_e32 v9, v3, v7
	v_xor_b32_e32 v8, v2, v6
; %bb.308:
	s_or_b64 exec, exec, s[6:7]
	v_readlane_b32 s8, v50, 8
	v_readlane_b32 s0, v50, 4
	;; [unrolled: 1-line block ×4, first 2 shown]
	s_mov_b32 s14, s0
	s_mul_i32 s0, s0, s9
	s_mul_hi_u32 s1, s14, s8
	s_add_i32 s1, s1, s0
	s_mul_i32 s0, s14, s8
	v_readlane_b32 s12, v50, 6
	v_readlane_b32 s16, v50, 24
	;; [unrolled: 1-line block ×3, first 2 shown]
	s_sub_u32 s0, s12, s0
	v_readlane_b32 s18, v50, 26
	v_readlane_b32 s19, v50, 27
	s_subb_u32 s1, s13, s1
	s_mul_i32 s6, s0, s19
	s_mul_hi_u32 s7, s0, s18
	v_readlane_b32 s10, v50, 10
	v_readlane_b32 s11, v50, 11
	;; [unrolled: 1-line block ×3, first 2 shown]
	s_add_i32 s6, s7, s6
	s_mul_i32 s1, s1, s18
	s_add_i32 s1, s6, s1
	s_mul_i32 s6, s14, s17
	s_mul_hi_u32 s7, s14, s16
	s_mul_i32 s8, s12, s11
	s_mul_hi_u32 s9, s12, s10
	s_add_i32 s7, s7, s6
	s_add_i32 s9, s9, s8
	s_mul_i32 s8, s12, s10
	v_readlane_b32 s10, v50, 32
	v_readlane_b32 s12, v50, 22
	;; [unrolled: 1-line block ×3, first 2 shown]
	s_sub_u32 s8, s10, s8
	v_readlane_b32 s13, v50, 23
	s_subb_u32 s9, 0, s9
	s_mul_i32 s10, s8, s13
	s_mul_hi_u32 s11, s8, s12
	s_mul_i32 s6, s14, s16
	s_add_i32 s10, s11, s10
	s_mul_i32 s9, s9, s12
	s_add_i32 s9, s10, s9
	s_lshl_b64 s[6:7], s[6:7], 3
	v_readlane_b32 s10, v50, 30
	s_mul_i32 s0, s0, s18
	v_readlane_b32 s11, v50, 31
	s_add_u32 s6, s10, s6
	s_addc_u32 s7, s11, s7
	s_lshl_b64 s[0:1], s[0:1], 3
	s_mul_i32 s8, s8, s12
	s_add_u32 s6, s6, s0
	s_addc_u32 s7, s7, s1
	s_lshl_b64 s[0:1], s[8:9], 3
	s_add_u32 s0, s6, s0
	s_addc_u32 s1, s7, s1
	v_mov_b32_e32 v2, 0
	global_store_dwordx2 v2, v[8:9], s[0:1]
	s_mov_b64 s[6:7], exec
	v_readlane_b32 s0, v50, 34
	v_readlane_b32 s1, v50, 35
	s_and_b64 s[0:1], s[6:7], s[0:1]
	s_mov_b64 exec, s[0:1]
	s_cbranch_execz .LBB118_315
; %bb.309:
	v_cmp_u_f64_e32 vcc, v[8:9], v[8:9]
	s_mov_b64 s[8:9], 0
	v_mov_b32_e32 v4, s84
	s_xor_b64 s[12:13], vcc, -1
                                        ; implicit-def: $sgpr10_sgpr11
                                        ; implicit-def: $sgpr16_sgpr17
                                        ; implicit-def: $sgpr14_sgpr15
	s_branch .LBB118_311
.LBB118_310:                            ;   in Loop: Header=BB118_311 Depth=1
	s_or_b64 exec, exec, s[0:1]
	s_and_b64 s[0:1], exec, s[16:17]
	s_or_b64 s[8:9], s[0:1], s[8:9]
	s_andn2_b64 s[0:1], s[10:11], exec
	s_and_b64 s[10:11], s[14:15], exec
	s_or_b64 s[10:11], s[0:1], s[10:11]
	s_andn2_b64 exec, exec, s[8:9]
	s_cbranch_execz .LBB118_313
.LBB118_311:                            ; =>This Inner Loop Header: Depth=1
	v_pk_mov_b32 v[2:3], v[0:1], v[0:1] op_sel:[0,1]
	v_mul_lo_u32 v5, v3, s76
	v_mul_lo_u32 v6, v2, s77
	v_mad_u64_u32 v[0:1], s[0:1], v2, s76, 0
	v_add3_u32 v1, v1, v6, v5
	v_lshlrev_b64 v[0:1], 3, v[0:1]
	v_add_co_u32_e32 v0, vcc, s33, v0
	v_addc_co_u32_e32 v1, vcc, v4, v1, vcc
	global_load_dwordx2 v[0:1], v[0:1], off
	s_or_b64 s[14:15], s[14:15], exec
	s_or_b64 s[16:17], s[16:17], exec
	s_waitcnt vmcnt(0)
	v_cmp_o_f64_e64 s[0:1], v[0:1], v[0:1]
	v_cmp_neq_f64_e32 vcc, v[0:1], v[8:9]
	s_or_b64 s[0:1], s[0:1], s[12:13]
	s_and_b64 s[18:19], vcc, s[0:1]
                                        ; implicit-def: $vgpr0_vgpr1
	s_and_saveexec_b64 s[0:1], s[18:19]
	s_cbranch_execz .LBB118_310
; %bb.312:                              ;   in Loop: Header=BB118_311 Depth=1
	v_mov_b32_e32 v1, s26
	v_add_co_u32_e32 v0, vcc, s85, v2
	v_addc_co_u32_e32 v1, vcc, v3, v1, vcc
	v_cmp_le_u64_e32 vcc, s[52:53], v[0:1]
	s_andn2_b64 s[16:17], s[16:17], exec
	s_and_b64 s[18:19], vcc, exec
	s_andn2_b64 s[14:15], s[14:15], exec
	s_or_b64 s[16:17], s[16:17], s[18:19]
	s_branch .LBB118_310
.LBB118_313:
	s_or_b64 exec, exec, s[8:9]
	s_and_saveexec_b64 s[0:1], s[10:11]
	s_xor_b64 s[0:1], exec, s[0:1]
	s_cbranch_execz .LBB118_315
; %bb.314:
	v_readlane_b32 s12, v50, 0
	v_readlane_b32 s0, v50, 12
	;; [unrolled: 1-line block ×4, first 2 shown]
	s_mov_b32 s10, s0
	s_mul_i32 s0, s0, s13
	s_mul_hi_u32 s1, s10, s12
	s_add_i32 s1, s1, s0
	s_mul_i32 s0, s10, s12
	v_readlane_b32 s12, v50, 14
	v_readlane_b32 s16, v50, 18
	;; [unrolled: 1-line block ×3, first 2 shown]
	s_sub_u32 s0, s12, s0
	v_readlane_b32 s18, v50, 20
	v_readlane_b32 s19, v50, 21
	s_subb_u32 s1, s13, s1
	s_mul_i32 s8, s0, s19
	s_mul_hi_u32 s9, s0, s18
	v_readlane_b32 s17, v50, 19
	s_add_i32 s8, s9, s8
	s_mul_i32 s1, s1, s18
	v_readlane_b32 s14, v50, 2
	v_readlane_b32 s15, v50, 3
	s_add_i32 s1, s8, s1
	s_mul_i32 s8, s10, s17
	s_mul_hi_u32 s9, s10, s16
	s_add_i32 s9, s9, s8
	s_mul_i32 s8, s10, s16
	s_mul_i32 s10, s12, s15
	s_mul_hi_u32 s11, s12, s14
	s_add_i32 s11, s11, s10
	s_mul_i32 s10, s12, s14
	v_readlane_b32 s12, v50, 32
	v_readlane_b32 s14, v50, 16
	v_readlane_b32 s13, v50, 33
	s_sub_u32 s10, s12, s10
	v_readlane_b32 s15, v50, 17
	s_subb_u32 s11, 0, s11
	s_mul_i32 s12, s10, s15
	s_mul_hi_u32 s13, s10, s14
	s_add_i32 s12, s13, s12
	s_mul_i32 s11, s11, s14
	s_add_i32 s11, s12, s11
	s_lshl_b64 s[8:9], s[8:9], 3
	v_readlane_b32 s12, v50, 28
	s_mul_i32 s0, s0, s18
	v_readlane_b32 s13, v50, 29
	s_add_u32 s8, s12, s8
	s_addc_u32 s9, s13, s9
	s_lshl_b64 s[0:1], s[0:1], 3
	s_mul_i32 s10, s10, s14
	s_add_u32 s8, s8, s0
	s_addc_u32 s9, s9, s1
	s_lshl_b64 s[0:1], s[10:11], 3
	s_add_u32 s0, s8, s0
	s_addc_u32 s1, s9, s1
	v_mov_b32_e32 v0, 0
	global_store_dwordx2 v0, v[2:3], s[0:1]
.LBB118_315:
	s_or_b64 exec, exec, s[6:7]
.LBB118_316:
	s_or_saveexec_b64 s[0:1], s[4:5]
	s_mov_b64 s[4:5], 0
	s_xor_b64 exec, exec, s[0:1]
	s_cbranch_execnz .LBB118_319
.LBB118_317:
	s_or_b64 exec, exec, s[0:1]
	s_and_b64 s[4:5], s[4:5], exec
	s_andn2_saveexec_b64 s[0:1], s[2:3]
	s_cbranch_execz .LBB118_302
.LBB118_318:
	s_or_b64 s[4:5], s[4:5], exec
	s_trap 2
	s_or_b64 exec, exec, s[0:1]
	s_and_saveexec_b64 s[0:1], s[4:5]
	s_cbranch_execnz .LBB118_303
	s_branch .LBB118_304
.LBB118_319:
	s_mov_b64 s[4:5], exec
	s_trap 2
	s_branch .LBB118_317
	.section	.rodata,"a",@progbits
	.p2align	6, 0x0
	.amdhsa_kernel _ZN2at6native12_GLOBAL__N_112gatherMedianIdmLi3EEEvNS_4cuda6detail10TensorInfoIT_T0_EENS5_IlS7_EENS5_IKS6_S7_EES7_S7_S7_b
		.amdhsa_group_segment_fixed_size 5152
		.amdhsa_private_segment_fixed_size 0
		.amdhsa_kernarg_size 1536
		.amdhsa_user_sgpr_count 6
		.amdhsa_user_sgpr_private_segment_buffer 1
		.amdhsa_user_sgpr_dispatch_ptr 0
		.amdhsa_user_sgpr_queue_ptr 0
		.amdhsa_user_sgpr_kernarg_segment_ptr 1
		.amdhsa_user_sgpr_dispatch_id 0
		.amdhsa_user_sgpr_flat_scratch_init 0
		.amdhsa_user_sgpr_kernarg_preload_length 0
		.amdhsa_user_sgpr_kernarg_preload_offset 0
		.amdhsa_user_sgpr_private_segment_size 0
		.amdhsa_uses_dynamic_stack 0
		.amdhsa_system_sgpr_private_segment_wavefront_offset 0
		.amdhsa_system_sgpr_workgroup_id_x 1
		.amdhsa_system_sgpr_workgroup_id_y 1
		.amdhsa_system_sgpr_workgroup_id_z 1
		.amdhsa_system_sgpr_workgroup_info 0
		.amdhsa_system_vgpr_workitem_id 0
		.amdhsa_next_free_vgpr 51
		.amdhsa_next_free_sgpr 96
		.amdhsa_accum_offset 52
		.amdhsa_reserve_vcc 1
		.amdhsa_reserve_flat_scratch 0
		.amdhsa_float_round_mode_32 0
		.amdhsa_float_round_mode_16_64 0
		.amdhsa_float_denorm_mode_32 3
		.amdhsa_float_denorm_mode_16_64 3
		.amdhsa_dx10_clamp 1
		.amdhsa_ieee_mode 1
		.amdhsa_fp16_overflow 0
		.amdhsa_tg_split 0
		.amdhsa_exception_fp_ieee_invalid_op 0
		.amdhsa_exception_fp_denorm_src 0
		.amdhsa_exception_fp_ieee_div_zero 0
		.amdhsa_exception_fp_ieee_overflow 0
		.amdhsa_exception_fp_ieee_underflow 0
		.amdhsa_exception_fp_ieee_inexact 0
		.amdhsa_exception_int_div_zero 0
	.end_amdhsa_kernel
	.section	.text._ZN2at6native12_GLOBAL__N_112gatherMedianIdmLi3EEEvNS_4cuda6detail10TensorInfoIT_T0_EENS5_IlS7_EENS5_IKS6_S7_EES7_S7_S7_b,"axG",@progbits,_ZN2at6native12_GLOBAL__N_112gatherMedianIdmLi3EEEvNS_4cuda6detail10TensorInfoIT_T0_EENS5_IlS7_EENS5_IKS6_S7_EES7_S7_S7_b,comdat
.Lfunc_end118:
	.size	_ZN2at6native12_GLOBAL__N_112gatherMedianIdmLi3EEEvNS_4cuda6detail10TensorInfoIT_T0_EENS5_IlS7_EENS5_IKS6_S7_EES7_S7_S7_b, .Lfunc_end118-_ZN2at6native12_GLOBAL__N_112gatherMedianIdmLi3EEEvNS_4cuda6detail10TensorInfoIT_T0_EENS5_IlS7_EENS5_IKS6_S7_EES7_S7_S7_b
                                        ; -- End function
	.section	.AMDGPU.csdata,"",@progbits
; Kernel info:
; codeLenInByte = 17932
; NumSgprs: 100
; NumVgprs: 51
; NumAgprs: 0
; TotalNumVgprs: 51
; ScratchSize: 0
; MemoryBound: 0
; FloatMode: 240
; IeeeMode: 1
; LDSByteSize: 5152 bytes/workgroup (compile time only)
; SGPRBlocks: 12
; VGPRBlocks: 6
; NumSGPRsForWavesPerEU: 100
; NumVGPRsForWavesPerEU: 51
; AccumOffset: 52
; Occupancy: 8
; WaveLimiterHint : 1
; COMPUTE_PGM_RSRC2:SCRATCH_EN: 0
; COMPUTE_PGM_RSRC2:USER_SGPR: 6
; COMPUTE_PGM_RSRC2:TRAP_HANDLER: 0
; COMPUTE_PGM_RSRC2:TGID_X_EN: 1
; COMPUTE_PGM_RSRC2:TGID_Y_EN: 1
; COMPUTE_PGM_RSRC2:TGID_Z_EN: 1
; COMPUTE_PGM_RSRC2:TIDIG_COMP_CNT: 0
; COMPUTE_PGM_RSRC3_GFX90A:ACCUM_OFFSET: 12
; COMPUTE_PGM_RSRC3_GFX90A:TG_SPLIT: 0
	.section	.text._ZN2at6native12_GLOBAL__N_112gatherMedianIdmLin1EEEvNS_4cuda6detail10TensorInfoIT_T0_EENS5_IlS7_EENS5_IKS6_S7_EES7_S7_S7_b,"axG",@progbits,_ZN2at6native12_GLOBAL__N_112gatherMedianIdmLin1EEEvNS_4cuda6detail10TensorInfoIT_T0_EENS5_IlS7_EENS5_IKS6_S7_EES7_S7_S7_b,comdat
	.globl	_ZN2at6native12_GLOBAL__N_112gatherMedianIdmLin1EEEvNS_4cuda6detail10TensorInfoIT_T0_EENS5_IlS7_EENS5_IKS6_S7_EES7_S7_S7_b ; -- Begin function _ZN2at6native12_GLOBAL__N_112gatherMedianIdmLin1EEEvNS_4cuda6detail10TensorInfoIT_T0_EENS5_IlS7_EENS5_IKS6_S7_EES7_S7_S7_b
	.p2align	8
	.type	_ZN2at6native12_GLOBAL__N_112gatherMedianIdmLin1EEEvNS_4cuda6detail10TensorInfoIT_T0_EENS5_IlS7_EENS5_IKS6_S7_EES7_S7_S7_b,@function
_ZN2at6native12_GLOBAL__N_112gatherMedianIdmLin1EEEvNS_4cuda6detail10TensorInfoIT_T0_EENS5_IlS7_EENS5_IKS6_S7_EES7_S7_S7_b: ; @_ZN2at6native12_GLOBAL__N_112gatherMedianIdmLin1EEEvNS_4cuda6detail10TensorInfoIT_T0_EENS5_IlS7_EENS5_IKS6_S7_EES7_S7_S7_b
; %bb.0:
	s_load_dwordx4 s[52:55], s[4:5], 0x4e0
	s_load_dwordx2 s[2:3], s[4:5], 0x500
	s_add_u32 s10, s4, 0x500
	s_addc_u32 s11, s5, 0
	s_mov_b32 s9, 0
	s_waitcnt lgkmcnt(0)
	v_mov_b32_e32 v2, s54
	s_mul_i32 s0, s3, s8
	s_add_i32 s0, s0, s7
	s_mul_i32 s0, s0, s2
	v_mov_b32_e32 v3, s55
	s_add_i32 s8, s0, s6
	v_cmp_ge_u64_e32 vcc, s[8:9], v[2:3]
	s_cbranch_vccnz .LBB119_317
; %bb.1:
	s_load_dword s0, s[4:5], 0x198
	s_load_dwordx2 s[56:57], s[4:5], 0x4f0
	s_mov_b64 s[26:27], 0
	s_mov_b64 s[20:21], s[8:9]
	s_waitcnt lgkmcnt(0)
	s_cmp_lt_i32 s0, 2
	s_cbranch_scc1 .LBB119_9
; %bb.2:
	s_mov_b32 s12, 0
	s_add_i32 s3, s0, 1
	s_add_i32 s0, s0, -1
	s_mov_b32 s1, s12
	s_lshl_b64 s[0:1], s[0:1], 3
	s_add_u32 s0, s0, s4
	s_addc_u32 s1, s1, s5
	s_add_u32 s14, s0, 8
	s_addc_u32 s15, s1, 0
	s_mov_b64 s[16:17], s[8:9]
.LBB119_3:                              ; =>This Inner Loop Header: Depth=1
	s_load_dwordx2 s[18:19], s[14:15], 0x0
	s_waitcnt lgkmcnt(0)
	s_or_b64 s[0:1], s[16:17], s[18:19]
	s_mov_b32 s13, s1
	s_cmp_lg_u64 s[12:13], 0
	s_cbranch_scc0 .LBB119_8
; %bb.4:                                ;   in Loop: Header=BB119_3 Depth=1
	v_cvt_f32_u32_e32 v1, s18
	v_cvt_f32_u32_e32 v2, s19
	s_sub_u32 s0, 0, s18
	s_subb_u32 s1, 0, s19
	v_mac_f32_e32 v1, 0x4f800000, v2
	v_rcp_f32_e32 v1, v1
	v_mul_f32_e32 v1, 0x5f7ffffc, v1
	v_mul_f32_e32 v2, 0x2f800000, v1
	v_trunc_f32_e32 v2, v2
	v_mac_f32_e32 v1, 0xcf800000, v2
	v_cvt_u32_f32_e32 v2, v2
	v_cvt_u32_f32_e32 v1, v1
	v_readfirstlane_b32 s7, v2
	v_readfirstlane_b32 s13, v1
	s_mul_i32 s20, s0, s7
	s_mul_hi_u32 s22, s0, s13
	s_mul_i32 s21, s1, s13
	s_add_i32 s20, s22, s20
	s_mul_i32 s23, s0, s13
	s_add_i32 s20, s20, s21
	s_mul_hi_u32 s21, s13, s20
	s_mul_i32 s22, s13, s20
	s_mul_hi_u32 s13, s13, s23
	s_add_u32 s13, s13, s22
	s_addc_u32 s21, 0, s21
	s_mul_hi_u32 s24, s7, s23
	s_mul_i32 s23, s7, s23
	s_add_u32 s13, s13, s23
	s_mul_hi_u32 s22, s7, s20
	s_addc_u32 s13, s21, s24
	s_addc_u32 s21, s22, 0
	s_mul_i32 s20, s7, s20
	s_add_u32 s13, s13, s20
	s_addc_u32 s20, 0, s21
	v_add_co_u32_e32 v1, vcc, s13, v1
	s_cmp_lg_u64 vcc, 0
	s_addc_u32 s7, s7, s20
	v_readfirstlane_b32 s20, v1
	s_mul_i32 s13, s0, s7
	s_mul_hi_u32 s21, s0, s20
	s_add_i32 s13, s21, s13
	s_mul_i32 s1, s1, s20
	s_add_i32 s13, s13, s1
	s_mul_i32 s0, s0, s20
	s_mul_hi_u32 s21, s7, s0
	s_mul_i32 s22, s7, s0
	s_mul_i32 s24, s20, s13
	s_mul_hi_u32 s0, s20, s0
	s_mul_hi_u32 s23, s20, s13
	s_add_u32 s0, s0, s24
	s_addc_u32 s20, 0, s23
	s_add_u32 s0, s0, s22
	s_mul_hi_u32 s1, s7, s13
	s_addc_u32 s0, s20, s21
	s_addc_u32 s1, s1, 0
	s_mul_i32 s13, s7, s13
	s_add_u32 s0, s0, s13
	s_addc_u32 s1, 0, s1
	v_add_co_u32_e32 v1, vcc, s0, v1
	s_cmp_lg_u64 vcc, 0
	s_addc_u32 s0, s7, s1
	v_readfirstlane_b32 s13, v1
	s_mul_i32 s7, s16, s0
	s_mul_hi_u32 s20, s16, s13
	s_mul_hi_u32 s1, s16, s0
	s_add_u32 s7, s20, s7
	s_addc_u32 s1, 0, s1
	s_mul_hi_u32 s21, s17, s13
	s_mul_i32 s13, s17, s13
	s_add_u32 s7, s7, s13
	s_mul_hi_u32 s20, s17, s0
	s_addc_u32 s1, s1, s21
	s_addc_u32 s7, s20, 0
	s_mul_i32 s0, s17, s0
	s_add_u32 s13, s1, s0
	s_addc_u32 s7, 0, s7
	s_mul_i32 s0, s18, s7
	s_mul_hi_u32 s1, s18, s13
	s_add_i32 s0, s1, s0
	s_mul_i32 s1, s19, s13
	s_add_i32 s20, s0, s1
	s_mul_i32 s1, s18, s13
	v_mov_b32_e32 v1, s1
	s_sub_i32 s0, s17, s20
	v_sub_co_u32_e32 v1, vcc, s16, v1
	s_cmp_lg_u64 vcc, 0
	s_subb_u32 s21, s0, s19
	v_subrev_co_u32_e64 v2, s[0:1], s18, v1
	s_cmp_lg_u64 s[0:1], 0
	s_subb_u32 s0, s21, 0
	s_cmp_ge_u32 s0, s19
	v_readfirstlane_b32 s21, v2
	s_cselect_b32 s1, -1, 0
	s_cmp_ge_u32 s21, s18
	s_cselect_b32 s21, -1, 0
	s_cmp_eq_u32 s0, s19
	s_cselect_b32 s0, s21, s1
	s_add_u32 s1, s13, 1
	s_addc_u32 s21, s7, 0
	s_add_u32 s22, s13, 2
	s_addc_u32 s23, s7, 0
	s_cmp_lg_u32 s0, 0
	s_cselect_b32 s0, s22, s1
	s_cselect_b32 s1, s23, s21
	s_cmp_lg_u64 vcc, 0
	s_subb_u32 s20, s17, s20
	s_cmp_ge_u32 s20, s19
	v_readfirstlane_b32 s22, v1
	s_cselect_b32 s21, -1, 0
	s_cmp_ge_u32 s22, s18
	s_cselect_b32 s22, -1, 0
	s_cmp_eq_u32 s20, s19
	s_cselect_b32 s20, s22, s21
	s_cmp_lg_u32 s20, 0
	s_cselect_b32 s21, s1, s7
	s_cselect_b32 s20, s0, s13
	s_cbranch_execnz .LBB119_6
.LBB119_5:                              ;   in Loop: Header=BB119_3 Depth=1
	v_cvt_f32_u32_e32 v1, s18
	s_sub_i32 s0, 0, s18
	s_mov_b32 s21, s12
	v_rcp_iflag_f32_e32 v1, v1
	v_mul_f32_e32 v1, 0x4f7ffffe, v1
	v_cvt_u32_f32_e32 v1, v1
	v_readfirstlane_b32 s1, v1
	s_mul_i32 s0, s0, s1
	s_mul_hi_u32 s0, s1, s0
	s_add_i32 s1, s1, s0
	s_mul_hi_u32 s0, s16, s1
	s_mul_i32 s7, s0, s18
	s_sub_i32 s7, s16, s7
	s_add_i32 s1, s0, 1
	s_sub_i32 s13, s7, s18
	s_cmp_ge_u32 s7, s18
	s_cselect_b32 s0, s1, s0
	s_cselect_b32 s7, s13, s7
	s_add_i32 s1, s0, 1
	s_cmp_ge_u32 s7, s18
	s_cselect_b32 s20, s1, s0
.LBB119_6:                              ;   in Loop: Header=BB119_3 Depth=1
	s_mul_i32 s0, s20, s19
	s_mul_hi_u32 s1, s20, s18
	s_add_i32 s7, s1, s0
	s_load_dwordx2 s[0:1], s[14:15], 0xc8
	s_mul_i32 s13, s21, s18
	s_add_i32 s7, s7, s13
	s_mul_i32 s13, s20, s18
	s_sub_u32 s13, s16, s13
	s_subb_u32 s7, s17, s7
	s_waitcnt lgkmcnt(0)
	s_mul_i32 s7, s0, s7
	s_mul_hi_u32 s16, s0, s13
	s_add_i32 s7, s16, s7
	s_mul_i32 s1, s1, s13
	s_add_i32 s7, s7, s1
	s_mul_i32 s0, s0, s13
	s_add_u32 s26, s0, s26
	s_addc_u32 s27, s7, s27
	s_add_i32 s3, s3, -1
	s_add_u32 s14, s14, -8
	s_addc_u32 s15, s15, -1
	s_cmp_gt_u32 s3, 2
	s_cbranch_scc0 .LBB119_9
; %bb.7:                                ;   in Loop: Header=BB119_3 Depth=1
	s_mov_b64 s[16:17], s[20:21]
	s_branch .LBB119_3
.LBB119_8:                              ;   in Loop: Header=BB119_3 Depth=1
                                        ; implicit-def: $sgpr20_sgpr21
	s_branch .LBB119_5
.LBB119_9:
                                        ; implicit-def: $vgpr66 : SGPR spill to VGPR lane
	s_load_dword s0, s[4:5], 0x338
	s_load_dwordx2 s[12:13], s[4:5], 0xd0
	v_writelane_b32 v66, s26, 0
	v_writelane_b32 v66, s27, 1
	;; [unrolled: 1-line block ×4, first 2 shown]
	s_waitcnt lgkmcnt(0)
	v_writelane_b32 v66, s12, 4
	v_writelane_b32 v66, s13, 5
	s_add_u32 s12, s4, 0x1a0
	s_addc_u32 s13, s5, 0
	s_mov_b64 s[14:15], 0
	v_writelane_b32 v66, s14, 6
	s_cmp_lt_i32 s0, 2
	s_mov_b64 s[64:65], s[8:9]
	v_writelane_b32 v66, s15, 7
	s_cbranch_scc1 .LBB119_17
; %bb.10:
	s_mov_b32 s14, 0
	s_add_i32 s3, s0, 1
	s_add_i32 s0, s0, -1
	s_mov_b32 s1, s14
	s_lshl_b64 s[0:1], s[0:1], 3
	s_add_u32 s0, s0, s12
	s_addc_u32 s1, s1, s13
	s_add_u32 s16, s0, 8
	s_addc_u32 s17, s1, 0
	s_mov_b64 s[0:1], 0
	v_writelane_b32 v66, s0, 6
	s_mov_b64 s[18:19], s[8:9]
	v_writelane_b32 v66, s1, 7
.LBB119_11:                             ; =>This Inner Loop Header: Depth=1
	s_load_dwordx2 s[20:21], s[16:17], 0x0
	s_waitcnt lgkmcnt(0)
	s_or_b64 s[0:1], s[18:19], s[20:21]
	s_mov_b32 s15, s1
	s_cmp_lg_u64 s[14:15], 0
	s_cbranch_scc0 .LBB119_16
; %bb.12:                               ;   in Loop: Header=BB119_11 Depth=1
	v_cvt_f32_u32_e32 v1, s20
	v_cvt_f32_u32_e32 v2, s21
	s_sub_u32 s0, 0, s20
	s_subb_u32 s1, 0, s21
	v_mac_f32_e32 v1, 0x4f800000, v2
	v_rcp_f32_e32 v1, v1
	v_mul_f32_e32 v1, 0x5f7ffffc, v1
	v_mul_f32_e32 v2, 0x2f800000, v1
	v_trunc_f32_e32 v2, v2
	v_mac_f32_e32 v1, 0xcf800000, v2
	v_cvt_u32_f32_e32 v2, v2
	v_cvt_u32_f32_e32 v1, v1
	v_readfirstlane_b32 s7, v2
	v_readfirstlane_b32 s15, v1
	s_mul_i32 s22, s0, s7
	s_mul_hi_u32 s24, s0, s15
	s_mul_i32 s23, s1, s15
	s_add_i32 s22, s24, s22
	s_mul_i32 s25, s0, s15
	s_add_i32 s22, s22, s23
	s_mul_hi_u32 s23, s15, s22
	s_mul_i32 s24, s15, s22
	s_mul_hi_u32 s15, s15, s25
	s_add_u32 s15, s15, s24
	s_addc_u32 s23, 0, s23
	s_mul_hi_u32 s26, s7, s25
	s_mul_i32 s25, s7, s25
	s_add_u32 s15, s15, s25
	s_mul_hi_u32 s24, s7, s22
	s_addc_u32 s15, s23, s26
	s_addc_u32 s23, s24, 0
	s_mul_i32 s22, s7, s22
	s_add_u32 s15, s15, s22
	s_addc_u32 s22, 0, s23
	v_add_co_u32_e32 v1, vcc, s15, v1
	s_cmp_lg_u64 vcc, 0
	s_addc_u32 s7, s7, s22
	v_readfirstlane_b32 s22, v1
	s_mul_i32 s15, s0, s7
	s_mul_hi_u32 s23, s0, s22
	s_add_i32 s15, s23, s15
	s_mul_i32 s1, s1, s22
	s_add_i32 s15, s15, s1
	s_mul_i32 s0, s0, s22
	s_mul_hi_u32 s23, s7, s0
	s_mul_i32 s24, s7, s0
	s_mul_i32 s26, s22, s15
	s_mul_hi_u32 s0, s22, s0
	s_mul_hi_u32 s25, s22, s15
	s_add_u32 s0, s0, s26
	s_addc_u32 s22, 0, s25
	s_add_u32 s0, s0, s24
	s_mul_hi_u32 s1, s7, s15
	s_addc_u32 s0, s22, s23
	s_addc_u32 s1, s1, 0
	s_mul_i32 s15, s7, s15
	s_add_u32 s0, s0, s15
	s_addc_u32 s1, 0, s1
	v_add_co_u32_e32 v1, vcc, s0, v1
	s_cmp_lg_u64 vcc, 0
	s_addc_u32 s0, s7, s1
	v_readfirstlane_b32 s15, v1
	s_mul_i32 s7, s18, s0
	s_mul_hi_u32 s22, s18, s15
	s_mul_hi_u32 s1, s18, s0
	s_add_u32 s7, s22, s7
	s_addc_u32 s1, 0, s1
	s_mul_hi_u32 s23, s19, s15
	s_mul_i32 s15, s19, s15
	s_add_u32 s7, s7, s15
	s_mul_hi_u32 s22, s19, s0
	s_addc_u32 s1, s1, s23
	s_addc_u32 s7, s22, 0
	s_mul_i32 s0, s19, s0
	s_add_u32 s15, s1, s0
	s_addc_u32 s7, 0, s7
	s_mul_i32 s0, s20, s7
	s_mul_hi_u32 s1, s20, s15
	s_add_i32 s0, s1, s0
	s_mul_i32 s1, s21, s15
	s_add_i32 s22, s0, s1
	s_mul_i32 s1, s20, s15
	v_mov_b32_e32 v1, s1
	s_sub_i32 s0, s19, s22
	v_sub_co_u32_e32 v1, vcc, s18, v1
	s_cmp_lg_u64 vcc, 0
	s_subb_u32 s23, s0, s21
	v_subrev_co_u32_e64 v2, s[0:1], s20, v1
	s_cmp_lg_u64 s[0:1], 0
	s_subb_u32 s0, s23, 0
	s_cmp_ge_u32 s0, s21
	v_readfirstlane_b32 s23, v2
	s_cselect_b32 s1, -1, 0
	s_cmp_ge_u32 s23, s20
	s_cselect_b32 s23, -1, 0
	s_cmp_eq_u32 s0, s21
	s_cselect_b32 s0, s23, s1
	s_add_u32 s1, s15, 1
	s_addc_u32 s23, s7, 0
	s_add_u32 s24, s15, 2
	s_addc_u32 s25, s7, 0
	s_cmp_lg_u32 s0, 0
	s_cselect_b32 s0, s24, s1
	s_cselect_b32 s1, s25, s23
	s_cmp_lg_u64 vcc, 0
	s_subb_u32 s22, s19, s22
	s_cmp_ge_u32 s22, s21
	v_readfirstlane_b32 s24, v1
	s_cselect_b32 s23, -1, 0
	s_cmp_ge_u32 s24, s20
	s_cselect_b32 s24, -1, 0
	s_cmp_eq_u32 s22, s21
	s_cselect_b32 s22, s24, s23
	s_cmp_lg_u32 s22, 0
	s_cselect_b32 s65, s1, s7
	s_cselect_b32 s64, s0, s15
	s_cbranch_execnz .LBB119_14
.LBB119_13:                             ;   in Loop: Header=BB119_11 Depth=1
	v_cvt_f32_u32_e32 v1, s20
	s_sub_i32 s0, 0, s20
	s_mov_b32 s65, s14
	v_rcp_iflag_f32_e32 v1, v1
	v_mul_f32_e32 v1, 0x4f7ffffe, v1
	v_cvt_u32_f32_e32 v1, v1
	v_readfirstlane_b32 s1, v1
	s_mul_i32 s0, s0, s1
	s_mul_hi_u32 s0, s1, s0
	s_add_i32 s1, s1, s0
	s_mul_hi_u32 s0, s18, s1
	s_mul_i32 s7, s0, s20
	s_sub_i32 s7, s18, s7
	s_add_i32 s1, s0, 1
	s_sub_i32 s15, s7, s20
	s_cmp_ge_u32 s7, s20
	s_cselect_b32 s0, s1, s0
	s_cselect_b32 s7, s15, s7
	s_add_i32 s1, s0, 1
	s_cmp_ge_u32 s7, s20
	s_cselect_b32 s64, s1, s0
.LBB119_14:                             ;   in Loop: Header=BB119_11 Depth=1
	s_mul_i32 s0, s64, s21
	s_mul_hi_u32 s1, s64, s20
	s_add_i32 s7, s1, s0
	s_load_dwordx2 s[0:1], s[16:17], 0xc8
	s_mul_i32 s15, s65, s20
	s_add_i32 s7, s7, s15
	s_mul_i32 s15, s64, s20
	s_sub_u32 s15, s18, s15
	s_subb_u32 s7, s19, s7
	s_waitcnt lgkmcnt(0)
	s_mul_i32 s7, s0, s7
	s_mul_hi_u32 s18, s0, s15
	s_add_i32 s7, s18, s7
	s_mul_i32 s1, s1, s15
	s_add_i32 s7, s7, s1
	s_mul_i32 s0, s0, s15
	v_readlane_b32 s18, v66, 6
	v_readlane_b32 s19, v66, 7
	s_add_u32 s18, s0, s18
	s_addc_u32 s19, s7, s19
	s_add_i32 s3, s3, -1
	s_add_u32 s16, s16, -8
	s_addc_u32 s17, s17, -1
	v_writelane_b32 v66, s18, 6
	s_cmp_gt_u32 s3, 2
	v_writelane_b32 v66, s19, 7
	s_cbranch_scc0 .LBB119_17
; %bb.15:                               ;   in Loop: Header=BB119_11 Depth=1
	s_mov_b64 s[18:19], s[64:65]
	s_branch .LBB119_11
.LBB119_16:                             ;   in Loop: Header=BB119_11 Depth=1
                                        ; implicit-def: $sgpr64_sgpr65
	s_branch .LBB119_13
.LBB119_17:
	s_load_dword s7, s[4:5], 0x4d8
	s_load_dwordx2 s[0:1], s[12:13], 0xd0
                                        ; kill: killed $sgpr12 killed $sgpr13
	s_mov_b64 s[12:13], 0
	s_waitcnt lgkmcnt(0)
	v_writelane_b32 v66, s0, 8
	v_writelane_b32 v66, s1, 9
	s_add_u32 s0, s4, 0x340
	s_addc_u32 s1, s5, 0
	s_cmp_lt_i32 s7, 2
	s_cbranch_scc1 .LBB119_25
; %bb.18:
	s_mov_b32 s14, 0
	s_add_i32 s12, s7, -1
	s_mov_b32 s13, s14
	s_add_i32 s3, s7, 1
	s_lshl_b64 s[12:13], s[12:13], 3
	s_add_u32 s0, s12, s0
	s_addc_u32 s1, s13, s1
	s_add_u32 s16, s0, 8
	s_addc_u32 s17, s1, 0
	s_mov_b64 s[12:13], 0
.LBB119_19:                             ; =>This Inner Loop Header: Depth=1
	s_load_dwordx2 s[18:19], s[16:17], 0x0
	s_waitcnt lgkmcnt(0)
	s_or_b64 s[0:1], s[8:9], s[18:19]
	s_mov_b32 s15, s1
	s_cmp_lg_u64 s[14:15], 0
	s_cbranch_scc0 .LBB119_24
; %bb.20:                               ;   in Loop: Header=BB119_19 Depth=1
	v_cvt_f32_u32_e32 v1, s18
	v_cvt_f32_u32_e32 v2, s19
	s_sub_u32 s0, 0, s18
	s_subb_u32 s1, 0, s19
	v_mac_f32_e32 v1, 0x4f800000, v2
	v_rcp_f32_e32 v1, v1
	v_mul_f32_e32 v1, 0x5f7ffffc, v1
	v_mul_f32_e32 v2, 0x2f800000, v1
	v_trunc_f32_e32 v2, v2
	v_mac_f32_e32 v1, 0xcf800000, v2
	v_cvt_u32_f32_e32 v2, v2
	v_cvt_u32_f32_e32 v1, v1
	v_readfirstlane_b32 s7, v2
	v_readfirstlane_b32 s15, v1
	s_mul_i32 s20, s0, s7
	s_mul_hi_u32 s22, s0, s15
	s_mul_i32 s21, s1, s15
	s_add_i32 s20, s22, s20
	s_mul_i32 s23, s0, s15
	s_add_i32 s20, s20, s21
	s_mul_hi_u32 s21, s15, s20
	s_mul_i32 s22, s15, s20
	s_mul_hi_u32 s15, s15, s23
	s_add_u32 s15, s15, s22
	s_addc_u32 s21, 0, s21
	s_mul_hi_u32 s24, s7, s23
	s_mul_i32 s23, s7, s23
	s_add_u32 s15, s15, s23
	s_mul_hi_u32 s22, s7, s20
	s_addc_u32 s15, s21, s24
	s_addc_u32 s21, s22, 0
	s_mul_i32 s20, s7, s20
	s_add_u32 s15, s15, s20
	s_addc_u32 s20, 0, s21
	v_add_co_u32_e32 v1, vcc, s15, v1
	s_cmp_lg_u64 vcc, 0
	s_addc_u32 s7, s7, s20
	v_readfirstlane_b32 s20, v1
	s_mul_i32 s15, s0, s7
	s_mul_hi_u32 s21, s0, s20
	s_add_i32 s15, s21, s15
	s_mul_i32 s1, s1, s20
	s_add_i32 s15, s15, s1
	s_mul_i32 s0, s0, s20
	s_mul_hi_u32 s21, s7, s0
	s_mul_i32 s22, s7, s0
	s_mul_i32 s24, s20, s15
	s_mul_hi_u32 s0, s20, s0
	s_mul_hi_u32 s23, s20, s15
	s_add_u32 s0, s0, s24
	s_addc_u32 s20, 0, s23
	s_add_u32 s0, s0, s22
	s_mul_hi_u32 s1, s7, s15
	s_addc_u32 s0, s20, s21
	s_addc_u32 s1, s1, 0
	s_mul_i32 s15, s7, s15
	s_add_u32 s0, s0, s15
	s_addc_u32 s1, 0, s1
	v_add_co_u32_e32 v1, vcc, s0, v1
	s_cmp_lg_u64 vcc, 0
	s_addc_u32 s0, s7, s1
	v_readfirstlane_b32 s15, v1
	s_mul_i32 s7, s8, s0
	s_mul_hi_u32 s20, s8, s15
	s_mul_hi_u32 s1, s8, s0
	s_add_u32 s7, s20, s7
	s_addc_u32 s1, 0, s1
	s_mul_hi_u32 s21, s9, s15
	s_mul_i32 s15, s9, s15
	s_add_u32 s7, s7, s15
	s_mul_hi_u32 s20, s9, s0
	s_addc_u32 s1, s1, s21
	s_addc_u32 s7, s20, 0
	s_mul_i32 s0, s9, s0
	s_add_u32 s15, s1, s0
	s_addc_u32 s7, 0, s7
	s_mul_i32 s0, s18, s7
	s_mul_hi_u32 s1, s18, s15
	s_add_i32 s0, s1, s0
	s_mul_i32 s1, s19, s15
	s_add_i32 s20, s0, s1
	s_mul_i32 s1, s18, s15
	v_mov_b32_e32 v1, s1
	s_sub_i32 s0, s9, s20
	v_sub_co_u32_e32 v1, vcc, s8, v1
	s_cmp_lg_u64 vcc, 0
	s_subb_u32 s21, s0, s19
	v_subrev_co_u32_e64 v2, s[0:1], s18, v1
	s_cmp_lg_u64 s[0:1], 0
	s_subb_u32 s0, s21, 0
	s_cmp_ge_u32 s0, s19
	v_readfirstlane_b32 s21, v2
	s_cselect_b32 s1, -1, 0
	s_cmp_ge_u32 s21, s18
	s_cselect_b32 s21, -1, 0
	s_cmp_eq_u32 s0, s19
	s_cselect_b32 s0, s21, s1
	s_add_u32 s1, s15, 1
	s_addc_u32 s21, s7, 0
	s_add_u32 s22, s15, 2
	s_addc_u32 s23, s7, 0
	s_cmp_lg_u32 s0, 0
	s_cselect_b32 s0, s22, s1
	s_cselect_b32 s1, s23, s21
	s_cmp_lg_u64 vcc, 0
	s_subb_u32 s20, s9, s20
	s_cmp_ge_u32 s20, s19
	v_readfirstlane_b32 s22, v1
	s_cselect_b32 s21, -1, 0
	s_cmp_ge_u32 s22, s18
	s_cselect_b32 s22, -1, 0
	s_cmp_eq_u32 s20, s19
	s_cselect_b32 s20, s22, s21
	s_cmp_lg_u32 s20, 0
	s_cselect_b32 s21, s1, s7
	s_cselect_b32 s20, s0, s15
	s_cbranch_execnz .LBB119_22
.LBB119_21:                             ;   in Loop: Header=BB119_19 Depth=1
	v_cvt_f32_u32_e32 v1, s18
	s_sub_i32 s0, 0, s18
	s_mov_b32 s21, s14
	v_rcp_iflag_f32_e32 v1, v1
	v_mul_f32_e32 v1, 0x4f7ffffe, v1
	v_cvt_u32_f32_e32 v1, v1
	v_readfirstlane_b32 s1, v1
	s_mul_i32 s0, s0, s1
	s_mul_hi_u32 s0, s1, s0
	s_add_i32 s1, s1, s0
	s_mul_hi_u32 s0, s8, s1
	s_mul_i32 s7, s0, s18
	s_sub_i32 s7, s8, s7
	s_add_i32 s1, s0, 1
	s_sub_i32 s15, s7, s18
	s_cmp_ge_u32 s7, s18
	s_cselect_b32 s0, s1, s0
	s_cselect_b32 s7, s15, s7
	s_add_i32 s1, s0, 1
	s_cmp_ge_u32 s7, s18
	s_cselect_b32 s20, s1, s0
.LBB119_22:                             ;   in Loop: Header=BB119_19 Depth=1
	s_mul_i32 s0, s20, s19
	s_mul_hi_u32 s1, s20, s18
	s_add_i32 s7, s1, s0
	s_load_dwordx2 s[0:1], s[16:17], 0xc8
	s_mul_i32 s15, s21, s18
	s_add_i32 s7, s7, s15
	s_mul_i32 s15, s20, s18
	s_sub_u32 s8, s8, s15
	s_subb_u32 s7, s9, s7
	s_waitcnt lgkmcnt(0)
	s_mul_i32 s7, s0, s7
	s_mul_hi_u32 s9, s0, s8
	s_add_i32 s7, s9, s7
	s_mul_i32 s1, s1, s8
	s_add_i32 s7, s7, s1
	s_mul_i32 s0, s0, s8
	s_add_u32 s12, s0, s12
	s_addc_u32 s13, s7, s13
	s_add_i32 s3, s3, -1
	s_add_u32 s16, s16, -8
	s_addc_u32 s17, s17, -1
	s_cmp_gt_u32 s3, 2
	s_cbranch_scc0 .LBB119_26
; %bb.23:                               ;   in Loop: Header=BB119_19 Depth=1
	s_mov_b64 s[8:9], s[20:21]
	s_branch .LBB119_19
.LBB119_24:                             ;   in Loop: Header=BB119_19 Depth=1
                                        ; implicit-def: $sgpr20_sgpr21
	s_branch .LBB119_21
.LBB119_25:
	s_mov_b64 s[20:21], s[8:9]
.LBB119_26:
	s_load_dwordx2 s[8:9], s[4:5], 0x410
	s_load_dwordx2 s[0:1], s[4:5], 0x0
	v_mov_b32_e32 v1, 0
	v_pk_mov_b32 v[2:3], 0, 0
	v_cmp_gt_u64_e64 s[16:17], s[52:53], v[0:1]
	s_waitcnt lgkmcnt(0)
	s_mul_i32 s3, s8, s21
	v_writelane_b32 v66, s0, 10
	v_writelane_b32 v66, s1, 11
	s_load_dwordx2 s[0:1], s[4:5], 0x1a0
	s_mul_hi_u32 s7, s8, s20
	s_add_i32 s3, s7, s3
	s_mul_i32 s7, s9, s20
	s_add_i32 s9, s3, s7
	s_waitcnt lgkmcnt(0)
	v_writelane_b32 v66, s0, 12
	v_writelane_b32 v66, s1, 13
	s_load_dwordx2 s[0:1], s[4:5], 0x340
	s_mul_i32 s8, s8, s20
	s_mov_b64 s[14:15], exec
	v_writelane_b32 v66, s16, 14
	v_writelane_b32 v66, s17, 15
	s_and_b64 s[16:17], s[14:15], s[16:17]
	s_mov_b64 exec, s[16:17]
	s_cbranch_execz .LBB119_30
; %bb.27:
	s_load_dword s3, s[10:11], 0xc
	v_mad_u64_u32 v[2:3], s[18:19], s56, v0, 0
	v_mov_b32_e32 v4, v3
	v_mad_u64_u32 v[4:5], s[18:19], s57, v0, v[4:5]
	s_lshl_b64 s[16:17], s[8:9], 3
	s_waitcnt lgkmcnt(0)
	s_and_b32 s3, s3, 0xffff
	s_lshl_b64 s[18:19], s[12:13], 3
	s_add_u32 s18, s0, s18
	s_addc_u32 s19, s1, s19
	v_mov_b32_e32 v3, v4
	s_add_u32 s16, s18, s16
	v_lshlrev_b64 v[2:3], 3, v[2:3]
	s_addc_u32 s17, s19, s17
	v_mov_b32_e32 v5, s17
	v_add_co_u32_e32 v4, vcc, s16, v2
	s_mul_i32 s16, s57, s3
	s_mul_hi_u32 s17, s56, s3
	s_add_i32 s17, s17, s16
	s_mul_i32 s16, s56, s3
	s_mov_b32 s7, 0
	s_lshl_b64 s[18:19], s[16:17], 3
	v_addc_co_u32_e32 v5, vcc, v5, v3, vcc
	s_mov_b64 s[16:17], 0
	v_pk_mov_b32 v[2:3], 0, 0
	v_mov_b32_e32 v8, s7
	v_mov_b32_e32 v9, s19
	v_pk_mov_b32 v[6:7], v[0:1], v[0:1] op_sel:[0,1]
.LBB119_28:                             ; =>This Inner Loop Header: Depth=1
	global_load_dwordx2 v[10:11], v[4:5], off
	v_add_co_u32_e32 v6, vcc, s3, v6
	v_addc_co_u32_e32 v7, vcc, v7, v8, vcc
	v_add_co_u32_e32 v4, vcc, s18, v4
	v_addc_co_u32_e32 v5, vcc, v5, v9, vcc
	v_cmp_le_u64_e32 vcc, s[52:53], v[6:7]
	s_or_b64 s[16:17], vcc, s[16:17]
	s_waitcnt vmcnt(0)
	v_cmp_u_f64_e32 vcc, v[10:11], v[10:11]
	v_cndmask_b32_e64 v10, 0, 1, vcc
	v_add_co_u32_e32 v2, vcc, v2, v10
	v_addc_co_u32_e32 v3, vcc, 0, v3, vcc
	s_andn2_b64 exec, exec, s[16:17]
	s_cbranch_execnz .LBB119_28
; %bb.29:
	s_or_b64 exec, exec, s[16:17]
.LBB119_30:
	s_or_b64 exec, exec, s[14:15]
	v_cmp_eq_u32_e64 s[16:17], 0, v0
	s_mov_b64 s[14:15], exec
	v_writelane_b32 v66, s16, 16
	v_writelane_b32 v66, s17, 17
	s_and_b64 s[16:17], s[14:15], s[16:17]
	s_mov_b64 exec, s[16:17]
	s_cbranch_execz .LBB119_32
; %bb.31:
	v_mov_b32_e32 v4, 0
	v_mov_b32_e32 v5, v4
	ds_write_b64 v4, v[4:5] offset:5136
.LBB119_32:
	s_or_b64 exec, exec, s[14:15]
	s_mov_b64 s[16:17], 0
	v_cmp_ne_u64_e32 vcc, 0, v[2:3]
	s_waitcnt lgkmcnt(0)
	s_barrier
	s_and_saveexec_b64 s[14:15], vcc
	s_cbranch_execz .LBB119_37
; %bb.33:
	s_mov_b64 s[18:19], exec
.LBB119_34:                             ; =>This Inner Loop Header: Depth=1
	s_ff1_i32_b64 s3, s[18:19]
	v_readlane_b32 s20, v2, s3
	v_readlane_b32 s7, v3, s3
	s_add_u32 s16, s16, s20
	s_addc_u32 s17, s17, s7
	s_lshl_b64 s[20:21], 1, s3
	s_andn2_b64 s[18:19], s[18:19], s[20:21]
	s_cmp_lg_u64 s[18:19], 0
	s_cbranch_scc1 .LBB119_34
; %bb.35:
	v_mbcnt_lo_u32_b32 v2, exec_lo, 0
	v_mbcnt_hi_u32_b32 v2, exec_hi, v2
	v_cmp_eq_u32_e32 vcc, 0, v2
	s_and_saveexec_b64 s[18:19], vcc
	s_xor_b64 s[18:19], exec, s[18:19]
	s_cbranch_execz .LBB119_37
; %bb.36:
	v_mov_b32_e32 v4, 0
	v_pk_mov_b32 v[2:3], s[16:17], s[16:17] op_sel:[0,1]
	ds_add_u64 v4, v[2:3] offset:5136
.LBB119_37:
	s_or_b64 exec, exec, s[14:15]
	v_mov_b32_e32 v3, 0
	s_waitcnt lgkmcnt(0)
	s_barrier
	ds_read_b64 v[4:5], v3 offset:5136
	s_waitcnt lgkmcnt(0)
	v_readfirstlane_b32 s14, v4
	v_readfirstlane_b32 s15, v5
	s_mov_b64 s[16:17], exec
	v_readlane_b32 s18, v66, 16
	v_readlane_b32 s19, v66, 17
	s_and_b64 s[18:19], s[16:17], s[18:19]
	s_mov_b64 exec, s[18:19]
	s_cbranch_execz .LBB119_39
; %bb.38:
	v_mov_b32_e32 v4, s52
	v_mov_b32_e32 v5, s53
	;; [unrolled: 1-line block ×3, first 2 shown]
	ds_write_b32 v3, v3 offset:5144
	ds_write_b128 v3, v[2:5] offset:5120
.LBB119_39:
	s_or_b64 exec, exec, s[16:17]
	s_load_dword s3, s[4:5], 0x4f8
	v_cmp_lt_i64_e64 s[4:5], s[14:15], 1
	v_mbcnt_lo_u32_b32 v2, -1, 0
	v_mbcnt_hi_u32_b32 v48, -1, v2
	v_cmp_gt_u32_e32 vcc, 64, v0
	s_waitcnt lgkmcnt(0)
	s_bitcmp1_b32 s3, 0
	s_cselect_b64 s[16:17], -1, 0
	s_not_b64 s[14:15], s[14:15]
	s_or_b64 s[4:5], s[16:17], s[4:5]
	s_add_u32 s14, s14, s52
	s_addc_u32 s15, s15, s53
	s_lshr_b64 s[14:15], s[14:15], 1
	s_add_u32 s3, s14, 1
	s_addc_u32 s7, s15, 0
	s_and_b64 s[4:5], s[4:5], exec
	s_cselect_b32 s85, s7, s53
	s_cselect_b32 s84, s3, s52
	s_lshl_b64 s[14:15], s[8:9], 3
	s_lshl_b64 s[74:75], s[12:13], 3
	s_add_u32 s12, s0, s14
	s_addc_u32 s13, s1, s15
	s_add_u32 s4, s12, s74
	s_addc_u32 s3, s13, s75
	v_cmp_gt_i32_e64 s[8:9], 4, v48
	v_writelane_b32 v66, s3, 18
	s_and_b64 s[78:79], vcc, s[8:9]
	v_cmp_gt_u32_e64 s[8:9], 2, v0
	v_mov_b32_e32 v4, 0x180
	v_writelane_b32 v66, s8, 19
	v_mov_b32_e32 v5, 0
	v_writelane_b32 v66, s9, 20
	v_cmp_gt_u64_e64 s[8:9], s[52:53], v[4:5]
	v_writelane_b32 v66, s8, 21
	v_writelane_b32 v66, s9, 22
	v_mad_u64_u32 v[4:5], s[8:9], v0, s56, 0
	v_mov_b32_e32 v2, v5
	s_barrier
	v_mad_u64_u32 v[6:7], s[8:9], v0, s57, v[2:3]
	v_mov_b32_e32 v2, s3
	s_load_dword s3, s[10:11], 0xc
	v_mov_b32_e32 v5, v6
	v_lshlrev_b64 v[6:7], 3, v[4:5]
	v_add_co_u32_e32 v20, vcc, s4, v6
	s_waitcnt lgkmcnt(0)
	s_and_b32 s33, s3, 0xffff
	s_bfe_u32 s5, s3, 0xa0006
	v_cmp_gt_u16_e64 s[8:9], s3, 63
	v_writelane_b32 v66, s8, 23
	s_add_u32 s3, s33, -1
	v_writelane_b32 v66, s9, 24
	s_addc_u32 s7, 0, -1
	v_writelane_b32 v66, s3, 25
	s_add_u32 s3, s3, s52
	s_addc_u32 s49, s7, s53
	s_cmp_lt_u32 s6, s2
	s_cselect_b32 s2, 12, 18
	s_add_u32 s86, s10, s2
	v_writelane_b32 v66, s3, 26
	s_addc_u32 s87, s11, 0
	s_add_i32 s2, s5, -1
	s_bfe_u32 s3, s33, 0x30006
	s_cmp_gt_u32 s2, 6
	v_writelane_b32 v66, s7, 27
	s_cselect_b64 s[6:7], -1, 0
	v_writelane_b32 v66, s6, 28
	s_and_b32 s5, s5, 0x3f8
	v_writelane_b32 v66, s7, 29
	s_cmp_lg_u32 s3, 0
	v_writelane_b32 v66, s3, 30
	s_cselect_b64 s[2:3], -1, 0
	v_writelane_b32 v66, s2, 31
	v_writelane_b32 v66, s3, 32
	s_add_u32 s2, s14, s74
	s_addc_u32 s3, s15, s75
	s_add_u32 s2, s0, s2
	s_addc_u32 s3, s1, s3
	v_writelane_b32 v66, s2, 33
	v_lshlrev_b64 v[8:9], v48, -1
	v_writelane_b32 v66, s3, 34
	s_lshl_b64 s[2:3], s[56:57], 3
	v_lshlrev_b32_e32 v53, 5, v0
	v_addc_co_u32_e32 v21, vcc, v2, v7, vcc
	v_lshrrev_b32_e32 v2, 4, v0
	v_not_b32_e32 v25, v9
	v_not_b32_e32 v24, v8
	v_writelane_b32 v66, s2, 35
	v_or_b32_e32 v10, 24, v53
	v_pk_mov_b32 v[8:9], s[12:13], s[12:13] op_sel:[0,1]
	v_and_b32_e32 v51, 60, v2
	v_lshlrev_b32_e32 v2, 2, v48
	v_writelane_b32 v66, s3, 36
	v_mad_u64_u32 v[26:27], s[2:3], s56, v10, v[8:9]
	v_and_b32_e32 v52, 0x100, v2
	v_mov_b32_e32 v2, v27
	v_mad_u64_u32 v[10:11], s[2:3], s57, v10, v[2:3]
	s_lshl_b64 s[2:3], s[56:57], 5
	v_mov_b32_e32 v27, v10
	v_writelane_b32 v66, s2, 37
	v_or_b32_e32 v10, 16, v53
	v_writelane_b32 v66, s3, 38
	v_mad_u64_u32 v[28:29], s[2:3], s56, v10, v[8:9]
	v_mov_b32_e32 v2, v29
	v_mad_u64_u32 v[10:11], s[2:3], s57, v10, v[2:3]
	v_cmp_eq_u32_e64 s[50:51], 0, v48
	v_mov_b32_e32 v29, v10
	v_or_b32_e32 v10, 8, v53
	s_lshl_b32 s60, s33, 3
	v_mad_u64_u32 v[30:31], s[2:3], s56, v10, v[8:9]
	s_add_u32 s0, s0, s74
	v_writelane_b32 v66, s50, 39
	v_mov_b32_e32 v2, v31
	v_lshlrev_b64 v[4:5], 5, v[4:5]
	s_addc_u32 s1, s1, s75
	v_writelane_b32 v66, s51, 40
	v_mad_u64_u32 v[8:9], s[2:3], s57, v10, v[2:3]
	v_mov_b32_e32 v2, s13
	v_add_co_u32_e32 v32, vcc, s12, v4
	s_add_u32 s0, s0, s14
	v_writelane_b32 v66, s78, 41
	v_addc_co_u32_e32 v33, vcc, v2, v5, vcc
	v_mov_b32_e32 v2, 0xc00
	s_addc_u32 s1, s1, s15
	v_writelane_b32 v66, s79, 42
	v_lshl_or_b32 v54, v48, 3, v2
	v_mov_b32_e32 v2, s1
	v_add_co_u32_e32 v18, vcc, s0, v6
	s_mul_i32 s0, s57, s33
	s_mul_hi_u32 s1, s56, s33
	v_writelane_b32 v66, s86, 43
	s_mov_b32 s77, 0
	v_lshlrev_b32_e32 v49, 3, v0
	s_add_i32 s1, s1, s0
	s_mul_i32 s0, s56, s33
	v_writelane_b32 v66, s87, 44
	v_add_u32_e32 v50, 0xc00, v49
	v_lshlrev_b32_e32 v22, 2, v0
	v_mov_b32_e32 v23, v3
	s_mov_b32 s80, s77
	v_mov_b32_e32 v31, v8
	v_addc_co_u32_e32 v19, vcc, v2, v7, vcc
	s_lshl_b64 s[72:73], s[0:1], 3
	s_mov_b32 s61, 62
	s_mov_b64 s[66:67], 0
	v_pk_mov_b32 v[8:9], 0, 0
	v_mov_b32_e32 v5, 0x3ff00000
	v_mov_b32_e32 v55, 0x4f800000
	s_mov_b32 s81, 0
	s_mov_b64 s[82:83], 0
	s_mov_b64 s[2:3], 0
	v_writelane_b32 v66, s4, 45
                                        ; implicit-def: $sgpr38_sgpr39
                                        ; implicit-def: $sgpr70_sgpr71
                                        ; implicit-def: $sgpr92_sgpr93
                                        ; implicit-def: $sgpr44_sgpr45
                                        ; implicit-def: $sgpr88_sgpr89
                                        ; implicit-def: $sgpr54_sgpr55
	v_writelane_b32 v66, s5, 46
	s_branch .LBB119_44
.LBB119_40:                             ;   in Loop: Header=BB119_44 Depth=1
	s_xor_b32 s81, s81, 1
	s_add_i32 s12, s61, -2
	s_cmp_eq_u32 s61, 0
	s_mov_b64 s[6:7], 0
	s_cselect_b64 s[10:11], -1, 0
	s_mov_b32 s61, s12
.LBB119_41:                             ;   in Loop: Header=BB119_44 Depth=1
	s_andn2_b64 s[12:13], s[24:25], exec
	s_and_b64 s[6:7], s[6:7], exec
	s_or_b64 s[24:25], s[12:13], s[6:7]
	s_andn2_b64 s[28:29], s[28:29], exec
	s_andn2_b64 s[22:23], s[22:23], exec
	s_orn2_b64 s[16:17], s[10:11], exec
.LBB119_42:                             ;   in Loop: Header=BB119_44 Depth=1
	s_or_b64 exec, exec, s[0:1]
	s_andn2_b64 s[0:1], s[54:55], exec
	s_and_b64 s[6:7], s[24:25], exec
	s_or_b64 s[54:55], s[0:1], s[6:7]
	s_andn2_b64 s[0:1], s[88:89], exec
	s_and_b64 s[6:7], s[28:29], exec
	s_or_b64 s[88:89], s[0:1], s[6:7]
	;; [unrolled: 3-line block ×3, first 2 shown]
	s_orn2_b64 s[22:23], s[16:17], exec
.LBB119_43:                             ;   in Loop: Header=BB119_44 Depth=1
	s_or_b64 exec, exec, s[14:15]
	s_and_b64 s[0:1], exec, s[22:23]
	s_or_b64 s[66:67], s[0:1], s[66:67]
	s_andn2_b64 s[0:1], s[92:93], exec
	s_and_b64 s[6:7], s[54:55], exec
	s_or_b64 s[92:93], s[0:1], s[6:7]
	s_andn2_b64 s[0:1], s[70:71], exec
	s_and_b64 s[6:7], s[88:89], exec
	s_or_b64 s[70:71], s[0:1], s[6:7]
	s_andn2_b64 s[0:1], s[38:39], exec
	s_and_b64 s[6:7], s[44:45], exec
	s_waitcnt vmcnt(0)
	v_pk_mov_b32 v[6:7], s[82:83], s[82:83] op_sel:[0,1]
	s_or_b64 s[38:39], s[0:1], s[6:7]
	s_andn2_b64 exec, exec, s[66:67]
	s_cbranch_execz .LBB119_313
.LBB119_44:                             ; =>This Loop Header: Depth=1
                                        ;     Child Loop BB119_52 Depth 2
                                        ;     Child Loop BB119_67 Depth 2
	;; [unrolled: 1-line block ×16, first 2 shown]
	ds_read_b128 v[10:13], v3 offset:5120
	s_waitcnt lgkmcnt(0)
	v_readfirstlane_b32 s1, v11
	v_readfirstlane_b32 s0, v10
	s_cmp_lg_u64 s[0:1], 0
	s_cbranch_scc1 .LBB119_74
; %bb.45:                               ;   in Loop: Header=BB119_44 Depth=1
	v_readlane_b32 s0, v66, 21
	v_readlane_b32 s1, v66, 22
	s_and_b64 vcc, exec, s[0:1]
	s_cbranch_vccz .LBB119_60
; %bb.46:                               ;   in Loop: Header=BB119_44 Depth=1
	s_mov_b64 s[0:1], 0x181
	v_cmp_gt_u64_e32 vcc, s[0:1], v[12:13]
	s_mov_b64 s[0:1], 0
	s_mov_b64 s[6:7], 0
	s_cbranch_vccz .LBB119_61
; %bb.47:                               ;   in Loop: Header=BB119_44 Depth=1
	v_pk_mov_b32 v[6:7], 0, 0
	s_mov_b64 s[6:7], exec
	v_readlane_b32 s10, v66, 14
	v_readlane_b32 s11, v66, 15
	s_and_b64 s[10:11], s[6:7], s[10:11]
	s_mov_b64 exec, s[10:11]
	s_cbranch_execz .LBB119_49
; %bb.48:                               ;   in Loop: Header=BB119_44 Depth=1
	global_load_dwordx2 v[6:7], v[20:21], off
.LBB119_49:                             ;   in Loop: Header=BB119_44 Depth=1
	s_or_b64 exec, exec, s[6:7]
	s_mov_b64 s[12:13], exec
	v_readlane_b32 s6, v66, 14
	v_readlane_b32 s7, v66, 15
	s_and_b64 s[6:7], s[12:13], s[6:7]
	s_mov_b64 exec, s[6:7]
	s_cbranch_execz .LBB119_177
; %bb.50:                               ;   in Loop: Header=BB119_44 Depth=1
	global_load_ushort v2, v3, s[86:87]
	v_readlane_b32 s6, v66, 33
	v_readlane_b32 s7, v66, 34
	v_pk_mov_b32 v[10:11], s[6:7], s[6:7] op_sel:[0,1]
	v_readlane_b32 s8, v66, 35
	v_readlane_b32 s9, v66, 36
	s_mov_b64 s[14:15], 0
	s_waitcnt vmcnt(0)
	v_readfirstlane_b32 s6, v2
	s_and_b32 s6, 0xffff, s6
	v_add_u32_e32 v12, s6, v0
	s_mul_i32 s10, s9, s6
	s_mul_hi_u32 s11, s8, s6
	s_mul_i32 s22, s8, s6
	v_mad_u64_u32 v[10:11], s[6:7], s8, v12, v[10:11]
	v_mov_b32_e32 v4, v11
	v_mad_u64_u32 v[12:13], s[6:7], s9, v12, v[4:5]
	s_add_i32 s23, s11, s10
	v_mov_b32_e32 v11, v12
	v_pk_mov_b32 v[12:13], v[0:1], v[0:1] op_sel:[0,1]
	s_branch .LBB119_52
.LBB119_51:                             ;   in Loop: Header=BB119_52 Depth=2
	s_or_b64 exec, exec, s[6:7]
	s_waitcnt lgkmcnt(0)
	v_mov_b32_e32 v4, s23
	v_add_co_u32_e32 v10, vcc, s22, v10
	v_addc_co_u32_e32 v11, vcc, v11, v4, vcc
	s_waitcnt vmcnt(0)
	v_pk_mov_b32 v[6:7], v[14:15], v[14:15] op_sel:[0,1]
	s_andn2_b64 exec, exec, s[14:15]
	s_cbranch_execz .LBB119_177
.LBB119_52:                             ;   Parent Loop BB119_44 Depth=1
                                        ; =>  This Inner Loop Header: Depth=2
	v_add_co_u32_sdwa v12, vcc, v12, v2 dst_sel:DWORD dst_unused:UNUSED_PAD src0_sel:DWORD src1_sel:WORD_0
	v_addc_co_u32_e32 v13, vcc, 0, v13, vcc
	v_cmp_gt_u64_e64 s[6:7], s[52:53], v[12:13]
	v_cmp_le_u64_e32 vcc, s[52:53], v[12:13]
	v_pk_mov_b32 v[14:15], 0, 0
	s_and_saveexec_b64 s[10:11], s[6:7]
	s_cbranch_execz .LBB119_54
; %bb.53:                               ;   in Loop: Header=BB119_52 Depth=2
	global_load_dwordx2 v[14:15], v[10:11], off
.LBB119_54:                             ;   in Loop: Header=BB119_52 Depth=2
	s_or_b64 exec, exec, s[10:11]
	v_ashrrev_i32_e32 v4, 31, v7
	v_or_b32_e32 v16, 0x80000000, v4
	v_xor_b32_e32 v16, v16, v7
	v_xor_b32_e32 v4, v4, v6
	v_cmp_o_f64_e64 s[6:7], v[6:7], v[6:7]
	v_cndmask_b32_e64 v16, -1, v16, s[6:7]
	v_cndmask_b32_e64 v4, -1, v4, s[6:7]
	v_and_b32_e32 v17, s3, v16
	v_and_b32_e32 v16, s2, v4
	v_cmp_eq_u64_e64 s[10:11], s[82:83], v[16:17]
	s_cmp_lg_u64 s[10:11], 0
	s_cselect_b64 s[6:7], -1, 0
	s_and_b64 s[6:7], s[50:51], s[6:7]
	v_mov_b32_e32 v4, 0
	s_and_saveexec_b64 s[16:17], s[6:7]
	s_cbranch_execz .LBB119_58
; %bb.55:                               ;   in Loop: Header=BB119_52 Depth=2
	s_mov_b64 s[20:21], exec
	v_mbcnt_lo_u32_b32 v4, s20, 0
	v_mbcnt_hi_u32_b32 v4, s21, v4
	s_bcnt1_i32_b64 s24, s[10:11]
	v_cmp_eq_u32_e64 s[6:7], 0, v4
                                        ; implicit-def: $vgpr16
	s_and_saveexec_b64 s[18:19], s[6:7]
	s_cbranch_execz .LBB119_57
; %bb.56:                               ;   in Loop: Header=BB119_52 Depth=2
	s_bcnt1_i32_b64 s6, s[20:21]
	s_mul_i32 s6, s24, s6
	v_mov_b32_e32 v16, s6
	ds_add_rtn_u32 v16, v3, v16 offset:5144
.LBB119_57:                             ;   in Loop: Header=BB119_52 Depth=2
	s_or_b64 exec, exec, s[18:19]
	s_waitcnt lgkmcnt(0)
	v_readfirstlane_b32 s6, v16
	v_mov_b32_e32 v16, s6
	v_mad_u32_u24 v4, s24, v4, v16
.LBB119_58:                             ;   in Loop: Header=BB119_52 Depth=2
	s_or_b64 exec, exec, s[16:17]
	ds_bpermute_b32 v4, v52, v4
	s_and_b64 s[6:7], exec, vcc
	s_or_b64 s[14:15], s[6:7], s[14:15]
	s_and_saveexec_b64 s[6:7], s[10:11]
	s_cbranch_execz .LBB119_51
; %bb.59:                               ;   in Loop: Header=BB119_52 Depth=2
	v_and_b32_e32 v17, s10, v24
	v_and_b32_e32 v16, s11, v25
	v_bcnt_u32_b32 v17, v17, 0
	v_bcnt_u32_b32 v16, v16, v17
	v_lshlrev_b32_e32 v16, 3, v16
	s_waitcnt lgkmcnt(0)
	v_lshl_add_u32 v4, v4, 3, v16
	ds_write_b64 v4, v[6:7]
	s_branch .LBB119_51
.LBB119_60:                             ;   in Loop: Header=BB119_44 Depth=1
	s_mov_b64 s[0:1], -1
	s_mov_b64 s[6:7], 0
.LBB119_61:                             ;   in Loop: Header=BB119_44 Depth=1
	s_and_b64 vcc, exec, s[0:1]
	s_cbranch_vccz .LBB119_72
.LBB119_62:                             ;   in Loop: Header=BB119_44 Depth=1
	s_waitcnt vmcnt(0)
	v_pk_mov_b32 v[6:7], 0, 0
	s_mov_b64 s[0:1], exec
	v_readlane_b32 s6, v66, 14
	v_readlane_b32 s7, v66, 15
	s_and_b64 s[6:7], s[0:1], s[6:7]
	s_mov_b64 exec, s[6:7]
	s_cbranch_execz .LBB119_64
; %bb.63:                               ;   in Loop: Header=BB119_44 Depth=1
	global_load_dwordx2 v[6:7], v[20:21], off
.LBB119_64:                             ;   in Loop: Header=BB119_44 Depth=1
	s_or_b64 exec, exec, s[0:1]
	s_mov_b64 s[0:1], exec
	v_readlane_b32 s6, v66, 14
	v_readlane_b32 s7, v66, 15
	s_and_b64 s[6:7], s[0:1], s[6:7]
	s_mov_b64 exec, s[6:7]
	s_cbranch_execz .LBB119_69
; %bb.65:                               ;   in Loop: Header=BB119_44 Depth=1
	global_load_ushort v2, v3, s[86:87]
	v_readlane_b32 s6, v66, 33
	v_readlane_b32 s7, v66, 34
	v_pk_mov_b32 v[10:11], s[6:7], s[6:7] op_sel:[0,1]
	v_readlane_b32 s8, v66, 35
	v_readlane_b32 s9, v66, 36
	s_mov_b64 s[10:11], 0
	v_mov_b32_e32 v4, v49
	s_waitcnt vmcnt(0)
	v_readfirstlane_b32 s6, v2
	s_and_b32 s6, 0xffff, s6
	v_add_u32_e32 v13, s6, v0
	s_lshl_b32 s14, s6, 3
	s_mul_i32 s12, s9, s6
	s_mul_hi_u32 s13, s8, s6
	s_mul_i32 s15, s8, s6
	v_mad_u64_u32 v[10:11], s[6:7], s8, v13, v[10:11]
	v_mov_b32_e32 v12, v11
	v_mad_u64_u32 v[12:13], s[6:7], s9, v13, v[12:13]
	s_add_i32 s16, s13, s12
	v_mov_b32_e32 v11, v12
	v_pk_mov_b32 v[12:13], v[0:1], v[0:1] op_sel:[0,1]
	s_branch .LBB119_67
.LBB119_66:                             ;   in Loop: Header=BB119_67 Depth=2
	s_or_b64 exec, exec, s[12:13]
	s_and_b64 s[6:7], exec, vcc
	ds_write_b64 v4, v[6:7]
	v_mov_b32_e32 v6, s16
	v_add_co_u32_e32 v10, vcc, s15, v10
	s_or_b64 s[10:11], s[6:7], s[10:11]
	v_add_u32_e32 v4, s14, v4
	v_addc_co_u32_e32 v11, vcc, v11, v6, vcc
	s_waitcnt vmcnt(0)
	v_pk_mov_b32 v[6:7], v[14:15], v[14:15] op_sel:[0,1]
	s_andn2_b64 exec, exec, s[10:11]
	s_cbranch_execz .LBB119_69
.LBB119_67:                             ;   Parent Loop BB119_44 Depth=1
                                        ; =>  This Inner Loop Header: Depth=2
	v_add_co_u32_sdwa v12, vcc, v12, v2 dst_sel:DWORD dst_unused:UNUSED_PAD src0_sel:DWORD src1_sel:WORD_0
	v_addc_co_u32_e32 v13, vcc, 0, v13, vcc
	v_cmp_gt_u64_e64 s[6:7], s[52:53], v[12:13]
	v_cmp_le_u64_e32 vcc, s[52:53], v[12:13]
	v_pk_mov_b32 v[14:15], 0, 0
	s_and_saveexec_b64 s[12:13], s[6:7]
	s_cbranch_execz .LBB119_66
; %bb.68:                               ;   in Loop: Header=BB119_67 Depth=2
	global_load_dwordx2 v[14:15], v[10:11], off
	s_branch .LBB119_66
.LBB119_69:                             ;   in Loop: Header=BB119_44 Depth=1
	s_or_b64 exec, exec, s[0:1]
	s_waitcnt lgkmcnt(0)
	s_barrier
	s_mov_b64 s[0:1], exec
	v_readlane_b32 s6, v66, 16
	v_readlane_b32 s7, v66, 17
	s_and_b64 s[6:7], s[0:1], s[6:7]
	s_mov_b64 exec, s[6:7]
	s_cbranch_execz .LBB119_71
; %bb.70:                               ;   in Loop: Header=BB119_44 Depth=1
	s_waitcnt vmcnt(0)
	v_pk_mov_b32 v[6:7], s[52:53], s[52:53] op_sel:[0,1]
	ds_write_b64 v3, v[6:7] offset:5120
.LBB119_71:                             ;   in Loop: Header=BB119_44 Depth=1
	s_or_b64 exec, exec, s[0:1]
	s_mov_b64 s[6:7], -1
	s_waitcnt lgkmcnt(0)
	s_barrier
                                        ; implicit-def: $sgpr0_sgpr1
.LBB119_72:                             ;   in Loop: Header=BB119_44 Depth=1
	s_and_b64 vcc, exec, s[6:7]
	s_cbranch_vccz .LBB119_74
; %bb.73:                               ;   in Loop: Header=BB119_44 Depth=1
	s_waitcnt vmcnt(0)
	ds_read_b64 v[6:7], v3 offset:5120
	s_waitcnt lgkmcnt(0)
	v_readfirstlane_b32 s0, v6
.LBB119_74:                             ;   in Loop: Header=BB119_44 Depth=1
	s_cmp_lt_i32 s0, 1
	s_cbranch_scc0 .LBB119_89
; %bb.75:                               ;   in Loop: Header=BB119_44 Depth=1
	global_load_ushort v2, v3, s[86:87]
	s_mov_b32 s6, s77
	s_mov_b32 s7, s53
	s_waitcnt vmcnt(0)
	v_readfirstlane_b32 s1, v2
	s_and_b32 s1, s1, 0xffff
	s_lshl_b32 s76, s1, 2
	s_cmp_lg_u64 s[6:7], 0
	s_cbranch_scc0 .LBB119_109
; %bb.76:                               ;   in Loop: Header=BB119_44 Depth=1
	v_cvt_f32_u32_e32 v2, s76
	s_sub_u32 s6, 0, s76
	s_subb_u32 s7, 0, 0
	v_mac_f32_e32 v2, 0, v55
	v_rcp_f32_e32 v2, v2
	v_mul_f32_e32 v2, 0x5f7ffffc, v2
	v_mul_f32_e32 v4, 0x2f800000, v2
	v_trunc_f32_e32 v4, v4
	v_mac_f32_e32 v2, 0xcf800000, v4
	v_cvt_u32_f32_e32 v4, v4
	v_cvt_u32_f32_e32 v2, v2
	v_readfirstlane_b32 s10, v4
	v_readfirstlane_b32 s11, v2
	s_mul_i32 s12, s6, s10
	s_mul_hi_u32 s14, s6, s11
	s_mul_i32 s13, s7, s11
	s_add_i32 s12, s14, s12
	s_mul_i32 s15, s6, s11
	s_add_i32 s12, s12, s13
	s_mul_hi_u32 s14, s11, s15
	s_mul_hi_u32 s13, s11, s12
	s_mul_i32 s11, s11, s12
	s_add_u32 s11, s14, s11
	s_addc_u32 s13, 0, s13
	s_mul_hi_u32 s16, s10, s15
	s_mul_i32 s15, s10, s15
	s_add_u32 s11, s11, s15
	s_mul_hi_u32 s14, s10, s12
	s_addc_u32 s11, s13, s16
	s_addc_u32 s13, s14, 0
	s_mul_i32 s12, s10, s12
	s_add_u32 s11, s11, s12
	s_addc_u32 s12, 0, s13
	v_add_co_u32_e32 v2, vcc, s11, v2
	s_cmp_lg_u64 vcc, 0
	s_addc_u32 s10, s10, s12
	v_readfirstlane_b32 s12, v2
	s_mul_i32 s11, s6, s10
	s_mul_hi_u32 s13, s6, s12
	s_add_i32 s11, s13, s11
	s_mul_i32 s7, s7, s12
	s_add_i32 s11, s11, s7
	s_mul_i32 s6, s6, s12
	s_mul_hi_u32 s13, s10, s6
	s_mul_i32 s14, s10, s6
	s_mul_i32 s16, s12, s11
	s_mul_hi_u32 s6, s12, s6
	s_mul_hi_u32 s15, s12, s11
	s_add_u32 s6, s6, s16
	s_addc_u32 s12, 0, s15
	s_add_u32 s6, s6, s14
	s_mul_hi_u32 s7, s10, s11
	s_addc_u32 s6, s12, s13
	s_addc_u32 s7, s7, 0
	s_mul_i32 s11, s10, s11
	s_add_u32 s6, s6, s11
	s_addc_u32 s7, 0, s7
	v_add_co_u32_e32 v2, vcc, s6, v2
	s_cmp_lg_u64 vcc, 0
	s_addc_u32 s6, s10, s7
	v_readfirstlane_b32 s11, v2
	s_mul_i32 s10, s52, s6
	s_mul_hi_u32 s12, s52, s11
	s_mul_hi_u32 s7, s52, s6
	s_add_u32 s10, s12, s10
	s_addc_u32 s7, 0, s7
	s_mul_hi_u32 s13, s53, s11
	s_mul_i32 s11, s53, s11
	s_add_u32 s10, s10, s11
	s_mul_hi_u32 s12, s53, s6
	s_addc_u32 s7, s7, s13
	s_addc_u32 s10, s12, 0
	s_mul_i32 s6, s53, s6
	s_add_u32 s6, s7, s6
	s_addc_u32 s7, 0, s10
	s_mul_hi_u32 s10, s76, s6
	s_mul_i32 s6, s76, s6
	s_mul_i32 s7, s76, s7
	v_mov_b32_e32 v2, s6
	s_add_i32 s10, s10, s7
	v_sub_co_u32_e32 v2, vcc, s52, v2
	s_cmp_lg_u64 vcc, 0
	s_subb_u32 s6, s53, s10
	v_subrev_co_u32_e32 v4, vcc, s76, v2
	s_cmp_lg_u64 vcc, 0
	s_subb_u32 s7, s6, 0
	v_subrev_co_u32_e32 v6, vcc, s76, v4
	s_cmp_lg_u64 vcc, 0
	s_subb_u32 s10, s7, 0
	v_cmp_le_u32_e32 vcc, s76, v4
	s_cmp_eq_u32 s7, 0
	v_cndmask_b32_e64 v7, 0, -1, vcc
	s_cselect_b64 vcc, -1, 0
	v_cndmask_b32_e32 v7, -1, v7, vcc
	v_mov_b32_e32 v10, s7
	v_mov_b32_e32 v11, s10
	v_cmp_ne_u32_e32 vcc, 0, v7
	v_cndmask_b32_e32 v7, v10, v11, vcc
	v_cndmask_b32_e32 v4, v4, v6, vcc
	v_cmp_le_u32_e32 vcc, s76, v2
	s_cmp_eq_u32 s6, 0
	v_cndmask_b32_e64 v6, 0, -1, vcc
	s_cselect_b64 vcc, -1, 0
	v_cndmask_b32_e32 v6, -1, v6, vcc
	v_mov_b32_e32 v10, s6
	v_cmp_ne_u32_e32 vcc, 0, v6
	v_cndmask_b32_e32 v7, v10, v7, vcc
	v_cndmask_b32_e32 v6, v2, v4, vcc
	s_cbranch_execnz .LBB119_78
.LBB119_77:                             ;   in Loop: Header=BB119_44 Depth=1
	v_cvt_f32_u32_e32 v2, s76
	s_sub_i32 s6, 0, s76
	v_rcp_iflag_f32_e32 v2, v2
	v_mul_f32_e32 v2, 0x4f7ffffe, v2
	v_cvt_u32_f32_e32 v2, v2
	v_mul_lo_u32 v4, s6, v2
	v_mul_hi_u32 v4, v2, v4
	v_add_u32_e32 v2, v2, v4
	v_mul_hi_u32 v2, s52, v2
	v_mul_lo_u32 v2, v2, s76
	v_sub_u32_e32 v2, s52, v2
	v_subrev_u32_e32 v4, s76, v2
	v_cmp_le_u32_e32 vcc, s76, v2
	v_cndmask_b32_e32 v2, v2, v4, vcc
	v_subrev_u32_e32 v4, s76, v2
	v_cmp_le_u32_e32 vcc, s76, v2
	v_cndmask_b32_e32 v2, v2, v4, vcc
	v_pk_mov_b32 v[6:7], v[2:3], v[2:3] op_sel:[0,1]
.LBB119_78:                             ;   in Loop: Header=BB119_44 Depth=1
	v_mov_b32_e32 v2, s53
	v_sub_co_u32_e32 v6, vcc, s52, v6
	v_subb_co_u32_e32 v7, vcc, v2, v7, vcc
	v_pk_mov_b32 v[10:11], 0, 0
	v_cmp_gt_u64_e32 vcc, v[6:7], v[22:23]
	s_mov_b64 s[94:95], 0
	v_pk_mov_b32 v[12:13], v[10:11], v[10:11] op_sel:[0,1]
	v_pk_mov_b32 v[14:15], v[10:11], v[10:11] op_sel:[0,1]
	;; [unrolled: 1-line block ×3, first 2 shown]
	s_and_saveexec_b64 s[26:27], vcc
	s_cbranch_execz .LBB119_82
; %bb.79:                               ;   in Loop: Header=BB119_44 Depth=1
	v_readlane_b32 s10, v66, 37
	v_readlane_b32 s11, v66, 38
	s_mul_i32 s6, s11, s1
	s_mul_hi_u32 s7, s10, s1
	s_mov_b64 s[4:5], s[38:39]
	s_mov_b64 s[62:63], s[44:45]
	s_mov_b32 s9, s49
	s_mov_b64 s[90:91], s[84:85]
	s_mov_b64 s[58:59], s[64:65]
	s_mov_b32 s8, s61
	s_and_b32 s61, s61, 0xfe
	s_add_i32 s64, s7, s6
	s_mul_i32 s65, s10, s1
	v_pk_mov_b32 v[34:35], v[32:33], v[32:33] op_sel:[0,1]
	v_pk_mov_b32 v[36:37], v[30:31], v[30:31] op_sel:[0,1]
	;; [unrolled: 1-line block ×4, first 2 shown]
	s_mov_b64 s[68:69], 0
	s_mov_b64 s[78:79], 0
	s_mov_b64 s[86:87], 0
	s_mov_b64 s[84:85], 0
	v_pk_mov_b32 v[42:43], v[22:23], v[22:23] op_sel:[0,1]
.LBB119_80:                             ;   Parent Loop BB119_44 Depth=1
                                        ; =>  This Inner Loop Header: Depth=2
	v_mov_b32_e32 v2, s75
	v_add_co_u32_e32 v16, vcc, s74, v36
	v_add_co_u32_e64 v44, s[10:11], s74, v38
	v_add_co_u32_e64 v46, s[12:13], s74, v40
	v_add_co_u32_e64 v56, s[18:19], s74, v34
	v_addc_co_u32_e64 v57, s[18:19], v35, v2, s[18:19]
	v_addc_co_u32_e32 v17, vcc, v37, v2, vcc
	v_addc_co_u32_e64 v45, vcc, v39, v2, s[10:11]
	v_addc_co_u32_e64 v47, vcc, v41, v2, s[12:13]
	global_load_dwordx2 v[56:57], v[56:57], off
	s_nop 0
	global_load_dwordx2 v[16:17], v[16:17], off
	s_nop 0
	;; [unrolled: 2-line block ×3, first 2 shown]
	global_load_dwordx2 v[46:47], v[46:47], off
	v_mov_b32_e32 v4, s64
	v_add_co_u32_e64 v40, s[6:7], s65, v40
	v_add_co_u32_e64 v38, s[14:15], s65, v38
	;; [unrolled: 1-line block ×4, first 2 shown]
	v_addc_co_u32_e64 v41, vcc, v41, v4, s[6:7]
	v_addc_co_u32_e64 v39, vcc, v39, v4, s[14:15]
	;; [unrolled: 1-line block ×4, first 2 shown]
	v_mov_b32_e32 v11, v3
	v_mov_b32_e32 v13, v3
	;; [unrolled: 1-line block ×3, first 2 shown]
	v_add_co_u32_e64 v42, s[22:23], s76, v42
	v_addc_co_u32_e64 v43, s[22:23], 0, v43, s[22:23]
	v_cmp_ge_u64_e32 vcc, v[42:43], v[6:7]
	s_waitcnt vmcnt(3)
	v_ashrrev_i32_e32 v2, 31, v57
	s_waitcnt vmcnt(2)
	v_ashrrev_i32_e32 v4, 31, v17
	v_xor_b32_e32 v14, v4, v16
	v_cmp_o_f64_e64 s[6:7], v[16:17], v[16:17]
	v_or_b32_e32 v16, 0x80000000, v2
	s_waitcnt vmcnt(1)
	v_ashrrev_i32_e32 v10, 31, v45
	s_waitcnt vmcnt(0)
	v_ashrrev_i32_e32 v12, 31, v47
	v_xor_b32_e32 v2, v2, v56
	v_or_b32_e32 v4, 0x80000000, v4
	v_cmp_o_f64_e64 s[14:15], v[56:57], v[56:57]
	v_xor_b32_e32 v57, v16, v57
	v_xor_b32_e32 v58, v10, v44
	v_cmp_o_f64_e64 s[10:11], v[44:45], v[44:45]
	v_xor_b32_e32 v59, v12, v46
	v_cmp_o_f64_e64 s[12:13], v[46:47], v[46:47]
	v_or_b32_e32 v10, 0x80000000, v10
	v_xor_b32_e32 v4, v4, v17
	v_cndmask_b32_e64 v16, -1, v2, s[14:15]
	v_cndmask_b32_e64 v17, -1, v57, s[14:15]
	v_or_b32_e32 v12, 0x80000000, v12
	v_xor_b32_e32 v10, v10, v45
	v_cndmask_b32_e64 v44, -1, v14, s[6:7]
	v_cndmask_b32_e64 v46, -1, v58, s[10:11]
	;; [unrolled: 1-line block ×4, first 2 shown]
	v_and_b32_e32 v58, s2, v16
	v_and_b32_e32 v59, s3, v17
	v_lshrrev_b64 v[16:17], s61, v[16:17]
	v_xor_b32_e32 v12, v12, v47
	v_cndmask_b32_e64 v47, -1, v10, s[10:11]
	v_and_b32_e32 v60, s2, v44
	v_and_b32_e32 v61, s3, v45
	v_lshrrev_b64 v[44:45], s61, v[44:45]
	v_and_b32_e32 v2, 3, v16
	v_cndmask_b32_e64 v57, -1, v12, s[12:13]
	v_and_b32_e32 v62, s2, v46
	v_and_b32_e32 v63, s3, v47
	v_lshrrev_b64 v[46:47], s61, v[46:47]
	v_cmp_eq_u64_e64 s[16:17], s[82:83], v[58:59]
	v_and_b32_e32 v10, 3, v44
	v_cmp_eq_u64_e64 s[6:7], 0, v[2:3]
	v_and_b32_e32 v64, s2, v56
	v_and_b32_e32 v65, s3, v57
	v_lshrrev_b64 v[56:57], s61, v[56:57]
	v_cmp_eq_u64_e64 s[14:15], s[82:83], v[60:61]
	v_and_b32_e32 v12, 3, v46
	v_cmp_eq_u64_e64 s[28:29], 0, v[10:11]
	s_and_b64 s[6:7], s[16:17], s[6:7]
	v_cmp_eq_u64_e64 s[12:13], s[82:83], v[62:63]
	v_and_b32_e32 v14, 3, v56
	v_cmp_eq_u64_e64 s[30:31], 0, v[12:13]
	v_cmp_eq_u64_e64 s[36:37], 1, v[2:3]
	;; [unrolled: 1-line block ×4, first 2 shown]
	v_cndmask_b32_e64 v2, 0, 1, s[6:7]
	s_and_b64 s[6:7], s[14:15], s[28:29]
	v_cmp_eq_u64_e64 s[10:11], s[82:83], v[64:65]
	v_cmp_eq_u64_e64 s[34:35], 0, v[14:15]
	v_cndmask_b32_e64 v4, 0, 1, s[6:7]
	s_and_b64 s[6:7], s[12:13], s[30:31]
	v_cmp_eq_u64_e64 s[38:39], 1, v[10:11]
	v_cmp_eq_u64_e64 s[46:47], 2, v[10:11]
	;; [unrolled: 1-line block ×3, first 2 shown]
	v_cndmask_b32_e64 v10, 0, 1, s[6:7]
	s_and_b64 s[6:7], s[10:11], s[34:35]
	v_cndmask_b32_e64 v11, 0, 1, s[6:7]
	v_cmp_ne_u32_e64 s[6:7], 0, v2
	v_cmp_ne_u32_e64 s[28:29], 0, v4
	;; [unrolled: 1-line block ×4, first 2 shown]
	s_bcnt1_i32_b64 s6, s[6:7]
	s_bcnt1_i32_b64 s7, s[28:29]
	s_bcnt1_i32_b64 s28, s[30:31]
	s_bcnt1_i32_b64 s29, s[34:35]
	s_add_u32 s6, s6, s84
	s_addc_u32 s30, 0, s85
	s_add_u32 s6, s6, s7
	s_addc_u32 s7, s30, 0
	;; [unrolled: 2-line block ×4, first 2 shown]
	s_and_b64 s[6:7], s[16:17], s[36:37]
	v_cmp_eq_u64_e64 s[40:41], 1, v[12:13]
	v_cndmask_b32_e64 v2, 0, 1, s[6:7]
	s_and_b64 s[6:7], s[14:15], s[38:39]
	v_cmp_eq_u64_e64 s[42:43], 1, v[14:15]
	v_cndmask_b32_e64 v4, 0, 1, s[6:7]
	s_and_b64 s[6:7], s[12:13], s[40:41]
	v_cmp_eq_u64_e64 s[48:49], 2, v[12:13]
	v_cmp_eq_u64_e64 s[20:21], 3, v[12:13]
	v_cndmask_b32_e64 v12, 0, 1, s[6:7]
	s_and_b64 s[6:7], s[10:11], s[42:43]
	v_cndmask_b32_e64 v13, 0, 1, s[6:7]
	v_cmp_ne_u32_e64 s[6:7], 0, v2
	v_cmp_ne_u32_e64 s[28:29], 0, v4
	;; [unrolled: 1-line block ×4, first 2 shown]
	s_bcnt1_i32_b64 s6, s[6:7]
	s_bcnt1_i32_b64 s7, s[28:29]
	;; [unrolled: 1-line block ×4, first 2 shown]
	s_add_u32 s6, s6, s86
	s_addc_u32 s30, 0, s87
	s_add_u32 s6, s6, s7
	s_addc_u32 s7, s30, 0
	;; [unrolled: 2-line block ×4, first 2 shown]
	s_and_b64 s[6:7], s[16:17], s[44:45]
	v_cndmask_b32_e64 v2, 0, 1, s[6:7]
	s_and_b64 s[6:7], s[14:15], s[46:47]
	v_cmp_eq_u64_e64 s[50:51], 2, v[14:15]
	v_cndmask_b32_e64 v4, 0, 1, s[6:7]
	s_and_b64 s[6:7], s[12:13], s[48:49]
	v_cmp_eq_u64_e64 s[18:19], 3, v[14:15]
	v_cndmask_b32_e64 v14, 0, 1, s[6:7]
	s_and_b64 s[6:7], s[10:11], s[50:51]
	v_cndmask_b32_e64 v15, 0, 1, s[6:7]
	v_cmp_ne_u32_e64 s[6:7], 0, v2
	v_cmp_ne_u32_e64 s[28:29], 0, v4
	;; [unrolled: 1-line block ×4, first 2 shown]
	s_bcnt1_i32_b64 s6, s[6:7]
	s_bcnt1_i32_b64 s7, s[28:29]
	;; [unrolled: 1-line block ×4, first 2 shown]
	s_add_u32 s6, s6, s78
	s_addc_u32 s30, 0, s79
	s_add_u32 s6, s6, s7
	s_addc_u32 s7, s30, 0
	;; [unrolled: 2-line block ×4, first 2 shown]
	s_and_b64 s[6:7], s[16:17], s[24:25]
	v_cndmask_b32_e64 v2, 0, 1, s[6:7]
	s_and_b64 s[6:7], s[14:15], s[22:23]
	v_cndmask_b32_e64 v4, 0, 1, s[6:7]
	;; [unrolled: 2-line block ×4, first 2 shown]
	v_cmp_ne_u32_e64 s[6:7], 0, v2
	v_cmp_ne_u32_e64 s[10:11], 0, v4
	;; [unrolled: 1-line block ×4, first 2 shown]
	s_bcnt1_i32_b64 s6, s[6:7]
	s_bcnt1_i32_b64 s7, s[10:11]
	;; [unrolled: 1-line block ×4, first 2 shown]
	s_add_u32 s6, s6, s68
	s_addc_u32 s12, 0, s69
	s_add_u32 s6, s6, s7
	s_addc_u32 s7, s12, 0
	;; [unrolled: 2-line block ×4, first 2 shown]
	v_pk_mov_b32 v[10:11], s[84:85], s[84:85] op_sel:[0,1]
	v_pk_mov_b32 v[12:13], s[86:87], s[86:87] op_sel:[0,1]
	;; [unrolled: 1-line block ×3, first 2 shown]
	s_or_b64 s[94:95], vcc, s[94:95]
	v_pk_mov_b32 v[16:17], s[68:69], s[68:69] op_sel:[0,1]
	s_andn2_b64 exec, exec, s[94:95]
	s_cbranch_execnz .LBB119_80
; %bb.81:                               ;   in Loop: Header=BB119_44 Depth=1
	s_or_b64 exec, exec, s[94:95]
	v_readlane_b32 s50, v66, 39
	v_readlane_b32 s78, v66, 41
	;; [unrolled: 1-line block ×3, first 2 shown]
	s_mov_b64 s[64:65], s[58:59]
	v_readlane_b32 s51, v66, 40
	v_readlane_b32 s79, v66, 42
	s_mov_b64 s[84:85], s[90:91]
	s_mov_b32 s49, s9
	v_readlane_b32 s87, v66, 44
	s_mov_b32 s61, s8
	s_mov_b64 s[44:45], s[62:63]
	s_mov_b64 s[38:39], s[4:5]
	v_readlane_b32 s4, v66, 45
	v_readlane_b32 s5, v66, 46
.LBB119_82:                             ;   in Loop: Header=BB119_44 Depth=1
	s_or_b64 exec, exec, s[26:27]
	v_add_co_u32_e32 v6, vcc, v6, v0
	v_addc_co_u32_e32 v7, vcc, 0, v7, vcc
	v_cmp_gt_u64_e32 vcc, s[52:53], v[6:7]
	v_pk_mov_b32 v[34:35], 0, 0
	s_and_saveexec_b64 s[10:11], vcc
	v_readlane_b32 s8, v66, 18
	s_cbranch_execz .LBB119_84
; %bb.83:                               ;   in Loop: Header=BB119_44 Depth=1
	v_mul_lo_u32 v2, v7, s56
	v_mul_lo_u32 v4, v6, s57
	v_mad_u64_u32 v[34:35], s[6:7], v6, s56, 0
	v_add3_u32 v35, v35, v4, v2
	v_lshlrev_b64 v[34:35], 3, v[34:35]
	v_mov_b32_e32 v2, s8
	v_add_co_u32_e64 v34, s[6:7], s4, v34
	v_addc_co_u32_e64 v35, s[6:7], v2, v35, s[6:7]
	global_load_dwordx2 v[34:35], v[34:35], off
.LBB119_84:                             ;   in Loop: Header=BB119_44 Depth=1
	s_or_b64 exec, exec, s[10:11]
	s_and_saveexec_b64 s[10:11], vcc
	s_cbranch_execz .LBB119_91
; %bb.85:                               ;   in Loop: Header=BB119_44 Depth=1
	s_and_b32 s16, s61, 0xfe
	s_mov_b64 s[12:13], 0
	s_branch .LBB119_87
.LBB119_86:                             ;   in Loop: Header=BB119_87 Depth=2
	s_or_b64 exec, exec, s[14:15]
	s_waitcnt vmcnt(0)
	v_ashrrev_i32_e32 v2, 31, v35
	v_or_b32_e32 v4, 0x80000000, v2
	s_and_b64 s[6:7], exec, vcc
	v_xor_b32_e32 v4, v4, v35
	v_xor_b32_e32 v2, v2, v34
	v_cmp_o_f64_e32 vcc, v[34:35], v[34:35]
	v_cndmask_b32_e32 v35, -1, v4, vcc
	v_cndmask_b32_e32 v34, -1, v2, vcc
	v_and_b32_e32 v39, s3, v35
	v_and_b32_e32 v38, s2, v34
	v_lshrrev_b64 v[34:35], s16, v[34:35]
	v_and_b32_e32 v2, 3, v34
	s_or_b64 s[12:13], s[6:7], s[12:13]
	v_cmp_eq_u64_e32 vcc, s[82:83], v[38:39]
	v_cmp_eq_u64_e64 s[6:7], 0, v[2:3]
	s_and_b64 s[6:7], vcc, s[6:7]
	v_cndmask_b32_e64 v4, 0, 1, s[6:7]
	v_cmp_ne_u32_e64 s[6:7], 0, v4
	s_bcnt1_i32_b64 s6, s[6:7]
	v_add_co_u32_e64 v10, s[6:7], s6, v10
	v_addc_co_u32_e64 v11, s[6:7], 0, v11, s[6:7]
	v_cmp_eq_u64_e64 s[6:7], 1, v[2:3]
	s_and_b64 s[6:7], vcc, s[6:7]
	v_cndmask_b32_e64 v4, 0, 1, s[6:7]
	v_cmp_ne_u32_e64 s[6:7], 0, v4
	s_bcnt1_i32_b64 s6, s[6:7]
	v_add_co_u32_e64 v12, s[6:7], s6, v12
	v_addc_co_u32_e64 v13, s[6:7], 0, v13, s[6:7]
	;; [unrolled: 7-line block ×3, first 2 shown]
	v_cmp_eq_u64_e64 s[6:7], 3, v[2:3]
	s_and_b64 s[6:7], vcc, s[6:7]
	v_cndmask_b32_e64 v2, 0, 1, s[6:7]
	v_cmp_ne_u32_e32 vcc, 0, v2
	s_bcnt1_i32_b64 s6, vcc
	v_add_co_u32_e32 v16, vcc, s6, v16
	v_addc_co_u32_e32 v17, vcc, 0, v17, vcc
	v_pk_mov_b32 v[34:35], v[36:37], v[36:37] op_sel:[0,1]
	s_andn2_b64 exec, exec, s[12:13]
	s_cbranch_execz .LBB119_90
.LBB119_87:                             ;   Parent Loop BB119_44 Depth=1
                                        ; =>  This Inner Loop Header: Depth=2
	v_mov_b32_e32 v2, s77
	v_add_co_u32_e32 v6, vcc, s1, v6
	v_addc_co_u32_e32 v7, vcc, v7, v2, vcc
	v_cmp_gt_u64_e64 s[6:7], s[52:53], v[6:7]
	v_cmp_le_u64_e32 vcc, s[52:53], v[6:7]
	v_pk_mov_b32 v[36:37], 0, 0
	s_and_saveexec_b64 s[14:15], s[6:7]
	s_cbranch_execz .LBB119_86
; %bb.88:                               ;   in Loop: Header=BB119_87 Depth=2
	v_mul_lo_u32 v2, v7, s56
	v_mul_lo_u32 v4, v6, s57
	v_mad_u64_u32 v[36:37], s[6:7], v6, s56, 0
	v_add3_u32 v37, v37, v4, v2
	v_lshlrev_b64 v[36:37], 3, v[36:37]
	v_mov_b32_e32 v2, s8
	v_add_co_u32_e64 v36, s[6:7], s4, v36
	v_addc_co_u32_e64 v37, s[6:7], v2, v37, s[6:7]
	global_load_dwordx2 v[36:37], v[36:37], off
	s_branch .LBB119_86
.LBB119_89:                             ;   in Loop: Header=BB119_44 Depth=1
                                        ; implicit-def: $vgpr16_vgpr17
                                        ; implicit-def: $vgpr12_vgpr13
	s_cbranch_execnz .LBB119_92
	s_branch .LBB119_101
.LBB119_90:                             ;   in Loop: Header=BB119_44 Depth=1
	s_or_b64 exec, exec, s[12:13]
.LBB119_91:                             ;   in Loop: Header=BB119_44 Depth=1
	s_or_b64 exec, exec, s[10:11]
	s_branch .LBB119_101
.LBB119_92:                             ;   in Loop: Header=BB119_44 Depth=1
	global_load_ushort v2, v3, s[86:87]
	v_pk_mov_b32 v[10:11], 0, 0
	s_mov_b64 s[26:27], 0
	v_pk_mov_b32 v[12:13], v[10:11], v[10:11] op_sel:[0,1]
	v_pk_mov_b32 v[14:15], v[10:11], v[10:11] op_sel:[0,1]
	;; [unrolled: 1-line block ×3, first 2 shown]
	s_waitcnt vmcnt(0)
	v_readfirstlane_b32 s1, v2
	s_and_b32 s1, 0xffff, s1
	s_lshl_b32 s1, s1, 2
	v_cvt_f32_u32_e32 v4, s1
	s_sub_i32 s6, 0, s1
	v_rcp_iflag_f32_e32 v4, v4
	v_mul_f32_e32 v4, 0x4f7ffffe, v4
	v_cvt_u32_f32_e32 v6, v4
	v_and_b32_e32 v4, 0xffff, v2
	v_readfirstlane_b32 s7, v6
	s_mul_i32 s6, s6, s7
	s_mul_hi_u32 s6, s7, s6
	s_add_i32 s7, s7, s6
	s_mul_hi_u32 s6, s0, s7
	s_mul_i32 s6, s6, s1
	s_sub_i32 s6, s0, s6
	s_sub_i32 s7, s6, s1
	s_cmp_ge_u32 s6, s1
	s_cselect_b32 s6, s7, s6
	s_sub_i32 s7, s6, s1
	s_cmp_ge_u32 s6, s1
	s_cselect_b32 s6, s7, s6
	s_sub_i32 s76, s0, s6
	v_cmp_gt_u32_e32 vcc, s76, v22
	s_and_saveexec_b64 s[68:69], vcc
	s_cbranch_execz .LBB119_96
; %bb.93:                               ;   in Loop: Header=BB119_44 Depth=1
	s_mov_b64 s[58:59], s[54:55]
	s_mov_b64 s[54:55], s[88:89]
	;; [unrolled: 1-line block ×5, first 2 shown]
	s_mov_b32 s9, s49
	s_mov_b64 s[88:89], s[84:85]
	s_mov_b32 s8, s61
	s_and_b32 s61, s61, 0xfe
	v_lshlrev_b32_e32 v40, 5, v4
	v_mov_b32_e32 v41, v53
	s_mov_b64 s[78:79], 0
	s_mov_b64 s[84:85], 0
	;; [unrolled: 1-line block ×4, first 2 shown]
	v_pk_mov_b32 v[6:7], v[22:23], v[22:23] op_sel:[0,1]
.LBB119_94:                             ;   Parent Loop BB119_44 Depth=1
                                        ; =>  This Inner Loop Header: Depth=2
	ds_read_b128 v[14:17], v41
	ds_read_b128 v[10:13], v41 offset:16
	v_mov_b32_e32 v35, v3
	v_mov_b32_e32 v37, v3
	;; [unrolled: 1-line block ×3, first 2 shown]
	s_waitcnt lgkmcnt(1)
	v_ashrrev_i32_e32 v2, 31, v15
	v_ashrrev_i32_e32 v34, 31, v17
	s_waitcnt lgkmcnt(0)
	v_ashrrev_i32_e32 v36, 31, v11
	v_ashrrev_i32_e32 v38, 31, v13
	v_xor_b32_e32 v42, v34, v16
	v_cmp_o_f64_e64 s[6:7], v[16:17], v[16:17]
	v_xor_b32_e32 v16, v36, v10
	v_cmp_o_f64_e64 s[10:11], v[10:11], v[10:11]
	v_or_b32_e32 v10, 0x80000000, v2
	v_xor_b32_e32 v43, v38, v12
	v_cmp_o_f64_e64 s[12:13], v[12:13], v[12:13]
	v_xor_b32_e32 v2, v2, v14
	v_or_b32_e32 v12, 0x80000000, v34
	v_or_b32_e32 v34, 0x80000000, v36
	v_cmp_o_f64_e64 s[14:15], v[14:15], v[14:15]
	v_xor_b32_e32 v15, v10, v15
	v_or_b32_e32 v36, 0x80000000, v38
	v_xor_b32_e32 v17, v12, v17
	v_xor_b32_e32 v34, v34, v11
	v_cndmask_b32_e64 v10, -1, v2, s[14:15]
	v_cndmask_b32_e64 v11, -1, v15, s[14:15]
	v_xor_b32_e32 v36, v36, v13
	v_cndmask_b32_e64 v12, -1, v42, s[6:7]
	v_cndmask_b32_e64 v14, -1, v16, s[10:11]
	;; [unrolled: 1-line block ×4, first 2 shown]
	v_and_b32_e32 v42, s2, v10
	v_and_b32_e32 v43, s3, v11
	v_lshrrev_b64 v[10:11], s61, v[10:11]
	v_cndmask_b32_e64 v15, -1, v34, s[10:11]
	v_and_b32_e32 v44, s2, v12
	v_and_b32_e32 v45, s3, v13
	v_lshrrev_b64 v[12:13], s61, v[12:13]
	v_and_b32_e32 v2, 3, v10
	v_cndmask_b32_e64 v17, -1, v36, s[12:13]
	v_and_b32_e32 v46, s2, v14
	v_and_b32_e32 v47, s3, v15
	v_lshrrev_b64 v[14:15], s61, v[14:15]
	v_cmp_eq_u64_e64 s[16:17], s[82:83], v[42:43]
	v_and_b32_e32 v34, 3, v12
	v_cmp_eq_u64_e64 s[6:7], 0, v[2:3]
	v_and_b32_e32 v56, s2, v16
	v_and_b32_e32 v57, s3, v17
	v_lshrrev_b64 v[16:17], s61, v[16:17]
	v_cmp_eq_u64_e64 s[14:15], s[82:83], v[44:45]
	v_and_b32_e32 v36, 3, v14
	v_cmp_eq_u64_e64 s[28:29], 0, v[34:35]
	s_and_b64 s[6:7], s[16:17], s[6:7]
	v_cmp_eq_u64_e64 s[12:13], s[82:83], v[46:47]
	v_and_b32_e32 v38, 3, v16
	v_cmp_eq_u64_e64 s[30:31], 0, v[36:37]
	v_cmp_eq_u64_e64 s[36:37], 1, v[2:3]
	;; [unrolled: 1-line block ×4, first 2 shown]
	v_cndmask_b32_e64 v2, 0, 1, s[6:7]
	s_and_b64 s[6:7], s[14:15], s[28:29]
	v_cmp_eq_u64_e64 s[10:11], s[82:83], v[56:57]
	v_cmp_eq_u64_e64 s[34:35], 0, v[38:39]
	v_cndmask_b32_e64 v10, 0, 1, s[6:7]
	s_and_b64 s[6:7], s[12:13], s[30:31]
	v_cndmask_b32_e64 v11, 0, 1, s[6:7]
	s_and_b64 s[6:7], s[10:11], s[34:35]
	v_cndmask_b32_e64 v12, 0, 1, s[6:7]
	v_cmp_ne_u32_e64 s[6:7], 0, v2
	v_cmp_ne_u32_e64 s[28:29], 0, v10
	v_cmp_ne_u32_e64 s[30:31], 0, v11
	v_cmp_ne_u32_e64 s[34:35], 0, v12
	s_bcnt1_i32_b64 s6, s[6:7]
	s_bcnt1_i32_b64 s7, s[28:29]
	s_bcnt1_i32_b64 s28, s[30:31]
	s_bcnt1_i32_b64 s29, s[34:35]
	s_add_u32 s6, s6, s94
	s_addc_u32 s30, 0, s95
	s_add_u32 s6, s6, s7
	s_addc_u32 s7, s30, 0
	s_add_u32 s6, s6, s28
	s_addc_u32 s7, s7, 0
	s_add_u32 s94, s6, s29
	v_cmp_eq_u64_e64 s[38:39], 1, v[34:35]
	s_addc_u32 s95, s7, 0
	s_and_b64 s[6:7], s[16:17], s[36:37]
	v_cmp_eq_u64_e64 s[40:41], 1, v[36:37]
	v_cndmask_b32_e64 v2, 0, 1, s[6:7]
	s_and_b64 s[6:7], s[14:15], s[38:39]
	v_cmp_eq_u64_e64 s[42:43], 1, v[38:39]
	v_cndmask_b32_e64 v12, 0, 1, s[6:7]
	s_and_b64 s[6:7], s[12:13], s[40:41]
	v_cndmask_b32_e64 v13, 0, 1, s[6:7]
	s_and_b64 s[6:7], s[10:11], s[42:43]
	v_cndmask_b32_e64 v14, 0, 1, s[6:7]
	v_cmp_ne_u32_e64 s[6:7], 0, v2
	v_cmp_ne_u32_e64 s[28:29], 0, v12
	v_cmp_ne_u32_e64 s[30:31], 0, v13
	v_cmp_ne_u32_e64 s[34:35], 0, v14
	s_bcnt1_i32_b64 s6, s[6:7]
	s_bcnt1_i32_b64 s7, s[28:29]
	s_bcnt1_i32_b64 s28, s[30:31]
	s_bcnt1_i32_b64 s29, s[34:35]
	s_add_u32 s6, s6, s86
	s_addc_u32 s30, 0, s87
	s_add_u32 s6, s6, s7
	s_addc_u32 s7, s30, 0
	s_add_u32 s6, s6, s28
	s_addc_u32 s7, s7, 0
	s_add_u32 s86, s6, s29
	v_cmp_eq_u64_e64 s[46:47], 2, v[34:35]
	s_addc_u32 s87, s7, 0
	s_and_b64 s[6:7], s[16:17], s[44:45]
	v_cmp_eq_u64_e64 s[48:49], 2, v[36:37]
	v_cndmask_b32_e64 v2, 0, 1, s[6:7]
	s_and_b64 s[6:7], s[14:15], s[46:47]
	;; [unrolled: 27-line block ×3, first 2 shown]
	v_cmp_eq_u64_e64 s[18:19], 3, v[38:39]
	v_cndmask_b32_e64 v16, 0, 1, s[6:7]
	s_and_b64 s[6:7], s[12:13], s[20:21]
	v_cndmask_b32_e64 v17, 0, 1, s[6:7]
	s_and_b64 s[6:7], s[10:11], s[18:19]
	v_cndmask_b32_e64 v34, 0, 1, s[6:7]
	v_cmp_ne_u32_e64 s[6:7], 0, v2
	v_cmp_ne_u32_e64 s[10:11], 0, v16
	;; [unrolled: 1-line block ×4, first 2 shown]
	s_bcnt1_i32_b64 s6, s[6:7]
	s_bcnt1_i32_b64 s7, s[10:11]
	;; [unrolled: 1-line block ×4, first 2 shown]
	s_add_u32 s6, s6, s78
	s_addc_u32 s12, 0, s79
	s_add_u32 s6, s6, s7
	s_addc_u32 s7, s12, 0
	s_add_u32 s6, s6, s10
	v_add_co_u32_e32 v6, vcc, s1, v6
	s_addc_u32 s7, s7, 0
	v_addc_co_u32_e32 v7, vcc, 0, v7, vcc
	s_add_u32 s78, s6, s11
	v_cmp_le_u64_e32 vcc, s[76:77], v[6:7]
	s_addc_u32 s79, s7, 0
	v_add_u32_e32 v41, v41, v40
	v_pk_mov_b32 v[10:11], s[94:95], s[94:95] op_sel:[0,1]
	v_pk_mov_b32 v[12:13], s[86:87], s[86:87] op_sel:[0,1]
	;; [unrolled: 1-line block ×3, first 2 shown]
	s_or_b64 s[26:27], vcc, s[26:27]
	v_pk_mov_b32 v[16:17], s[78:79], s[78:79] op_sel:[0,1]
	s_andn2_b64 exec, exec, s[26:27]
	s_cbranch_execnz .LBB119_94
; %bb.95:                               ;   in Loop: Header=BB119_44 Depth=1
	s_or_b64 exec, exec, s[26:27]
	v_readlane_b32 s50, v66, 39
	v_readlane_b32 s78, v66, 41
	;; [unrolled: 1-line block ×5, first 2 shown]
	s_mov_b64 s[84:85], s[88:89]
	s_mov_b32 s49, s9
	v_readlane_b32 s87, v66, 44
	s_mov_b32 s61, s8
	s_mov_b64 s[44:45], s[62:63]
	s_mov_b64 s[38:39], s[70:71]
	;; [unrolled: 1-line block ×3, first 2 shown]
	v_readlane_b32 s4, v66, 45
	v_readlane_b32 s5, v66, 46
	s_mov_b64 s[88:89], s[54:55]
	s_mov_b64 s[54:55], s[58:59]
.LBB119_96:                             ;   in Loop: Header=BB119_44 Depth=1
	s_or_b64 exec, exec, s[68:69]
	v_add_u32_e32 v2, s76, v0
	v_cmp_gt_u32_e32 vcc, s0, v2
	s_and_saveexec_b64 s[18:19], vcc
	s_cbranch_execz .LBB119_100
; %bb.97:                               ;   in Loop: Header=BB119_44 Depth=1
	s_and_b32 s76, s0, 0x7fffffff
	s_and_b32 s20, s61, 0xfe
	v_lshlrev_b32_e32 v34, 3, v2
	v_lshlrev_b32_e32 v35, 3, v4
	s_mov_b64 s[0:1], 0
	v_pk_mov_b32 v[6:7], v[2:3], v[2:3] op_sel:[0,1]
.LBB119_98:                             ;   Parent Loop BB119_44 Depth=1
                                        ; =>  This Inner Loop Header: Depth=2
	ds_read_b64 v[36:37], v34
	v_add_co_u32_e32 v6, vcc, v6, v4
	v_addc_co_u32_e32 v7, vcc, 0, v7, vcc
	s_waitcnt lgkmcnt(0)
	v_ashrrev_i32_e32 v2, 31, v37
	v_or_b32_e32 v38, 0x80000000, v2
	v_xor_b32_e32 v2, v2, v36
	v_cmp_o_f64_e64 s[6:7], v[36:37], v[36:37]
	v_xor_b32_e32 v37, v38, v37
	v_cndmask_b32_e64 v36, -1, v2, s[6:7]
	v_cndmask_b32_e64 v37, -1, v37, s[6:7]
	v_and_b32_e32 v38, s2, v36
	v_and_b32_e32 v39, s3, v37
	v_lshrrev_b64 v[36:37], s20, v[36:37]
	v_and_b32_e32 v2, 3, v36
	v_cmp_eq_u64_e64 s[6:7], s[82:83], v[38:39]
	v_cmp_eq_u64_e64 s[10:11], 0, v[2:3]
	;; [unrolled: 1-line block ×3, first 2 shown]
	s_and_b64 s[10:11], s[6:7], s[10:11]
	v_cmp_eq_u64_e64 s[14:15], 2, v[2:3]
	v_cmp_eq_u64_e64 s[16:17], 3, v[2:3]
	v_cndmask_b32_e64 v2, 0, 1, s[10:11]
	s_and_b64 s[10:11], s[6:7], s[12:13]
	v_cndmask_b32_e64 v36, 0, 1, s[10:11]
	s_and_b64 s[10:11], s[6:7], s[14:15]
	s_and_b64 s[6:7], s[6:7], s[16:17]
	v_cndmask_b32_e64 v37, 0, 1, s[10:11]
	v_cndmask_b32_e64 v38, 0, 1, s[6:7]
	v_cmp_ne_u32_e64 s[6:7], 0, v2
	v_cmp_ne_u32_e64 s[10:11], 0, v36
	;; [unrolled: 1-line block ×4, first 2 shown]
	v_cmp_le_u64_e32 vcc, s[76:77], v[6:7]
	s_bcnt1_i32_b64 s6, s[6:7]
	s_bcnt1_i32_b64 s7, s[10:11]
	;; [unrolled: 1-line block ×4, first 2 shown]
	s_or_b64 s[0:1], vcc, s[0:1]
	v_add_co_u32_e32 v10, vcc, s6, v10
	v_addc_co_u32_e32 v11, vcc, 0, v11, vcc
	v_add_co_u32_e32 v12, vcc, s7, v12
	v_addc_co_u32_e32 v13, vcc, 0, v13, vcc
	v_add_co_u32_e32 v14, vcc, s10, v14
	v_addc_co_u32_e32 v15, vcc, 0, v15, vcc
	v_add_co_u32_e32 v16, vcc, s11, v16
	v_add_u32_e32 v34, v34, v35
	v_addc_co_u32_e32 v17, vcc, 0, v17, vcc
	s_andn2_b64 exec, exec, s[0:1]
	s_cbranch_execnz .LBB119_98
; %bb.99:                               ;   in Loop: Header=BB119_44 Depth=1
	s_or_b64 exec, exec, s[0:1]
.LBB119_100:                            ;   in Loop: Header=BB119_44 Depth=1
	s_or_b64 exec, exec, s[18:19]
.LBB119_101:                            ;   in Loop: Header=BB119_44 Depth=1
	s_lshl_b32 s6, s81, 6
	s_and_saveexec_b64 s[0:1], s[50:51]
	s_cbranch_execz .LBB119_103
; %bb.102:                              ;   in Loop: Header=BB119_44 Depth=1
	v_or_b32_e32 v2, s6, v51
	v_lshlrev_b32_e32 v2, 3, v2
	ds_write_b128 v2, v[10:13] offset:3072
	ds_write_b128 v2, v[14:17] offset:3088
.LBB119_103:                            ;   in Loop: Header=BB119_44 Depth=1
	s_or_b64 exec, exec, s[0:1]
	s_waitcnt lgkmcnt(0)
	s_barrier
	s_and_saveexec_b64 s[0:1], s[78:79]
	s_cbranch_execz .LBB119_115
; %bb.104:                              ;   in Loop: Header=BB119_44 Depth=1
	v_readlane_b32 s10, v66, 23
	v_readlane_b32 s11, v66, 24
	s_andn2_b64 vcc, exec, s[10:11]
	s_waitcnt vmcnt(0)
	v_pk_mov_b32 v[6:7], 0, 0
	s_cbranch_vccnz .LBB119_114
; %bb.105:                              ;   in Loop: Header=BB119_44 Depth=1
	v_readlane_b32 s8, v66, 28
	v_readlane_b32 s9, v66, 29
	s_andn2_b64 vcc, exec, s[8:9]
	s_cbranch_vccnz .LBB119_110
; %bb.106:                              ;   in Loop: Header=BB119_44 Depth=1
	v_lshl_add_u32 v2, s81, 9, v54
	s_mov_b32 s7, 0
	v_pk_mov_b32 v[6:7], 0, 0
.LBB119_107:                            ;   Parent Loop BB119_44 Depth=1
                                        ; =>  This Inner Loop Header: Depth=2
	ds_read2_b64 v[10:13], v2 offset1:4
	ds_read2_b64 v[14:17], v2 offset0:8 offset1:12
	ds_read2_b64 v[34:37], v2 offset0:16 offset1:20
	;; [unrolled: 1-line block ×3, first 2 shown]
	s_add_i32 s7, s7, 8
	s_waitcnt lgkmcnt(3)
	v_add_co_u32_e32 v4, vcc, v10, v6
	v_addc_co_u32_e32 v6, vcc, v11, v7, vcc
	v_add_co_u32_e32 v4, vcc, v12, v4
	v_addc_co_u32_e32 v6, vcc, v13, v6, vcc
	s_waitcnt lgkmcnt(2)
	v_add_co_u32_e32 v4, vcc, v14, v4
	v_addc_co_u32_e32 v6, vcc, v15, v6, vcc
	v_add_co_u32_e32 v4, vcc, v16, v4
	v_addc_co_u32_e32 v6, vcc, v17, v6, vcc
	;; [unrolled: 5-line block ×3, first 2 shown]
	s_waitcnt lgkmcnt(0)
	v_add_co_u32_e32 v4, vcc, v38, v4
	v_addc_co_u32_e32 v7, vcc, v39, v6, vcc
	v_add_co_u32_e32 v6, vcc, v40, v4
	v_add_u32_e32 v2, 0x100, v2
	s_cmp_eq_u32 s5, s7
	v_addc_co_u32_e32 v7, vcc, v41, v7, vcc
	s_cbranch_scc0 .LBB119_107
; %bb.108:                              ;   in Loop: Header=BB119_44 Depth=1
	s_mov_b32 s7, s5
	s_branch .LBB119_111
.LBB119_109:                            ;   in Loop: Header=BB119_44 Depth=1
                                        ; implicit-def: $vgpr6_vgpr7
	s_branch .LBB119_77
.LBB119_110:                            ;   in Loop: Header=BB119_44 Depth=1
	s_mov_b32 s7, 0
	v_pk_mov_b32 v[6:7], 0, 0
.LBB119_111:                            ;   in Loop: Header=BB119_44 Depth=1
	v_readlane_b32 s8, v66, 31
	v_readlane_b32 s9, v66, 32
	s_andn2_b64 vcc, exec, s[8:9]
	s_cbranch_vccnz .LBB119_114
; %bb.112:                              ;   in Loop: Header=BB119_44 Depth=1
	s_lshl_b32 s10, s81, 9
	s_lshl_b32 s7, s7, 5
	s_add_i32 s10, s10, s7
	v_add_u32_e32 v2, s10, v54
	v_readlane_b32 s7, v66, 30
.LBB119_113:                            ;   Parent Loop BB119_44 Depth=1
                                        ; =>  This Inner Loop Header: Depth=2
	ds_read_b64 v[10:11], v2
	s_add_i32 s7, s7, -1
	v_add_u32_e32 v2, 32, v2
	s_cmp_lg_u32 s7, 0
	s_waitcnt lgkmcnt(0)
	v_add_co_u32_e32 v6, vcc, v10, v6
	v_addc_co_u32_e32 v7, vcc, v11, v7, vcc
	s_cbranch_scc1 .LBB119_113
.LBB119_114:                            ;   in Loop: Header=BB119_44 Depth=1
	v_add_lshl_u32 v2, s6, v48, 3
	ds_write_b64 v2, v[6:7] offset:3072
.LBB119_115:                            ;   in Loop: Header=BB119_44 Depth=1
	s_or_b64 exec, exec, s[0:1]
	s_lshl_b32 s0, s6, 3
	v_mov_b32_e32 v2, s0
	s_waitcnt lgkmcnt(0)
	s_barrier
	ds_read_b128 v[10:13], v2 offset:3072
	ds_read_b128 v[14:17], v2 offset:3088
	s_and_b32 s42, s61, 0xfe
	s_lshl_b64 s[12:13], 3, s42
	s_not_b64 s[20:21], s[12:13]
	s_waitcnt lgkmcnt(1)
	v_readfirstlane_b32 s17, v11
	v_readfirstlane_b32 s16, v10
	s_cmp_eq_u64 s[16:17], 1
	s_cselect_b64 s[6:7], -1, 0
	s_cmp_eq_u64 s[84:85], 1
	s_cselect_b64 s[14:15], -1, 0
	s_and_b64 s[24:25], s[6:7], s[14:15]
	v_readfirstlane_b32 s0, v12
	v_readfirstlane_b32 s1, v13
	s_waitcnt lgkmcnt(0)
	v_readfirstlane_b32 s18, v14
	v_readfirstlane_b32 s19, v15
	;; [unrolled: 1-line block ×4, first 2 shown]
	s_mov_b64 s[22:23], -1
	s_and_b64 vcc, exec, s[24:25]
	s_cbranch_vccz .LBB119_130
; %bb.116:                              ;   in Loop: Header=BB119_44 Depth=1
	s_waitcnt vmcnt(0)
	ds_read_b64 v[6:7], v3 offset:5120
	s_waitcnt lgkmcnt(0)
	s_barrier
	v_readfirstlane_b32 s14, v6
	v_readfirstlane_b32 s15, v7
	s_mov_b64 s[6:7], exec
	v_readlane_b32 s26, v66, 19
	v_readlane_b32 s27, v66, 20
	s_and_b64 s[26:27], s[6:7], s[26:27]
	s_mov_b64 exec, s[26:27]
	s_cbranch_execz .LBB119_118
; %bb.117:                              ;   in Loop: Header=BB119_44 Depth=1
	v_mov_b32_e32 v2, v3
	ds_write_b64 v50, v[2:3]
.LBB119_118:                            ;   in Loop: Header=BB119_44 Depth=1
	s_or_b64 exec, exec, s[6:7]
	s_and_b64 s[82:83], s[82:83], s[20:21]
	s_or_b64 s[2:3], s[2:3], s[12:13]
	s_cmp_eq_u64 s[14:15], 0
	s_waitcnt lgkmcnt(0)
	s_barrier
	s_cbranch_scc1 .LBB119_131
; %bb.119:                              ;   in Loop: Header=BB119_44 Depth=1
	v_readlane_b32 s6, v66, 25
	s_add_u32 s28, s6, s14
	v_readlane_b32 s6, v66, 27
	s_addc_u32 s7, s6, s15
	s_mov_b32 s6, s77
	s_cmp_lg_u64 s[6:7], 0
	s_cbranch_scc0 .LBB119_176
; %bb.120:                              ;   in Loop: Header=BB119_44 Depth=1
	v_cvt_f32_u32_e32 v2, s33
	s_sub_u32 s6, 0, s33
	s_subb_u32 s26, 0, 0
	v_mac_f32_e32 v2, 0, v55
	v_rcp_f32_e32 v2, v2
	v_mul_f32_e32 v2, 0x5f7ffffc, v2
	v_mul_f32_e32 v4, 0x2f800000, v2
	v_trunc_f32_e32 v4, v4
	v_mac_f32_e32 v2, 0xcf800000, v4
	v_cvt_u32_f32_e32 v4, v4
	v_cvt_u32_f32_e32 v2, v2
	v_readfirstlane_b32 s27, v4
	v_readfirstlane_b32 s29, v2
	s_mul_i32 s30, s6, s27
	s_mul_hi_u32 s34, s6, s29
	s_mul_i32 s31, s26, s29
	s_add_i32 s30, s34, s30
	s_mul_i32 s35, s6, s29
	s_add_i32 s30, s30, s31
	s_mul_hi_u32 s34, s29, s35
	s_mul_hi_u32 s31, s29, s30
	s_mul_i32 s29, s29, s30
	s_add_u32 s29, s34, s29
	s_addc_u32 s31, 0, s31
	s_mul_hi_u32 s36, s27, s35
	s_mul_i32 s35, s27, s35
	s_add_u32 s29, s29, s35
	s_mul_hi_u32 s34, s27, s30
	s_addc_u32 s29, s31, s36
	s_addc_u32 s31, s34, 0
	s_mul_i32 s30, s27, s30
	s_add_u32 s29, s29, s30
	s_addc_u32 s30, 0, s31
	v_add_co_u32_e32 v2, vcc, s29, v2
	s_cmp_lg_u64 vcc, 0
	s_addc_u32 s27, s27, s30
	v_readfirstlane_b32 s30, v2
	s_mul_i32 s29, s6, s27
	s_mul_hi_u32 s31, s6, s30
	s_add_i32 s29, s31, s29
	s_mul_i32 s26, s26, s30
	s_add_i32 s29, s29, s26
	s_mul_i32 s6, s6, s30
	s_mul_hi_u32 s31, s27, s6
	s_mul_i32 s34, s27, s6
	s_mul_i32 s36, s30, s29
	s_mul_hi_u32 s6, s30, s6
	s_mul_hi_u32 s35, s30, s29
	s_add_u32 s6, s6, s36
	s_addc_u32 s30, 0, s35
	s_add_u32 s6, s6, s34
	s_mul_hi_u32 s26, s27, s29
	s_addc_u32 s6, s30, s31
	s_addc_u32 s26, s26, 0
	s_mul_i32 s29, s27, s29
	s_add_u32 s6, s6, s29
	s_addc_u32 s26, 0, s26
	v_add_co_u32_e32 v2, vcc, s6, v2
	s_cmp_lg_u64 vcc, 0
	s_addc_u32 s6, s27, s26
	v_readfirstlane_b32 s29, v2
	s_mul_i32 s27, s28, s6
	s_mul_hi_u32 s30, s28, s29
	s_mul_hi_u32 s26, s28, s6
	s_add_u32 s27, s30, s27
	s_addc_u32 s26, 0, s26
	s_mul_hi_u32 s31, s7, s29
	s_mul_i32 s29, s7, s29
	s_add_u32 s27, s27, s29
	s_mul_hi_u32 s30, s7, s6
	s_addc_u32 s26, s26, s31
	s_addc_u32 s27, s30, 0
	s_mul_i32 s6, s7, s6
	s_add_u32 s6, s26, s6
	s_addc_u32 s26, 0, s27
	s_mul_hi_u32 s27, s33, s6
	s_mul_i32 s6, s33, s6
	s_mul_i32 s26, s33, s26
	v_mov_b32_e32 v2, s6
	s_add_i32 s27, s27, s26
	v_sub_co_u32_e32 v2, vcc, s28, v2
	s_cmp_lg_u64 vcc, 0
	s_subb_u32 s6, s7, s27
	v_subrev_co_u32_e32 v4, vcc, s33, v2
	s_cmp_lg_u64 vcc, 0
	s_subb_u32 s26, s6, 0
	v_subrev_co_u32_e32 v6, vcc, s33, v4
	s_cmp_lg_u64 vcc, 0
	s_subb_u32 s27, s26, 0
	v_cmp_le_u32_e32 vcc, s33, v4
	s_cmp_eq_u32 s26, 0
	v_cndmask_b32_e64 v7, 0, -1, vcc
	s_cselect_b64 vcc, -1, 0
	v_cndmask_b32_e32 v7, -1, v7, vcc
	v_mov_b32_e32 v8, s26
	v_mov_b32_e32 v9, s27
	v_cmp_ne_u32_e32 vcc, 0, v7
	v_cndmask_b32_e32 v7, v8, v9, vcc
	v_cndmask_b32_e32 v4, v4, v6, vcc
	v_cmp_le_u32_e32 vcc, s33, v2
	s_cmp_eq_u32 s6, 0
	v_cndmask_b32_e64 v6, 0, -1, vcc
	s_cselect_b64 vcc, -1, 0
	v_cndmask_b32_e32 v6, -1, v6, vcc
	v_mov_b32_e32 v8, s6
	v_cmp_ne_u32_e32 vcc, 0, v6
	v_cndmask_b32_e32 v7, v8, v7, vcc
	v_cndmask_b32_e32 v6, v2, v4, vcc
	s_cbranch_execnz .LBB119_122
.LBB119_121:                            ;   in Loop: Header=BB119_44 Depth=1
	v_cvt_f32_u32_e32 v2, s33
	s_sub_i32 s6, 0, s33
	v_rcp_iflag_f32_e32 v2, v2
	v_mul_f32_e32 v2, 0x4f7ffffe, v2
	v_cvt_u32_f32_e32 v2, v2
	v_mul_lo_u32 v4, s6, v2
	v_mul_hi_u32 v4, v2, v4
	v_add_u32_e32 v2, v2, v4
	v_mul_hi_u32 v2, s28, v2
	v_mul_lo_u32 v2, v2, s33
	v_sub_u32_e32 v2, s28, v2
	v_subrev_u32_e32 v4, s33, v2
	v_cmp_le_u32_e32 vcc, s33, v2
	v_cndmask_b32_e32 v2, v2, v4, vcc
	v_subrev_u32_e32 v4, s33, v2
	v_cmp_le_u32_e32 vcc, s33, v2
	v_cndmask_b32_e32 v2, v2, v4, vcc
	v_pk_mov_b32 v[6:7], v[2:3], v[2:3] op_sel:[0,1]
.LBB119_122:                            ;   in Loop: Header=BB119_44 Depth=1
	v_mov_b32_e32 v2, s7
	v_sub_co_u32_e32 v10, vcc, s28, v6
	v_subb_co_u32_e32 v11, vcc, v2, v7, vcc
	v_cmp_gt_u64_e32 vcc, v[10:11], v[0:1]
	s_mov_b64 s[6:7], 0
                                        ; implicit-def: $vgpr8_vgpr9
	s_and_saveexec_b64 s[26:27], vcc
	s_cbranch_execz .LBB119_133
; %bb.123:                              ;   in Loop: Header=BB119_44 Depth=1
	s_mov_b64 s[30:31], 0
	v_mov_b32_e32 v2, v49
	v_pk_mov_b32 v[12:13], v[0:1], v[0:1] op_sel:[0,1]
                                        ; implicit-def: $sgpr28_sgpr29
	s_branch .LBB119_125
.LBB119_124:                            ;   in Loop: Header=BB119_125 Depth=2
	s_or_b64 exec, exec, s[6:7]
	s_waitcnt lgkmcnt(0)
	s_barrier
	ds_read_b128 v[6:9], v3 offset:3072
	v_mov_b32_e32 v4, s80
	v_add_co_u32_e64 v12, s[6:7], s33, v12
	v_addc_co_u32_e64 v13, s[6:7], v13, v4, s[6:7]
	s_waitcnt lgkmcnt(0)
	v_cmp_neq_f64_e32 vcc, 0, v[6:7]
	v_cmp_ge_u64_e64 s[6:7], v[12:13], v[10:11]
	s_or_b64 s[6:7], s[6:7], vcc
	s_and_b64 s[6:7], exec, s[6:7]
	s_or_b64 s[30:31], s[6:7], s[30:31]
	s_andn2_b64 s[6:7], s[28:29], exec
	s_and_b64 s[28:29], vcc, exec
	v_add_u32_e32 v2, s60, v2
	s_or_b64 s[28:29], s[6:7], s[28:29]
	s_barrier
	s_andn2_b64 exec, exec, s[30:31]
	s_cbranch_execz .LBB119_132
.LBB119_125:                            ;   Parent Loop BB119_44 Depth=1
                                        ; =>  This Inner Loop Header: Depth=2
	v_cmp_gt_u64_e32 vcc, s[14:15], v[12:13]
	v_pk_mov_b32 v[6:7], 0, 0
	s_and_saveexec_b64 s[6:7], vcc
	s_cbranch_execz .LBB119_127
; %bb.126:                              ;   in Loop: Header=BB119_125 Depth=2
	ds_read_b64 v[6:7], v2
.LBB119_127:                            ;   in Loop: Header=BB119_125 Depth=2
	s_or_b64 exec, exec, s[6:7]
	s_and_saveexec_b64 s[6:7], vcc
	s_cbranch_execz .LBB119_124
; %bb.128:                              ;   in Loop: Header=BB119_125 Depth=2
	s_waitcnt lgkmcnt(0)
	v_ashrrev_i32_e32 v4, 31, v7
	v_or_b32_e32 v8, 0x80000000, v4
	v_xor_b32_e32 v8, v8, v7
	v_xor_b32_e32 v4, v4, v6
	v_cmp_o_f64_e32 vcc, v[6:7], v[6:7]
	v_cndmask_b32_e32 v8, -1, v8, vcc
	v_cndmask_b32_e32 v4, -1, v4, vcc
	v_and_b32_e32 v9, s3, v8
	v_and_b32_e32 v8, s2, v4
	v_cmp_eq_u64_e32 vcc, s[82:83], v[8:9]
	s_and_b64 exec, exec, vcc
	s_cbranch_execz .LBB119_124
; %bb.129:                              ;   in Loop: Header=BB119_125 Depth=2
	v_mov_b32_e32 v4, v3
	ds_write_b128 v3, v[4:7] offset:3072
	s_branch .LBB119_124
.LBB119_130:                            ;   in Loop: Header=BB119_44 Depth=1
	s_mov_b64 s[6:7], -1
                                        ; implicit-def: $sgpr14_sgpr15
                                        ; implicit-def: $sgpr28_sgpr29
                                        ; implicit-def: $sgpr26_sgpr27
	s_branch .LBB119_147
.LBB119_131:                            ;   in Loop: Header=BB119_44 Depth=1
	s_mov_b64 s[14:15], -1
	s_mov_b64 s[6:7], 0
                                        ; implicit-def: $sgpr26_sgpr27
                                        ; implicit-def: $vgpr8_vgpr9
	s_mov_b64 s[28:29], s[14:15]
	s_cbranch_execnz .LBB119_134
	s_branch .LBB119_147
.LBB119_132:                            ;   in Loop: Header=BB119_44 Depth=1
	s_or_b64 exec, exec, s[30:31]
	s_and_b64 s[6:7], s[28:29], exec
.LBB119_133:                            ;   in Loop: Header=BB119_44 Depth=1
	s_or_b64 exec, exec, s[26:27]
	s_mov_b64 s[26:27], -1
	s_mov_b64 s[14:15], 0
	s_mov_b64 s[28:29], s[14:15]
	s_branch .LBB119_147
.LBB119_134:                            ;   in Loop: Header=BB119_44 Depth=1
	s_mov_b32 s48, s77
	s_cmp_lg_u64 s[48:49], 0
	s_cbranch_scc0 .LBB119_180
; %bb.135:                              ;   in Loop: Header=BB119_44 Depth=1
	v_cvt_f32_u32_e32 v2, s33
	s_sub_u32 s6, 0, s33
	s_subb_u32 s7, 0, 0
	v_mac_f32_e32 v2, 0, v55
	v_rcp_f32_e32 v2, v2
	v_mul_f32_e32 v2, 0x5f7ffffc, v2
	v_mul_f32_e32 v4, 0x2f800000, v2
	v_trunc_f32_e32 v4, v4
	v_mac_f32_e32 v2, 0xcf800000, v4
	v_cvt_u32_f32_e32 v4, v4
	v_cvt_u32_f32_e32 v2, v2
	v_readfirstlane_b32 s14, v4
	v_readfirstlane_b32 s15, v2
	s_mul_i32 s26, s6, s14
	s_mul_hi_u32 s28, s6, s15
	s_mul_i32 s27, s7, s15
	s_add_i32 s26, s28, s26
	s_mul_i32 s29, s6, s15
	s_add_i32 s26, s26, s27
	s_mul_hi_u32 s28, s15, s29
	s_mul_hi_u32 s27, s15, s26
	s_mul_i32 s15, s15, s26
	s_add_u32 s15, s28, s15
	s_addc_u32 s27, 0, s27
	s_mul_hi_u32 s30, s14, s29
	s_mul_i32 s29, s14, s29
	s_add_u32 s15, s15, s29
	s_mul_hi_u32 s28, s14, s26
	s_addc_u32 s15, s27, s30
	s_addc_u32 s27, s28, 0
	s_mul_i32 s26, s14, s26
	s_add_u32 s15, s15, s26
	s_addc_u32 s26, 0, s27
	v_add_co_u32_e32 v2, vcc, s15, v2
	s_cmp_lg_u64 vcc, 0
	s_addc_u32 s14, s14, s26
	v_readfirstlane_b32 s26, v2
	s_mul_i32 s15, s6, s14
	s_mul_hi_u32 s27, s6, s26
	s_add_i32 s15, s27, s15
	s_mul_i32 s7, s7, s26
	s_add_i32 s15, s15, s7
	s_mul_i32 s6, s6, s26
	s_mul_hi_u32 s27, s14, s6
	s_mul_i32 s28, s14, s6
	s_mul_i32 s30, s26, s15
	s_mul_hi_u32 s6, s26, s6
	s_mul_hi_u32 s29, s26, s15
	s_add_u32 s6, s6, s30
	s_addc_u32 s26, 0, s29
	s_add_u32 s6, s6, s28
	s_mul_hi_u32 s7, s14, s15
	s_addc_u32 s6, s26, s27
	s_addc_u32 s7, s7, 0
	s_mul_i32 s15, s14, s15
	s_add_u32 s6, s6, s15
	s_addc_u32 s7, 0, s7
	v_add_co_u32_e32 v2, vcc, s6, v2
	s_cmp_lg_u64 vcc, 0
	s_addc_u32 s6, s14, s7
	v_readlane_b32 s28, v66, 26
	v_readfirstlane_b32 s15, v2
	s_mul_i32 s14, s28, s6
	s_mul_hi_u32 s26, s28, s15
	s_mul_hi_u32 s7, s28, s6
	s_add_u32 s14, s26, s14
	s_addc_u32 s7, 0, s7
	s_mul_hi_u32 s27, s49, s15
	s_mul_i32 s15, s49, s15
	s_add_u32 s14, s14, s15
	s_mul_hi_u32 s26, s49, s6
	s_addc_u32 s7, s7, s27
	s_addc_u32 s14, s26, 0
	s_mul_i32 s6, s49, s6
	s_add_u32 s6, s7, s6
	s_addc_u32 s7, 0, s14
	s_mul_hi_u32 s14, s33, s6
	s_mul_i32 s6, s33, s6
	s_mul_i32 s7, s33, s7
	v_mov_b32_e32 v2, s6
	s_add_i32 s14, s14, s7
	v_sub_co_u32_e32 v2, vcc, s28, v2
	s_cmp_lg_u64 vcc, 0
	s_subb_u32 s6, s49, s14
	v_subrev_co_u32_e32 v4, vcc, s33, v2
	s_cmp_lg_u64 vcc, 0
	s_subb_u32 s7, s6, 0
	v_subrev_co_u32_e32 v6, vcc, s33, v4
	s_cmp_lg_u64 vcc, 0
	s_subb_u32 s14, s7, 0
	v_cmp_le_u32_e32 vcc, s33, v4
	s_cmp_eq_u32 s7, 0
	v_cndmask_b32_e64 v7, 0, -1, vcc
	s_cselect_b64 vcc, -1, 0
	v_cndmask_b32_e32 v7, -1, v7, vcc
	v_mov_b32_e32 v8, s7
	v_mov_b32_e32 v9, s14
	v_cmp_ne_u32_e32 vcc, 0, v7
	v_cndmask_b32_e32 v7, v8, v9, vcc
	v_cndmask_b32_e32 v4, v4, v6, vcc
	v_cmp_le_u32_e32 vcc, s33, v2
	s_cmp_eq_u32 s6, 0
	v_cndmask_b32_e64 v6, 0, -1, vcc
	s_cselect_b64 vcc, -1, 0
	v_cndmask_b32_e32 v6, -1, v6, vcc
	v_mov_b32_e32 v8, s6
	v_cmp_ne_u32_e32 vcc, 0, v6
	v_cndmask_b32_e32 v7, v8, v7, vcc
	v_cndmask_b32_e32 v6, v2, v4, vcc
	s_cbranch_execnz .LBB119_137
.LBB119_136:                            ;   in Loop: Header=BB119_44 Depth=1
	v_cvt_f32_u32_e32 v2, s33
	s_sub_i32 s6, 0, s33
	v_rcp_iflag_f32_e32 v2, v2
	v_mul_f32_e32 v2, 0x4f7ffffe, v2
	v_cvt_u32_f32_e32 v2, v2
	v_mul_lo_u32 v4, s6, v2
	v_mul_hi_u32 v4, v2, v4
	v_add_u32_e32 v2, v2, v4
	v_readlane_b32 s6, v66, 26
	v_mul_hi_u32 v2, s6, v2
	v_mul_lo_u32 v2, v2, s33
	v_sub_u32_e32 v2, s6, v2
	v_subrev_u32_e32 v4, s33, v2
	v_cmp_le_u32_e32 vcc, s33, v2
	v_cndmask_b32_e32 v2, v2, v4, vcc
	v_subrev_u32_e32 v4, s33, v2
	v_cmp_le_u32_e32 vcc, s33, v2
	v_cndmask_b32_e32 v2, v2, v4, vcc
	v_pk_mov_b32 v[6:7], v[2:3], v[2:3] op_sel:[0,1]
.LBB119_137:                            ;   in Loop: Header=BB119_44 Depth=1
	v_readlane_b32 s6, v66, 26
	v_mov_b32_e32 v2, s49
	v_sub_co_u32_e32 v10, vcc, s6, v6
	v_subb_co_u32_e32 v11, vcc, v2, v7, vcc
	v_cmp_gt_u64_e32 vcc, v[10:11], v[0:1]
	s_mov_b64 s[6:7], 0
                                        ; implicit-def: $vgpr8_vgpr9
	s_and_saveexec_b64 s[14:15], vcc
	s_cbranch_execz .LBB119_146
; %bb.138:                              ;   in Loop: Header=BB119_44 Depth=1
	s_mov_b64 s[28:29], 0
	v_pk_mov_b32 v[12:13], v[18:19], v[18:19] op_sel:[0,1]
	v_pk_mov_b32 v[14:15], v[0:1], v[0:1] op_sel:[0,1]
                                        ; implicit-def: $sgpr26_sgpr27
	s_branch .LBB119_140
.LBB119_139:                            ;   in Loop: Header=BB119_140 Depth=2
	s_or_b64 exec, exec, s[6:7]
	s_waitcnt lgkmcnt(0)
	s_barrier
	s_waitcnt vmcnt(0)
	ds_read_b128 v[6:9], v3 offset:3072
	v_mov_b32_e32 v2, s80
	v_add_co_u32_e64 v14, s[6:7], s33, v14
	v_addc_co_u32_e64 v15, s[6:7], v15, v2, s[6:7]
	s_waitcnt lgkmcnt(0)
	v_cmp_neq_f64_e32 vcc, 0, v[6:7]
	v_cmp_ge_u64_e64 s[6:7], v[14:15], v[10:11]
	s_or_b64 s[30:31], s[6:7], vcc
	v_mov_b32_e32 v2, s73
	v_add_co_u32_e64 v12, s[6:7], s72, v12
	v_addc_co_u32_e64 v13, s[6:7], v13, v2, s[6:7]
	s_and_b64 s[6:7], exec, s[30:31]
	s_or_b64 s[28:29], s[6:7], s[28:29]
	s_andn2_b64 s[6:7], s[26:27], exec
	s_and_b64 s[26:27], vcc, exec
	s_or_b64 s[26:27], s[6:7], s[26:27]
	s_barrier
	s_andn2_b64 exec, exec, s[28:29]
	s_cbranch_execz .LBB119_145
.LBB119_140:                            ;   Parent Loop BB119_44 Depth=1
                                        ; =>  This Inner Loop Header: Depth=2
	v_cmp_gt_u64_e32 vcc, s[52:53], v[14:15]
	v_pk_mov_b32 v[6:7], 0, 0
	s_and_saveexec_b64 s[6:7], vcc
	s_cbranch_execz .LBB119_142
; %bb.141:                              ;   in Loop: Header=BB119_140 Depth=2
	global_load_dwordx2 v[6:7], v[12:13], off
.LBB119_142:                            ;   in Loop: Header=BB119_140 Depth=2
	s_or_b64 exec, exec, s[6:7]
	s_and_saveexec_b64 s[6:7], vcc
	s_cbranch_execz .LBB119_139
; %bb.143:                              ;   in Loop: Header=BB119_140 Depth=2
	s_waitcnt vmcnt(0)
	v_ashrrev_i32_e32 v2, 31, v7
	v_or_b32_e32 v4, 0x80000000, v2
	v_xor_b32_e32 v4, v4, v7
	v_xor_b32_e32 v2, v2, v6
	v_cmp_o_f64_e32 vcc, v[6:7], v[6:7]
	v_cndmask_b32_e32 v4, -1, v4, vcc
	v_cndmask_b32_e32 v2, -1, v2, vcc
	v_and_b32_e32 v9, s3, v4
	v_and_b32_e32 v8, s2, v2
	v_cmp_eq_u64_e32 vcc, s[82:83], v[8:9]
	s_and_b64 exec, exec, vcc
	s_cbranch_execz .LBB119_139
; %bb.144:                              ;   in Loop: Header=BB119_140 Depth=2
	v_mov_b32_e32 v4, v3
	ds_write_b128 v3, v[4:7] offset:3072
	s_branch .LBB119_139
.LBB119_145:                            ;   in Loop: Header=BB119_44 Depth=1
	s_or_b64 exec, exec, s[28:29]
	s_and_b64 s[6:7], s[26:27], exec
.LBB119_146:                            ;   in Loop: Header=BB119_44 Depth=1
	s_or_b64 exec, exec, s[14:15]
	s_mov_b64 s[28:29], -1
	s_mov_b64 s[14:15], 0
	s_mov_b64 s[26:27], 0
.LBB119_147:                            ;   in Loop: Header=BB119_44 Depth=1
	s_andn2_b64 s[8:9], s[54:55], exec
	s_and_b64 s[14:15], s[14:15], exec
	s_or_b64 s[54:55], s[8:9], s[14:15]
	s_andn2_b64 s[14:15], s[88:89], exec
	s_and_b64 s[28:29], s[28:29], exec
	s_or_b64 s[88:89], s[14:15], s[28:29]
	;; [unrolled: 3-line block ×3, first 2 shown]
	s_and_saveexec_b64 s[14:15], s[6:7]
	s_cbranch_execz .LBB119_43
; %bb.148:                              ;   in Loop: Header=BB119_44 Depth=1
	s_xor_b64 s[6:7], s[24:25], -1
	s_andn2_b64 vcc, exec, s[6:7]
	s_mov_b32 s48, 1
	s_cbranch_vccnz .LBB119_159
; %bb.149:                              ;   in Loop: Header=BB119_44 Depth=1
	s_waitcnt vmcnt(0)
	v_pk_mov_b32 v[6:7], s[16:17], s[16:17] op_sel:[0,1]
	v_cmp_gt_u64_e32 vcc, s[84:85], v[6:7]
	s_mov_b64 s[6:7], -1
                                        ; implicit-def: $sgpr48
                                        ; implicit-def: $sgpr22_sgpr23
                                        ; implicit-def: $sgpr24_sgpr25
	s_cbranch_vccnz .LBB119_155
; %bb.150:                              ;   in Loop: Header=BB119_44 Depth=1
	ds_read_b64 v[6:7], v3 offset:5120
	s_waitcnt lgkmcnt(0)
	v_cmp_ne_u64_e32 vcc, 0, v[6:7]
	s_cbranch_vccnz .LBB119_154
; %bb.151:                              ;   in Loop: Header=BB119_44 Depth=1
	s_mov_b64 s[6:7], exec
	v_readlane_b32 s22, v66, 16
	v_readlane_b32 s23, v66, 17
	s_and_b64 s[22:23], s[6:7], s[22:23]
	s_mov_b64 exec, s[22:23]
	s_cbranch_execz .LBB119_153
; %bb.152:                              ;   in Loop: Header=BB119_44 Depth=1
	v_pk_mov_b32 v[6:7], s[16:17], s[16:17] op_sel:[0,1]
	ds_write_b64 v3, v[6:7] offset:5128
.LBB119_153:                            ;   in Loop: Header=BB119_44 Depth=1
	s_or_b64 exec, exec, s[6:7]
	s_waitcnt lgkmcnt(0)
	s_barrier
.LBB119_154:                            ;   in Loop: Header=BB119_44 Depth=1
	s_and_b64 s[22:23], s[82:83], s[20:21]
	s_or_b64 s[24:25], s[2:3], s[12:13]
	s_mov_b64 s[6:7], 0
	s_mov_b32 s48, 8
.LBB119_155:                            ;   in Loop: Header=BB119_44 Depth=1
	s_andn2_b64 vcc, exec, s[6:7]
	s_cbranch_vccnz .LBB119_157
; %bb.156:                              ;   in Loop: Header=BB119_44 Depth=1
	s_sub_u32 s84, s84, s16
	s_subb_u32 s85, s85, s17
	s_mov_b64 s[6:7], -1
	s_mov_b32 s48, 0
	s_mov_b64 s[22:23], s[82:83]
	s_mov_b64 s[24:25], s[2:3]
.LBB119_157:                            ;   in Loop: Header=BB119_44 Depth=1
	s_mov_b64 s[2:3], s[24:25]
	s_mov_b64 s[82:83], s[22:23]
	s_mov_b64 s[16:17], -1
	s_and_b64 vcc, exec, s[6:7]
	s_cbranch_vccnz .LBB119_160
.LBB119_158:                            ;   in Loop: Header=BB119_44 Depth=1
	s_mov_b64 s[26:27], -1
                                        ; implicit-def: $sgpr22_sgpr23
                                        ; implicit-def: $sgpr28_sgpr29
                                        ; implicit-def: $sgpr24_sgpr25
	s_and_saveexec_b64 s[0:1], s[26:27]
	s_xor_b64 s[0:1], exec, s[0:1]
	s_cbranch_execz .LBB119_42
	s_branch .LBB119_309
.LBB119_159:                            ;   in Loop: Header=BB119_44 Depth=1
	s_mov_b64 s[84:85], 1
	s_mov_b64 s[16:17], -1
	s_branch .LBB119_158
.LBB119_160:                            ;   in Loop: Header=BB119_44 Depth=1
	s_cmp_eq_u64 s[0:1], 1
	s_cselect_b64 s[6:7], -1, 0
	s_cmp_eq_u64 s[84:85], 1
	s_cselect_b64 s[22:23], -1, 0
	s_and_b64 s[34:35], s[6:7], s[22:23]
	s_mov_b64 s[6:7], -1
	s_and_b64 vcc, exec, s[34:35]
	s_cbranch_vccz .LBB119_175
; %bb.161:                              ;   in Loop: Header=BB119_44 Depth=1
	s_waitcnt vmcnt(0)
	ds_read_b64 v[6:7], v3 offset:5120
	s_waitcnt lgkmcnt(0)
	s_barrier
	v_readfirstlane_b32 s22, v6
	v_readfirstlane_b32 s23, v7
	s_mov_b64 s[6:7], exec
	v_readlane_b32 s24, v66, 19
	v_readlane_b32 s25, v66, 20
	s_and_b64 s[24:25], s[6:7], s[24:25]
	s_mov_b64 exec, s[24:25]
	s_cbranch_execz .LBB119_163
; %bb.162:                              ;   in Loop: Header=BB119_44 Depth=1
	v_mov_b32_e32 v2, v3
	ds_write_b64 v50, v[2:3]
.LBB119_163:                            ;   in Loop: Header=BB119_44 Depth=1
	s_or_b64 exec, exec, s[6:7]
	s_lshl_b64 s[6:7], 1, s42
	s_and_b64 s[24:25], s[82:83], s[20:21]
	s_or_b64 s[82:83], s[24:25], s[6:7]
	s_or_b64 s[2:3], s[2:3], s[12:13]
	s_cmp_eq_u64 s[22:23], 0
	s_waitcnt lgkmcnt(0)
	s_barrier
	s_cbranch_scc1 .LBB119_181
; %bb.164:                              ;   in Loop: Header=BB119_44 Depth=1
	v_readlane_b32 s6, v66, 25
	s_add_u32 s26, s6, s22
	v_readlane_b32 s6, v66, 27
	s_addc_u32 s7, s6, s23
	s_mov_b32 s6, s77
	s_cmp_lg_u64 s[6:7], 0
	s_cbranch_scc0 .LBB119_226
; %bb.165:                              ;   in Loop: Header=BB119_44 Depth=1
	v_cvt_f32_u32_e32 v2, s33
	s_sub_u32 s6, 0, s33
	s_subb_u32 s24, 0, 0
	v_mac_f32_e32 v2, 0, v55
	v_rcp_f32_e32 v2, v2
	v_mul_f32_e32 v2, 0x5f7ffffc, v2
	v_mul_f32_e32 v4, 0x2f800000, v2
	v_trunc_f32_e32 v4, v4
	v_mac_f32_e32 v2, 0xcf800000, v4
	v_cvt_u32_f32_e32 v4, v4
	v_cvt_u32_f32_e32 v2, v2
	v_readfirstlane_b32 s25, v4
	v_readfirstlane_b32 s27, v2
	s_mul_i32 s28, s6, s25
	s_mul_hi_u32 s30, s6, s27
	s_mul_i32 s29, s24, s27
	s_add_i32 s28, s30, s28
	s_mul_i32 s31, s6, s27
	s_add_i32 s28, s28, s29
	s_mul_hi_u32 s30, s27, s31
	s_mul_hi_u32 s29, s27, s28
	s_mul_i32 s27, s27, s28
	s_add_u32 s27, s30, s27
	s_addc_u32 s29, 0, s29
	s_mul_hi_u32 s36, s25, s31
	s_mul_i32 s31, s25, s31
	s_add_u32 s27, s27, s31
	s_mul_hi_u32 s30, s25, s28
	s_addc_u32 s27, s29, s36
	s_addc_u32 s29, s30, 0
	s_mul_i32 s28, s25, s28
	s_add_u32 s27, s27, s28
	s_addc_u32 s28, 0, s29
	v_add_co_u32_e32 v2, vcc, s27, v2
	s_cmp_lg_u64 vcc, 0
	s_addc_u32 s25, s25, s28
	v_readfirstlane_b32 s28, v2
	s_mul_i32 s27, s6, s25
	s_mul_hi_u32 s29, s6, s28
	s_add_i32 s27, s29, s27
	s_mul_i32 s24, s24, s28
	s_add_i32 s27, s27, s24
	s_mul_i32 s6, s6, s28
	s_mul_hi_u32 s29, s25, s6
	s_mul_i32 s30, s25, s6
	s_mul_i32 s36, s28, s27
	s_mul_hi_u32 s6, s28, s6
	s_mul_hi_u32 s31, s28, s27
	s_add_u32 s6, s6, s36
	s_addc_u32 s28, 0, s31
	s_add_u32 s6, s6, s30
	s_mul_hi_u32 s24, s25, s27
	s_addc_u32 s6, s28, s29
	s_addc_u32 s24, s24, 0
	s_mul_i32 s27, s25, s27
	s_add_u32 s6, s6, s27
	s_addc_u32 s24, 0, s24
	v_add_co_u32_e32 v2, vcc, s6, v2
	s_cmp_lg_u64 vcc, 0
	s_addc_u32 s6, s25, s24
	v_readfirstlane_b32 s27, v2
	s_mul_i32 s25, s26, s6
	s_mul_hi_u32 s28, s26, s27
	s_mul_hi_u32 s24, s26, s6
	s_add_u32 s25, s28, s25
	s_addc_u32 s24, 0, s24
	s_mul_hi_u32 s29, s7, s27
	s_mul_i32 s27, s7, s27
	s_add_u32 s25, s25, s27
	s_mul_hi_u32 s28, s7, s6
	s_addc_u32 s24, s24, s29
	s_addc_u32 s25, s28, 0
	s_mul_i32 s6, s7, s6
	s_add_u32 s6, s24, s6
	s_addc_u32 s24, 0, s25
	s_mul_hi_u32 s25, s33, s6
	s_mul_i32 s6, s33, s6
	s_mul_i32 s24, s33, s24
	v_mov_b32_e32 v2, s6
	s_add_i32 s25, s25, s24
	v_sub_co_u32_e32 v2, vcc, s26, v2
	s_cmp_lg_u64 vcc, 0
	s_subb_u32 s6, s7, s25
	v_subrev_co_u32_e32 v4, vcc, s33, v2
	s_cmp_lg_u64 vcc, 0
	s_subb_u32 s24, s6, 0
	v_subrev_co_u32_e32 v6, vcc, s33, v4
	s_cmp_lg_u64 vcc, 0
	s_subb_u32 s25, s24, 0
	v_cmp_le_u32_e32 vcc, s33, v4
	s_cmp_eq_u32 s24, 0
	v_cndmask_b32_e64 v7, 0, -1, vcc
	s_cselect_b64 vcc, -1, 0
	v_cndmask_b32_e32 v7, -1, v7, vcc
	v_mov_b32_e32 v8, s24
	v_mov_b32_e32 v9, s25
	v_cmp_ne_u32_e32 vcc, 0, v7
	v_cndmask_b32_e32 v7, v8, v9, vcc
	v_cndmask_b32_e32 v4, v4, v6, vcc
	v_cmp_le_u32_e32 vcc, s33, v2
	s_cmp_eq_u32 s6, 0
	v_cndmask_b32_e64 v6, 0, -1, vcc
	s_cselect_b64 vcc, -1, 0
	v_cndmask_b32_e32 v6, -1, v6, vcc
	v_mov_b32_e32 v8, s6
	v_cmp_ne_u32_e32 vcc, 0, v6
	v_cndmask_b32_e32 v7, v8, v7, vcc
	v_cndmask_b32_e32 v6, v2, v4, vcc
	s_cbranch_execnz .LBB119_167
.LBB119_166:                            ;   in Loop: Header=BB119_44 Depth=1
	v_cvt_f32_u32_e32 v2, s33
	s_sub_i32 s6, 0, s33
	v_rcp_iflag_f32_e32 v2, v2
	v_mul_f32_e32 v2, 0x4f7ffffe, v2
	v_cvt_u32_f32_e32 v2, v2
	v_mul_lo_u32 v4, s6, v2
	v_mul_hi_u32 v4, v2, v4
	v_add_u32_e32 v2, v2, v4
	v_mul_hi_u32 v2, s26, v2
	v_mul_lo_u32 v2, v2, s33
	v_sub_u32_e32 v2, s26, v2
	v_subrev_u32_e32 v4, s33, v2
	v_cmp_le_u32_e32 vcc, s33, v2
	v_cndmask_b32_e32 v2, v2, v4, vcc
	v_subrev_u32_e32 v4, s33, v2
	v_cmp_le_u32_e32 vcc, s33, v2
	v_cndmask_b32_e32 v2, v2, v4, vcc
	v_pk_mov_b32 v[6:7], v[2:3], v[2:3] op_sel:[0,1]
.LBB119_167:                            ;   in Loop: Header=BB119_44 Depth=1
	v_mov_b32_e32 v2, s7
	v_sub_co_u32_e32 v10, vcc, s26, v6
	v_subb_co_u32_e32 v11, vcc, v2, v7, vcc
	v_cmp_gt_u64_e32 vcc, v[10:11], v[0:1]
	s_mov_b64 s[6:7], 0
                                        ; implicit-def: $vgpr8_vgpr9
	s_and_saveexec_b64 s[24:25], vcc
	s_cbranch_execz .LBB119_183
; %bb.168:                              ;   in Loop: Header=BB119_44 Depth=1
	s_mov_b64 s[28:29], 0
	v_mov_b32_e32 v2, v49
	v_pk_mov_b32 v[12:13], v[0:1], v[0:1] op_sel:[0,1]
                                        ; implicit-def: $sgpr26_sgpr27
	s_branch .LBB119_170
.LBB119_169:                            ;   in Loop: Header=BB119_170 Depth=2
	s_or_b64 exec, exec, s[6:7]
	s_waitcnt lgkmcnt(0)
	s_barrier
	ds_read_b128 v[6:9], v3 offset:3072
	v_mov_b32_e32 v4, s80
	v_add_co_u32_e64 v12, s[6:7], s33, v12
	v_addc_co_u32_e64 v13, s[6:7], v13, v4, s[6:7]
	s_waitcnt lgkmcnt(0)
	v_cmp_neq_f64_e32 vcc, 0, v[6:7]
	v_cmp_ge_u64_e64 s[6:7], v[12:13], v[10:11]
	s_or_b64 s[6:7], s[6:7], vcc
	s_and_b64 s[6:7], exec, s[6:7]
	s_or_b64 s[28:29], s[6:7], s[28:29]
	s_andn2_b64 s[6:7], s[26:27], exec
	s_and_b64 s[26:27], vcc, exec
	v_add_u32_e32 v2, s60, v2
	s_or_b64 s[26:27], s[6:7], s[26:27]
	s_barrier
	s_andn2_b64 exec, exec, s[28:29]
	s_cbranch_execz .LBB119_182
.LBB119_170:                            ;   Parent Loop BB119_44 Depth=1
                                        ; =>  This Inner Loop Header: Depth=2
	v_cmp_gt_u64_e32 vcc, s[22:23], v[12:13]
	v_pk_mov_b32 v[6:7], 0, 0
	s_and_saveexec_b64 s[6:7], vcc
	s_cbranch_execz .LBB119_172
; %bb.171:                              ;   in Loop: Header=BB119_170 Depth=2
	ds_read_b64 v[6:7], v2
.LBB119_172:                            ;   in Loop: Header=BB119_170 Depth=2
	s_or_b64 exec, exec, s[6:7]
	s_and_saveexec_b64 s[6:7], vcc
	s_cbranch_execz .LBB119_169
; %bb.173:                              ;   in Loop: Header=BB119_170 Depth=2
	s_waitcnt lgkmcnt(0)
	v_ashrrev_i32_e32 v4, 31, v7
	v_or_b32_e32 v8, 0x80000000, v4
	v_xor_b32_e32 v8, v8, v7
	v_xor_b32_e32 v4, v4, v6
	v_cmp_o_f64_e32 vcc, v[6:7], v[6:7]
	v_cndmask_b32_e32 v8, -1, v8, vcc
	v_cndmask_b32_e32 v4, -1, v4, vcc
	v_and_b32_e32 v9, s3, v8
	v_and_b32_e32 v8, s2, v4
	v_cmp_eq_u64_e32 vcc, s[82:83], v[8:9]
	s_and_b64 exec, exec, vcc
	s_cbranch_execz .LBB119_169
; %bb.174:                              ;   in Loop: Header=BB119_170 Depth=2
	v_mov_b32_e32 v4, v3
	ds_write_b128 v3, v[4:7] offset:3072
	s_branch .LBB119_169
.LBB119_175:                            ;   in Loop: Header=BB119_44 Depth=1
                                        ; implicit-def: $sgpr24_sgpr25
                                        ; implicit-def: $sgpr28_sgpr29
                                        ; implicit-def: $sgpr22_sgpr23
	s_branch .LBB119_197
.LBB119_176:                            ;   in Loop: Header=BB119_44 Depth=1
                                        ; implicit-def: $vgpr6_vgpr7
	s_branch .LBB119_121
.LBB119_177:                            ;   in Loop: Header=BB119_44 Depth=1
	s_or_b64 exec, exec, s[12:13]
	s_barrier
	s_mov_b64 s[6:7], exec
	v_readlane_b32 s10, v66, 16
	v_readlane_b32 s11, v66, 17
	s_and_b64 s[10:11], s[6:7], s[10:11]
	s_mov_b64 exec, s[10:11]
	s_cbranch_execz .LBB119_179
; %bb.178:                              ;   in Loop: Header=BB119_44 Depth=1
	s_waitcnt vmcnt(0)
	ds_read_b32 v6, v3 offset:5144
	s_waitcnt lgkmcnt(0)
	v_ashrrev_i32_e32 v7, 31, v6
	ds_write_b64 v3, v[6:7] offset:5120
.LBB119_179:                            ;   in Loop: Header=BB119_44 Depth=1
	s_or_b64 exec, exec, s[6:7]
	s_waitcnt lgkmcnt(0)
	s_barrier
	s_mov_b64 s[6:7], -1
	s_and_b64 vcc, exec, s[0:1]
	s_cbranch_vccnz .LBB119_62
	s_branch .LBB119_72
.LBB119_180:                            ;   in Loop: Header=BB119_44 Depth=1
                                        ; implicit-def: $vgpr6_vgpr7
	s_branch .LBB119_136
.LBB119_181:                            ;   in Loop: Header=BB119_44 Depth=1
	s_mov_b64 s[24:25], -1
	s_mov_b64 s[6:7], 0
                                        ; implicit-def: $sgpr22_sgpr23
                                        ; implicit-def: $vgpr8_vgpr9
	s_mov_b64 s[28:29], s[24:25]
	s_cbranch_execnz .LBB119_184
	s_branch .LBB119_197
.LBB119_182:                            ;   in Loop: Header=BB119_44 Depth=1
	s_or_b64 exec, exec, s[28:29]
	s_and_b64 s[6:7], s[26:27], exec
.LBB119_183:                            ;   in Loop: Header=BB119_44 Depth=1
	s_or_b64 exec, exec, s[24:25]
	s_mov_b64 s[22:23], -1
	s_mov_b64 s[24:25], 0
	s_mov_b64 s[28:29], s[24:25]
	s_branch .LBB119_197
.LBB119_184:                            ;   in Loop: Header=BB119_44 Depth=1
	s_mov_b32 s48, s77
	s_cmp_lg_u64 s[48:49], 0
	s_cbranch_scc0 .LBB119_227
; %bb.185:                              ;   in Loop: Header=BB119_44 Depth=1
	v_cvt_f32_u32_e32 v2, s33
	s_sub_u32 s6, 0, s33
	s_subb_u32 s7, 0, 0
	v_mac_f32_e32 v2, 0, v55
	v_rcp_f32_e32 v2, v2
	v_mul_f32_e32 v2, 0x5f7ffffc, v2
	v_mul_f32_e32 v4, 0x2f800000, v2
	v_trunc_f32_e32 v4, v4
	v_mac_f32_e32 v2, 0xcf800000, v4
	v_cvt_u32_f32_e32 v4, v4
	v_cvt_u32_f32_e32 v2, v2
	v_readfirstlane_b32 s22, v4
	v_readfirstlane_b32 s23, v2
	s_mul_i32 s24, s6, s22
	s_mul_hi_u32 s26, s6, s23
	s_mul_i32 s25, s7, s23
	s_add_i32 s24, s26, s24
	s_mul_i32 s27, s6, s23
	s_add_i32 s24, s24, s25
	s_mul_hi_u32 s26, s23, s27
	s_mul_hi_u32 s25, s23, s24
	s_mul_i32 s23, s23, s24
	s_add_u32 s23, s26, s23
	s_addc_u32 s25, 0, s25
	s_mul_hi_u32 s28, s22, s27
	s_mul_i32 s27, s22, s27
	s_add_u32 s23, s23, s27
	s_mul_hi_u32 s26, s22, s24
	s_addc_u32 s23, s25, s28
	s_addc_u32 s25, s26, 0
	s_mul_i32 s24, s22, s24
	s_add_u32 s23, s23, s24
	s_addc_u32 s24, 0, s25
	v_add_co_u32_e32 v2, vcc, s23, v2
	s_cmp_lg_u64 vcc, 0
	s_addc_u32 s22, s22, s24
	v_readfirstlane_b32 s24, v2
	s_mul_i32 s23, s6, s22
	s_mul_hi_u32 s25, s6, s24
	s_add_i32 s23, s25, s23
	s_mul_i32 s7, s7, s24
	s_add_i32 s23, s23, s7
	s_mul_i32 s6, s6, s24
	s_mul_hi_u32 s25, s22, s6
	s_mul_i32 s26, s22, s6
	s_mul_i32 s28, s24, s23
	s_mul_hi_u32 s6, s24, s6
	s_mul_hi_u32 s27, s24, s23
	s_add_u32 s6, s6, s28
	s_addc_u32 s24, 0, s27
	s_add_u32 s6, s6, s26
	s_mul_hi_u32 s7, s22, s23
	s_addc_u32 s6, s24, s25
	s_addc_u32 s7, s7, 0
	s_mul_i32 s23, s22, s23
	s_add_u32 s6, s6, s23
	s_addc_u32 s7, 0, s7
	v_add_co_u32_e32 v2, vcc, s6, v2
	s_cmp_lg_u64 vcc, 0
	s_addc_u32 s6, s22, s7
	v_readlane_b32 s26, v66, 26
	v_readfirstlane_b32 s23, v2
	s_mul_i32 s22, s26, s6
	s_mul_hi_u32 s24, s26, s23
	s_mul_hi_u32 s7, s26, s6
	s_add_u32 s22, s24, s22
	s_addc_u32 s7, 0, s7
	s_mul_hi_u32 s25, s49, s23
	s_mul_i32 s23, s49, s23
	s_add_u32 s22, s22, s23
	s_mul_hi_u32 s24, s49, s6
	s_addc_u32 s7, s7, s25
	s_addc_u32 s22, s24, 0
	s_mul_i32 s6, s49, s6
	s_add_u32 s6, s7, s6
	s_addc_u32 s7, 0, s22
	s_mul_hi_u32 s22, s33, s6
	s_mul_i32 s6, s33, s6
	s_mul_i32 s7, s33, s7
	v_mov_b32_e32 v2, s6
	s_add_i32 s22, s22, s7
	v_sub_co_u32_e32 v2, vcc, s26, v2
	s_cmp_lg_u64 vcc, 0
	s_subb_u32 s6, s49, s22
	v_subrev_co_u32_e32 v4, vcc, s33, v2
	s_cmp_lg_u64 vcc, 0
	s_subb_u32 s7, s6, 0
	v_subrev_co_u32_e32 v6, vcc, s33, v4
	s_cmp_lg_u64 vcc, 0
	s_subb_u32 s22, s7, 0
	v_cmp_le_u32_e32 vcc, s33, v4
	s_cmp_eq_u32 s7, 0
	v_cndmask_b32_e64 v7, 0, -1, vcc
	s_cselect_b64 vcc, -1, 0
	v_cndmask_b32_e32 v7, -1, v7, vcc
	v_mov_b32_e32 v8, s7
	v_mov_b32_e32 v9, s22
	v_cmp_ne_u32_e32 vcc, 0, v7
	v_cndmask_b32_e32 v7, v8, v9, vcc
	v_cndmask_b32_e32 v4, v4, v6, vcc
	v_cmp_le_u32_e32 vcc, s33, v2
	s_cmp_eq_u32 s6, 0
	v_cndmask_b32_e64 v6, 0, -1, vcc
	s_cselect_b64 vcc, -1, 0
	v_cndmask_b32_e32 v6, -1, v6, vcc
	v_mov_b32_e32 v8, s6
	v_cmp_ne_u32_e32 vcc, 0, v6
	v_cndmask_b32_e32 v7, v8, v7, vcc
	v_cndmask_b32_e32 v6, v2, v4, vcc
	s_cbranch_execnz .LBB119_187
.LBB119_186:                            ;   in Loop: Header=BB119_44 Depth=1
	v_cvt_f32_u32_e32 v2, s33
	s_sub_i32 s6, 0, s33
	v_rcp_iflag_f32_e32 v2, v2
	v_mul_f32_e32 v2, 0x4f7ffffe, v2
	v_cvt_u32_f32_e32 v2, v2
	v_mul_lo_u32 v4, s6, v2
	v_mul_hi_u32 v4, v2, v4
	v_add_u32_e32 v2, v2, v4
	v_readlane_b32 s6, v66, 26
	v_mul_hi_u32 v2, s6, v2
	v_mul_lo_u32 v2, v2, s33
	v_sub_u32_e32 v2, s6, v2
	v_subrev_u32_e32 v4, s33, v2
	v_cmp_le_u32_e32 vcc, s33, v2
	v_cndmask_b32_e32 v2, v2, v4, vcc
	v_subrev_u32_e32 v4, s33, v2
	v_cmp_le_u32_e32 vcc, s33, v2
	v_cndmask_b32_e32 v2, v2, v4, vcc
	v_pk_mov_b32 v[6:7], v[2:3], v[2:3] op_sel:[0,1]
.LBB119_187:                            ;   in Loop: Header=BB119_44 Depth=1
	v_readlane_b32 s6, v66, 26
	v_mov_b32_e32 v2, s49
	v_sub_co_u32_e32 v10, vcc, s6, v6
	v_subb_co_u32_e32 v11, vcc, v2, v7, vcc
	v_cmp_gt_u64_e32 vcc, v[10:11], v[0:1]
	s_mov_b64 s[6:7], 0
                                        ; implicit-def: $vgpr8_vgpr9
	s_and_saveexec_b64 s[22:23], vcc
	s_cbranch_execz .LBB119_196
; %bb.188:                              ;   in Loop: Header=BB119_44 Depth=1
	s_mov_b64 s[26:27], 0
	v_pk_mov_b32 v[12:13], v[18:19], v[18:19] op_sel:[0,1]
	v_pk_mov_b32 v[14:15], v[0:1], v[0:1] op_sel:[0,1]
                                        ; implicit-def: $sgpr24_sgpr25
	s_branch .LBB119_190
.LBB119_189:                            ;   in Loop: Header=BB119_190 Depth=2
	s_or_b64 exec, exec, s[6:7]
	s_waitcnt lgkmcnt(0)
	s_barrier
	s_waitcnt vmcnt(0)
	ds_read_b128 v[6:9], v3 offset:3072
	v_mov_b32_e32 v2, s80
	v_add_co_u32_e64 v14, s[6:7], s33, v14
	v_addc_co_u32_e64 v15, s[6:7], v15, v2, s[6:7]
	s_waitcnt lgkmcnt(0)
	v_cmp_neq_f64_e32 vcc, 0, v[6:7]
	v_cmp_ge_u64_e64 s[6:7], v[14:15], v[10:11]
	s_or_b64 s[28:29], s[6:7], vcc
	v_mov_b32_e32 v2, s73
	v_add_co_u32_e64 v12, s[6:7], s72, v12
	v_addc_co_u32_e64 v13, s[6:7], v13, v2, s[6:7]
	s_and_b64 s[6:7], exec, s[28:29]
	s_or_b64 s[26:27], s[6:7], s[26:27]
	s_andn2_b64 s[6:7], s[24:25], exec
	s_and_b64 s[24:25], vcc, exec
	s_or_b64 s[24:25], s[6:7], s[24:25]
	s_barrier
	s_andn2_b64 exec, exec, s[26:27]
	s_cbranch_execz .LBB119_195
.LBB119_190:                            ;   Parent Loop BB119_44 Depth=1
                                        ; =>  This Inner Loop Header: Depth=2
	v_cmp_gt_u64_e32 vcc, s[52:53], v[14:15]
	v_pk_mov_b32 v[6:7], 0, 0
	s_and_saveexec_b64 s[6:7], vcc
	s_cbranch_execz .LBB119_192
; %bb.191:                              ;   in Loop: Header=BB119_190 Depth=2
	global_load_dwordx2 v[6:7], v[12:13], off
.LBB119_192:                            ;   in Loop: Header=BB119_190 Depth=2
	s_or_b64 exec, exec, s[6:7]
	s_and_saveexec_b64 s[6:7], vcc
	s_cbranch_execz .LBB119_189
; %bb.193:                              ;   in Loop: Header=BB119_190 Depth=2
	s_waitcnt vmcnt(0)
	v_ashrrev_i32_e32 v2, 31, v7
	v_or_b32_e32 v4, 0x80000000, v2
	v_xor_b32_e32 v4, v4, v7
	v_xor_b32_e32 v2, v2, v6
	v_cmp_o_f64_e32 vcc, v[6:7], v[6:7]
	v_cndmask_b32_e32 v4, -1, v4, vcc
	v_cndmask_b32_e32 v2, -1, v2, vcc
	v_and_b32_e32 v9, s3, v4
	v_and_b32_e32 v8, s2, v2
	v_cmp_eq_u64_e32 vcc, s[82:83], v[8:9]
	s_and_b64 exec, exec, vcc
	s_cbranch_execz .LBB119_189
; %bb.194:                              ;   in Loop: Header=BB119_190 Depth=2
	v_mov_b32_e32 v4, v3
	ds_write_b128 v3, v[4:7] offset:3072
	s_branch .LBB119_189
.LBB119_195:                            ;   in Loop: Header=BB119_44 Depth=1
	s_or_b64 exec, exec, s[26:27]
	s_and_b64 s[6:7], s[24:25], exec
.LBB119_196:                            ;   in Loop: Header=BB119_44 Depth=1
	s_or_b64 exec, exec, s[22:23]
	s_mov_b64 s[28:29], -1
	s_mov_b64 s[24:25], 0
	s_mov_b64 s[22:23], 0
.LBB119_197:                            ;   in Loop: Header=BB119_44 Depth=1
	s_mov_b64 s[26:27], 0
                                        ; implicit-def: $sgpr48
	s_and_saveexec_b64 s[30:31], s[6:7]
	s_cbranch_execz .LBB119_308
; %bb.198:                              ;   in Loop: Header=BB119_44 Depth=1
	s_xor_b64 s[6:7], s[34:35], -1
	s_andn2_b64 vcc, exec, s[6:7]
	s_mov_b32 s48, 1
	s_cbranch_vccnz .LBB119_209
; %bb.199:                              ;   in Loop: Header=BB119_44 Depth=1
	s_waitcnt vmcnt(0)
	v_pk_mov_b32 v[6:7], s[0:1], s[0:1] op_sel:[0,1]
	v_cmp_gt_u64_e32 vcc, s[84:85], v[6:7]
	s_mov_b64 s[6:7], -1
                                        ; implicit-def: $sgpr48
                                        ; implicit-def: $sgpr26_sgpr27
                                        ; implicit-def: $sgpr34_sgpr35
	s_cbranch_vccnz .LBB119_205
; %bb.200:                              ;   in Loop: Header=BB119_44 Depth=1
	ds_read_b64 v[6:7], v3 offset:5120
	s_waitcnt lgkmcnt(0)
	v_cmp_ne_u64_e32 vcc, 0, v[6:7]
	s_cbranch_vccnz .LBB119_204
; %bb.201:                              ;   in Loop: Header=BB119_44 Depth=1
	s_mov_b64 s[6:7], exec
	v_readlane_b32 s26, v66, 16
	v_readlane_b32 s27, v66, 17
	s_and_b64 s[26:27], s[6:7], s[26:27]
	s_mov_b64 exec, s[26:27]
	s_cbranch_execz .LBB119_203
; %bb.202:                              ;   in Loop: Header=BB119_44 Depth=1
	v_pk_mov_b32 v[6:7], s[0:1], s[0:1] op_sel:[0,1]
	ds_write_b64 v3, v[6:7] offset:5128
.LBB119_203:                            ;   in Loop: Header=BB119_44 Depth=1
	s_or_b64 exec, exec, s[6:7]
	s_waitcnt lgkmcnt(0)
	s_barrier
.LBB119_204:                            ;   in Loop: Header=BB119_44 Depth=1
	s_lshl_b64 s[6:7], 1, s42
	s_and_b64 s[26:27], s[82:83], s[20:21]
	s_or_b64 s[26:27], s[26:27], s[6:7]
	s_or_b64 s[34:35], s[2:3], s[12:13]
	s_mov_b64 s[6:7], 0
	s_mov_b32 s48, 8
.LBB119_205:                            ;   in Loop: Header=BB119_44 Depth=1
	s_andn2_b64 vcc, exec, s[6:7]
	s_cbranch_vccnz .LBB119_207
; %bb.206:                              ;   in Loop: Header=BB119_44 Depth=1
	s_sub_u32 s84, s84, s0
	s_subb_u32 s85, s85, s1
	s_mov_b64 s[6:7], -1
	s_mov_b32 s48, 0
	s_mov_b64 s[26:27], s[82:83]
	s_mov_b64 s[34:35], s[2:3]
.LBB119_207:                            ;   in Loop: Header=BB119_44 Depth=1
	s_mov_b64 s[2:3], s[34:35]
	s_mov_b64 s[82:83], s[26:27]
	s_andn2_b64 vcc, exec, s[6:7]
	s_mov_b64 s[26:27], -1
	s_cbranch_vccz .LBB119_210
.LBB119_208:                            ;   in Loop: Header=BB119_44 Depth=1
                                        ; implicit-def: $sgpr34_sgpr35
                                        ; implicit-def: $sgpr36_sgpr37
                                        ; implicit-def: $sgpr0_sgpr1
	s_branch .LBB119_307
.LBB119_209:                            ;   in Loop: Header=BB119_44 Depth=1
	s_mov_b64 s[84:85], 1
	s_mov_b64 s[26:27], -1
	s_cbranch_execnz .LBB119_208
.LBB119_210:                            ;   in Loop: Header=BB119_44 Depth=1
	s_cmp_eq_u64 s[18:19], 1
	s_cselect_b64 s[0:1], -1, 0
	s_cmp_eq_u64 s[84:85], 1
	s_cselect_b64 s[6:7], -1, 0
	s_and_b64 s[40:41], s[0:1], s[6:7]
	s_mov_b64 s[62:63], s[38:39]
	s_mov_b64 s[6:7], -1
	s_and_b64 vcc, exec, s[40:41]
	s_cbranch_vccz .LBB119_225
; %bb.211:                              ;   in Loop: Header=BB119_44 Depth=1
	s_waitcnt vmcnt(0)
	ds_read_b64 v[6:7], v3 offset:5120
	s_waitcnt lgkmcnt(0)
	s_barrier
	v_readfirstlane_b32 s0, v6
	v_readfirstlane_b32 s1, v7
	s_mov_b64 s[6:7], exec
	v_readlane_b32 s26, v66, 19
	v_readlane_b32 s27, v66, 20
	s_and_b64 s[26:27], s[6:7], s[26:27]
	s_mov_b64 exec, s[26:27]
	s_cbranch_execz .LBB119_213
; %bb.212:                              ;   in Loop: Header=BB119_44 Depth=1
	v_mov_b32_e32 v2, v3
	ds_write_b64 v50, v[2:3]
.LBB119_213:                            ;   in Loop: Header=BB119_44 Depth=1
	s_or_b64 exec, exec, s[6:7]
	s_lshl_b64 s[6:7], 2, s42
	s_and_b64 s[26:27], s[82:83], s[20:21]
	s_or_b64 s[82:83], s[26:27], s[6:7]
	s_or_b64 s[2:3], s[2:3], s[12:13]
	s_cmp_eq_u64 s[0:1], 0
	s_waitcnt lgkmcnt(0)
	s_barrier
	s_cbranch_scc1 .LBB119_228
; %bb.214:                              ;   in Loop: Header=BB119_44 Depth=1
	v_readlane_b32 s6, v66, 25
	s_add_u32 s34, s6, s0
	v_readlane_b32 s6, v66, 27
	s_addc_u32 s7, s6, s1
	s_mov_b32 s6, s77
	s_cmp_lg_u64 s[6:7], 0
	s_cbranch_scc0 .LBB119_273
; %bb.215:                              ;   in Loop: Header=BB119_44 Depth=1
	v_cvt_f32_u32_e32 v2, s33
	s_sub_u32 s6, 0, s33
	s_subb_u32 s26, 0, 0
	v_mac_f32_e32 v2, 0, v55
	v_rcp_f32_e32 v2, v2
	v_mul_f32_e32 v2, 0x5f7ffffc, v2
	v_mul_f32_e32 v4, 0x2f800000, v2
	v_trunc_f32_e32 v4, v4
	v_mac_f32_e32 v2, 0xcf800000, v4
	v_cvt_u32_f32_e32 v4, v4
	v_cvt_u32_f32_e32 v2, v2
	v_readfirstlane_b32 s27, v4
	v_readfirstlane_b32 s35, v2
	s_mul_i32 s36, s6, s27
	s_mul_hi_u32 s38, s6, s35
	s_mul_i32 s37, s26, s35
	s_add_i32 s36, s38, s36
	s_mul_i32 s39, s6, s35
	s_add_i32 s36, s36, s37
	s_mul_hi_u32 s38, s35, s39
	s_mul_hi_u32 s37, s35, s36
	s_mul_i32 s35, s35, s36
	s_add_u32 s35, s38, s35
	s_addc_u32 s37, 0, s37
	s_mul_hi_u32 s43, s27, s39
	s_mul_i32 s39, s27, s39
	s_add_u32 s35, s35, s39
	s_mul_hi_u32 s38, s27, s36
	s_addc_u32 s35, s37, s43
	s_addc_u32 s37, s38, 0
	s_mul_i32 s36, s27, s36
	s_add_u32 s35, s35, s36
	s_addc_u32 s36, 0, s37
	v_add_co_u32_e32 v2, vcc, s35, v2
	s_cmp_lg_u64 vcc, 0
	s_addc_u32 s27, s27, s36
	v_readfirstlane_b32 s36, v2
	s_mul_i32 s35, s6, s27
	s_mul_hi_u32 s37, s6, s36
	s_add_i32 s35, s37, s35
	s_mul_i32 s26, s26, s36
	s_add_i32 s35, s35, s26
	s_mul_i32 s6, s6, s36
	s_mul_hi_u32 s37, s27, s6
	s_mul_i32 s38, s27, s6
	s_mul_i32 s43, s36, s35
	s_mul_hi_u32 s6, s36, s6
	s_mul_hi_u32 s39, s36, s35
	s_add_u32 s6, s6, s43
	s_addc_u32 s36, 0, s39
	s_add_u32 s6, s6, s38
	s_mul_hi_u32 s26, s27, s35
	s_addc_u32 s6, s36, s37
	s_addc_u32 s26, s26, 0
	s_mul_i32 s35, s27, s35
	s_add_u32 s6, s6, s35
	s_addc_u32 s26, 0, s26
	v_add_co_u32_e32 v2, vcc, s6, v2
	s_cmp_lg_u64 vcc, 0
	s_addc_u32 s6, s27, s26
	v_readfirstlane_b32 s35, v2
	s_mul_i32 s27, s34, s6
	s_mul_hi_u32 s36, s34, s35
	s_mul_hi_u32 s26, s34, s6
	s_add_u32 s27, s36, s27
	s_addc_u32 s26, 0, s26
	s_mul_hi_u32 s37, s7, s35
	s_mul_i32 s35, s7, s35
	s_add_u32 s27, s27, s35
	s_mul_hi_u32 s36, s7, s6
	s_addc_u32 s26, s26, s37
	s_addc_u32 s27, s36, 0
	s_mul_i32 s6, s7, s6
	s_add_u32 s6, s26, s6
	s_addc_u32 s26, 0, s27
	s_mul_hi_u32 s27, s33, s6
	s_mul_i32 s6, s33, s6
	s_mul_i32 s26, s33, s26
	v_mov_b32_e32 v2, s6
	s_add_i32 s27, s27, s26
	v_sub_co_u32_e32 v2, vcc, s34, v2
	s_cmp_lg_u64 vcc, 0
	s_subb_u32 s6, s7, s27
	v_subrev_co_u32_e32 v4, vcc, s33, v2
	s_cmp_lg_u64 vcc, 0
	s_subb_u32 s26, s6, 0
	v_subrev_co_u32_e32 v6, vcc, s33, v4
	s_cmp_lg_u64 vcc, 0
	s_subb_u32 s27, s26, 0
	v_cmp_le_u32_e32 vcc, s33, v4
	s_cmp_eq_u32 s26, 0
	v_cndmask_b32_e64 v7, 0, -1, vcc
	s_cselect_b64 vcc, -1, 0
	v_cndmask_b32_e32 v7, -1, v7, vcc
	v_mov_b32_e32 v8, s26
	v_mov_b32_e32 v9, s27
	v_cmp_ne_u32_e32 vcc, 0, v7
	v_cndmask_b32_e32 v7, v8, v9, vcc
	v_cndmask_b32_e32 v4, v4, v6, vcc
	v_cmp_le_u32_e32 vcc, s33, v2
	s_cmp_eq_u32 s6, 0
	v_cndmask_b32_e64 v6, 0, -1, vcc
	s_cselect_b64 vcc, -1, 0
	v_cndmask_b32_e32 v6, -1, v6, vcc
	v_mov_b32_e32 v8, s6
	v_cmp_ne_u32_e32 vcc, 0, v6
	v_cndmask_b32_e32 v7, v8, v7, vcc
	v_cndmask_b32_e32 v6, v2, v4, vcc
	s_cbranch_execnz .LBB119_217
.LBB119_216:                            ;   in Loop: Header=BB119_44 Depth=1
	v_cvt_f32_u32_e32 v2, s33
	s_sub_i32 s6, 0, s33
	v_rcp_iflag_f32_e32 v2, v2
	v_mul_f32_e32 v2, 0x4f7ffffe, v2
	v_cvt_u32_f32_e32 v2, v2
	v_mul_lo_u32 v4, s6, v2
	v_mul_hi_u32 v4, v2, v4
	v_add_u32_e32 v2, v2, v4
	v_mul_hi_u32 v2, s34, v2
	v_mul_lo_u32 v2, v2, s33
	v_sub_u32_e32 v2, s34, v2
	v_subrev_u32_e32 v4, s33, v2
	v_cmp_le_u32_e32 vcc, s33, v2
	v_cndmask_b32_e32 v2, v2, v4, vcc
	v_subrev_u32_e32 v4, s33, v2
	v_cmp_le_u32_e32 vcc, s33, v2
	v_cndmask_b32_e32 v2, v2, v4, vcc
	v_pk_mov_b32 v[6:7], v[2:3], v[2:3] op_sel:[0,1]
.LBB119_217:                            ;   in Loop: Header=BB119_44 Depth=1
	v_mov_b32_e32 v2, s7
	v_sub_co_u32_e32 v10, vcc, s34, v6
	v_subb_co_u32_e32 v11, vcc, v2, v7, vcc
	v_cmp_gt_u64_e32 vcc, v[10:11], v[0:1]
	s_mov_b64 s[6:7], 0
                                        ; implicit-def: $vgpr8_vgpr9
	s_and_saveexec_b64 s[26:27], vcc
	s_cbranch_execz .LBB119_230
; %bb.218:                              ;   in Loop: Header=BB119_44 Depth=1
	s_mov_b64 s[36:37], 0
	v_mov_b32_e32 v2, v49
	v_pk_mov_b32 v[12:13], v[0:1], v[0:1] op_sel:[0,1]
                                        ; implicit-def: $sgpr34_sgpr35
	s_branch .LBB119_220
.LBB119_219:                            ;   in Loop: Header=BB119_220 Depth=2
	s_or_b64 exec, exec, s[6:7]
	s_waitcnt lgkmcnt(0)
	s_barrier
	ds_read_b128 v[6:9], v3 offset:3072
	v_mov_b32_e32 v4, s80
	v_add_co_u32_e64 v12, s[6:7], s33, v12
	v_addc_co_u32_e64 v13, s[6:7], v13, v4, s[6:7]
	s_waitcnt lgkmcnt(0)
	v_cmp_neq_f64_e32 vcc, 0, v[6:7]
	v_cmp_ge_u64_e64 s[6:7], v[12:13], v[10:11]
	s_or_b64 s[6:7], s[6:7], vcc
	s_and_b64 s[6:7], exec, s[6:7]
	s_or_b64 s[36:37], s[6:7], s[36:37]
	s_andn2_b64 s[6:7], s[34:35], exec
	s_and_b64 s[34:35], vcc, exec
	v_add_u32_e32 v2, s60, v2
	s_or_b64 s[34:35], s[6:7], s[34:35]
	s_barrier
	s_andn2_b64 exec, exec, s[36:37]
	s_cbranch_execz .LBB119_229
.LBB119_220:                            ;   Parent Loop BB119_44 Depth=1
                                        ; =>  This Inner Loop Header: Depth=2
	v_cmp_gt_u64_e32 vcc, s[0:1], v[12:13]
	v_pk_mov_b32 v[6:7], 0, 0
	s_and_saveexec_b64 s[6:7], vcc
	s_cbranch_execz .LBB119_222
; %bb.221:                              ;   in Loop: Header=BB119_220 Depth=2
	ds_read_b64 v[6:7], v2
.LBB119_222:                            ;   in Loop: Header=BB119_220 Depth=2
	s_or_b64 exec, exec, s[6:7]
	s_and_saveexec_b64 s[6:7], vcc
	s_cbranch_execz .LBB119_219
; %bb.223:                              ;   in Loop: Header=BB119_220 Depth=2
	s_waitcnt lgkmcnt(0)
	v_ashrrev_i32_e32 v4, 31, v7
	v_or_b32_e32 v8, 0x80000000, v4
	v_xor_b32_e32 v8, v8, v7
	v_xor_b32_e32 v4, v4, v6
	v_cmp_o_f64_e32 vcc, v[6:7], v[6:7]
	v_cndmask_b32_e32 v8, -1, v8, vcc
	v_cndmask_b32_e32 v4, -1, v4, vcc
	v_and_b32_e32 v9, s3, v8
	v_and_b32_e32 v8, s2, v4
	v_cmp_eq_u64_e32 vcc, s[82:83], v[8:9]
	s_and_b64 exec, exec, vcc
	s_cbranch_execz .LBB119_219
; %bb.224:                              ;   in Loop: Header=BB119_220 Depth=2
	v_mov_b32_e32 v4, v3
	ds_write_b128 v3, v[4:7] offset:3072
	s_branch .LBB119_219
.LBB119_225:                            ;   in Loop: Header=BB119_44 Depth=1
                                        ; implicit-def: $sgpr0_sgpr1
                                        ; implicit-def: $sgpr36_sgpr37
                                        ; implicit-def: $sgpr34_sgpr35
	s_branch .LBB119_244
.LBB119_226:                            ;   in Loop: Header=BB119_44 Depth=1
                                        ; implicit-def: $vgpr6_vgpr7
	s_branch .LBB119_166
.LBB119_227:                            ;   in Loop: Header=BB119_44 Depth=1
                                        ; implicit-def: $vgpr6_vgpr7
	s_branch .LBB119_186
.LBB119_228:                            ;   in Loop: Header=BB119_44 Depth=1
	s_mov_b64 s[0:1], -1
	s_mov_b64 s[6:7], 0
                                        ; implicit-def: $sgpr34_sgpr35
                                        ; implicit-def: $vgpr8_vgpr9
	s_mov_b64 s[36:37], s[0:1]
	s_cbranch_execnz .LBB119_231
	s_branch .LBB119_244
.LBB119_229:                            ;   in Loop: Header=BB119_44 Depth=1
	s_or_b64 exec, exec, s[36:37]
	s_and_b64 s[6:7], s[34:35], exec
.LBB119_230:                            ;   in Loop: Header=BB119_44 Depth=1
	s_or_b64 exec, exec, s[26:27]
	s_mov_b64 s[34:35], -1
	s_mov_b64 s[0:1], 0
	s_mov_b64 s[36:37], s[0:1]
	s_branch .LBB119_244
.LBB119_231:                            ;   in Loop: Header=BB119_44 Depth=1
	s_mov_b32 s48, s77
	s_cmp_lg_u64 s[48:49], 0
	s_cbranch_scc0 .LBB119_274
; %bb.232:                              ;   in Loop: Header=BB119_44 Depth=1
	v_cvt_f32_u32_e32 v2, s33
	s_sub_u32 s0, 0, s33
	s_subb_u32 s1, 0, 0
	v_mac_f32_e32 v2, 0, v55
	v_rcp_f32_e32 v2, v2
	v_mul_f32_e32 v2, 0x5f7ffffc, v2
	v_mul_f32_e32 v4, 0x2f800000, v2
	v_trunc_f32_e32 v4, v4
	v_mac_f32_e32 v2, 0xcf800000, v4
	v_cvt_u32_f32_e32 v4, v4
	v_cvt_u32_f32_e32 v2, v2
	v_readfirstlane_b32 s6, v4
	v_readfirstlane_b32 s7, v2
	s_mul_i32 s26, s0, s6
	s_mul_hi_u32 s34, s0, s7
	s_mul_i32 s27, s1, s7
	s_add_i32 s26, s34, s26
	s_mul_i32 s35, s0, s7
	s_add_i32 s26, s26, s27
	s_mul_hi_u32 s34, s7, s35
	s_mul_hi_u32 s27, s7, s26
	s_mul_i32 s7, s7, s26
	s_add_u32 s7, s34, s7
	s_addc_u32 s27, 0, s27
	s_mul_hi_u32 s36, s6, s35
	s_mul_i32 s35, s6, s35
	s_add_u32 s7, s7, s35
	s_mul_hi_u32 s34, s6, s26
	s_addc_u32 s7, s27, s36
	s_addc_u32 s27, s34, 0
	s_mul_i32 s26, s6, s26
	s_add_u32 s7, s7, s26
	s_addc_u32 s26, 0, s27
	v_add_co_u32_e32 v2, vcc, s7, v2
	s_cmp_lg_u64 vcc, 0
	s_addc_u32 s6, s6, s26
	v_readfirstlane_b32 s26, v2
	s_mul_i32 s7, s0, s6
	s_mul_hi_u32 s27, s0, s26
	s_add_i32 s7, s27, s7
	s_mul_i32 s1, s1, s26
	s_add_i32 s7, s7, s1
	s_mul_i32 s0, s0, s26
	s_mul_hi_u32 s27, s6, s0
	s_mul_i32 s34, s6, s0
	s_mul_i32 s36, s26, s7
	s_mul_hi_u32 s0, s26, s0
	s_mul_hi_u32 s35, s26, s7
	s_add_u32 s0, s0, s36
	s_addc_u32 s26, 0, s35
	s_add_u32 s0, s0, s34
	s_mul_hi_u32 s1, s6, s7
	s_addc_u32 s0, s26, s27
	s_addc_u32 s1, s1, 0
	s_mul_i32 s7, s6, s7
	s_add_u32 s0, s0, s7
	s_addc_u32 s1, 0, s1
	v_add_co_u32_e32 v2, vcc, s0, v2
	s_cmp_lg_u64 vcc, 0
	s_addc_u32 s0, s6, s1
	v_readlane_b32 s34, v66, 26
	v_readfirstlane_b32 s7, v2
	s_mul_i32 s6, s34, s0
	s_mul_hi_u32 s26, s34, s7
	s_mul_hi_u32 s1, s34, s0
	s_add_u32 s6, s26, s6
	s_addc_u32 s1, 0, s1
	s_mul_hi_u32 s27, s49, s7
	s_mul_i32 s7, s49, s7
	s_add_u32 s6, s6, s7
	s_mul_hi_u32 s26, s49, s0
	s_addc_u32 s1, s1, s27
	s_addc_u32 s6, s26, 0
	s_mul_i32 s0, s49, s0
	s_add_u32 s0, s1, s0
	s_addc_u32 s1, 0, s6
	s_mul_hi_u32 s6, s33, s0
	s_mul_i32 s0, s33, s0
	s_mul_i32 s1, s33, s1
	v_mov_b32_e32 v2, s0
	s_add_i32 s6, s6, s1
	v_sub_co_u32_e32 v2, vcc, s34, v2
	s_cmp_lg_u64 vcc, 0
	s_subb_u32 s0, s49, s6
	v_subrev_co_u32_e32 v4, vcc, s33, v2
	s_cmp_lg_u64 vcc, 0
	s_subb_u32 s1, s0, 0
	v_subrev_co_u32_e32 v6, vcc, s33, v4
	s_cmp_lg_u64 vcc, 0
	s_subb_u32 s6, s1, 0
	v_cmp_le_u32_e32 vcc, s33, v4
	s_cmp_eq_u32 s1, 0
	v_cndmask_b32_e64 v7, 0, -1, vcc
	s_cselect_b64 vcc, -1, 0
	v_cndmask_b32_e32 v7, -1, v7, vcc
	v_mov_b32_e32 v8, s1
	v_mov_b32_e32 v9, s6
	v_cmp_ne_u32_e32 vcc, 0, v7
	v_cndmask_b32_e32 v7, v8, v9, vcc
	v_cndmask_b32_e32 v4, v4, v6, vcc
	v_cmp_le_u32_e32 vcc, s33, v2
	s_cmp_eq_u32 s0, 0
	v_cndmask_b32_e64 v6, 0, -1, vcc
	s_cselect_b64 vcc, -1, 0
	v_cndmask_b32_e32 v6, -1, v6, vcc
	v_mov_b32_e32 v8, s0
	v_cmp_ne_u32_e32 vcc, 0, v6
	v_cndmask_b32_e32 v7, v8, v7, vcc
	v_cndmask_b32_e32 v6, v2, v4, vcc
	s_cbranch_execnz .LBB119_234
.LBB119_233:                            ;   in Loop: Header=BB119_44 Depth=1
	v_cvt_f32_u32_e32 v2, s33
	s_sub_i32 s0, 0, s33
	v_rcp_iflag_f32_e32 v2, v2
	v_mul_f32_e32 v2, 0x4f7ffffe, v2
	v_cvt_u32_f32_e32 v2, v2
	v_mul_lo_u32 v4, s0, v2
	v_mul_hi_u32 v4, v2, v4
	v_add_u32_e32 v2, v2, v4
	v_readlane_b32 s0, v66, 26
	v_mul_hi_u32 v2, s0, v2
	v_mul_lo_u32 v2, v2, s33
	v_sub_u32_e32 v2, s0, v2
	v_subrev_u32_e32 v4, s33, v2
	v_cmp_le_u32_e32 vcc, s33, v2
	v_cndmask_b32_e32 v2, v2, v4, vcc
	v_subrev_u32_e32 v4, s33, v2
	v_cmp_le_u32_e32 vcc, s33, v2
	v_cndmask_b32_e32 v2, v2, v4, vcc
	v_pk_mov_b32 v[6:7], v[2:3], v[2:3] op_sel:[0,1]
.LBB119_234:                            ;   in Loop: Header=BB119_44 Depth=1
	v_readlane_b32 s0, v66, 26
	v_mov_b32_e32 v2, s49
	v_sub_co_u32_e32 v10, vcc, s0, v6
	v_subb_co_u32_e32 v11, vcc, v2, v7, vcc
	v_cmp_gt_u64_e32 vcc, v[10:11], v[0:1]
	s_mov_b64 s[6:7], 0
                                        ; implicit-def: $vgpr8_vgpr9
	s_and_saveexec_b64 s[0:1], vcc
	s_cbranch_execz .LBB119_243
; %bb.235:                              ;   in Loop: Header=BB119_44 Depth=1
	s_mov_b64 s[34:35], 0
	v_pk_mov_b32 v[12:13], v[18:19], v[18:19] op_sel:[0,1]
	v_pk_mov_b32 v[14:15], v[0:1], v[0:1] op_sel:[0,1]
                                        ; implicit-def: $sgpr26_sgpr27
	s_branch .LBB119_237
.LBB119_236:                            ;   in Loop: Header=BB119_237 Depth=2
	s_or_b64 exec, exec, s[6:7]
	s_waitcnt lgkmcnt(0)
	s_barrier
	s_waitcnt vmcnt(0)
	ds_read_b128 v[6:9], v3 offset:3072
	v_mov_b32_e32 v2, s80
	v_add_co_u32_e64 v14, s[6:7], s33, v14
	v_addc_co_u32_e64 v15, s[6:7], v15, v2, s[6:7]
	s_waitcnt lgkmcnt(0)
	v_cmp_neq_f64_e32 vcc, 0, v[6:7]
	v_cmp_ge_u64_e64 s[6:7], v[14:15], v[10:11]
	s_or_b64 s[36:37], s[6:7], vcc
	v_mov_b32_e32 v2, s73
	v_add_co_u32_e64 v12, s[6:7], s72, v12
	v_addc_co_u32_e64 v13, s[6:7], v13, v2, s[6:7]
	s_and_b64 s[6:7], exec, s[36:37]
	s_or_b64 s[34:35], s[6:7], s[34:35]
	s_andn2_b64 s[6:7], s[26:27], exec
	s_and_b64 s[26:27], vcc, exec
	s_or_b64 s[26:27], s[6:7], s[26:27]
	s_barrier
	s_andn2_b64 exec, exec, s[34:35]
	s_cbranch_execz .LBB119_242
.LBB119_237:                            ;   Parent Loop BB119_44 Depth=1
                                        ; =>  This Inner Loop Header: Depth=2
	v_cmp_gt_u64_e32 vcc, s[52:53], v[14:15]
	v_pk_mov_b32 v[6:7], 0, 0
	s_and_saveexec_b64 s[6:7], vcc
	s_cbranch_execz .LBB119_239
; %bb.238:                              ;   in Loop: Header=BB119_237 Depth=2
	global_load_dwordx2 v[6:7], v[12:13], off
.LBB119_239:                            ;   in Loop: Header=BB119_237 Depth=2
	s_or_b64 exec, exec, s[6:7]
	s_and_saveexec_b64 s[6:7], vcc
	s_cbranch_execz .LBB119_236
; %bb.240:                              ;   in Loop: Header=BB119_237 Depth=2
	s_waitcnt vmcnt(0)
	v_ashrrev_i32_e32 v2, 31, v7
	v_or_b32_e32 v4, 0x80000000, v2
	v_xor_b32_e32 v4, v4, v7
	v_xor_b32_e32 v2, v2, v6
	v_cmp_o_f64_e32 vcc, v[6:7], v[6:7]
	v_cndmask_b32_e32 v4, -1, v4, vcc
	v_cndmask_b32_e32 v2, -1, v2, vcc
	v_and_b32_e32 v9, s3, v4
	v_and_b32_e32 v8, s2, v2
	v_cmp_eq_u64_e32 vcc, s[82:83], v[8:9]
	s_and_b64 exec, exec, vcc
	s_cbranch_execz .LBB119_236
; %bb.241:                              ;   in Loop: Header=BB119_237 Depth=2
	v_mov_b32_e32 v4, v3
	ds_write_b128 v3, v[4:7] offset:3072
	s_branch .LBB119_236
.LBB119_242:                            ;   in Loop: Header=BB119_44 Depth=1
	s_or_b64 exec, exec, s[34:35]
	s_and_b64 s[6:7], s[26:27], exec
.LBB119_243:                            ;   in Loop: Header=BB119_44 Depth=1
	s_or_b64 exec, exec, s[0:1]
	s_mov_b64 s[36:37], -1
	s_mov_b64 s[0:1], 0
	s_mov_b64 s[34:35], 0
.LBB119_244:                            ;   in Loop: Header=BB119_44 Depth=1
	s_mov_b64 s[26:27], 0
                                        ; implicit-def: $sgpr48
	s_and_saveexec_b64 s[38:39], s[6:7]
	s_cbranch_execz .LBB119_306
; %bb.245:                              ;   in Loop: Header=BB119_44 Depth=1
	s_xor_b64 s[6:7], s[40:41], -1
	s_andn2_b64 vcc, exec, s[6:7]
	s_mov_b32 s48, 1
	s_cbranch_vccnz .LBB119_256
; %bb.246:                              ;   in Loop: Header=BB119_44 Depth=1
	s_waitcnt vmcnt(0)
	v_pk_mov_b32 v[6:7], s[18:19], s[18:19] op_sel:[0,1]
	v_cmp_gt_u64_e32 vcc, s[84:85], v[6:7]
	s_mov_b64 s[6:7], -1
                                        ; implicit-def: $sgpr48
                                        ; implicit-def: $sgpr26_sgpr27
                                        ; implicit-def: $sgpr40_sgpr41
	s_cbranch_vccnz .LBB119_252
; %bb.247:                              ;   in Loop: Header=BB119_44 Depth=1
	ds_read_b64 v[6:7], v3 offset:5120
	s_waitcnt lgkmcnt(0)
	v_cmp_ne_u64_e32 vcc, 0, v[6:7]
	s_cbranch_vccnz .LBB119_251
; %bb.248:                              ;   in Loop: Header=BB119_44 Depth=1
	s_mov_b64 s[6:7], exec
	v_readlane_b32 s26, v66, 16
	v_readlane_b32 s27, v66, 17
	s_and_b64 s[26:27], s[6:7], s[26:27]
	s_mov_b64 exec, s[26:27]
	s_cbranch_execz .LBB119_250
; %bb.249:                              ;   in Loop: Header=BB119_44 Depth=1
	v_pk_mov_b32 v[6:7], s[18:19], s[18:19] op_sel:[0,1]
	ds_write_b64 v3, v[6:7] offset:5128
.LBB119_250:                            ;   in Loop: Header=BB119_44 Depth=1
	s_or_b64 exec, exec, s[6:7]
	s_waitcnt lgkmcnt(0)
	s_barrier
.LBB119_251:                            ;   in Loop: Header=BB119_44 Depth=1
	s_lshl_b64 s[6:7], 2, s42
	s_and_b64 s[20:21], s[82:83], s[20:21]
	s_or_b64 s[26:27], s[20:21], s[6:7]
	s_or_b64 s[40:41], s[2:3], s[12:13]
	s_mov_b64 s[6:7], 0
	s_mov_b32 s48, 8
.LBB119_252:                            ;   in Loop: Header=BB119_44 Depth=1
	s_mov_b64 s[8:9], s[44:45]
	s_andn2_b64 vcc, exec, s[6:7]
	s_cbranch_vccnz .LBB119_254
; %bb.253:                              ;   in Loop: Header=BB119_44 Depth=1
	s_sub_u32 s84, s84, s18
	s_subb_u32 s85, s85, s19
	s_mov_b64 s[6:7], -1
	s_mov_b32 s48, 0
	s_mov_b64 s[26:27], s[82:83]
	s_mov_b64 s[40:41], s[2:3]
.LBB119_254:                            ;   in Loop: Header=BB119_44 Depth=1
	s_mov_b64 s[2:3], s[40:41]
	s_mov_b64 s[82:83], s[26:27]
	s_andn2_b64 vcc, exec, s[6:7]
	s_mov_b64 s[44:45], -1
	s_cbranch_vccz .LBB119_257
.LBB119_255:                            ;   in Loop: Header=BB119_44 Depth=1
                                        ; implicit-def: $sgpr6_sgpr7
                                        ; implicit-def: $sgpr26_sgpr27
                                        ; implicit-def: $sgpr20_sgpr21
	s_branch .LBB119_305
.LBB119_256:                            ;   in Loop: Header=BB119_44 Depth=1
	s_mov_b64 s[8:9], s[44:45]
	s_mov_b64 s[84:85], 1
	s_mov_b64 s[44:45], -1
	s_cbranch_execnz .LBB119_255
.LBB119_257:                            ;   in Loop: Header=BB119_44 Depth=1
	s_cmp_eq_u64 s[10:11], 1
	s_cselect_b64 s[6:7], -1, 0
	s_cmp_eq_u64 s[84:85], 1
	s_cselect_b64 s[18:19], -1, 0
	s_and_b64 s[18:19], s[6:7], s[18:19]
	s_mov_b64 s[40:41], -1
	s_and_b64 vcc, exec, s[18:19]
	s_cbranch_vccz .LBB119_272
; %bb.258:                              ;   in Loop: Header=BB119_44 Depth=1
	s_waitcnt vmcnt(0)
	ds_read_b64 v[6:7], v3 offset:5120
	s_waitcnt lgkmcnt(0)
	s_barrier
	v_readfirstlane_b32 s20, v6
	v_readfirstlane_b32 s21, v7
	s_mov_b64 s[6:7], exec
	v_readlane_b32 s26, v66, 19
	v_readlane_b32 s27, v66, 20
	s_and_b64 s[26:27], s[6:7], s[26:27]
	s_mov_b64 exec, s[26:27]
	s_cbranch_execz .LBB119_260
; %bb.259:                              ;   in Loop: Header=BB119_44 Depth=1
	v_mov_b32_e32 v2, v3
	ds_write_b64 v50, v[2:3]
.LBB119_260:                            ;   in Loop: Header=BB119_44 Depth=1
	s_or_b64 exec, exec, s[6:7]
	s_or_b64 s[82:83], s[82:83], s[12:13]
	s_or_b64 s[2:3], s[2:3], s[12:13]
	s_cmp_eq_u64 s[20:21], 0
	s_waitcnt lgkmcnt(0)
	s_barrier
	s_cbranch_scc1 .LBB119_275
; %bb.261:                              ;   in Loop: Header=BB119_44 Depth=1
	v_readlane_b32 s6, v66, 25
	s_add_u32 s40, s6, s20
	v_readlane_b32 s6, v66, 27
	s_addc_u32 s7, s6, s21
	s_mov_b32 s6, s77
	s_cmp_lg_u64 s[6:7], 0
	s_cbranch_scc0 .LBB119_311
; %bb.262:                              ;   in Loop: Header=BB119_44 Depth=1
	v_cvt_f32_u32_e32 v2, s33
	s_sub_u32 s6, 0, s33
	s_subb_u32 s26, 0, 0
	v_mac_f32_e32 v2, 0, v55
	v_rcp_f32_e32 v2, v2
	v_mul_f32_e32 v2, 0x5f7ffffc, v2
	v_mul_f32_e32 v4, 0x2f800000, v2
	v_trunc_f32_e32 v4, v4
	v_mac_f32_e32 v2, 0xcf800000, v4
	v_cvt_u32_f32_e32 v4, v4
	v_cvt_u32_f32_e32 v2, v2
	v_readfirstlane_b32 s27, v4
	v_readfirstlane_b32 s41, v2
	s_mul_i32 s42, s6, s27
	s_mul_hi_u32 s44, s6, s41
	s_mul_i32 s43, s26, s41
	s_add_i32 s42, s44, s42
	s_mul_i32 s45, s6, s41
	s_add_i32 s42, s42, s43
	s_mul_hi_u32 s44, s41, s45
	s_mul_hi_u32 s43, s41, s42
	s_mul_i32 s41, s41, s42
	s_add_u32 s41, s44, s41
	s_addc_u32 s43, 0, s43
	s_mul_hi_u32 s46, s27, s45
	s_mul_i32 s45, s27, s45
	s_add_u32 s41, s41, s45
	s_mul_hi_u32 s44, s27, s42
	s_addc_u32 s41, s43, s46
	s_addc_u32 s43, s44, 0
	s_mul_i32 s42, s27, s42
	s_add_u32 s41, s41, s42
	s_addc_u32 s42, 0, s43
	v_add_co_u32_e32 v2, vcc, s41, v2
	s_cmp_lg_u64 vcc, 0
	s_addc_u32 s27, s27, s42
	v_readfirstlane_b32 s42, v2
	s_mul_i32 s41, s6, s27
	s_mul_hi_u32 s43, s6, s42
	s_add_i32 s41, s43, s41
	s_mul_i32 s26, s26, s42
	s_add_i32 s41, s41, s26
	s_mul_i32 s6, s6, s42
	s_mul_hi_u32 s43, s27, s6
	s_mul_i32 s44, s27, s6
	s_mul_i32 s46, s42, s41
	s_mul_hi_u32 s6, s42, s6
	s_mul_hi_u32 s45, s42, s41
	s_add_u32 s6, s6, s46
	s_addc_u32 s42, 0, s45
	s_add_u32 s6, s6, s44
	s_mul_hi_u32 s26, s27, s41
	s_addc_u32 s6, s42, s43
	s_addc_u32 s26, s26, 0
	s_mul_i32 s41, s27, s41
	s_add_u32 s6, s6, s41
	s_addc_u32 s26, 0, s26
	v_add_co_u32_e32 v2, vcc, s6, v2
	s_cmp_lg_u64 vcc, 0
	s_addc_u32 s6, s27, s26
	v_readfirstlane_b32 s41, v2
	s_mul_i32 s27, s40, s6
	s_mul_hi_u32 s42, s40, s41
	s_mul_hi_u32 s26, s40, s6
	s_add_u32 s27, s42, s27
	s_addc_u32 s26, 0, s26
	s_mul_hi_u32 s43, s7, s41
	s_mul_i32 s41, s7, s41
	s_add_u32 s27, s27, s41
	s_mul_hi_u32 s42, s7, s6
	s_addc_u32 s26, s26, s43
	s_addc_u32 s27, s42, 0
	s_mul_i32 s6, s7, s6
	s_add_u32 s6, s26, s6
	s_addc_u32 s26, 0, s27
	s_mul_hi_u32 s27, s33, s6
	s_mul_i32 s6, s33, s6
	s_mul_i32 s26, s33, s26
	v_mov_b32_e32 v2, s6
	s_add_i32 s27, s27, s26
	v_sub_co_u32_e32 v2, vcc, s40, v2
	s_cmp_lg_u64 vcc, 0
	s_subb_u32 s6, s7, s27
	v_subrev_co_u32_e32 v4, vcc, s33, v2
	s_cmp_lg_u64 vcc, 0
	s_subb_u32 s26, s6, 0
	v_subrev_co_u32_e32 v6, vcc, s33, v4
	s_cmp_lg_u64 vcc, 0
	s_subb_u32 s27, s26, 0
	v_cmp_le_u32_e32 vcc, s33, v4
	s_cmp_eq_u32 s26, 0
	v_cndmask_b32_e64 v7, 0, -1, vcc
	s_cselect_b64 vcc, -1, 0
	v_cndmask_b32_e32 v7, -1, v7, vcc
	v_mov_b32_e32 v8, s26
	v_mov_b32_e32 v9, s27
	v_cmp_ne_u32_e32 vcc, 0, v7
	v_cndmask_b32_e32 v7, v8, v9, vcc
	v_cndmask_b32_e32 v4, v4, v6, vcc
	v_cmp_le_u32_e32 vcc, s33, v2
	s_cmp_eq_u32 s6, 0
	v_cndmask_b32_e64 v6, 0, -1, vcc
	s_cselect_b64 vcc, -1, 0
	v_cndmask_b32_e32 v6, -1, v6, vcc
	v_mov_b32_e32 v8, s6
	v_cmp_ne_u32_e32 vcc, 0, v6
	v_cndmask_b32_e32 v7, v8, v7, vcc
	v_cndmask_b32_e32 v6, v2, v4, vcc
	s_cbranch_execnz .LBB119_264
.LBB119_263:                            ;   in Loop: Header=BB119_44 Depth=1
	v_cvt_f32_u32_e32 v2, s33
	s_sub_i32 s6, 0, s33
	v_rcp_iflag_f32_e32 v2, v2
	v_mul_f32_e32 v2, 0x4f7ffffe, v2
	v_cvt_u32_f32_e32 v2, v2
	v_mul_lo_u32 v4, s6, v2
	v_mul_hi_u32 v4, v2, v4
	v_add_u32_e32 v2, v2, v4
	v_mul_hi_u32 v2, s40, v2
	v_mul_lo_u32 v2, v2, s33
	v_sub_u32_e32 v2, s40, v2
	v_subrev_u32_e32 v4, s33, v2
	v_cmp_le_u32_e32 vcc, s33, v2
	v_cndmask_b32_e32 v2, v2, v4, vcc
	v_subrev_u32_e32 v4, s33, v2
	v_cmp_le_u32_e32 vcc, s33, v2
	v_cndmask_b32_e32 v2, v2, v4, vcc
	v_pk_mov_b32 v[6:7], v[2:3], v[2:3] op_sel:[0,1]
.LBB119_264:                            ;   in Loop: Header=BB119_44 Depth=1
	v_mov_b32_e32 v2, s7
	v_sub_co_u32_e32 v10, vcc, s40, v6
	v_subb_co_u32_e32 v11, vcc, v2, v7, vcc
	v_cmp_gt_u64_e32 vcc, v[10:11], v[0:1]
	s_mov_b64 s[40:41], 0
                                        ; implicit-def: $vgpr8_vgpr9
	s_and_saveexec_b64 s[26:27], vcc
	s_cbranch_execz .LBB119_277
; %bb.265:                              ;   in Loop: Header=BB119_44 Depth=1
	s_mov_b64 s[42:43], 0
	v_mov_b32_e32 v2, v49
	v_pk_mov_b32 v[12:13], v[0:1], v[0:1] op_sel:[0,1]
                                        ; implicit-def: $sgpr40_sgpr41
	s_branch .LBB119_267
.LBB119_266:                            ;   in Loop: Header=BB119_267 Depth=2
	s_or_b64 exec, exec, s[6:7]
	s_waitcnt lgkmcnt(0)
	s_barrier
	ds_read_b128 v[6:9], v3 offset:3072
	v_mov_b32_e32 v4, s80
	v_add_co_u32_e64 v12, s[6:7], s33, v12
	v_addc_co_u32_e64 v13, s[6:7], v13, v4, s[6:7]
	s_waitcnt lgkmcnt(0)
	v_cmp_neq_f64_e32 vcc, 0, v[6:7]
	v_cmp_ge_u64_e64 s[6:7], v[12:13], v[10:11]
	s_or_b64 s[6:7], s[6:7], vcc
	s_and_b64 s[6:7], exec, s[6:7]
	s_or_b64 s[42:43], s[6:7], s[42:43]
	s_andn2_b64 s[6:7], s[40:41], exec
	s_and_b64 s[40:41], vcc, exec
	v_add_u32_e32 v2, s60, v2
	s_or_b64 s[40:41], s[6:7], s[40:41]
	s_barrier
	s_andn2_b64 exec, exec, s[42:43]
	s_cbranch_execz .LBB119_276
.LBB119_267:                            ;   Parent Loop BB119_44 Depth=1
                                        ; =>  This Inner Loop Header: Depth=2
	v_cmp_gt_u64_e32 vcc, s[20:21], v[12:13]
	v_pk_mov_b32 v[6:7], 0, 0
	s_and_saveexec_b64 s[6:7], vcc
	s_cbranch_execz .LBB119_269
; %bb.268:                              ;   in Loop: Header=BB119_267 Depth=2
	ds_read_b64 v[6:7], v2
.LBB119_269:                            ;   in Loop: Header=BB119_267 Depth=2
	s_or_b64 exec, exec, s[6:7]
	s_and_saveexec_b64 s[6:7], vcc
	s_cbranch_execz .LBB119_266
; %bb.270:                              ;   in Loop: Header=BB119_267 Depth=2
	s_waitcnt lgkmcnt(0)
	v_ashrrev_i32_e32 v4, 31, v7
	v_or_b32_e32 v8, 0x80000000, v4
	v_xor_b32_e32 v8, v8, v7
	v_xor_b32_e32 v4, v4, v6
	v_cmp_o_f64_e32 vcc, v[6:7], v[6:7]
	v_cndmask_b32_e32 v8, -1, v8, vcc
	v_cndmask_b32_e32 v4, -1, v4, vcc
	v_and_b32_e32 v9, s3, v8
	v_and_b32_e32 v8, s2, v4
	v_cmp_eq_u64_e32 vcc, s[82:83], v[8:9]
	s_and_b64 exec, exec, vcc
	s_cbranch_execz .LBB119_266
; %bb.271:                              ;   in Loop: Header=BB119_267 Depth=2
	v_mov_b32_e32 v4, v3
	ds_write_b128 v3, v[4:7] offset:3072
	s_branch .LBB119_266
.LBB119_272:                            ;   in Loop: Header=BB119_44 Depth=1
                                        ; implicit-def: $sgpr6_sgpr7
                                        ; implicit-def: $sgpr26_sgpr27
                                        ; implicit-def: $sgpr20_sgpr21
	s_branch .LBB119_291
.LBB119_273:                            ;   in Loop: Header=BB119_44 Depth=1
                                        ; implicit-def: $vgpr6_vgpr7
	s_branch .LBB119_216
.LBB119_274:                            ;   in Loop: Header=BB119_44 Depth=1
                                        ; implicit-def: $vgpr6_vgpr7
	s_branch .LBB119_233
.LBB119_275:                            ;   in Loop: Header=BB119_44 Depth=1
	s_mov_b64 s[6:7], -1
	s_mov_b64 s[40:41], 0
                                        ; implicit-def: $sgpr20_sgpr21
                                        ; implicit-def: $vgpr8_vgpr9
	s_mov_b64 s[26:27], s[6:7]
	s_cbranch_execnz .LBB119_278
	s_branch .LBB119_291
.LBB119_276:                            ;   in Loop: Header=BB119_44 Depth=1
	s_or_b64 exec, exec, s[42:43]
	s_and_b64 s[40:41], s[40:41], exec
.LBB119_277:                            ;   in Loop: Header=BB119_44 Depth=1
	s_or_b64 exec, exec, s[26:27]
	s_mov_b64 s[20:21], -1
	s_mov_b64 s[6:7], 0
	s_mov_b64 s[26:27], s[6:7]
	s_branch .LBB119_291
.LBB119_278:                            ;   in Loop: Header=BB119_44 Depth=1
	s_mov_b32 s48, s77
	s_cmp_lg_u64 s[48:49], 0
	s_cbranch_scc0 .LBB119_312
; %bb.279:                              ;   in Loop: Header=BB119_44 Depth=1
	v_cvt_f32_u32_e32 v2, s33
	s_sub_u32 s6, 0, s33
	s_subb_u32 s7, 0, 0
	v_mac_f32_e32 v2, 0, v55
	v_rcp_f32_e32 v2, v2
	v_mul_f32_e32 v2, 0x5f7ffffc, v2
	v_mul_f32_e32 v4, 0x2f800000, v2
	v_trunc_f32_e32 v4, v4
	v_mac_f32_e32 v2, 0xcf800000, v4
	v_cvt_u32_f32_e32 v4, v4
	v_cvt_u32_f32_e32 v2, v2
	v_readfirstlane_b32 s20, v4
	v_readfirstlane_b32 s21, v2
	s_mul_i32 s26, s6, s20
	s_mul_hi_u32 s40, s6, s21
	s_mul_i32 s27, s7, s21
	s_add_i32 s26, s40, s26
	s_mul_i32 s41, s6, s21
	s_add_i32 s26, s26, s27
	s_mul_hi_u32 s40, s21, s41
	s_mul_hi_u32 s27, s21, s26
	s_mul_i32 s21, s21, s26
	s_add_u32 s21, s40, s21
	s_addc_u32 s27, 0, s27
	s_mul_hi_u32 s42, s20, s41
	s_mul_i32 s41, s20, s41
	s_add_u32 s21, s21, s41
	s_mul_hi_u32 s40, s20, s26
	s_addc_u32 s21, s27, s42
	s_addc_u32 s27, s40, 0
	s_mul_i32 s26, s20, s26
	s_add_u32 s21, s21, s26
	s_addc_u32 s26, 0, s27
	v_add_co_u32_e32 v2, vcc, s21, v2
	s_cmp_lg_u64 vcc, 0
	s_addc_u32 s20, s20, s26
	v_readfirstlane_b32 s26, v2
	s_mul_i32 s21, s6, s20
	s_mul_hi_u32 s27, s6, s26
	s_add_i32 s21, s27, s21
	s_mul_i32 s7, s7, s26
	s_add_i32 s21, s21, s7
	s_mul_i32 s6, s6, s26
	s_mul_hi_u32 s27, s20, s6
	s_mul_i32 s40, s20, s6
	s_mul_i32 s42, s26, s21
	s_mul_hi_u32 s6, s26, s6
	s_mul_hi_u32 s41, s26, s21
	s_add_u32 s6, s6, s42
	s_addc_u32 s26, 0, s41
	s_add_u32 s6, s6, s40
	s_mul_hi_u32 s7, s20, s21
	s_addc_u32 s6, s26, s27
	s_addc_u32 s7, s7, 0
	s_mul_i32 s21, s20, s21
	s_add_u32 s6, s6, s21
	s_addc_u32 s7, 0, s7
	v_add_co_u32_e32 v2, vcc, s6, v2
	s_cmp_lg_u64 vcc, 0
	s_addc_u32 s6, s20, s7
	v_readlane_b32 s40, v66, 26
	v_readfirstlane_b32 s21, v2
	s_mul_i32 s20, s40, s6
	s_mul_hi_u32 s26, s40, s21
	s_mul_hi_u32 s7, s40, s6
	s_add_u32 s20, s26, s20
	s_addc_u32 s7, 0, s7
	s_mul_hi_u32 s27, s49, s21
	s_mul_i32 s21, s49, s21
	s_add_u32 s20, s20, s21
	s_mul_hi_u32 s26, s49, s6
	s_addc_u32 s7, s7, s27
	s_addc_u32 s20, s26, 0
	s_mul_i32 s6, s49, s6
	s_add_u32 s6, s7, s6
	s_addc_u32 s7, 0, s20
	s_mul_hi_u32 s20, s33, s6
	s_mul_i32 s6, s33, s6
	s_mul_i32 s7, s33, s7
	v_mov_b32_e32 v2, s6
	s_add_i32 s20, s20, s7
	v_sub_co_u32_e32 v2, vcc, s40, v2
	s_cmp_lg_u64 vcc, 0
	s_subb_u32 s6, s49, s20
	v_subrev_co_u32_e32 v4, vcc, s33, v2
	s_cmp_lg_u64 vcc, 0
	s_subb_u32 s7, s6, 0
	v_subrev_co_u32_e32 v6, vcc, s33, v4
	s_cmp_lg_u64 vcc, 0
	s_subb_u32 s20, s7, 0
	v_cmp_le_u32_e32 vcc, s33, v4
	s_cmp_eq_u32 s7, 0
	v_cndmask_b32_e64 v7, 0, -1, vcc
	s_cselect_b64 vcc, -1, 0
	v_cndmask_b32_e32 v7, -1, v7, vcc
	v_mov_b32_e32 v8, s7
	v_mov_b32_e32 v9, s20
	v_cmp_ne_u32_e32 vcc, 0, v7
	v_cndmask_b32_e32 v7, v8, v9, vcc
	v_cndmask_b32_e32 v4, v4, v6, vcc
	v_cmp_le_u32_e32 vcc, s33, v2
	s_cmp_eq_u32 s6, 0
	v_cndmask_b32_e64 v6, 0, -1, vcc
	s_cselect_b64 vcc, -1, 0
	v_cndmask_b32_e32 v6, -1, v6, vcc
	v_mov_b32_e32 v8, s6
	v_cmp_ne_u32_e32 vcc, 0, v6
	v_cndmask_b32_e32 v7, v8, v7, vcc
	v_cndmask_b32_e32 v6, v2, v4, vcc
	s_cbranch_execnz .LBB119_281
.LBB119_280:                            ;   in Loop: Header=BB119_44 Depth=1
	v_cvt_f32_u32_e32 v2, s33
	s_sub_i32 s6, 0, s33
	v_rcp_iflag_f32_e32 v2, v2
	v_mul_f32_e32 v2, 0x4f7ffffe, v2
	v_cvt_u32_f32_e32 v2, v2
	v_mul_lo_u32 v4, s6, v2
	v_mul_hi_u32 v4, v2, v4
	v_add_u32_e32 v2, v2, v4
	v_readlane_b32 s6, v66, 26
	v_mul_hi_u32 v2, s6, v2
	v_mul_lo_u32 v2, v2, s33
	v_sub_u32_e32 v2, s6, v2
	v_subrev_u32_e32 v4, s33, v2
	v_cmp_le_u32_e32 vcc, s33, v2
	v_cndmask_b32_e32 v2, v2, v4, vcc
	v_subrev_u32_e32 v4, s33, v2
	v_cmp_le_u32_e32 vcc, s33, v2
	v_cndmask_b32_e32 v2, v2, v4, vcc
	v_pk_mov_b32 v[6:7], v[2:3], v[2:3] op_sel:[0,1]
.LBB119_281:                            ;   in Loop: Header=BB119_44 Depth=1
	v_readlane_b32 s6, v66, 26
	v_mov_b32_e32 v2, s49
	v_sub_co_u32_e32 v10, vcc, s6, v6
	v_subb_co_u32_e32 v11, vcc, v2, v7, vcc
	v_cmp_gt_u64_e32 vcc, v[10:11], v[0:1]
	s_mov_b64 s[40:41], 0
                                        ; implicit-def: $vgpr8_vgpr9
	s_and_saveexec_b64 s[20:21], vcc
	s_cbranch_execz .LBB119_290
; %bb.282:                              ;   in Loop: Header=BB119_44 Depth=1
	v_pk_mov_b32 v[12:13], v[18:19], v[18:19] op_sel:[0,1]
	v_pk_mov_b32 v[14:15], v[0:1], v[0:1] op_sel:[0,1]
                                        ; implicit-def: $sgpr26_sgpr27
	s_branch .LBB119_284
.LBB119_283:                            ;   in Loop: Header=BB119_284 Depth=2
	s_or_b64 exec, exec, s[6:7]
	s_waitcnt lgkmcnt(0)
	s_barrier
	s_waitcnt vmcnt(0)
	ds_read_b128 v[6:9], v3 offset:3072
	v_mov_b32_e32 v2, s80
	v_add_co_u32_e64 v14, s[6:7], s33, v14
	v_addc_co_u32_e64 v15, s[6:7], v15, v2, s[6:7]
	s_waitcnt lgkmcnt(0)
	v_cmp_neq_f64_e32 vcc, 0, v[6:7]
	v_cmp_ge_u64_e64 s[6:7], v[14:15], v[10:11]
	s_or_b64 s[42:43], s[6:7], vcc
	v_mov_b32_e32 v2, s73
	v_add_co_u32_e64 v12, s[6:7], s72, v12
	v_addc_co_u32_e64 v13, s[6:7], v13, v2, s[6:7]
	s_and_b64 s[6:7], exec, s[42:43]
	s_or_b64 s[40:41], s[6:7], s[40:41]
	s_andn2_b64 s[6:7], s[26:27], exec
	s_and_b64 s[26:27], vcc, exec
	s_or_b64 s[26:27], s[6:7], s[26:27]
	s_barrier
	s_andn2_b64 exec, exec, s[40:41]
	s_cbranch_execz .LBB119_289
.LBB119_284:                            ;   Parent Loop BB119_44 Depth=1
                                        ; =>  This Inner Loop Header: Depth=2
	v_cmp_gt_u64_e32 vcc, s[52:53], v[14:15]
	v_pk_mov_b32 v[6:7], 0, 0
	s_and_saveexec_b64 s[6:7], vcc
	s_cbranch_execz .LBB119_286
; %bb.285:                              ;   in Loop: Header=BB119_284 Depth=2
	global_load_dwordx2 v[6:7], v[12:13], off
.LBB119_286:                            ;   in Loop: Header=BB119_284 Depth=2
	s_or_b64 exec, exec, s[6:7]
	s_and_saveexec_b64 s[6:7], vcc
	s_cbranch_execz .LBB119_283
; %bb.287:                              ;   in Loop: Header=BB119_284 Depth=2
	s_waitcnt vmcnt(0)
	v_ashrrev_i32_e32 v2, 31, v7
	v_or_b32_e32 v4, 0x80000000, v2
	v_xor_b32_e32 v4, v4, v7
	v_xor_b32_e32 v2, v2, v6
	v_cmp_o_f64_e32 vcc, v[6:7], v[6:7]
	v_cndmask_b32_e32 v4, -1, v4, vcc
	v_cndmask_b32_e32 v2, -1, v2, vcc
	v_and_b32_e32 v9, s3, v4
	v_and_b32_e32 v8, s2, v2
	v_cmp_eq_u64_e32 vcc, s[82:83], v[8:9]
	s_and_b64 exec, exec, vcc
	s_cbranch_execz .LBB119_283
; %bb.288:                              ;   in Loop: Header=BB119_284 Depth=2
	v_mov_b32_e32 v4, v3
	ds_write_b128 v3, v[4:7] offset:3072
	s_branch .LBB119_283
.LBB119_289:                            ;   in Loop: Header=BB119_44 Depth=1
	s_or_b64 exec, exec, s[40:41]
	s_and_b64 s[40:41], s[26:27], exec
.LBB119_290:                            ;   in Loop: Header=BB119_44 Depth=1
	s_or_b64 exec, exec, s[20:21]
	s_mov_b64 s[26:27], -1
	s_mov_b64 s[6:7], 0
	s_mov_b64 s[20:21], 0
.LBB119_291:                            ;   in Loop: Header=BB119_44 Depth=1
	s_mov_b64 s[44:45], 0
                                        ; implicit-def: $sgpr48
                                        ; implicit-def: $sgpr46_sgpr47
	s_and_saveexec_b64 s[42:43], s[40:41]
	s_cbranch_execz .LBB119_304
; %bb.292:                              ;   in Loop: Header=BB119_44 Depth=1
	s_xor_b64 s[18:19], s[18:19], -1
	s_mov_b64 s[46:47], 1
	s_andn2_b64 vcc, exec, s[18:19]
	s_mov_b32 s48, 1
	s_cbranch_vccnz .LBB119_303
; %bb.293:                              ;   in Loop: Header=BB119_44 Depth=1
	s_waitcnt vmcnt(0)
	v_pk_mov_b32 v[6:7], s[10:11], s[10:11] op_sel:[0,1]
	v_cmp_gt_u64_e32 vcc, s[84:85], v[6:7]
	s_cbranch_vccnz .LBB119_299
; %bb.294:                              ;   in Loop: Header=BB119_44 Depth=1
	ds_read_b64 v[6:7], v3 offset:5120
	s_waitcnt lgkmcnt(0)
	v_cmp_ne_u64_e32 vcc, 0, v[6:7]
	s_cbranch_vccnz .LBB119_298
; %bb.295:                              ;   in Loop: Header=BB119_44 Depth=1
	s_mov_b64 s[18:19], exec
	v_readlane_b32 s40, v66, 16
	v_readlane_b32 s41, v66, 17
	s_and_b64 s[40:41], s[18:19], s[40:41]
	s_mov_b64 exec, s[40:41]
	s_cbranch_execz .LBB119_297
; %bb.296:                              ;   in Loop: Header=BB119_44 Depth=1
	v_pk_mov_b32 v[6:7], s[10:11], s[10:11] op_sel:[0,1]
	ds_write_b64 v3, v[6:7] offset:5128
.LBB119_297:                            ;   in Loop: Header=BB119_44 Depth=1
	s_or_b64 exec, exec, s[18:19]
	s_waitcnt lgkmcnt(0)
	s_barrier
.LBB119_298:                            ;   in Loop: Header=BB119_44 Depth=1
	s_or_b64 s[18:19], s[82:83], s[12:13]
	s_or_b64 s[12:13], s[2:3], s[12:13]
	s_mov_b64 s[40:41], 0
	s_mov_b32 s48, 8
	s_branch .LBB119_300
.LBB119_299:                            ;   in Loop: Header=BB119_44 Depth=1
	s_mov_b64 s[40:41], -1
                                        ; implicit-def: $sgpr48
                                        ; implicit-def: $sgpr18_sgpr19
                                        ; implicit-def: $sgpr12_sgpr13
.LBB119_300:                            ;   in Loop: Header=BB119_44 Depth=1
	s_andn2_b64 vcc, exec, s[40:41]
	s_cbranch_vccnz .LBB119_302
; %bb.301:                              ;   in Loop: Header=BB119_44 Depth=1
	s_sub_u32 s84, s84, s10
	s_subb_u32 s85, s85, s11
	s_mov_b32 s48, 8
	s_mov_b64 s[18:19], s[82:83]
	s_mov_b64 s[12:13], s[2:3]
.LBB119_302:                            ;   in Loop: Header=BB119_44 Depth=1
	s_mov_b64 s[46:47], s[84:85]
	s_mov_b64 s[82:83], s[18:19]
	;; [unrolled: 1-line block ×3, first 2 shown]
.LBB119_303:                            ;   in Loop: Header=BB119_44 Depth=1
	s_mov_b64 s[44:45], exec
.LBB119_304:                            ;   in Loop: Header=BB119_44 Depth=1
	s_or_b64 exec, exec, s[42:43]
	s_mov_b64 s[84:85], s[46:47]
.LBB119_305:                            ;   in Loop: Header=BB119_44 Depth=1
	s_andn2_b64 s[0:1], s[0:1], exec
	s_and_b64 s[6:7], s[6:7], exec
	s_or_b64 s[0:1], s[0:1], s[6:7]
	s_andn2_b64 s[6:7], s[36:37], exec
	s_and_b64 s[10:11], s[26:27], exec
	s_or_b64 s[36:37], s[6:7], s[10:11]
	;; [unrolled: 3-line block ×3, first 2 shown]
	s_and_b64 s[26:27], s[44:45], exec
	s_mov_b64 s[44:45], s[8:9]
.LBB119_306:                            ;   in Loop: Header=BB119_44 Depth=1
	s_or_b64 exec, exec, s[38:39]
	s_mov_b64 s[38:39], s[62:63]
.LBB119_307:                            ;   in Loop: Header=BB119_44 Depth=1
	s_andn2_b64 s[6:7], s[24:25], exec
	s_and_b64 s[0:1], s[0:1], exec
	s_or_b64 s[24:25], s[6:7], s[0:1]
	s_andn2_b64 s[0:1], s[28:29], exec
	s_and_b64 s[6:7], s[36:37], exec
	s_or_b64 s[28:29], s[0:1], s[6:7]
	;; [unrolled: 3-line block ×3, first 2 shown]
	s_and_b64 s[26:27], s[26:27], exec
	v_readlane_b32 s4, v66, 45
	v_readlane_b32 s5, v66, 46
.LBB119_308:                            ;   in Loop: Header=BB119_44 Depth=1
	s_or_b64 exec, exec, s[30:31]
	s_and_saveexec_b64 s[0:1], s[26:27]
	s_xor_b64 s[0:1], exec, s[0:1]
	s_cbranch_execz .LBB119_42
.LBB119_309:                            ;   in Loop: Header=BB119_44 Depth=1
	s_and_b32 s6, s48, -9
	s_cmp_eq_u32 s6, 0
	s_cbranch_scc1 .LBB119_40
; %bb.310:                              ;   in Loop: Header=BB119_44 Depth=1
	s_mov_b64 s[6:7], -1
                                        ; implicit-def: $sgpr2_sgpr3
                                        ; implicit-def: $sgpr84_sgpr85
                                        ; implicit-def: $sgpr61
                                        ; implicit-def: $sgpr81
	s_mov_b64 s[10:11], -1
	s_branch .LBB119_41
.LBB119_311:                            ;   in Loop: Header=BB119_44 Depth=1
                                        ; implicit-def: $vgpr6_vgpr7
	s_branch .LBB119_263
.LBB119_312:                            ;   in Loop: Header=BB119_44 Depth=1
                                        ; implicit-def: $vgpr6_vgpr7
	s_branch .LBB119_280
.LBB119_313:
	s_or_b64 exec, exec, s[66:67]
	s_xor_b64 s[4:5], s[70:71], -1
	s_xor_b64 s[2:3], s[38:39], -1
	;; [unrolled: 1-line block ×3, first 2 shown]
	s_mov_b64 s[0:1], 0
	s_and_saveexec_b64 s[8:9], s[2:3]
	s_xor_b64 s[2:3], exec, s[8:9]
	s_cbranch_execnz .LBB119_318
; %bb.314:
	s_andn2_saveexec_b64 s[2:3], s[2:3]
	s_cbranch_execnz .LBB119_331
.LBB119_315:
	s_or_b64 exec, exec, s[2:3]
	s_and_saveexec_b64 s[2:3], s[0:1]
.LBB119_316:
	; divergent unreachable
.LBB119_317:
	s_endpgm
.LBB119_318:
	s_and_saveexec_b64 s[0:1], s[4:5]
	s_xor_b64 s[4:5], exec, s[0:1]
	s_cbranch_execz .LBB119_329
; %bb.319:
	s_and_saveexec_b64 s[0:1], s[6:7]
	s_xor_b64 s[0:1], exec, s[0:1]
; %bb.320:
	v_lshrrev_b32_e32 v2, 31, v7
	v_add_co_u32_e32 v2, vcc, -1, v2
	v_addc_co_u32_e64 v3, s[6:7], 0, -1, vcc
	v_or_b32_e32 v3, 0x80000000, v3
	v_xor_b32_e32 v9, v3, v7
	v_xor_b32_e32 v8, v2, v6
; %bb.321:
	s_or_b64 exec, exec, s[0:1]
	v_readlane_b32 s6, v66, 2
	v_readlane_b32 s7, v66, 3
	;; [unrolled: 1-line block ×4, first 2 shown]
	s_mul_i32 s0, s8, s7
	s_mul_hi_u32 s1, s8, s6
	s_add_i32 s0, s1, s0
	s_mul_i32 s1, s9, s6
	s_add_i32 s1, s0, s1
	s_mul_i32 s0, s8, s6
	s_lshl_b64 s[0:1], s[0:1], 3
	v_readlane_b32 s6, v66, 10
	v_readlane_b32 s7, v66, 11
	s_add_u32 s6, s6, s0
	s_addc_u32 s7, s7, s1
	v_readlane_b32 s0, v66, 0
	v_readlane_b32 s1, v66, 1
	s_lshl_b64 s[0:1], s[0:1], 3
	s_add_u32 s0, s6, s0
	s_addc_u32 s1, s7, s1
	v_mov_b32_e32 v2, 0
	s_nop 0
	global_store_dwordx2 v2, v[8:9], s[0:1]
	s_mov_b64 s[6:7], exec
	v_readlane_b32 s0, v66, 14
	v_readlane_b32 s1, v66, 15
	s_and_b64 s[0:1], s[6:7], s[0:1]
	s_mov_b64 exec, s[0:1]
	s_cbranch_execz .LBB119_328
; %bb.322:
	v_cmp_u_f64_e32 vcc, v[8:9], v[8:9]
	s_mov_b64 s[8:9], 0
	s_xor_b64 s[12:13], vcc, -1
                                        ; implicit-def: $sgpr10_sgpr11
                                        ; implicit-def: $sgpr16_sgpr17
                                        ; implicit-def: $sgpr14_sgpr15
	s_branch .LBB119_324
.LBB119_323:                            ;   in Loop: Header=BB119_324 Depth=1
	s_or_b64 exec, exec, s[0:1]
	s_and_b64 s[0:1], exec, s[16:17]
	s_or_b64 s[8:9], s[0:1], s[8:9]
	s_andn2_b64 s[0:1], s[10:11], exec
	s_and_b64 s[10:11], s[14:15], exec
	s_or_b64 s[10:11], s[0:1], s[10:11]
	s_andn2_b64 exec, exec, s[8:9]
	s_cbranch_execz .LBB119_326
.LBB119_324:                            ; =>This Inner Loop Header: Depth=1
	global_load_dwordx2 v[4:5], v[18:19], off
	v_pk_mov_b32 v[2:3], v[0:1], v[0:1] op_sel:[0,1]
	s_or_b64 s[14:15], s[14:15], exec
	s_or_b64 s[16:17], s[16:17], exec
                                        ; implicit-def: $vgpr0_vgpr1
	s_waitcnt vmcnt(0)
	v_cmp_o_f64_e64 s[0:1], v[4:5], v[4:5]
	v_cmp_neq_f64_e32 vcc, v[4:5], v[8:9]
	s_or_b64 s[0:1], s[0:1], s[12:13]
	s_and_b64 s[18:19], vcc, s[0:1]
	s_and_saveexec_b64 s[0:1], s[18:19]
	s_cbranch_execz .LBB119_323
; %bb.325:                              ;   in Loop: Header=BB119_324 Depth=1
	v_mov_b32_e32 v1, s80
	v_add_co_u32_e32 v0, vcc, s33, v2
	v_addc_co_u32_e32 v1, vcc, v3, v1, vcc
	v_mov_b32_e32 v4, s73
	v_add_co_u32_e32 v18, vcc, s72, v18
	v_addc_co_u32_e32 v19, vcc, v19, v4, vcc
	v_cmp_le_u64_e32 vcc, s[52:53], v[0:1]
	s_andn2_b64 s[16:17], s[16:17], exec
	s_and_b64 s[18:19], vcc, exec
	s_andn2_b64 s[14:15], s[14:15], exec
	s_or_b64 s[16:17], s[16:17], s[18:19]
	s_branch .LBB119_323
.LBB119_326:
	s_or_b64 exec, exec, s[8:9]
	s_and_saveexec_b64 s[0:1], s[10:11]
	s_xor_b64 s[0:1], exec, s[0:1]
	s_cbranch_execz .LBB119_328
; %bb.327:
	v_readlane_b32 s8, v66, 8
	v_readlane_b32 s9, v66, 9
	s_mul_i32 s0, s8, s65
	s_mul_hi_u32 s1, s8, s64
	s_add_i32 s0, s1, s0
	s_mul_i32 s1, s9, s64
	s_add_i32 s1, s0, s1
	s_mul_i32 s0, s8, s64
	s_lshl_b64 s[0:1], s[0:1], 3
	v_readlane_b32 s8, v66, 12
	v_readlane_b32 s9, v66, 13
	s_add_u32 s8, s8, s0
	s_addc_u32 s9, s9, s1
	v_readlane_b32 s0, v66, 6
	v_readlane_b32 s1, v66, 7
	s_lshl_b64 s[0:1], s[0:1], 3
	s_add_u32 s0, s8, s0
	s_addc_u32 s1, s9, s1
	v_mov_b32_e32 v0, 0
	s_nop 0
	global_store_dwordx2 v0, v[2:3], s[0:1]
.LBB119_328:
	s_or_b64 exec, exec, s[6:7]
.LBB119_329:
	s_or_saveexec_b64 s[0:1], s[4:5]
	s_mov_b64 s[4:5], 0
	s_xor_b64 exec, exec, s[0:1]
	s_cbranch_execnz .LBB119_332
.LBB119_330:
	s_or_b64 exec, exec, s[0:1]
	s_and_b64 s[0:1], s[4:5], exec
	s_andn2_saveexec_b64 s[2:3], s[2:3]
	s_cbranch_execz .LBB119_315
.LBB119_331:
	s_or_b64 s[0:1], s[0:1], exec
	s_trap 2
	s_or_b64 exec, exec, s[2:3]
	s_and_saveexec_b64 s[2:3], s[0:1]
	s_cbranch_execnz .LBB119_316
	s_branch .LBB119_317
.LBB119_332:
	s_mov_b64 s[4:5], exec
	s_trap 2
	s_branch .LBB119_330
	.section	.rodata,"a",@progbits
	.p2align	6, 0x0
	.amdhsa_kernel _ZN2at6native12_GLOBAL__N_112gatherMedianIdmLin1EEEvNS_4cuda6detail10TensorInfoIT_T0_EENS5_IlS7_EENS5_IKS6_S7_EES7_S7_S7_b
		.amdhsa_group_segment_fixed_size 5152
		.amdhsa_private_segment_fixed_size 0
		.amdhsa_kernarg_size 1536
		.amdhsa_user_sgpr_count 6
		.amdhsa_user_sgpr_private_segment_buffer 1
		.amdhsa_user_sgpr_dispatch_ptr 0
		.amdhsa_user_sgpr_queue_ptr 0
		.amdhsa_user_sgpr_kernarg_segment_ptr 1
		.amdhsa_user_sgpr_dispatch_id 0
		.amdhsa_user_sgpr_flat_scratch_init 0
		.amdhsa_user_sgpr_kernarg_preload_length 0
		.amdhsa_user_sgpr_kernarg_preload_offset 0
		.amdhsa_user_sgpr_private_segment_size 0
		.amdhsa_uses_dynamic_stack 0
		.amdhsa_system_sgpr_private_segment_wavefront_offset 0
		.amdhsa_system_sgpr_workgroup_id_x 1
		.amdhsa_system_sgpr_workgroup_id_y 1
		.amdhsa_system_sgpr_workgroup_id_z 1
		.amdhsa_system_sgpr_workgroup_info 0
		.amdhsa_system_vgpr_workitem_id 0
		.amdhsa_next_free_vgpr 67
		.amdhsa_next_free_sgpr 96
		.amdhsa_accum_offset 68
		.amdhsa_reserve_vcc 1
		.amdhsa_reserve_flat_scratch 0
		.amdhsa_float_round_mode_32 0
		.amdhsa_float_round_mode_16_64 0
		.amdhsa_float_denorm_mode_32 3
		.amdhsa_float_denorm_mode_16_64 3
		.amdhsa_dx10_clamp 1
		.amdhsa_ieee_mode 1
		.amdhsa_fp16_overflow 0
		.amdhsa_tg_split 0
		.amdhsa_exception_fp_ieee_invalid_op 0
		.amdhsa_exception_fp_denorm_src 0
		.amdhsa_exception_fp_ieee_div_zero 0
		.amdhsa_exception_fp_ieee_overflow 0
		.amdhsa_exception_fp_ieee_underflow 0
		.amdhsa_exception_fp_ieee_inexact 0
		.amdhsa_exception_int_div_zero 0
	.end_amdhsa_kernel
	.section	.text._ZN2at6native12_GLOBAL__N_112gatherMedianIdmLin1EEEvNS_4cuda6detail10TensorInfoIT_T0_EENS5_IlS7_EENS5_IKS6_S7_EES7_S7_S7_b,"axG",@progbits,_ZN2at6native12_GLOBAL__N_112gatherMedianIdmLin1EEEvNS_4cuda6detail10TensorInfoIT_T0_EENS5_IlS7_EENS5_IKS6_S7_EES7_S7_S7_b,comdat
.Lfunc_end119:
	.size	_ZN2at6native12_GLOBAL__N_112gatherMedianIdmLin1EEEvNS_4cuda6detail10TensorInfoIT_T0_EENS5_IlS7_EENS5_IKS6_S7_EES7_S7_S7_b, .Lfunc_end119-_ZN2at6native12_GLOBAL__N_112gatherMedianIdmLin1EEEvNS_4cuda6detail10TensorInfoIT_T0_EENS5_IlS7_EENS5_IKS6_S7_EES7_S7_S7_b
                                        ; -- End function
	.section	.AMDGPU.csdata,"",@progbits
; Kernel info:
; codeLenInByte = 19640
; NumSgprs: 100
; NumVgprs: 67
; NumAgprs: 0
; TotalNumVgprs: 67
; ScratchSize: 0
; MemoryBound: 0
; FloatMode: 240
; IeeeMode: 1
; LDSByteSize: 5152 bytes/workgroup (compile time only)
; SGPRBlocks: 12
; VGPRBlocks: 8
; NumSGPRsForWavesPerEU: 100
; NumVGPRsForWavesPerEU: 67
; AccumOffset: 68
; Occupancy: 7
; WaveLimiterHint : 1
; COMPUTE_PGM_RSRC2:SCRATCH_EN: 0
; COMPUTE_PGM_RSRC2:USER_SGPR: 6
; COMPUTE_PGM_RSRC2:TRAP_HANDLER: 0
; COMPUTE_PGM_RSRC2:TGID_X_EN: 1
; COMPUTE_PGM_RSRC2:TGID_Y_EN: 1
; COMPUTE_PGM_RSRC2:TGID_Z_EN: 1
; COMPUTE_PGM_RSRC2:TIDIG_COMP_CNT: 0
; COMPUTE_PGM_RSRC3_GFX90A:ACCUM_OFFSET: 16
; COMPUTE_PGM_RSRC3_GFX90A:TG_SPLIT: 0
	.section	.text._ZN2at6native12_GLOBAL__N_112gatherMedianIfjLi1EEEvNS_4cuda6detail10TensorInfoIT_T0_EENS5_IlS7_EENS5_IKS6_S7_EES7_S7_S7_b,"axG",@progbits,_ZN2at6native12_GLOBAL__N_112gatherMedianIfjLi1EEEvNS_4cuda6detail10TensorInfoIT_T0_EENS5_IlS7_EENS5_IKS6_S7_EES7_S7_S7_b,comdat
	.globl	_ZN2at6native12_GLOBAL__N_112gatherMedianIfjLi1EEEvNS_4cuda6detail10TensorInfoIT_T0_EENS5_IlS7_EENS5_IKS6_S7_EES7_S7_S7_b ; -- Begin function _ZN2at6native12_GLOBAL__N_112gatherMedianIfjLi1EEEvNS_4cuda6detail10TensorInfoIT_T0_EENS5_IlS7_EENS5_IKS6_S7_EES7_S7_S7_b
	.p2align	8
	.type	_ZN2at6native12_GLOBAL__N_112gatherMedianIfjLi1EEEvNS_4cuda6detail10TensorInfoIT_T0_EENS5_IlS7_EENS5_IKS6_S7_EES7_S7_S7_b,@function
_ZN2at6native12_GLOBAL__N_112gatherMedianIfjLi1EEEvNS_4cuda6detail10TensorInfoIT_T0_EENS5_IlS7_EENS5_IKS6_S7_EES7_S7_S7_b: ; @_ZN2at6native12_GLOBAL__N_112gatherMedianIfjLi1EEEvNS_4cuda6detail10TensorInfoIT_T0_EENS5_IlS7_EENS5_IKS6_S7_EES7_S7_S7_b
; %bb.0:
	s_load_dwordx2 s[12:13], s[4:5], 0x298
	s_load_dwordx4 s[56:59], s[4:5], 0x288
	s_add_u32 s10, s4, 0x298
	s_addc_u32 s11, s5, 0
	s_waitcnt lgkmcnt(0)
	s_mul_i32 s0, s13, s8
	s_add_i32 s0, s0, s7
	s_mul_i32 s0, s0, s12
	s_add_i32 s7, s0, s6
	s_cmp_ge_u32 s7, s57
	s_cbranch_scc1 .LBB120_262
; %bb.1:
	s_load_dword s2, s[4:5], 0x21c
	s_load_dwordx2 s[0:1], s[4:5], 0x1b0
	s_load_dwordx2 s[8:9], s[4:5], 0xd8
                                        ; implicit-def: $vgpr50 : SGPR spill to VGPR lane
	s_mov_b32 s3, 0
	v_mov_b32_e32 v2, 0
	s_waitcnt lgkmcnt(0)
	s_mul_i32 s2, s2, s7
	s_lshl_b64 s[2:3], s[2:3], 2
	v_writelane_b32 v50, s8, 0
	v_writelane_b32 v50, s9, 1
	s_load_dwordx2 s[8:9], s[4:5], 0x0
	s_add_u32 s57, s0, s2
	s_addc_u32 s33, s1, s3
	v_cmp_gt_u32_e64 s[0:1], s56, v0
	v_mul_lo_u32 v6, v0, s58
	s_waitcnt lgkmcnt(0)
	v_writelane_b32 v50, s8, 2
	v_writelane_b32 v50, s9, 3
	;; [unrolled: 1-line block ×3, first 2 shown]
	s_and_saveexec_b64 s[2:3], s[0:1]
	s_cbranch_execz .LBB120_5
; %bb.2:
	s_load_dword s7, s[10:11], 0xc
	v_mov_b32_e32 v5, 0
	v_mul_lo_u32 v4, v0, s58
	s_mov_b64 s[8:9], 0
	v_mov_b32_e32 v1, s33
	s_waitcnt lgkmcnt(0)
	s_and_b32 s7, s7, 0xffff
	s_mul_i32 s13, s58, s7
	v_mov_b32_e32 v2, v5
	v_mov_b32_e32 v3, v0
.LBB120_3:                              ; =>This Inner Loop Header: Depth=1
	v_lshlrev_b64 v[8:9], 2, v[4:5]
	v_add_co_u32_e32 v8, vcc, s57, v8
	v_addc_co_u32_e32 v9, vcc, v1, v9, vcc
	global_load_dword v7, v[8:9], off
	v_add_u32_e32 v3, s7, v3
	v_cmp_le_u32_e32 vcc, s56, v3
	s_or_b64 s[8:9], vcc, s[8:9]
	v_add_u32_e32 v4, s13, v4
	s_waitcnt vmcnt(0)
	v_cmp_u_f32_e32 vcc, v7, v7
	v_addc_co_u32_e32 v2, vcc, 0, v2, vcc
	s_andn2_b64 exec, exec, s[8:9]
	s_cbranch_execnz .LBB120_3
; %bb.4:
	s_or_b64 exec, exec, s[8:9]
.LBB120_5:
	s_or_b64 exec, exec, s[2:3]
	s_load_dword s2, s[4:5], 0x144
                                        ; kill: killed $sgpr4 killed $sgpr5
	s_waitcnt lgkmcnt(0)
	v_writelane_b32 v50, s2, 7
	s_load_dword s2, s[4:5], 0x6c
	s_waitcnt lgkmcnt(0)
	v_writelane_b32 v50, s2, 8
	v_cmp_eq_u32_e64 s[2:3], 0, v0
	s_mov_b64 s[4:5], exec
	v_writelane_b32 v50, s2, 5
	v_writelane_b32 v50, s3, 6
	s_and_b64 s[2:3], s[4:5], s[2:3]
	s_mov_b64 exec, s[2:3]
	s_cbranch_execz .LBB120_7
; %bb.6:
	v_mov_b32_e32 v4, 0
	v_mov_b32_e32 v5, v4
	ds_write_b64 v4, v[4:5] offset:4096
.LBB120_7:
	s_or_b64 exec, exec, s[4:5]
	v_cmp_ne_u32_e32 vcc, 0, v2
	s_waitcnt lgkmcnt(0)
	s_barrier
	s_and_saveexec_b64 s[4:5], vcc
	s_cbranch_execz .LBB120_12
; %bb.8:
	s_mov_b64 s[14:15], exec
	v_mov_b32_e32 v1, 0
	s_mov_b64 s[8:9], 0
.LBB120_9:                              ; =>This Inner Loop Header: Depth=1
	s_ff1_i32_b64 s2, s[14:15]
	v_readlane_b32 s7, v2, s2
	v_readlane_b32 s3, v1, s2
	s_add_u32 s8, s8, s7
	s_addc_u32 s9, s9, s3
	s_lshl_b64 s[2:3], 1, s2
	s_andn2_b64 s[14:15], s[14:15], s[2:3]
	s_cmp_lg_u64 s[14:15], 0
	s_cbranch_scc1 .LBB120_9
; %bb.10:
	v_mbcnt_lo_u32_b32 v1, exec_lo, 0
	v_mbcnt_hi_u32_b32 v1, exec_hi, v1
	v_cmp_eq_u32_e32 vcc, 0, v1
	s_and_saveexec_b64 s[2:3], vcc
	s_xor_b64 s[2:3], exec, s[2:3]
	s_cbranch_execz .LBB120_12
; %bb.11:
	v_mov_b32_e32 v1, 0
	v_pk_mov_b32 v[2:3], s[8:9], s[8:9] op_sel:[0,1]
	ds_add_u64 v1, v[2:3] offset:4096
.LBB120_12:
	s_or_b64 exec, exec, s[4:5]
	v_mov_b32_e32 v1, 0
	s_waitcnt lgkmcnt(0)
	s_barrier
	ds_read_b64 v[2:3], v1 offset:4096
	s_bitcmp1_b32 s59, 0
	s_cselect_b64 s[2:3], -1, 0
	s_waitcnt lgkmcnt(0)
	v_cmp_gt_i64_e32 vcc, 1, v[2:3]
	s_or_b64 s[2:3], s[2:3], vcc
	s_andn2_b64 vcc, exec, s[2:3]
	s_mov_b32 s3, s56
	s_cbranch_vccnz .LBB120_14
; %bb.13:
	v_not_b32_e32 v1, v2
	v_not_b32_e32 v2, v3
	v_add_co_u32_e32 v1, vcc, s56, v1
	v_addc_co_u32_e32 v2, vcc, 0, v2, vcc
	v_lshrrev_b32_e32 v3, 31, v2
	v_add_co_u32_e32 v1, vcc, v1, v3
	v_addc_co_u32_e32 v2, vcc, 0, v2, vcc
	v_alignbit_b32 v1, v2, v1, 1
	v_readfirstlane_b32 s2, v1
	s_add_i32 s3, s2, 1
.LBB120_14:
	s_mov_b64 s[4:5], exec
	v_readlane_b32 s8, v50, 5
	v_readlane_b32 s9, v50, 6
	s_and_b64 s[8:9], s[4:5], s[8:9]
	s_mov_b64 exec, s[8:9]
	s_cbranch_execz .LBB120_16
; %bb.15:
	v_mov_b32_e32 v2, 0
	v_mov_b32_e32 v3, s56
	ds_write_b32 v2, v2 offset:4112
	ds_write_b64 v2, v[2:3] offset:4104
.LBB120_16:
	s_or_b64 exec, exec, s[4:5]
	s_waitcnt lgkmcnt(0)
	s_barrier
	s_load_dword s2, s[10:11], 0xc
	v_mbcnt_lo_u32_b32 v1, -1, 0
	v_mbcnt_hi_u32_b32 v13, -1, v1
	v_cmp_gt_u32_e32 vcc, 64, v0
	v_cmp_gt_i32_e64 s[4:5], 4, v13
	s_waitcnt lgkmcnt(0)
	s_and_b32 s59, s2, 0xffff
	s_bfe_u32 s13, s2, 0xa0006
	s_add_i32 s2, s59, -1
	s_lshl_b32 s80, s59, 2
	s_and_b64 s[66:67], vcc, s[4:5]
	v_writelane_b32 v50, s2, 9
	s_add_i32 s2, s2, s56
	s_cmpk_gt_u32 s56, 0x300
	s_cselect_b64 s[4:5], -1, 0
	v_writelane_b32 v50, s4, 10
	s_cmp_gt_u32 s59, 63
	v_writelane_b32 v50, s5, 11
	s_cselect_b64 s[4:5], -1, 0
	v_writelane_b32 v50, s4, 12
	s_cmp_lt_u32 s6, s12
	v_writelane_b32 v50, s5, 13
	s_cselect_b32 s4, 12, 18
	v_mov_b32_e32 v9, 0
	s_add_u32 s4, s10, s4
	s_addc_u32 s5, s11, 0
	v_mov_b32_e32 v7, v9
	v_writelane_b32 v50, s4, 14
	s_add_i32 s8, s13, -2
	v_lshlrev_b64 v[2:3], 2, v[6:7]
	v_writelane_b32 v50, s5, 15
	s_lshr_b32 s4, s8, 1
	v_mov_b32_e32 v7, s33
	v_add_co_u32_e32 v10, vcc, s57, v2
	s_add_i32 s9, s4, 1
	v_addc_co_u32_e32 v11, vcc, v7, v3, vcc
	v_lshlrev_b64 v[2:3], v13, -1
	s_cmpk_gt_u32 s59, 0x7f
	v_not_b32_e32 v12, v2
	v_cvt_f32_u32_e32 v2, s80
	s_cselect_b64 s[4:5], -1, 0
	s_and_b32 s10, s13, 0x3fe
	s_and_b32 s11, s9, 7
	v_writelane_b32 v50, s4, 16
	s_cmp_gt_u32 s8, 13
	v_writelane_b32 v50, s5, 17
	s_cselect_b64 s[14:15], -1, 0
	v_writelane_b32 v50, s14, 18
	v_rcp_iflag_f32_e32 v2, v2
	v_writelane_b32 v50, s15, 19
	s_and_b32 s8, s9, -8
	v_writelane_b32 v50, s8, 20
	s_cmp_lg_u32 s11, 0
	v_writelane_b32 v50, s11, 21
	s_cselect_b64 s[8:9], -1, 0
	v_writelane_b32 v50, s8, 22
	v_mul_f32_e32 v2, 0x4f7ffffe, v2
	v_writelane_b32 v50, s9, 23
	v_cvt_u32_f32_e32 v2, v2
	v_writelane_b32 v50, s13, 24
	s_cmp_lg_u32 s10, s13
	v_writelane_b32 v50, s10, 25
	s_cselect_b64 s[8:9], -1, 0
	v_writelane_b32 v50, s8, 26
	v_writelane_b32 v50, s9, 27
	s_sub_i32 s8, 0, s80
	v_readfirstlane_b32 s9, v2
	v_cvt_f32_u32_e32 v2, s59
	s_mul_i32 s8, s8, s9
	s_mul_hi_u32 s8, s9, s8
	s_add_i32 s72, s9, s8
	s_mul_hi_u32 s8, s56, s72
	v_rcp_iflag_f32_e32 v5, v2
	s_mul_i32 s8, s8, s80
	s_sub_i32 s8, s56, s8
	s_sub_i32 s9, s8, s80
	s_cmp_ge_u32 s8, s80
	v_mul_f32_e32 v5, 0x4f7ffffe, v5
	s_cselect_b32 s8, s9, s8
	v_cvt_u32_f32_e32 v5, v5
	s_sub_i32 s9, s8, s80
	s_cmp_ge_u32 s8, s80
	s_cselect_b32 s8, s9, s8
	v_lshlrev_b32_e32 v20, 2, v0
	s_sub_i32 s73, s56, s8
	s_sub_i32 s9, 0, s59
	v_readfirstlane_b32 s12, v5
	v_cmp_gt_u32_e64 s[10:11], s73, v20
	s_mul_i32 s9, s9, s12
	v_writelane_b32 v50, s10, 28
	s_mul_hi_u32 s9, s12, s9
	v_writelane_b32 v50, s11, 29
	s_add_i32 s9, s12, s9
	v_writelane_b32 v50, s9, 30
	s_mul_hi_u32 s9, s2, s9
	s_mul_i32 s9, s9, s59
	s_sub_i32 s9, s2, s9
	s_sub_i32 s12, s9, s59
	v_add_u32_e32 v24, s73, v0
	s_cmp_ge_u32 s9, s59
	v_lshrrev_b32_e32 v1, 4, v0
	v_mul_lo_u32 v8, v24, s58
	s_cselect_b32 s9, s12, s9
	v_and_b32_e32 v22, 60, v1
	v_not_b32_e32 v1, v3
	v_lshlrev_b64 v[2:3], 2, v[8:9]
	s_sub_i32 s12, s9, s59
	v_add_co_u32_e32 v14, vcc, s57, v2
	s_cmp_ge_u32 s9, s59
	v_mul_lo_u32 v2, s58, v20
	s_cselect_b32 s9, s12, s9
	v_add_u32_e32 v25, s58, v2
	v_or_b32_e32 v2, 2, v20
	s_sub_i32 s74, s2, s9
	v_mul_lo_u32 v26, s58, v2
	v_or_b32_e32 v2, 3, v20
	s_add_i32 s2, s59, s56
	v_cmp_gt_u32_e64 s[12:13], s74, v0
	v_mul_lo_u32 v27, s58, v2
	v_add_u32_e32 v2, s2, v0
	v_lshlrev_b32_e32 v4, 2, v13
	v_mov_b32_e32 v8, s33
	v_writelane_b32 v50, s12, 31
	s_mul_i32 s78, s58, s59
	v_subrev_u32_e32 v2, s8, v2
	s_mov_b32 s64, 0
	v_cmp_eq_u32_e64 s[4:5], 0, v13
	v_cmp_gt_u32_e64 s[6:7], 2, v0
	v_add_u32_e32 v21, 0xc00, v20
	v_and_b32_e32 v23, 0x100, v4
	v_cmp_gt_u32_e64 s[10:11], s56, v24
	v_addc_co_u32_e32 v15, vcc, v8, v3, vcc
	v_writelane_b32 v50, s13, 32
	s_lshl_b32 s75, s78, 2
	v_lshlrev_b32_e32 v28, 2, v6
	v_mul_lo_u32 v29, s58, v2
	v_lshlrev_b32_e32 v30, 4, v0
	s_lshl_b32 s12, s59, 4
	v_or_b32_e32 v31, 0xc00, v4
	s_mov_b32 s13, 30
	s_mov_b64 s[82:83], 0
	v_mov_b32_e32 v16, 1.0
	v_bfrev_b32_e32 v32, 1
	v_mov_b32_e32 v33, 0xc00
	v_mov_b32_e32 v19, 0
	s_mov_b32 s68, 0
	s_mov_b32 s2, 0
	;; [unrolled: 1-line block ×3, first 2 shown]
                                        ; implicit-def: $sgpr84_sgpr85
                                        ; implicit-def: $sgpr88_sgpr89
                                        ; implicit-def: $sgpr86_sgpr87
                                        ; implicit-def: $sgpr90_sgpr91
                                        ; implicit-def: $sgpr92_sgpr93
                                        ; implicit-def: $sgpr94_sgpr95
	s_branch .LBB120_21
.LBB120_17:                             ;   in Loop: Header=BB120_21 Depth=1
	s_xor_b32 s68, s68, 1
	s_add_i32 s3, s13, -2
	s_cmp_eq_u32 s13, 0
	s_mov_b64 s[18:19], 0
	s_cselect_b64 s[26:27], -1, 0
	s_mov_b32 s13, s3
.LBB120_18:                             ;   in Loop: Header=BB120_21 Depth=1
	s_andn2_b64 s[8:9], s[22:23], exec
	s_and_b64 s[18:19], s[18:19], exec
	s_or_b64 s[22:23], s[8:9], s[18:19]
	s_andn2_b64 s[24:25], s[24:25], exec
	s_andn2_b64 s[20:21], s[20:21], exec
	s_orn2_b64 s[18:19], s[26:27], exec
	s_mov_b32 s3, s35
.LBB120_19:                             ;   in Loop: Header=BB120_21 Depth=1
	s_or_b64 exec, exec, s[14:15]
	s_andn2_b64 s[8:9], s[94:95], exec
	s_and_b64 s[14:15], s[22:23], exec
	s_or_b64 s[94:95], s[8:9], s[14:15]
	s_andn2_b64 s[8:9], s[92:93], exec
	s_and_b64 s[14:15], s[24:25], exec
	s_or_b64 s[92:93], s[8:9], s[14:15]
	;; [unrolled: 3-line block ×3, first 2 shown]
	s_orn2_b64 s[18:19], s[18:19], exec
.LBB120_20:                             ;   in Loop: Header=BB120_21 Depth=1
	s_or_b64 exec, exec, s[16:17]
	s_and_b64 s[8:9], exec, s[18:19]
	s_or_b64 s[82:83], s[8:9], s[82:83]
	s_andn2_b64 s[8:9], s[86:87], exec
	s_and_b64 s[14:15], s[94:95], exec
	s_or_b64 s[86:87], s[8:9], s[14:15]
	s_andn2_b64 s[8:9], s[88:89], exec
	s_and_b64 s[14:15], s[92:93], exec
	;; [unrolled: 3-line block ×3, first 2 shown]
	v_mov_b32_e32 v2, s2
	s_or_b64 s[84:85], s[8:9], s[14:15]
	s_andn2_b64 exec, exec, s[82:83]
	s_cbranch_execz .LBB120_258
.LBB120_21:                             ; =>This Loop Header: Depth=1
                                        ;     Child Loop BB120_29 Depth 2
                                        ;     Child Loop BB120_47 Depth 2
	;; [unrolled: 1-line block ×17, first 2 shown]
	ds_read_b64 v[2:3], v9 offset:4104
	s_waitcnt lgkmcnt(0)
	v_readfirstlane_b32 s65, v2
	s_cmp_lg_u32 s65, 0
	s_cbranch_scc1 .LBB120_54
; %bb.22:                               ;   in Loop: Header=BB120_21 Depth=1
	v_readlane_b32 s8, v50, 10
	v_readlane_b32 s9, v50, 11
	s_and_b64 vcc, exec, s[8:9]
	s_cbranch_vccz .LBB120_37
; %bb.23:                               ;   in Loop: Header=BB120_21 Depth=1
	s_movk_i32 s8, 0x301
	v_cmp_gt_u32_e32 vcc, s8, v3
	s_mov_b64 s[18:19], 0
	s_mov_b64 s[14:15], 0
	s_cbranch_vccz .LBB120_38
; %bb.24:                               ;   in Loop: Header=BB120_21 Depth=1
	v_mov_b32_e32 v2, 0
	s_and_saveexec_b64 s[14:15], s[0:1]
	s_cbranch_execz .LBB120_26
; %bb.25:                               ;   in Loop: Header=BB120_21 Depth=1
	global_load_dword v2, v[10:11], off
.LBB120_26:                             ;   in Loop: Header=BB120_21 Depth=1
	s_or_b64 exec, exec, s[14:15]
	s_and_saveexec_b64 s[20:21], s[0:1]
	s_cbranch_execz .LBB120_39
; %bb.27:                               ;   in Loop: Header=BB120_21 Depth=1
	v_readlane_b32 s8, v50, 14
	v_readlane_b32 s9, v50, 15
	s_mov_b64 s[22:23], 0
	s_nop 3
	global_load_ushort v3, v9, s[8:9]
	s_waitcnt vmcnt(0)
	v_add_u32_e32 v5, v0, v3
	v_mul_lo_u32 v4, s58, v3
	v_mul_lo_u32 v8, s58, v5
	v_mov_b32_e32 v5, v0
	s_branch .LBB120_29
.LBB120_28:                             ;   in Loop: Header=BB120_29 Depth=2
	s_or_b64 exec, exec, s[16:17]
	v_add_u32_e32 v8, v8, v4
	s_waitcnt vmcnt(0)
	v_mov_b32_e32 v2, v17
	s_andn2_b64 exec, exec, s[22:23]
	s_cbranch_execz .LBB120_39
.LBB120_29:                             ;   Parent Loop BB120_21 Depth=1
                                        ; =>  This Inner Loop Header: Depth=2
	v_add_u32_e32 v5, v5, v3
	v_cmp_gt_u32_e64 s[14:15], s56, v5
	v_cmp_le_u32_e32 vcc, s56, v5
	s_waitcnt lgkmcnt(0)
	v_mov_b32_e32 v18, 0
	v_mov_b32_e32 v17, 0
	s_and_saveexec_b64 s[16:17], s[14:15]
	s_cbranch_execz .LBB120_31
; %bb.30:                               ;   in Loop: Header=BB120_29 Depth=2
	v_lshlrev_b64 v[34:35], 2, v[8:9]
	v_add_co_u32_e64 v34, s[14:15], s57, v34
	v_addc_co_u32_e64 v35, s[14:15], v7, v35, s[14:15]
	global_load_dword v17, v[34:35], off
.LBB120_31:                             ;   in Loop: Header=BB120_29 Depth=2
	s_or_b64 exec, exec, s[16:17]
	v_cmp_lt_i32_e64 s[14:15], -1, v2
	v_cndmask_b32_e64 v34, -1, v32, s[14:15]
	v_xor_b32_e32 v34, v34, v2
	v_cmp_o_f32_e64 s[14:15], v2, v2
	v_cndmask_b32_e64 v34, -1, v34, s[14:15]
	v_and_b32_e32 v34, s69, v34
	v_cmp_eq_u32_e64 s[14:15], s2, v34
	s_cmp_lg_u64 s[14:15], 0
	s_cselect_b64 s[8:9], -1, 0
	s_and_b64 s[8:9], s[4:5], s[8:9]
	s_and_saveexec_b64 s[24:25], s[8:9]
	s_cbranch_execz .LBB120_35
; %bb.32:                               ;   in Loop: Header=BB120_29 Depth=2
	s_mov_b64 s[28:29], exec
	v_mbcnt_lo_u32_b32 v18, s28, 0
	v_mbcnt_hi_u32_b32 v18, s29, v18
	s_bcnt1_i32_b64 s8, s[14:15]
	v_cmp_eq_u32_e64 s[16:17], 0, v18
                                        ; implicit-def: $vgpr34
	s_and_saveexec_b64 s[26:27], s[16:17]
	s_cbranch_execz .LBB120_34
; %bb.33:                               ;   in Loop: Header=BB120_29 Depth=2
	s_bcnt1_i32_b64 s9, s[28:29]
	s_mul_i32 s9, s8, s9
	v_mov_b32_e32 v34, s9
	ds_add_rtn_u32 v34, v9, v34 offset:4112
.LBB120_34:                             ;   in Loop: Header=BB120_29 Depth=2
	s_or_b64 exec, exec, s[26:27]
	s_waitcnt lgkmcnt(0)
	v_readfirstlane_b32 s9, v34
	v_mov_b32_e32 v34, s9
	v_mad_u32_u24 v18, s8, v18, v34
.LBB120_35:                             ;   in Loop: Header=BB120_29 Depth=2
	s_or_b64 exec, exec, s[24:25]
	ds_bpermute_b32 v18, v23, v18
	s_and_b64 s[8:9], exec, vcc
	s_or_b64 s[22:23], s[8:9], s[22:23]
	s_and_saveexec_b64 s[16:17], s[14:15]
	s_cbranch_execz .LBB120_28
; %bb.36:                               ;   in Loop: Header=BB120_29 Depth=2
	v_and_b32_e32 v35, s14, v12
	v_and_b32_e32 v34, s15, v1
	v_bcnt_u32_b32 v35, v35, 0
	v_bcnt_u32_b32 v34, v34, v35
	v_lshlrev_b32_e32 v34, 2, v34
	s_waitcnt lgkmcnt(0)
	v_lshl_add_u32 v18, v18, 2, v34
	ds_write_b32 v18, v2
	s_branch .LBB120_28
.LBB120_37:                             ;   in Loop: Header=BB120_21 Depth=1
	s_mov_b64 s[14:15], 0
                                        ; implicit-def: $sgpr65
	s_cbranch_execnz .LBB120_42
	s_branch .LBB120_52
.LBB120_38:                             ;   in Loop: Header=BB120_21 Depth=1
	s_mov_b32 s65, 0
	s_and_b64 vcc, exec, s[18:19]
	s_cbranch_vccnz .LBB120_42
	s_branch .LBB120_52
.LBB120_39:                             ;   in Loop: Header=BB120_21 Depth=1
	s_or_b64 exec, exec, s[20:21]
	s_waitcnt lgkmcnt(0)
	s_barrier
	s_mov_b64 s[14:15], exec
	v_readlane_b32 s8, v50, 5
	v_readlane_b32 s9, v50, 6
	s_and_b64 s[8:9], s[14:15], s[8:9]
	s_mov_b64 exec, s[8:9]
	s_cbranch_execz .LBB120_41
; %bb.40:                               ;   in Loop: Header=BB120_21 Depth=1
	s_waitcnt vmcnt(0)
	ds_read_b32 v2, v9 offset:4112
	s_waitcnt lgkmcnt(0)
	ds_write_b32 v9, v2 offset:4104
.LBB120_41:                             ;   in Loop: Header=BB120_21 Depth=1
	s_or_b64 exec, exec, s[14:15]
	s_waitcnt lgkmcnt(0)
	s_barrier
	s_mov_b64 s[14:15], -1
	s_mov_b32 s65, 0
	s_and_b64 vcc, exec, s[18:19]
	s_cbranch_vccz .LBB120_52
.LBB120_42:                             ;   in Loop: Header=BB120_21 Depth=1
	s_waitcnt vmcnt(0)
	v_mov_b32_e32 v2, 0
	s_and_saveexec_b64 s[14:15], s[0:1]
	s_cbranch_execz .LBB120_44
; %bb.43:                               ;   in Loop: Header=BB120_21 Depth=1
	global_load_dword v2, v[10:11], off
.LBB120_44:                             ;   in Loop: Header=BB120_21 Depth=1
	s_or_b64 exec, exec, s[14:15]
	s_and_saveexec_b64 s[16:17], s[0:1]
	s_cbranch_execz .LBB120_49
; %bb.45:                               ;   in Loop: Header=BB120_21 Depth=1
	v_readlane_b32 s8, v50, 14
	v_readlane_b32 s9, v50, 15
	s_mov_b64 s[18:19], 0
	v_mov_b32_e32 v4, v20
	v_mov_b32_e32 v18, v0
	s_nop 1
	global_load_ushort v3, v9, s[8:9]
	s_waitcnt vmcnt(0)
	v_add_u32_e32 v8, v0, v3
	v_lshlrev_b32_e32 v5, 2, v3
	v_mul_lo_u32 v17, s58, v3
	v_mul_lo_u32 v8, s58, v8
	s_branch .LBB120_47
.LBB120_46:                             ;   in Loop: Header=BB120_47 Depth=2
	s_or_b64 exec, exec, s[20:21]
	s_and_b64 s[8:9], exec, vcc
	s_or_b64 s[18:19], s[8:9], s[18:19]
	ds_write_b32 v4, v2
	v_add_u32_e32 v4, v4, v5
	v_add_u32_e32 v8, v8, v17
	s_waitcnt vmcnt(0)
	v_mov_b32_e32 v2, v34
	s_andn2_b64 exec, exec, s[18:19]
	s_cbranch_execz .LBB120_49
.LBB120_47:                             ;   Parent Loop BB120_21 Depth=1
                                        ; =>  This Inner Loop Header: Depth=2
	v_add_u32_e32 v18, v18, v3
	v_cmp_gt_u32_e64 s[14:15], s56, v18
	v_cmp_le_u32_e32 vcc, s56, v18
	v_mov_b32_e32 v34, 0
	s_and_saveexec_b64 s[20:21], s[14:15]
	s_cbranch_execz .LBB120_46
; %bb.48:                               ;   in Loop: Header=BB120_47 Depth=2
	v_lshlrev_b64 v[34:35], 2, v[8:9]
	v_mov_b32_e32 v36, s33
	v_add_co_u32_e64 v34, s[14:15], s57, v34
	v_addc_co_u32_e64 v35, s[14:15], v36, v35, s[14:15]
	global_load_dword v34, v[34:35], off
	s_branch .LBB120_46
.LBB120_49:                             ;   in Loop: Header=BB120_21 Depth=1
	s_or_b64 exec, exec, s[16:17]
	s_waitcnt lgkmcnt(0)
	s_barrier
	s_mov_b64 s[14:15], exec
	v_readlane_b32 s8, v50, 5
	v_readlane_b32 s9, v50, 6
	s_and_b64 s[8:9], s[14:15], s[8:9]
	s_mov_b64 exec, s[8:9]
	s_cbranch_execz .LBB120_51
; %bb.50:                               ;   in Loop: Header=BB120_21 Depth=1
	s_waitcnt vmcnt(0)
	v_mov_b32_e32 v2, s56
	ds_write_b32 v9, v2 offset:4104
.LBB120_51:                             ;   in Loop: Header=BB120_21 Depth=1
	s_or_b64 exec, exec, s[14:15]
	s_mov_b64 s[14:15], -1
	s_waitcnt lgkmcnt(0)
	s_barrier
                                        ; implicit-def: $sgpr65
.LBB120_52:                             ;   in Loop: Header=BB120_21 Depth=1
	s_and_b64 vcc, exec, s[14:15]
	s_cbranch_vccz .LBB120_54
; %bb.53:                               ;   in Loop: Header=BB120_21 Depth=1
	s_waitcnt vmcnt(0)
	ds_read_b32 v2, v9 offset:4104
	s_waitcnt lgkmcnt(0)
	v_readfirstlane_b32 s65, v2
.LBB120_54:                             ;   in Loop: Header=BB120_21 Depth=1
	s_cmp_lt_i32 s65, 1
	s_cbranch_scc0 .LBB120_66
; %bb.55:                               ;   in Loop: Header=BB120_21 Depth=1
	s_waitcnt vmcnt(0)
	v_mov_b32_e32 v2, 0
	s_mov_b32 s48, 0
	v_mov_b32_e32 v3, 0
	v_mov_b32_e32 v4, v2
	;; [unrolled: 1-line block ×3, first 2 shown]
	s_mov_b64 s[44:45], exec
	v_readlane_b32 s8, v50, 28
	v_readlane_b32 s9, v50, 29
	s_and_b64 s[8:9], s[44:45], s[8:9]
	s_mov_b64 exec, s[8:9]
	s_cbranch_execz .LBB120_59
; %bb.56:                               ;   in Loop: Header=BB120_21 Depth=1
	s_and_b32 s49, s13, 0xfe
	s_mov_b64 s[46:47], 0
	s_mov_b32 s50, 0
	s_mov_b32 s51, 0
	;; [unrolled: 1-line block ×4, first 2 shown]
	v_mov_b32_e32 v17, v20
.LBB120_57:                             ;   Parent Loop BB120_21 Depth=1
                                        ; =>  This Inner Loop Header: Depth=2
	v_add_u32_e32 v8, s48, v28
	v_lshlrev_b64 v[2:3], 2, v[8:9]
	v_mov_b32_e32 v18, s33
	v_add_u32_e32 v8, s48, v25
	v_add_co_u32_e64 v2, s[14:15], s57, v2
	v_lshlrev_b64 v[4:5], 2, v[8:9]
	v_addc_co_u32_e64 v3, s[14:15], v18, v3, s[14:15]
	v_add_u32_e32 v8, s48, v26
	global_load_dword v36, v[2:3], off
	v_add_co_u32_e64 v2, s[14:15], s57, v4
	v_lshlrev_b64 v[34:35], 2, v[8:9]
	v_add_u32_e32 v8, s48, v27
	v_addc_co_u32_e64 v3, s[14:15], v18, v5, s[14:15]
	v_lshlrev_b64 v[4:5], 2, v[8:9]
	global_load_dword v8, v[2:3], off
	v_add_co_u32_e64 v2, s[14:15], s57, v34
	v_addc_co_u32_e64 v3, s[14:15], v18, v35, s[14:15]
	global_load_dword v34, v[2:3], off
	v_add_co_u32_e64 v2, s[14:15], s57, v4
	v_addc_co_u32_e64 v3, s[14:15], v18, v5, s[14:15]
	global_load_dword v2, v[2:3], off
	v_add_u32_e32 v17, s80, v17
	v_cmp_le_u32_e32 vcc, s73, v17
	s_add_i32 s48, s48, s75
	s_waitcnt vmcnt(3)
	v_cmp_lt_i32_e64 s[14:15], -1, v36
	v_cndmask_b32_e64 v3, -1, v32, s[14:15]
	v_xor_b32_e32 v3, v3, v36
	s_waitcnt vmcnt(2)
	v_cmp_lt_i32_e64 s[14:15], -1, v8
	v_cndmask_b32_e64 v4, -1, v32, s[14:15]
	v_cmp_o_f32_e64 s[14:15], v36, v36
	v_cndmask_b32_e64 v3, -1, v3, s[14:15]
	v_xor_b32_e32 v4, v4, v8
	s_waitcnt vmcnt(1)
	v_cmp_lt_i32_e64 s[14:15], -1, v34
	v_cndmask_b32_e64 v5, -1, v32, s[14:15]
	v_cmp_o_f32_e64 s[14:15], v8, v8
	v_cndmask_b32_e64 v4, -1, v4, s[14:15]
	v_xor_b32_e32 v5, v5, v34
	s_waitcnt vmcnt(0)
	v_cmp_lt_i32_e64 s[14:15], -1, v2
	v_cndmask_b32_e64 v8, -1, v32, s[14:15]
	v_and_b32_e32 v18, s69, v3
	v_bfe_u32 v3, v3, s49, 2
	v_cmp_o_f32_e64 s[14:15], v34, v34
	v_cndmask_b32_e64 v5, -1, v5, s[14:15]
	v_cmp_eq_u32_e64 s[14:15], s2, v18
	v_cmp_eq_u32_e64 s[16:17], 0, v3
	v_and_b32_e32 v18, s69, v4
	v_bfe_u32 v4, v4, s49, 2
	v_cmp_eq_u32_e64 s[18:19], 1, v3
	s_and_b64 s[8:9], s[14:15], s[16:17]
	v_xor_b32_e32 v8, v8, v2
	v_cmp_eq_u32_e64 s[20:21], 2, v3
	v_cmp_o_f32_e64 s[24:25], v2, v2
	v_cmp_eq_u32_e64 s[26:27], 0, v4
	v_cmp_eq_u32_e64 s[28:29], 1, v4
	;; [unrolled: 1-line block ×4, first 2 shown]
	v_cndmask_b32_e64 v4, 0, 1, s[8:9]
	s_and_b64 s[8:9], s[14:15], s[18:19]
	v_cmp_eq_u32_e64 s[22:23], 3, v3
	v_cndmask_b32_e64 v2, -1, v8, s[24:25]
	v_cndmask_b32_e64 v8, 0, 1, s[8:9]
	s_and_b64 s[8:9], s[14:15], s[20:21]
	v_cmp_eq_u32_e64 s[24:25], s2, v18
	v_cndmask_b32_e64 v18, 0, 1, s[8:9]
	s_and_b64 s[8:9], s[14:15], s[22:23]
	v_cndmask_b32_e64 v34, 0, 1, s[8:9]
	s_and_b64 s[8:9], s[24:25], s[26:27]
	v_and_b32_e32 v3, s69, v5
	v_bfe_u32 v5, v5, s49, 2
	v_cmp_ne_u32_e64 s[36:37], 0, v4
	v_cndmask_b32_e64 v4, 0, 1, s[8:9]
	s_and_b64 s[8:9], s[24:25], s[28:29]
	v_cmp_eq_u32_e64 s[16:17], 0, v5
	v_cmp_eq_u32_e64 s[18:19], 1, v5
	;; [unrolled: 1-line block ×4, first 2 shown]
	v_cndmask_b32_e64 v5, 0, 1, s[8:9]
	s_and_b64 s[8:9], s[24:25], s[30:31]
	v_cmp_eq_u32_e64 s[14:15], s2, v3
	v_cmp_ne_u32_e64 s[26:27], 0, v8
	v_cndmask_b32_e64 v8, 0, 1, s[8:9]
	s_and_b64 s[8:9], s[24:25], s[34:35]
	v_and_b32_e32 v3, s69, v2
	v_bfe_u32 v2, v2, s49, 2
	v_cmp_ne_u32_e64 s[28:29], 0, v18
	v_cndmask_b32_e64 v18, 0, 1, s[8:9]
	s_and_b64 s[8:9], s[14:15], s[16:17]
	v_cmp_eq_u32_e64 s[34:35], 0, v2
	v_cmp_eq_u32_e64 s[38:39], 1, v2
	;; [unrolled: 1-line block ×4, first 2 shown]
	v_cndmask_b32_e64 v2, 0, 1, s[8:9]
	s_and_b64 s[8:9], s[14:15], s[18:19]
	v_cmp_eq_u32_e64 s[24:25], s2, v3
	v_cndmask_b32_e64 v3, 0, 1, s[8:9]
	s_and_b64 s[8:9], s[14:15], s[20:21]
	s_bcnt1_i32_b64 s54, s[36:37]
	v_cmp_ne_u32_e64 s[36:37], 0, v4
	v_cndmask_b32_e64 v4, 0, 1, s[8:9]
	s_and_b64 s[8:9], s[14:15], s[22:23]
	v_cmp_ne_u32_e64 s[16:17], 0, v5
	v_cndmask_b32_e64 v5, 0, 1, s[8:9]
	s_and_b64 s[8:9], s[24:25], s[34:35]
	;; [unrolled: 3-line block ×3, first 2 shown]
	v_cmp_ne_u32_e64 s[30:31], 0, v34
	s_bcnt1_i32_b64 s26, s[26:27]
	s_bcnt1_i32_b64 s27, s[28:29]
	v_cmp_ne_u32_e64 s[18:19], 0, v8
	s_bcnt1_i32_b64 s29, s[16:17]
	v_cmp_ne_u32_e64 s[16:17], 0, v3
	v_cndmask_b32_e64 v3, 0, 1, s[8:9]
	s_and_b64 s[8:9], s[24:25], s[40:41]
	s_bcnt1_i32_b64 s28, s[30:31]
	v_cmp_ne_u32_e64 s[20:21], 0, v18
	s_bcnt1_i32_b64 s30, s[18:19]
	v_cmp_ne_u32_e64 s[18:19], 0, v4
	v_cndmask_b32_e64 v4, 0, 1, s[8:9]
	s_and_b64 s[8:9], s[24:25], s[42:43]
	s_bcnt1_i32_b64 s22, s[36:37]
	s_add_i32 s23, s53, s54
	s_add_i32 s26, s52, s26
	;; [unrolled: 1-line block ×3, first 2 shown]
	s_bcnt1_i32_b64 s31, s[20:21]
	v_cmp_ne_u32_e64 s[20:21], 0, v5
	v_cndmask_b32_e64 v5, 0, 1, s[8:9]
	s_add_i32 s8, s50, s28
	s_bcnt1_i32_b64 s9, s[14:15]
	v_cmp_ne_u32_e64 s[14:15], 0, v2
	s_add_i32 s22, s23, s22
	s_bcnt1_i32_b64 s23, s[16:17]
	v_cmp_ne_u32_e64 s[16:17], 0, v3
	s_add_i32 s24, s26, s29
	s_bcnt1_i32_b64 s25, s[18:19]
	v_cmp_ne_u32_e64 s[18:19], 0, v4
	s_add_i32 s26, s27, s30
	s_bcnt1_i32_b64 s27, s[20:21]
	v_cmp_ne_u32_e64 s[20:21], 0, v5
	s_add_i32 s8, s8, s31
	s_bcnt1_i32_b64 s14, s[14:15]
	s_add_i32 s9, s22, s9
	s_bcnt1_i32_b64 s15, s[16:17]
	s_add_i32 s16, s24, s23
	s_bcnt1_i32_b64 s17, s[18:19]
	s_add_i32 s18, s26, s25
	s_bcnt1_i32_b64 s19, s[20:21]
	s_add_i32 s8, s8, s27
	s_add_i32 s53, s9, s14
	;; [unrolled: 1-line block ×5, first 2 shown]
	s_or_b64 s[46:47], vcc, s[46:47]
	v_mov_b32_e32 v2, s53
	v_mov_b32_e32 v3, s52
	;; [unrolled: 1-line block ×4, first 2 shown]
	s_andn2_b64 exec, exec, s[46:47]
	s_cbranch_execnz .LBB120_57
; %bb.58:                               ;   in Loop: Header=BB120_21 Depth=1
	s_or_b64 exec, exec, s[46:47]
.LBB120_59:                             ;   in Loop: Header=BB120_21 Depth=1
	s_or_b64 exec, exec, s[44:45]
	v_mov_b32_e32 v17, 0
	s_and_saveexec_b64 s[14:15], s[10:11]
	s_cbranch_execz .LBB120_61
; %bb.60:                               ;   in Loop: Header=BB120_21 Depth=1
	global_load_dword v17, v[14:15], off
.LBB120_61:                             ;   in Loop: Header=BB120_21 Depth=1
	s_or_b64 exec, exec, s[14:15]
	s_mov_b64 s[16:17], 0
	s_mov_b64 s[60:61], 0
	s_and_saveexec_b64 s[18:19], s[10:11]
	s_cbranch_execz .LBB120_68
; %bb.62:                               ;   in Loop: Header=BB120_21 Depth=1
	s_and_b32 s8, s13, 0xfe
	s_mov_b64 s[20:21], 0
	v_mov_b32_e32 v8, v29
	v_mov_b32_e32 v18, v24
	s_branch .LBB120_64
.LBB120_63:                             ;   in Loop: Header=BB120_64 Depth=2
	s_or_b64 exec, exec, s[22:23]
	s_and_b64 s[14:15], exec, vcc
	s_waitcnt vmcnt(0)
	v_cmp_lt_i32_e32 vcc, -1, v17
	v_cndmask_b32_e32 v35, -1, v32, vcc
	v_xor_b32_e32 v35, v35, v17
	v_cmp_o_f32_e32 vcc, v17, v17
	v_cndmask_b32_e32 v17, -1, v35, vcc
	v_and_b32_e32 v35, s69, v17
	v_bfe_u32 v17, v17, s8, 2
	s_or_b64 s[20:21], s[14:15], s[20:21]
	v_cmp_eq_u32_e32 vcc, s2, v35
	v_cmp_eq_u32_e64 s[14:15], 0, v17
	s_and_b64 s[14:15], vcc, s[14:15]
	v_cndmask_b32_e64 v35, 0, 1, s[14:15]
	v_cmp_ne_u32_e64 s[14:15], 0, v35
	s_bcnt1_i32_b64 s9, s[14:15]
	v_cmp_eq_u32_e64 s[14:15], 1, v17
	s_and_b64 s[14:15], vcc, s[14:15]
	v_cndmask_b32_e64 v35, 0, 1, s[14:15]
	v_cmp_ne_u32_e64 s[14:15], 0, v35
	v_add_u32_e32 v2, s9, v2
	s_bcnt1_i32_b64 s9, s[14:15]
	v_cmp_eq_u32_e64 s[14:15], 2, v17
	s_and_b64 s[14:15], vcc, s[14:15]
	v_cndmask_b32_e64 v35, 0, 1, s[14:15]
	v_cmp_ne_u32_e64 s[14:15], 0, v35
	v_add_u32_e32 v3, s9, v3
	s_bcnt1_i32_b64 s9, s[14:15]
	v_cmp_eq_u32_e64 s[14:15], 3, v17
	s_and_b64 s[14:15], vcc, s[14:15]
	v_cndmask_b32_e64 v17, 0, 1, s[14:15]
	v_cmp_ne_u32_e32 vcc, 0, v17
	v_add_u32_e32 v4, s9, v4
	s_bcnt1_i32_b64 s9, vcc
	v_add_u32_e32 v5, s9, v5
	v_add_u32_e32 v8, s78, v8
	v_mov_b32_e32 v17, v34
	s_andn2_b64 exec, exec, s[20:21]
	s_cbranch_execz .LBB120_67
.LBB120_64:                             ;   Parent Loop BB120_21 Depth=1
                                        ; =>  This Inner Loop Header: Depth=2
	v_add_u32_e32 v18, s59, v18
	v_cmp_gt_u32_e64 s[14:15], s56, v18
	v_cmp_le_u32_e32 vcc, s56, v18
	v_mov_b32_e32 v34, 0
	s_and_saveexec_b64 s[22:23], s[14:15]
	s_cbranch_execz .LBB120_63
; %bb.65:                               ;   in Loop: Header=BB120_64 Depth=2
	v_lshlrev_b64 v[34:35], 2, v[8:9]
	v_mov_b32_e32 v36, s33
	v_add_co_u32_e64 v34, s[14:15], s57, v34
	v_addc_co_u32_e64 v35, s[14:15], v36, v35, s[14:15]
	global_load_dword v34, v[34:35], off
	s_branch .LBB120_63
.LBB120_66:                             ;   in Loop: Header=BB120_21 Depth=1
	s_mov_b64 s[60:61], 0
                                        ; implicit-def: $vgpr5
	s_cbranch_execnz .LBB120_69
	s_branch .LBB120_78
.LBB120_67:                             ;   in Loop: Header=BB120_21 Depth=1
	s_or_b64 exec, exec, s[20:21]
	s_mov_b64 s[60:61], exec
.LBB120_68:                             ;   in Loop: Header=BB120_21 Depth=1
	s_or_b64 exec, exec, s[18:19]
	s_and_b64 vcc, exec, s[16:17]
	s_cbranch_vccz .LBB120_78
.LBB120_69:                             ;   in Loop: Header=BB120_21 Depth=1
	s_mul_hi_u32 s8, s65, s72
	s_mul_i32 s8, s8, s80
	s_sub_i32 s8, s65, s8
	s_sub_i32 s9, s8, s80
	s_cmp_ge_u32 s8, s80
	s_cselect_b32 s8, s9, s8
	s_sub_i32 s9, s8, s80
	s_cmp_ge_u32 s8, s80
	s_cselect_b32 s8, s9, s8
	s_sub_i32 s81, s65, s8
	v_cmp_gt_u32_e32 vcc, s81, v20
	s_mov_b32 s70, 0
	s_waitcnt vmcnt(0)
	v_mov_b32_e32 v2, 0
	v_mov_b32_e32 v3, 0
	;; [unrolled: 1-line block ×4, first 2 shown]
	s_and_saveexec_b64 s[62:63], vcc
	s_cbranch_execz .LBB120_73
; %bb.70:                               ;   in Loop: Header=BB120_21 Depth=1
	s_and_b32 s79, s13, 0xfe
	s_mov_b64 s[76:77], 0
	v_mov_b32_e32 v8, v30
	s_mov_b32 s71, 0
	s_mov_b32 s8, 0
	;; [unrolled: 1-line block ×3, first 2 shown]
	v_mov_b32_e32 v17, v20
.LBB120_71:                             ;   Parent Loop BB120_21 Depth=1
                                        ; =>  This Inner Loop Header: Depth=2
	ds_read_b128 v[2:5], v8
	v_add_u32_e32 v17, s80, v17
	v_cmp_le_u32_e32 vcc, s81, v17
	v_add_u32_e32 v8, s12, v8
	s_waitcnt lgkmcnt(0)
	v_cmp_lt_i32_e64 s[14:15], -1, v2
	v_cndmask_b32_e64 v18, -1, v32, s[14:15]
	v_cmp_lt_i32_e64 s[14:15], -1, v3
	v_cndmask_b32_e64 v34, -1, v32, s[14:15]
	;; [unrolled: 2-line block ×4, first 2 shown]
	v_xor_b32_e32 v34, v34, v3
	v_cmp_o_f32_e64 s[14:15], v3, v3
	v_xor_b32_e32 v3, v35, v4
	v_cmp_o_f32_e64 s[16:17], v4, v4
	;; [unrolled: 2-line block ×4, first 2 shown]
	v_cndmask_b32_e64 v2, -1, v5, s[20:21]
	v_cndmask_b32_e64 v5, -1, v34, s[14:15]
	v_and_b32_e32 v18, s69, v2
	v_bfe_u32 v2, v2, s79, 2
	v_cndmask_b32_e64 v3, -1, v3, s[16:17]
	v_and_b32_e32 v34, s69, v5
	v_bfe_u32 v5, v5, s79, 2
	v_cmp_eq_u32_e64 s[14:15], s2, v18
	v_cmp_eq_u32_e64 s[22:23], 0, v2
	v_cndmask_b32_e64 v4, -1, v4, s[18:19]
	v_and_b32_e32 v35, s69, v3
	v_bfe_u32 v3, v3, s79, 2
	v_cmp_eq_u32_e64 s[16:17], s2, v34
	v_cmp_eq_u32_e64 s[24:25], 0, v5
	s_and_b64 s[22:23], s[14:15], s[22:23]
	v_and_b32_e32 v36, s69, v4
	v_bfe_u32 v4, v4, s79, 2
	v_cmp_eq_u32_e64 s[18:19], s2, v35
	v_cmp_eq_u32_e64 s[26:27], 0, v3
	;; [unrolled: 1-line block ×5, first 2 shown]
	v_cndmask_b32_e64 v2, 0, 1, s[22:23]
	s_and_b64 s[22:23], s[16:17], s[24:25]
	v_cmp_eq_u32_e64 s[20:21], s2, v36
	v_cmp_eq_u32_e64 s[28:29], 0, v4
	;; [unrolled: 1-line block ×5, first 2 shown]
	v_cndmask_b32_e64 v3, 0, 1, s[22:23]
	s_and_b64 s[22:23], s[18:19], s[26:27]
	v_cmp_eq_u32_e64 s[38:39], 1, v4
	v_cmp_eq_u32_e64 s[46:47], 2, v4
	;; [unrolled: 1-line block ×3, first 2 shown]
	v_cndmask_b32_e64 v4, 0, 1, s[22:23]
	s_and_b64 s[22:23], s[20:21], s[28:29]
	v_cmp_eq_u32_e64 s[34:35], 1, v5
	v_cmp_eq_u32_e64 s[42:43], 2, v5
	;; [unrolled: 1-line block ×3, first 2 shown]
	v_cndmask_b32_e64 v5, 0, 1, s[22:23]
	s_and_b64 s[22:23], s[14:15], s[30:31]
	v_cndmask_b32_e64 v18, 0, 1, s[22:23]
	s_and_b64 s[22:23], s[16:17], s[34:35]
	;; [unrolled: 2-line block ×5, first 2 shown]
	s_and_b64 s[14:15], s[14:15], s[48:49]
	v_cndmask_b32_e64 v37, 0, 1, s[22:23]
	s_and_b64 s[22:23], s[16:17], s[42:43]
	v_cndmask_b32_e64 v41, 0, 1, s[14:15]
	;; [unrolled: 2-line block ×7, first 2 shown]
	v_cndmask_b32_e64 v44, 0, 1, s[14:15]
	v_cmp_ne_u32_e64 s[14:15], 0, v2
	v_cmp_ne_u32_e64 s[16:17], 0, v3
	;; [unrolled: 1-line block ×11, first 2 shown]
	s_bcnt1_i32_b64 s14, s[14:15]
	s_bcnt1_i32_b64 s15, s[16:17]
	s_bcnt1_i32_b64 s16, s[18:19]
	s_bcnt1_i32_b64 s17, s[20:21]
	s_bcnt1_i32_b64 s18, s[22:23]
	s_bcnt1_i32_b64 s20, s[26:27]
	s_bcnt1_i32_b64 s22, s[30:31]
	s_bcnt1_i32_b64 s26, s[40:41]
	v_cmp_ne_u32_e64 s[28:29], 0, v36
	v_cmp_ne_u32_e64 s[36:37], 0, v39
	;; [unrolled: 1-line block ×3, first 2 shown]
	s_bcnt1_i32_b64 s19, s[24:25]
	s_bcnt1_i32_b64 s23, s[34:35]
	;; [unrolled: 1-line block ×3, first 2 shown]
	s_add_i32 s9, s9, s14
	s_add_i32 s8, s8, s18
	;; [unrolled: 1-line block ×4, first 2 shown]
	v_cmp_ne_u32_e64 s[38:39], 0, v40
	v_cmp_ne_u32_e64 s[46:47], 0, v44
	s_bcnt1_i32_b64 s21, s[28:29]
	s_bcnt1_i32_b64 s24, s[36:37]
	;; [unrolled: 1-line block ×3, first 2 shown]
	s_add_i32 s9, s9, s15
	s_add_i32 s8, s8, s19
	;; [unrolled: 1-line block ×4, first 2 shown]
	s_bcnt1_i32_b64 s25, s[38:39]
	s_bcnt1_i32_b64 s29, s[46:47]
	s_add_i32 s9, s9, s16
	s_add_i32 s8, s8, s20
	;; [unrolled: 1-line block ×8, first 2 shown]
	s_or_b64 s[76:77], vcc, s[76:77]
	v_mov_b32_e32 v2, s9
	v_mov_b32_e32 v3, s8
	;; [unrolled: 1-line block ×4, first 2 shown]
	s_andn2_b64 exec, exec, s[76:77]
	s_cbranch_execnz .LBB120_71
; %bb.72:                               ;   in Loop: Header=BB120_21 Depth=1
	s_or_b64 exec, exec, s[76:77]
.LBB120_73:                             ;   in Loop: Header=BB120_21 Depth=1
	s_or_b64 exec, exec, s[62:63]
	v_add_u32_e32 v8, s81, v0
	v_cmp_gt_u32_e32 vcc, s65, v8
	s_and_saveexec_b64 s[24:25], vcc
	s_cbranch_execz .LBB120_77
; %bb.74:                               ;   in Loop: Header=BB120_21 Depth=1
	s_and_b32 s8, s13, 0xfe
	v_lshlrev_b32_e32 v17, 2, v8
	s_mov_b64 s[26:27], 0
.LBB120_75:                             ;   Parent Loop BB120_21 Depth=1
                                        ; =>  This Inner Loop Header: Depth=2
	ds_read_b32 v18, v17
	v_add_u32_e32 v8, s59, v8
	v_cmp_le_u32_e32 vcc, s65, v8
	v_add_u32_e32 v17, s80, v17
	s_waitcnt lgkmcnt(0)
	v_cmp_lt_i32_e64 s[14:15], -1, v18
	v_cndmask_b32_e64 v34, -1, v32, s[14:15]
	v_xor_b32_e32 v34, v34, v18
	v_cmp_o_f32_e64 s[14:15], v18, v18
	v_cndmask_b32_e64 v18, -1, v34, s[14:15]
	v_and_b32_e32 v34, s69, v18
	v_bfe_u32 v18, v18, s8, 2
	v_cmp_eq_u32_e64 s[14:15], s2, v34
	v_cmp_eq_u32_e64 s[16:17], 0, v18
	v_cmp_eq_u32_e64 s[18:19], 1, v18
	s_and_b64 s[16:17], s[14:15], s[16:17]
	v_cmp_eq_u32_e64 s[20:21], 2, v18
	v_cmp_eq_u32_e64 s[22:23], 3, v18
	v_cndmask_b32_e64 v18, 0, 1, s[16:17]
	s_and_b64 s[16:17], s[14:15], s[18:19]
	v_cndmask_b32_e64 v34, 0, 1, s[16:17]
	s_and_b64 s[16:17], s[14:15], s[20:21]
	s_and_b64 s[14:15], s[14:15], s[22:23]
	v_cndmask_b32_e64 v35, 0, 1, s[16:17]
	v_cndmask_b32_e64 v36, 0, 1, s[14:15]
	v_cmp_ne_u32_e64 s[14:15], 0, v18
	v_cmp_ne_u32_e64 s[16:17], 0, v34
	;; [unrolled: 1-line block ×4, first 2 shown]
	s_bcnt1_i32_b64 s9, s[14:15]
	s_bcnt1_i32_b64 s14, s[16:17]
	;; [unrolled: 1-line block ×4, first 2 shown]
	v_add_u32_e32 v2, s9, v2
	v_add_u32_e32 v3, s14, v3
	;; [unrolled: 1-line block ×3, first 2 shown]
	s_or_b64 s[26:27], vcc, s[26:27]
	v_add_u32_e32 v5, s16, v5
	s_andn2_b64 exec, exec, s[26:27]
	s_cbranch_execnz .LBB120_75
; %bb.76:                               ;   in Loop: Header=BB120_21 Depth=1
	s_or_b64 exec, exec, s[26:27]
	s_or_b64 s[60:61], s[60:61], exec
.LBB120_77:                             ;   in Loop: Header=BB120_21 Depth=1
	s_or_b64 exec, exec, s[24:25]
.LBB120_78:                             ;   in Loop: Header=BB120_21 Depth=1
	s_and_saveexec_b64 s[14:15], s[60:61]
	s_or_b64 exec, exec, s[14:15]
	s_lshl_b32 s8, s68, 6
	s_and_saveexec_b64 s[14:15], s[4:5]
	s_cbranch_execz .LBB120_80
; %bb.79:                               ;   in Loop: Header=BB120_21 Depth=1
	v_or_b32_e32 v8, s8, v22
	v_lshlrev_b32_e32 v8, 2, v8
	s_waitcnt vmcnt(0)
	ds_write_b128 v8, v[2:5] offset:3072
.LBB120_80:                             ;   in Loop: Header=BB120_21 Depth=1
	s_or_b64 exec, exec, s[14:15]
	s_waitcnt lgkmcnt(0)
	s_barrier
	s_and_saveexec_b64 s[14:15], s[66:67]
	s_cbranch_execz .LBB120_94
; %bb.81:                               ;   in Loop: Header=BB120_21 Depth=1
	v_readlane_b32 s16, v50, 12
	v_readlane_b32 s17, v50, 13
	v_add_u32_e32 v4, s8, v13
	s_andn2_b64 vcc, exec, s[16:17]
	s_waitcnt vmcnt(0)
	v_mov_b32_e32 v2, 0
	s_cbranch_vccnz .LBB120_93
; %bb.82:                               ;   in Loop: Header=BB120_21 Depth=1
	v_readlane_b32 s16, v50, 16
	v_readlane_b32 s17, v50, 17
	s_mov_b32 s9, 0
	s_and_b64 vcc, exec, s[16:17]
	v_mov_b32_e32 v2, 0
	s_cbranch_vccz .LBB120_86
; %bb.83:                               ;   in Loop: Header=BB120_21 Depth=1
	v_readlane_b32 s16, v50, 18
	v_readlane_b32 s17, v50, 19
	v_lshl_add_u32 v5, v4, 2, v33
	s_andn2_b64 vcc, exec, s[16:17]
	s_cbranch_vccnz .LBB120_87
; %bb.84:                               ;   in Loop: Header=BB120_21 Depth=1
	s_mov_b32 s17, 1
	s_mov_b32 s16, 0
	v_mov_b32_e32 v2, 0
	v_readlane_b32 s9, v50, 20
	v_mov_b32_e32 v3, 0
.LBB120_85:                             ;   Parent Loop BB120_21 Depth=1
                                        ; =>  This Inner Loop Header: Depth=2
	v_lshl_add_u32 v8, s16, 4, v5
	v_lshl_add_u32 v17, s17, 4, v5
	ds_read2_b32 v[34:35], v8 offset1:8
	ds_read2_b32 v[36:37], v17 offset1:8
	ds_read2_b32 v[38:39], v8 offset0:16 offset1:24
	ds_read2_b32 v[40:41], v17 offset0:16 offset1:24
	;; [unrolled: 1-line block ×6, first 2 shown]
	s_waitcnt lgkmcnt(7)
	v_add3_u32 v2, v34, v2, v35
	s_waitcnt lgkmcnt(6)
	v_add3_u32 v3, v36, v3, v37
	;; [unrolled: 2-line block ×3, first 2 shown]
	v_add3_u32 v2, v38, v2, v39
	s_add_i32 s17, s17, 16
	s_add_i32 s16, s16, 16
	s_add_i32 s9, s9, -8
	s_waitcnt lgkmcnt(3)
	v_add3_u32 v2, v42, v2, v43
	s_waitcnt lgkmcnt(2)
	v_add3_u32 v3, v44, v3, v45
	s_cmp_lg_u32 s9, 0
	s_waitcnt lgkmcnt(0)
	v_add3_u32 v3, v48, v3, v49
	v_add3_u32 v2, v46, v2, v47
	s_cbranch_scc1 .LBB120_85
	s_branch .LBB120_88
.LBB120_86:                             ;   in Loop: Header=BB120_21 Depth=1
	s_cbranch_execnz .LBB120_91
	s_branch .LBB120_93
.LBB120_87:                             ;   in Loop: Header=BB120_21 Depth=1
	s_mov_b32 s65, s64
	v_pk_mov_b32 v[2:3], s[64:65], s[64:65] op_sel:[0,1]
	s_mov_b32 s65, 1
	s_mov_b64 s[16:17], s[64:65]
.LBB120_88:                             ;   in Loop: Header=BB120_21 Depth=1
	v_readlane_b32 s18, v50, 22
	v_readlane_b32 s19, v50, 23
	s_andn2_b64 vcc, exec, s[18:19]
	v_readlane_b32 s9, v50, 21
	s_cbranch_vccnz .LBB120_90
.LBB120_89:                             ;   Parent Loop BB120_21 Depth=1
                                        ; =>  This Inner Loop Header: Depth=2
	v_lshl_add_u32 v8, s16, 4, v5
	v_lshl_add_u32 v17, s17, 4, v5
	ds_read_b32 v17, v17
	ds_read_b32 v8, v8
	s_add_i32 s17, s17, 2
	s_add_i32 s16, s16, 2
	s_add_i32 s9, s9, -1
	s_cmp_lg_u32 s9, 0
	s_waitcnt lgkmcnt(1)
	v_add_u32_e32 v3, v17, v3
	s_waitcnt lgkmcnt(0)
	v_add_u32_e32 v2, v8, v2
	s_cbranch_scc1 .LBB120_89
.LBB120_90:                             ;   in Loop: Header=BB120_21 Depth=1
	v_readlane_b32 s16, v50, 26
	v_add_u32_e32 v2, v2, v3
	v_readlane_b32 s9, v50, 25
	v_readlane_b32 s17, v50, 27
	s_and_b64 vcc, exec, s[16:17]
	s_cbranch_vccz .LBB120_93
.LBB120_91:                             ;   in Loop: Header=BB120_21 Depth=1
	s_lshl_b32 s16, s68, 8
	s_lshl_b32 s17, s9, 4
	s_add_i32 s16, s16, s17
	v_add_u32_e32 v3, s16, v31
	v_readlane_b32 s16, v50, 24
	s_sub_i32 s9, s16, s9
.LBB120_92:                             ;   Parent Loop BB120_21 Depth=1
                                        ; =>  This Inner Loop Header: Depth=2
	ds_read_b32 v5, v3
	s_add_i32 s9, s9, -1
	v_add_u32_e32 v3, 16, v3
	s_cmp_eq_u32 s9, 0
	s_waitcnt lgkmcnt(0)
	v_add_u32_e32 v2, v5, v2
	s_cbranch_scc0 .LBB120_92
.LBB120_93:                             ;   in Loop: Header=BB120_21 Depth=1
	v_lshlrev_b32_e32 v3, 2, v4
	ds_write_b32 v3, v2 offset:3072
.LBB120_94:                             ;   in Loop: Header=BB120_21 Depth=1
	s_or_b64 exec, exec, s[14:15]
	s_lshl_b32 s8, s8, 2
	s_waitcnt vmcnt(0)
	v_mov_b32_e32 v2, s8
	s_waitcnt lgkmcnt(0)
	s_barrier
	ds_read_b128 v[2:5], v2 offset:3072
	s_and_b32 s43, s13, 0xfe
	s_lshl_b32 s51, 3, s43
	s_not_b32 s44, s51
	s_mov_b64 s[18:19], -1
	s_waitcnt lgkmcnt(0)
	v_readfirstlane_b32 s28, v2
	s_cmp_eq_u32 s28, 1
	s_cselect_b64 s[8:9], -1, 0
	s_cmp_eq_u32 s3, 1
	s_cselect_b64 s[14:15], -1, 0
	s_and_b64 s[20:21], s[8:9], s[14:15]
	v_readfirstlane_b32 s34, v3
	v_readfirstlane_b32 s42, v4
	;; [unrolled: 1-line block ×3, first 2 shown]
	s_and_b64 vcc, exec, s[20:21]
	s_cbranch_vccz .LBB120_106
; %bb.95:                               ;   in Loop: Header=BB120_21 Depth=1
	ds_read_b32 v2, v9 offset:4104
	s_waitcnt lgkmcnt(0)
	s_barrier
	v_readfirstlane_b32 s8, v2
	s_and_saveexec_b64 s[14:15], s[6:7]
	s_cbranch_execz .LBB120_97
; %bb.96:                               ;   in Loop: Header=BB120_21 Depth=1
	ds_write_b32 v21, v9
.LBB120_97:                             ;   in Loop: Header=BB120_21 Depth=1
	s_or_b64 exec, exec, s[14:15]
	s_and_b32 s2, s2, s44
	s_or_b32 s69, s69, s51
	s_cmp_eq_u32 s8, 0
	s_waitcnt lgkmcnt(0)
	s_barrier
	s_cbranch_scc1 .LBB120_107
; %bb.98:                               ;   in Loop: Header=BB120_21 Depth=1
	v_readlane_b32 s9, v50, 9
	s_add_i32 s9, s8, s9
	v_readlane_b32 s14, v50, 30
	s_mul_hi_u32 s14, s9, s14
	s_mul_i32 s14, s14, s59
	s_sub_i32 s14, s9, s14
	s_sub_i32 s15, s14, s59
	s_cmp_ge_u32 s14, s59
	s_cselect_b32 s14, s15, s14
	s_sub_i32 s15, s14, s59
	s_cmp_ge_u32 s14, s59
	s_cselect_b32 s14, s15, s14
	s_sub_i32 s9, s9, s14
	v_cmp_gt_u32_e32 vcc, s9, v0
	s_mov_b64 s[14:15], 0
                                        ; implicit-def: $vgpr19
	s_and_saveexec_b64 s[16:17], vcc
	s_cbranch_execz .LBB120_109
; %bb.99:                               ;   in Loop: Header=BB120_21 Depth=1
	s_mov_b64 s[22:23], 0
	v_mov_b32_e32 v2, v20
	v_mov_b32_e32 v3, v0
                                        ; implicit-def: $sgpr24_sgpr25
	s_branch .LBB120_101
.LBB120_100:                            ;   in Loop: Header=BB120_101 Depth=2
	s_or_b64 exec, exec, s[14:15]
	s_waitcnt lgkmcnt(0)
	s_barrier
	ds_read_b64 v[18:19], v9 offset:3072
	v_add_u32_e32 v3, s59, v3
	v_cmp_le_u32_e64 s[14:15], s9, v3
	v_add_u32_e32 v2, s80, v2
	s_waitcnt lgkmcnt(0)
	v_cmp_neq_f32_e32 vcc, 0, v18
	s_or_b64 s[14:15], s[14:15], vcc
	s_and_b64 s[14:15], exec, s[14:15]
	s_or_b64 s[22:23], s[14:15], s[22:23]
	s_andn2_b64 s[14:15], s[24:25], exec
	s_and_b64 s[24:25], vcc, exec
	s_or_b64 s[24:25], s[14:15], s[24:25]
	s_barrier
	s_andn2_b64 exec, exec, s[22:23]
	s_cbranch_execz .LBB120_108
.LBB120_101:                            ;   Parent Loop BB120_21 Depth=1
                                        ; =>  This Inner Loop Header: Depth=2
	v_cmp_gt_u32_e32 vcc, s8, v3
	v_mov_b32_e32 v17, 0
	s_and_saveexec_b64 s[14:15], vcc
	s_cbranch_execz .LBB120_103
; %bb.102:                              ;   in Loop: Header=BB120_101 Depth=2
	ds_read_b32 v17, v2
.LBB120_103:                            ;   in Loop: Header=BB120_101 Depth=2
	s_or_b64 exec, exec, s[14:15]
	s_and_saveexec_b64 s[14:15], vcc
	s_cbranch_execz .LBB120_100
; %bb.104:                              ;   in Loop: Header=BB120_101 Depth=2
	s_waitcnt lgkmcnt(0)
	v_cmp_lt_i32_e32 vcc, -1, v17
	v_cndmask_b32_e32 v4, -1, v32, vcc
	v_xor_b32_e32 v4, v4, v17
	v_cmp_o_f32_e32 vcc, v17, v17
	v_cndmask_b32_e32 v4, -1, v4, vcc
	v_and_b32_e32 v4, s69, v4
	v_cmp_eq_u32_e32 vcc, s2, v4
	s_and_b64 exec, exec, vcc
	s_cbranch_execz .LBB120_100
; %bb.105:                              ;   in Loop: Header=BB120_101 Depth=2
	ds_write_b64 v9, v[16:17] offset:3072
	s_branch .LBB120_100
.LBB120_106:                            ;   in Loop: Header=BB120_21 Depth=1
	s_mov_b64 s[14:15], -1
                                        ; implicit-def: $sgpr16_sgpr17
                                        ; implicit-def: $sgpr24_sgpr25
                                        ; implicit-def: $sgpr22_sgpr23
	s_branch .LBB120_120
.LBB120_107:                            ;   in Loop: Header=BB120_21 Depth=1
	s_mov_b64 s[16:17], -1
	s_mov_b64 s[14:15], 0
                                        ; implicit-def: $sgpr22_sgpr23
                                        ; implicit-def: $vgpr19
	s_mov_b64 s[24:25], s[16:17]
	s_cbranch_execnz .LBB120_110
	s_branch .LBB120_120
.LBB120_108:                            ;   in Loop: Header=BB120_21 Depth=1
	s_or_b64 exec, exec, s[22:23]
	s_and_b64 s[14:15], s[24:25], exec
.LBB120_109:                            ;   in Loop: Header=BB120_21 Depth=1
	s_or_b64 exec, exec, s[16:17]
	s_mov_b64 s[22:23], -1
	s_mov_b64 s[16:17], 0
	s_mov_b64 s[24:25], s[16:17]
	s_branch .LBB120_120
.LBB120_110:                            ;   in Loop: Header=BB120_21 Depth=1
	s_mov_b64 s[14:15], 0
                                        ; implicit-def: $vgpr19
	s_mov_b64 s[16:17], exec
	v_readlane_b32 s8, v50, 31
	v_readlane_b32 s9, v50, 32
	s_and_b64 s[8:9], s[16:17], s[8:9]
	s_mov_b64 exec, s[8:9]
	s_cbranch_execz .LBB120_119
; %bb.111:                              ;   in Loop: Header=BB120_21 Depth=1
	s_mov_b64 s[22:23], 0
	v_mov_b32_e32 v8, v6
	v_mov_b32_e32 v2, v0
                                        ; implicit-def: $sgpr24_sgpr25
	s_branch .LBB120_113
.LBB120_112:                            ;   in Loop: Header=BB120_113 Depth=2
	s_or_b64 exec, exec, s[14:15]
	s_waitcnt lgkmcnt(0)
	s_barrier
	ds_read_b64 v[18:19], v9 offset:3072
	v_add_u32_e32 v2, s59, v2
	v_cmp_le_u32_e64 s[14:15], s74, v2
	v_add_u32_e32 v8, s78, v8
	s_waitcnt lgkmcnt(0)
	v_cmp_neq_f32_e32 vcc, 0, v18
	s_or_b64 s[8:9], s[14:15], vcc
	s_and_b64 s[8:9], exec, s[8:9]
	s_or_b64 s[22:23], s[8:9], s[22:23]
	s_andn2_b64 s[8:9], s[24:25], exec
	s_and_b64 s[14:15], vcc, exec
	s_or_b64 s[24:25], s[8:9], s[14:15]
	s_barrier
	s_andn2_b64 exec, exec, s[22:23]
	s_cbranch_execz .LBB120_118
.LBB120_113:                            ;   Parent Loop BB120_21 Depth=1
                                        ; =>  This Inner Loop Header: Depth=2
	v_cmp_gt_u32_e32 vcc, s56, v2
	s_waitcnt vmcnt(0)
	v_mov_b32_e32 v17, 0
	s_and_saveexec_b64 s[26:27], vcc
	s_cbranch_execz .LBB120_115
; %bb.114:                              ;   in Loop: Header=BB120_113 Depth=2
	v_lshlrev_b64 v[4:5], 2, v[8:9]
	v_mov_b32_e32 v3, s33
	v_add_co_u32_e64 v4, s[14:15], s57, v4
	v_addc_co_u32_e64 v5, s[14:15], v3, v5, s[14:15]
	global_load_dword v17, v[4:5], off
.LBB120_115:                            ;   in Loop: Header=BB120_113 Depth=2
	s_or_b64 exec, exec, s[26:27]
	s_and_saveexec_b64 s[14:15], vcc
	s_cbranch_execz .LBB120_112
; %bb.116:                              ;   in Loop: Header=BB120_113 Depth=2
	s_waitcnt vmcnt(0)
	v_cmp_lt_i32_e32 vcc, -1, v17
	v_cndmask_b32_e32 v3, -1, v32, vcc
	v_xor_b32_e32 v3, v3, v17
	v_cmp_o_f32_e32 vcc, v17, v17
	v_cndmask_b32_e32 v3, -1, v3, vcc
	v_and_b32_e32 v3, s69, v3
	v_cmp_eq_u32_e32 vcc, s2, v3
	s_and_b64 exec, exec, vcc
	s_cbranch_execz .LBB120_112
; %bb.117:                              ;   in Loop: Header=BB120_113 Depth=2
	ds_write_b64 v9, v[16:17] offset:3072
	s_branch .LBB120_112
.LBB120_118:                            ;   in Loop: Header=BB120_21 Depth=1
	s_or_b64 exec, exec, s[22:23]
	s_and_b64 s[14:15], s[24:25], exec
.LBB120_119:                            ;   in Loop: Header=BB120_21 Depth=1
	s_or_b64 exec, exec, s[16:17]
	s_mov_b64 s[24:25], -1
	s_mov_b64 s[16:17], 0
	s_mov_b64 s[22:23], 0
.LBB120_120:                            ;   in Loop: Header=BB120_21 Depth=1
	s_andn2_b64 s[8:9], s[94:95], exec
	s_and_b64 s[16:17], s[16:17], exec
	s_or_b64 s[94:95], s[8:9], s[16:17]
	s_andn2_b64 s[8:9], s[92:93], exec
	s_and_b64 s[16:17], s[24:25], exec
	s_or_b64 s[92:93], s[8:9], s[16:17]
	s_andn2_b64 s[8:9], s[90:91], exec
	s_and_b64 s[16:17], s[22:23], exec
	s_or_b64 s[90:91], s[8:9], s[16:17]
	s_and_saveexec_b64 s[16:17], s[14:15]
	s_cbranch_execz .LBB120_20
; %bb.121:                              ;   in Loop: Header=BB120_21 Depth=1
	s_xor_b64 s[8:9], s[20:21], -1
	s_mov_b64 s[14:15], 0
	s_andn2_b64 vcc, exec, s[8:9]
	s_mov_b32 s35, 1
	s_cbranch_vccnz .LBB120_132
; %bb.122:                              ;   in Loop: Header=BB120_21 Depth=1
	s_cmp_gt_u32 s3, s28
	s_mov_b64 s[14:15], -1
                                        ; implicit-def: $sgpr52
                                        ; implicit-def: $sgpr8
                                        ; implicit-def: $sgpr9
	s_cbranch_scc1 .LBB120_128
; %bb.123:                              ;   in Loop: Header=BB120_21 Depth=1
	ds_read_b32 v2, v9 offset:4104
	s_waitcnt lgkmcnt(0)
	v_cmp_ne_u32_e32 vcc, 0, v2
	s_cbranch_vccnz .LBB120_127
; %bb.124:                              ;   in Loop: Header=BB120_21 Depth=1
	s_mov_b64 s[14:15], exec
	v_readlane_b32 s8, v50, 5
	v_readlane_b32 s9, v50, 6
	s_and_b64 s[8:9], s[14:15], s[8:9]
	s_mov_b64 exec, s[8:9]
	s_cbranch_execz .LBB120_126
; %bb.125:                              ;   in Loop: Header=BB120_21 Depth=1
	v_mov_b32_e32 v2, s28
	ds_write_b32 v9, v2 offset:4108
.LBB120_126:                            ;   in Loop: Header=BB120_21 Depth=1
	s_or_b64 exec, exec, s[14:15]
	s_waitcnt lgkmcnt(0)
	s_barrier
.LBB120_127:                            ;   in Loop: Header=BB120_21 Depth=1
	s_and_b32 s8, s2, s44
	s_or_b32 s9, s69, s51
	s_mov_b64 s[14:15], 0
	s_mov_b32 s52, 8
.LBB120_128:                            ;   in Loop: Header=BB120_21 Depth=1
	s_andn2_b64 vcc, exec, s[14:15]
	s_cbranch_vccnz .LBB120_130
; %bb.129:                              ;   in Loop: Header=BB120_21 Depth=1
	s_sub_i32 s3, s3, s28
	s_mov_b64 s[14:15], -1
	s_mov_b32 s52, 0
	s_mov_b32 s8, s2
	;; [unrolled: 1-line block ×3, first 2 shown]
.LBB120_130:                            ;   in Loop: Header=BB120_21 Depth=1
	s_mov_b32 s69, s9
	s_mov_b32 s2, s8
	;; [unrolled: 1-line block ×3, first 2 shown]
	s_mov_b64 s[18:19], -1
	s_and_b64 vcc, exec, s[14:15]
	s_cbranch_vccnz .LBB120_133
.LBB120_131:                            ;   in Loop: Header=BB120_21 Depth=1
	s_mov_b64 s[30:31], -1
                                        ; implicit-def: $sgpr20_sgpr21
                                        ; implicit-def: $sgpr24_sgpr25
                                        ; implicit-def: $sgpr22_sgpr23
                                        ; implicit-def: $sgpr3
	s_and_saveexec_b64 s[8:9], s[30:31]
	s_xor_b64 s[14:15], exec, s[8:9]
	s_cbranch_execz .LBB120_19
	s_branch .LBB120_256
.LBB120_132:                            ;   in Loop: Header=BB120_21 Depth=1
	s_mov_b32 s52, 1
	s_mov_b64 s[18:19], -1
	s_and_b64 vcc, exec, s[14:15]
	s_cbranch_vccz .LBB120_131
.LBB120_133:                            ;   in Loop: Header=BB120_21 Depth=1
	s_cmp_eq_u32 s34, 1
	s_cselect_b64 s[8:9], -1, 0
	s_cmp_eq_u32 s35, 1
	s_cselect_b64 s[14:15], -1, 0
	s_and_b64 s[28:29], s[8:9], s[14:15]
	s_mov_b64 s[14:15], -1
	s_and_b64 vcc, exec, s[28:29]
	s_cbranch_vccz .LBB120_145
; %bb.134:                              ;   in Loop: Header=BB120_21 Depth=1
	ds_read_b32 v2, v9 offset:4104
	s_waitcnt lgkmcnt(0)
	s_barrier
	v_readfirstlane_b32 s3, v2
	s_and_saveexec_b64 s[14:15], s[6:7]
	s_cbranch_execz .LBB120_136
; %bb.135:                              ;   in Loop: Header=BB120_21 Depth=1
	ds_write_b32 v21, v9
.LBB120_136:                            ;   in Loop: Header=BB120_21 Depth=1
	s_or_b64 exec, exec, s[14:15]
	s_lshl_b32 s8, 1, s43
	s_and_b32 s2, s2, s44
	s_or_b32 s2, s2, s8
	s_or_b32 s69, s69, s51
	s_cmp_eq_u32 s3, 0
	s_waitcnt lgkmcnt(0)
	s_barrier
	s_cbranch_scc1 .LBB120_146
; %bb.137:                              ;   in Loop: Header=BB120_21 Depth=1
	v_readlane_b32 s8, v50, 9
	s_add_i32 s8, s3, s8
	v_readlane_b32 s9, v50, 30
	s_mul_hi_u32 s9, s8, s9
	s_mul_i32 s9, s9, s59
	s_sub_i32 s9, s8, s9
	s_sub_i32 s14, s9, s59
	s_cmp_ge_u32 s9, s59
	s_cselect_b32 s9, s14, s9
	s_sub_i32 s14, s9, s59
	s_cmp_ge_u32 s9, s59
	s_cselect_b32 s9, s14, s9
	s_sub_i32 s8, s8, s9
	v_cmp_gt_u32_e32 vcc, s8, v0
	s_mov_b64 s[14:15], 0
                                        ; implicit-def: $vgpr19
	s_and_saveexec_b64 s[20:21], vcc
	s_cbranch_execz .LBB120_148
; %bb.138:                              ;   in Loop: Header=BB120_21 Depth=1
	s_mov_b64 s[22:23], 0
	v_mov_b32_e32 v2, v20
	v_mov_b32_e32 v3, v0
                                        ; implicit-def: $sgpr24_sgpr25
	s_branch .LBB120_140
.LBB120_139:                            ;   in Loop: Header=BB120_140 Depth=2
	s_or_b64 exec, exec, s[14:15]
	s_waitcnt lgkmcnt(0)
	s_barrier
	ds_read_b64 v[18:19], v9 offset:3072
	v_add_u32_e32 v3, s59, v3
	v_cmp_le_u32_e64 s[14:15], s8, v3
	v_add_u32_e32 v2, s80, v2
	s_waitcnt lgkmcnt(0)
	v_cmp_neq_f32_e32 vcc, 0, v18
	s_or_b64 s[14:15], s[14:15], vcc
	s_and_b64 s[14:15], exec, s[14:15]
	s_or_b64 s[22:23], s[14:15], s[22:23]
	s_andn2_b64 s[14:15], s[24:25], exec
	s_and_b64 s[24:25], vcc, exec
	s_or_b64 s[24:25], s[14:15], s[24:25]
	s_barrier
	s_andn2_b64 exec, exec, s[22:23]
	s_cbranch_execz .LBB120_147
.LBB120_140:                            ;   Parent Loop BB120_21 Depth=1
                                        ; =>  This Inner Loop Header: Depth=2
	v_cmp_gt_u32_e32 vcc, s3, v3
	s_waitcnt vmcnt(0)
	v_mov_b32_e32 v17, 0
	s_and_saveexec_b64 s[14:15], vcc
	s_cbranch_execz .LBB120_142
; %bb.141:                              ;   in Loop: Header=BB120_140 Depth=2
	ds_read_b32 v17, v2
.LBB120_142:                            ;   in Loop: Header=BB120_140 Depth=2
	s_or_b64 exec, exec, s[14:15]
	s_and_saveexec_b64 s[14:15], vcc
	s_cbranch_execz .LBB120_139
; %bb.143:                              ;   in Loop: Header=BB120_140 Depth=2
	s_waitcnt lgkmcnt(0)
	v_cmp_lt_i32_e32 vcc, -1, v17
	v_cndmask_b32_e32 v4, -1, v32, vcc
	v_xor_b32_e32 v4, v4, v17
	v_cmp_o_f32_e32 vcc, v17, v17
	v_cndmask_b32_e32 v4, -1, v4, vcc
	v_and_b32_e32 v4, s69, v4
	v_cmp_eq_u32_e32 vcc, s2, v4
	s_and_b64 exec, exec, vcc
	s_cbranch_execz .LBB120_139
; %bb.144:                              ;   in Loop: Header=BB120_140 Depth=2
	ds_write_b64 v9, v[16:17] offset:3072
	s_branch .LBB120_139
.LBB120_145:                            ;   in Loop: Header=BB120_21 Depth=1
                                        ; implicit-def: $sgpr22_sgpr23
                                        ; implicit-def: $sgpr24_sgpr25
                                        ; implicit-def: $sgpr20_sgpr21
	s_branch .LBB120_159
.LBB120_146:                            ;   in Loop: Header=BB120_21 Depth=1
	s_mov_b64 s[22:23], -1
	s_mov_b64 s[14:15], 0
                                        ; implicit-def: $sgpr20_sgpr21
                                        ; implicit-def: $vgpr19
	s_mov_b64 s[24:25], s[22:23]
	s_cbranch_execnz .LBB120_149
	s_branch .LBB120_159
.LBB120_147:                            ;   in Loop: Header=BB120_21 Depth=1
	s_or_b64 exec, exec, s[22:23]
	s_and_b64 s[14:15], s[24:25], exec
.LBB120_148:                            ;   in Loop: Header=BB120_21 Depth=1
	s_or_b64 exec, exec, s[20:21]
	s_mov_b64 s[20:21], -1
	s_mov_b64 s[22:23], 0
	s_mov_b64 s[24:25], s[22:23]
	s_branch .LBB120_159
.LBB120_149:                            ;   in Loop: Header=BB120_21 Depth=1
	s_mov_b64 s[14:15], 0
                                        ; implicit-def: $vgpr19
	s_mov_b64 s[20:21], exec
	v_readlane_b32 s8, v50, 31
	v_readlane_b32 s9, v50, 32
	s_and_b64 s[8:9], s[20:21], s[8:9]
	s_mov_b64 exec, s[8:9]
	s_cbranch_execz .LBB120_158
; %bb.150:                              ;   in Loop: Header=BB120_21 Depth=1
	s_mov_b64 s[22:23], 0
	v_mov_b32_e32 v8, v6
	v_mov_b32_e32 v2, v0
                                        ; implicit-def: $sgpr24_sgpr25
	s_branch .LBB120_152
.LBB120_151:                            ;   in Loop: Header=BB120_152 Depth=2
	s_or_b64 exec, exec, s[14:15]
	s_waitcnt lgkmcnt(0)
	s_barrier
	ds_read_b64 v[18:19], v9 offset:3072
	v_add_u32_e32 v2, s59, v2
	v_cmp_le_u32_e64 s[14:15], s74, v2
	v_add_u32_e32 v8, s78, v8
	s_waitcnt lgkmcnt(0)
	v_cmp_neq_f32_e32 vcc, 0, v18
	s_or_b64 s[8:9], s[14:15], vcc
	s_and_b64 s[8:9], exec, s[8:9]
	s_or_b64 s[22:23], s[8:9], s[22:23]
	s_andn2_b64 s[8:9], s[24:25], exec
	s_and_b64 s[14:15], vcc, exec
	s_or_b64 s[24:25], s[8:9], s[14:15]
	s_barrier
	s_andn2_b64 exec, exec, s[22:23]
	s_cbranch_execz .LBB120_157
.LBB120_152:                            ;   Parent Loop BB120_21 Depth=1
                                        ; =>  This Inner Loop Header: Depth=2
	v_cmp_gt_u32_e32 vcc, s56, v2
	s_waitcnt vmcnt(0)
	v_mov_b32_e32 v17, 0
	s_and_saveexec_b64 s[26:27], vcc
	s_cbranch_execz .LBB120_154
; %bb.153:                              ;   in Loop: Header=BB120_152 Depth=2
	v_lshlrev_b64 v[4:5], 2, v[8:9]
	v_mov_b32_e32 v3, s33
	v_add_co_u32_e64 v4, s[14:15], s57, v4
	v_addc_co_u32_e64 v5, s[14:15], v3, v5, s[14:15]
	global_load_dword v17, v[4:5], off
.LBB120_154:                            ;   in Loop: Header=BB120_152 Depth=2
	s_or_b64 exec, exec, s[26:27]
	s_and_saveexec_b64 s[14:15], vcc
	s_cbranch_execz .LBB120_151
; %bb.155:                              ;   in Loop: Header=BB120_152 Depth=2
	s_waitcnt vmcnt(0)
	v_cmp_lt_i32_e32 vcc, -1, v17
	v_cndmask_b32_e32 v3, -1, v32, vcc
	v_xor_b32_e32 v3, v3, v17
	v_cmp_o_f32_e32 vcc, v17, v17
	v_cndmask_b32_e32 v3, -1, v3, vcc
	v_and_b32_e32 v3, s69, v3
	v_cmp_eq_u32_e32 vcc, s2, v3
	s_and_b64 exec, exec, vcc
	s_cbranch_execz .LBB120_151
; %bb.156:                              ;   in Loop: Header=BB120_152 Depth=2
	ds_write_b64 v9, v[16:17] offset:3072
	s_branch .LBB120_151
.LBB120_157:                            ;   in Loop: Header=BB120_21 Depth=1
	s_or_b64 exec, exec, s[22:23]
	s_and_b64 s[14:15], s[24:25], exec
.LBB120_158:                            ;   in Loop: Header=BB120_21 Depth=1
	s_or_b64 exec, exec, s[20:21]
	s_mov_b64 s[24:25], -1
	s_mov_b64 s[22:23], 0
	s_mov_b64 s[20:21], 0
.LBB120_159:                            ;   in Loop: Header=BB120_21 Depth=1
	s_mov_b64 s[30:31], 0
                                        ; implicit-def: $sgpr52
	s_and_saveexec_b64 s[26:27], s[14:15]
	s_cbranch_execz .LBB120_255
; %bb.160:                              ;   in Loop: Header=BB120_21 Depth=1
	s_xor_b64 s[8:9], s[28:29], -1
	s_mov_b64 s[14:15], 0
	s_andn2_b64 vcc, exec, s[8:9]
	s_mov_b32 s45, 1
	s_cbranch_vccnz .LBB120_171
; %bb.161:                              ;   in Loop: Header=BB120_21 Depth=1
	s_cmp_gt_u32 s35, s34
	s_mov_b64 s[14:15], -1
                                        ; implicit-def: $sgpr52
                                        ; implicit-def: $sgpr3
                                        ; implicit-def: $sgpr8
	s_cbranch_scc1 .LBB120_167
; %bb.162:                              ;   in Loop: Header=BB120_21 Depth=1
	ds_read_b32 v2, v9 offset:4104
	s_waitcnt lgkmcnt(0)
	v_cmp_ne_u32_e32 vcc, 0, v2
	s_cbranch_vccnz .LBB120_166
; %bb.163:                              ;   in Loop: Header=BB120_21 Depth=1
	s_mov_b64 s[14:15], exec
	v_readlane_b32 s8, v50, 5
	v_readlane_b32 s9, v50, 6
	s_and_b64 s[8:9], s[14:15], s[8:9]
	s_mov_b64 exec, s[8:9]
	s_cbranch_execz .LBB120_165
; %bb.164:                              ;   in Loop: Header=BB120_21 Depth=1
	v_mov_b32_e32 v2, s34
	ds_write_b32 v9, v2 offset:4108
.LBB120_165:                            ;   in Loop: Header=BB120_21 Depth=1
	s_or_b64 exec, exec, s[14:15]
	s_waitcnt lgkmcnt(0)
	s_barrier
.LBB120_166:                            ;   in Loop: Header=BB120_21 Depth=1
	s_lshl_b32 s3, 1, s43
	s_and_b32 s8, s2, s44
	s_or_b32 s3, s8, s3
	s_or_b32 s8, s69, s51
	s_mov_b64 s[14:15], 0
	s_mov_b32 s52, 8
.LBB120_167:                            ;   in Loop: Header=BB120_21 Depth=1
	s_andn2_b64 vcc, exec, s[14:15]
	s_cbranch_vccnz .LBB120_169
; %bb.168:                              ;   in Loop: Header=BB120_21 Depth=1
	s_sub_i32 s35, s35, s34
	s_mov_b64 s[14:15], -1
	s_mov_b32 s52, 0
	s_mov_b32 s3, s2
	;; [unrolled: 1-line block ×3, first 2 shown]
.LBB120_169:                            ;   in Loop: Header=BB120_21 Depth=1
	s_mov_b32 s69, s8
	s_mov_b32 s2, s3
	;; [unrolled: 1-line block ×3, first 2 shown]
	s_andn2_b64 vcc, exec, s[14:15]
	s_mov_b64 s[40:41], -1
	s_cbranch_vccz .LBB120_172
.LBB120_170:                            ;   in Loop: Header=BB120_21 Depth=1
                                        ; implicit-def: $sgpr30_sgpr31
                                        ; implicit-def: $sgpr34_sgpr35
                                        ; implicit-def: $sgpr28_sgpr29
	s_branch .LBB120_254
.LBB120_171:                            ;   in Loop: Header=BB120_21 Depth=1
	s_mov_b32 s52, 1
	s_andn2_b64 vcc, exec, s[14:15]
	s_mov_b64 s[40:41], -1
	s_cbranch_vccnz .LBB120_170
.LBB120_172:                            ;   in Loop: Header=BB120_21 Depth=1
	s_cmp_eq_u32 s42, 1
	s_cselect_b64 s[8:9], -1, 0
	s_cmp_eq_u32 s45, 1
	s_cselect_b64 s[14:15], -1, 0
	s_and_b64 s[38:39], s[8:9], s[14:15]
	s_mov_b64 s[14:15], -1
	s_and_b64 vcc, exec, s[38:39]
	s_cbranch_vccz .LBB120_184
; %bb.173:                              ;   in Loop: Header=BB120_21 Depth=1
	ds_read_b32 v2, v9 offset:4104
	s_waitcnt lgkmcnt(0)
	s_barrier
	v_readfirstlane_b32 s3, v2
	s_and_saveexec_b64 s[14:15], s[6:7]
	s_cbranch_execz .LBB120_175
; %bb.174:                              ;   in Loop: Header=BB120_21 Depth=1
	ds_write_b32 v21, v9
.LBB120_175:                            ;   in Loop: Header=BB120_21 Depth=1
	s_or_b64 exec, exec, s[14:15]
	s_lshl_b32 s8, 2, s43
	s_and_b32 s2, s2, s44
	s_or_b32 s2, s2, s8
	s_or_b32 s69, s69, s51
	s_cmp_eq_u32 s3, 0
	s_waitcnt lgkmcnt(0)
	s_barrier
	s_cbranch_scc1 .LBB120_185
; %bb.176:                              ;   in Loop: Header=BB120_21 Depth=1
	v_readlane_b32 s8, v50, 9
	s_add_i32 s8, s3, s8
	v_readlane_b32 s9, v50, 30
	s_mul_hi_u32 s9, s8, s9
	s_mul_i32 s9, s9, s59
	s_sub_i32 s9, s8, s9
	s_sub_i32 s14, s9, s59
	s_cmp_ge_u32 s9, s59
	s_cselect_b32 s9, s14, s9
	s_sub_i32 s14, s9, s59
	s_cmp_ge_u32 s9, s59
	s_cselect_b32 s9, s14, s9
	s_sub_i32 s8, s8, s9
	v_cmp_gt_u32_e32 vcc, s8, v0
	s_mov_b64 s[14:15], 0
                                        ; implicit-def: $vgpr19
	s_and_saveexec_b64 s[28:29], vcc
	s_cbranch_execz .LBB120_187
; %bb.177:                              ;   in Loop: Header=BB120_21 Depth=1
	v_mov_b32_e32 v2, v20
	v_mov_b32_e32 v3, v0
                                        ; implicit-def: $sgpr34_sgpr35
	s_branch .LBB120_179
.LBB120_178:                            ;   in Loop: Header=BB120_179 Depth=2
	s_or_b64 exec, exec, s[14:15]
	s_waitcnt lgkmcnt(0)
	s_barrier
	ds_read_b64 v[18:19], v9 offset:3072
	v_add_u32_e32 v3, s59, v3
	v_cmp_le_u32_e64 s[14:15], s8, v3
	v_add_u32_e32 v2, s80, v2
	s_waitcnt lgkmcnt(0)
	v_cmp_neq_f32_e32 vcc, 0, v18
	s_or_b64 s[14:15], s[14:15], vcc
	s_and_b64 s[14:15], exec, s[14:15]
	s_or_b64 s[30:31], s[14:15], s[30:31]
	s_andn2_b64 s[14:15], s[34:35], exec
	s_and_b64 s[34:35], vcc, exec
	s_or_b64 s[34:35], s[14:15], s[34:35]
	s_barrier
	s_andn2_b64 exec, exec, s[30:31]
	s_cbranch_execz .LBB120_186
.LBB120_179:                            ;   Parent Loop BB120_21 Depth=1
                                        ; =>  This Inner Loop Header: Depth=2
	v_cmp_gt_u32_e32 vcc, s3, v3
	s_waitcnt vmcnt(0)
	v_mov_b32_e32 v17, 0
	s_and_saveexec_b64 s[14:15], vcc
	s_cbranch_execz .LBB120_181
; %bb.180:                              ;   in Loop: Header=BB120_179 Depth=2
	ds_read_b32 v17, v2
.LBB120_181:                            ;   in Loop: Header=BB120_179 Depth=2
	s_or_b64 exec, exec, s[14:15]
	s_and_saveexec_b64 s[14:15], vcc
	s_cbranch_execz .LBB120_178
; %bb.182:                              ;   in Loop: Header=BB120_179 Depth=2
	s_waitcnt lgkmcnt(0)
	v_cmp_lt_i32_e32 vcc, -1, v17
	v_cndmask_b32_e32 v4, -1, v32, vcc
	v_xor_b32_e32 v4, v4, v17
	v_cmp_o_f32_e32 vcc, v17, v17
	v_cndmask_b32_e32 v4, -1, v4, vcc
	v_and_b32_e32 v4, s69, v4
	v_cmp_eq_u32_e32 vcc, s2, v4
	s_and_b64 exec, exec, vcc
	s_cbranch_execz .LBB120_178
; %bb.183:                              ;   in Loop: Header=BB120_179 Depth=2
	ds_write_b64 v9, v[16:17] offset:3072
	s_branch .LBB120_178
.LBB120_184:                            ;   in Loop: Header=BB120_21 Depth=1
                                        ; implicit-def: $sgpr28_sgpr29
                                        ; implicit-def: $sgpr34_sgpr35
                                        ; implicit-def: $sgpr30_sgpr31
	s_branch .LBB120_198
.LBB120_185:                            ;   in Loop: Header=BB120_21 Depth=1
	s_mov_b64 s[28:29], -1
	s_mov_b64 s[14:15], 0
                                        ; implicit-def: $sgpr30_sgpr31
                                        ; implicit-def: $vgpr19
	s_mov_b64 s[34:35], s[28:29]
	s_cbranch_execnz .LBB120_188
	s_branch .LBB120_198
.LBB120_186:                            ;   in Loop: Header=BB120_21 Depth=1
	s_or_b64 exec, exec, s[30:31]
	s_and_b64 s[14:15], s[34:35], exec
.LBB120_187:                            ;   in Loop: Header=BB120_21 Depth=1
	s_or_b64 exec, exec, s[28:29]
	s_mov_b64 s[30:31], -1
	s_mov_b64 s[28:29], 0
	s_mov_b64 s[34:35], s[28:29]
	s_branch .LBB120_198
.LBB120_188:                            ;   in Loop: Header=BB120_21 Depth=1
	s_mov_b64 s[14:15], 0
                                        ; implicit-def: $vgpr19
	s_mov_b64 s[28:29], exec
	v_readlane_b32 s8, v50, 31
	v_readlane_b32 s9, v50, 32
	s_and_b64 s[8:9], s[28:29], s[8:9]
	s_mov_b64 exec, s[8:9]
	s_cbranch_execz .LBB120_197
; %bb.189:                              ;   in Loop: Header=BB120_21 Depth=1
	s_mov_b64 s[30:31], 0
	v_mov_b32_e32 v8, v6
	v_mov_b32_e32 v2, v0
                                        ; implicit-def: $sgpr34_sgpr35
	s_branch .LBB120_191
.LBB120_190:                            ;   in Loop: Header=BB120_191 Depth=2
	s_or_b64 exec, exec, s[14:15]
	s_waitcnt lgkmcnt(0)
	s_barrier
	ds_read_b64 v[18:19], v9 offset:3072
	v_add_u32_e32 v2, s59, v2
	v_cmp_le_u32_e64 s[14:15], s74, v2
	v_add_u32_e32 v8, s78, v8
	s_waitcnt lgkmcnt(0)
	v_cmp_neq_f32_e32 vcc, 0, v18
	s_or_b64 s[8:9], s[14:15], vcc
	s_and_b64 s[8:9], exec, s[8:9]
	s_or_b64 s[30:31], s[8:9], s[30:31]
	s_andn2_b64 s[8:9], s[34:35], exec
	s_and_b64 s[14:15], vcc, exec
	s_or_b64 s[34:35], s[8:9], s[14:15]
	s_barrier
	s_andn2_b64 exec, exec, s[30:31]
	s_cbranch_execz .LBB120_196
.LBB120_191:                            ;   Parent Loop BB120_21 Depth=1
                                        ; =>  This Inner Loop Header: Depth=2
	v_cmp_gt_u32_e32 vcc, s56, v2
	s_waitcnt vmcnt(0)
	v_mov_b32_e32 v17, 0
	s_and_saveexec_b64 s[36:37], vcc
	s_cbranch_execz .LBB120_193
; %bb.192:                              ;   in Loop: Header=BB120_191 Depth=2
	v_lshlrev_b64 v[4:5], 2, v[8:9]
	v_mov_b32_e32 v3, s33
	v_add_co_u32_e64 v4, s[14:15], s57, v4
	v_addc_co_u32_e64 v5, s[14:15], v3, v5, s[14:15]
	global_load_dword v17, v[4:5], off
.LBB120_193:                            ;   in Loop: Header=BB120_191 Depth=2
	s_or_b64 exec, exec, s[36:37]
	s_and_saveexec_b64 s[14:15], vcc
	s_cbranch_execz .LBB120_190
; %bb.194:                              ;   in Loop: Header=BB120_191 Depth=2
	s_waitcnt vmcnt(0)
	v_cmp_lt_i32_e32 vcc, -1, v17
	v_cndmask_b32_e32 v3, -1, v32, vcc
	v_xor_b32_e32 v3, v3, v17
	v_cmp_o_f32_e32 vcc, v17, v17
	v_cndmask_b32_e32 v3, -1, v3, vcc
	v_and_b32_e32 v3, s69, v3
	v_cmp_eq_u32_e32 vcc, s2, v3
	s_and_b64 exec, exec, vcc
	s_cbranch_execz .LBB120_190
; %bb.195:                              ;   in Loop: Header=BB120_191 Depth=2
	ds_write_b64 v9, v[16:17] offset:3072
	s_branch .LBB120_190
.LBB120_196:                            ;   in Loop: Header=BB120_21 Depth=1
	s_or_b64 exec, exec, s[30:31]
	s_and_b64 s[14:15], s[34:35], exec
.LBB120_197:                            ;   in Loop: Header=BB120_21 Depth=1
	s_or_b64 exec, exec, s[28:29]
	s_mov_b64 s[34:35], -1
	s_mov_b64 s[28:29], 0
	s_mov_b64 s[30:31], 0
.LBB120_198:                            ;   in Loop: Header=BB120_21 Depth=1
	s_mov_b64 s[40:41], 0
                                        ; implicit-def: $sgpr52
	s_and_saveexec_b64 s[36:37], s[14:15]
	s_cbranch_execz .LBB120_253
; %bb.199:                              ;   in Loop: Header=BB120_21 Depth=1
	s_xor_b64 s[8:9], s[38:39], -1
	s_mov_b64 s[14:15], 0
	s_andn2_b64 vcc, exec, s[8:9]
	s_mov_b32 s3, 1
	s_cbranch_vccnz .LBB120_210
; %bb.200:                              ;   in Loop: Header=BB120_21 Depth=1
	s_cmp_gt_u32 s45, s42
	s_mov_b64 s[14:15], -1
                                        ; implicit-def: $sgpr52
                                        ; implicit-def: $sgpr3
                                        ; implicit-def: $sgpr8
	s_cbranch_scc1 .LBB120_206
; %bb.201:                              ;   in Loop: Header=BB120_21 Depth=1
	ds_read_b32 v2, v9 offset:4104
	s_waitcnt lgkmcnt(0)
	v_cmp_ne_u32_e32 vcc, 0, v2
	s_cbranch_vccnz .LBB120_205
; %bb.202:                              ;   in Loop: Header=BB120_21 Depth=1
	s_mov_b64 s[14:15], exec
	v_readlane_b32 s8, v50, 5
	v_readlane_b32 s9, v50, 6
	s_and_b64 s[8:9], s[14:15], s[8:9]
	s_mov_b64 exec, s[8:9]
	s_cbranch_execz .LBB120_204
; %bb.203:                              ;   in Loop: Header=BB120_21 Depth=1
	v_mov_b32_e32 v2, s42
	ds_write_b32 v9, v2 offset:4108
.LBB120_204:                            ;   in Loop: Header=BB120_21 Depth=1
	s_or_b64 exec, exec, s[14:15]
	s_waitcnt lgkmcnt(0)
	s_barrier
.LBB120_205:                            ;   in Loop: Header=BB120_21 Depth=1
	s_lshl_b32 s3, 2, s43
	s_and_b32 s8, s2, s44
	s_or_b32 s3, s8, s3
	s_or_b32 s8, s69, s51
	s_mov_b64 s[14:15], 0
	s_mov_b32 s52, 8
.LBB120_206:                            ;   in Loop: Header=BB120_21 Depth=1
	s_andn2_b64 vcc, exec, s[14:15]
	s_cbranch_vccnz .LBB120_208
; %bb.207:                              ;   in Loop: Header=BB120_21 Depth=1
	s_sub_i32 s45, s45, s42
	s_mov_b64 s[14:15], -1
	s_mov_b32 s52, 0
	s_mov_b32 s3, s2
	;; [unrolled: 1-line block ×3, first 2 shown]
.LBB120_208:                            ;   in Loop: Header=BB120_21 Depth=1
	s_mov_b32 s69, s8
	s_mov_b32 s2, s3
	;; [unrolled: 1-line block ×3, first 2 shown]
	s_andn2_b64 vcc, exec, s[14:15]
	s_mov_b64 s[48:49], -1
	s_cbranch_vccz .LBB120_211
.LBB120_209:                            ;   in Loop: Header=BB120_21 Depth=1
                                        ; implicit-def: $sgpr14_sgpr15
                                        ; implicit-def: $sgpr42_sgpr43
                                        ; implicit-def: $sgpr40_sgpr41
	s_branch .LBB120_252
.LBB120_210:                            ;   in Loop: Header=BB120_21 Depth=1
	s_mov_b32 s52, 1
	s_andn2_b64 vcc, exec, s[14:15]
	s_mov_b64 s[48:49], -1
	s_cbranch_vccnz .LBB120_209
.LBB120_211:                            ;   in Loop: Header=BB120_21 Depth=1
	s_cmp_eq_u32 s50, 1
	s_cselect_b64 s[8:9], -1, 0
	s_cmp_eq_u32 s3, 1
	s_cselect_b64 s[14:15], -1, 0
	s_and_b64 s[38:39], s[8:9], s[14:15]
	s_mov_b64 s[44:45], -1
	s_and_b64 vcc, exec, s[38:39]
	s_cbranch_vccz .LBB120_223
; %bb.212:                              ;   in Loop: Header=BB120_21 Depth=1
	ds_read_b32 v2, v9 offset:4104
	s_waitcnt lgkmcnt(0)
	s_barrier
	v_readfirstlane_b32 s8, v2
	s_and_saveexec_b64 s[14:15], s[6:7]
	s_cbranch_execz .LBB120_214
; %bb.213:                              ;   in Loop: Header=BB120_21 Depth=1
	ds_write_b32 v21, v9
.LBB120_214:                            ;   in Loop: Header=BB120_21 Depth=1
	s_or_b64 exec, exec, s[14:15]
	s_or_b32 s2, s2, s51
	s_or_b32 s69, s69, s51
	s_cmp_eq_u32 s8, 0
	s_waitcnt lgkmcnt(0)
	s_barrier
	s_cbranch_scc1 .LBB120_224
; %bb.215:                              ;   in Loop: Header=BB120_21 Depth=1
	v_readlane_b32 s9, v50, 9
	s_add_i32 s9, s8, s9
	v_readlane_b32 s14, v50, 30
	s_mul_hi_u32 s14, s9, s14
	s_mul_i32 s14, s14, s59
	s_sub_i32 s14, s9, s14
	s_sub_i32 s15, s14, s59
	s_cmp_ge_u32 s14, s59
	s_cselect_b32 s14, s15, s14
	s_sub_i32 s15, s14, s59
	s_cmp_ge_u32 s14, s59
	s_cselect_b32 s14, s15, s14
	s_sub_i32 s9, s9, s14
	v_cmp_gt_u32_e32 vcc, s9, v0
	s_mov_b64 s[44:45], 0
                                        ; implicit-def: $vgpr19
	s_and_saveexec_b64 s[40:41], vcc
	s_cbranch_execz .LBB120_226
; %bb.216:                              ;   in Loop: Header=BB120_21 Depth=1
	s_mov_b64 s[42:43], 0
	v_mov_b32_e32 v2, v20
	v_mov_b32_e32 v3, v0
                                        ; implicit-def: $sgpr44_sgpr45
	s_branch .LBB120_218
.LBB120_217:                            ;   in Loop: Header=BB120_218 Depth=2
	s_or_b64 exec, exec, s[14:15]
	s_waitcnt lgkmcnt(0)
	s_barrier
	ds_read_b64 v[18:19], v9 offset:3072
	v_add_u32_e32 v3, s59, v3
	v_cmp_le_u32_e64 s[14:15], s9, v3
	v_add_u32_e32 v2, s80, v2
	s_waitcnt lgkmcnt(0)
	v_cmp_neq_f32_e32 vcc, 0, v18
	s_or_b64 s[14:15], s[14:15], vcc
	s_and_b64 s[14:15], exec, s[14:15]
	s_or_b64 s[42:43], s[14:15], s[42:43]
	s_andn2_b64 s[14:15], s[44:45], exec
	s_and_b64 s[44:45], vcc, exec
	s_or_b64 s[44:45], s[14:15], s[44:45]
	s_barrier
	s_andn2_b64 exec, exec, s[42:43]
	s_cbranch_execz .LBB120_225
.LBB120_218:                            ;   Parent Loop BB120_21 Depth=1
                                        ; =>  This Inner Loop Header: Depth=2
	v_cmp_gt_u32_e32 vcc, s8, v3
	s_waitcnt vmcnt(0)
	v_mov_b32_e32 v17, 0
	s_and_saveexec_b64 s[14:15], vcc
	s_cbranch_execz .LBB120_220
; %bb.219:                              ;   in Loop: Header=BB120_218 Depth=2
	ds_read_b32 v17, v2
.LBB120_220:                            ;   in Loop: Header=BB120_218 Depth=2
	s_or_b64 exec, exec, s[14:15]
	s_and_saveexec_b64 s[14:15], vcc
	s_cbranch_execz .LBB120_217
; %bb.221:                              ;   in Loop: Header=BB120_218 Depth=2
	s_waitcnt lgkmcnt(0)
	v_cmp_lt_i32_e32 vcc, -1, v17
	v_cndmask_b32_e32 v4, -1, v32, vcc
	v_xor_b32_e32 v4, v4, v17
	v_cmp_o_f32_e32 vcc, v17, v17
	v_cndmask_b32_e32 v4, -1, v4, vcc
	v_and_b32_e32 v4, s69, v4
	v_cmp_eq_u32_e32 vcc, s2, v4
	s_and_b64 exec, exec, vcc
	s_cbranch_execz .LBB120_217
; %bb.222:                              ;   in Loop: Header=BB120_218 Depth=2
	ds_write_b64 v9, v[16:17] offset:3072
	s_branch .LBB120_217
.LBB120_223:                            ;   in Loop: Header=BB120_21 Depth=1
                                        ; implicit-def: $sgpr14_sgpr15
                                        ; implicit-def: $sgpr42_sgpr43
                                        ; implicit-def: $sgpr40_sgpr41
	s_branch .LBB120_237
.LBB120_224:                            ;   in Loop: Header=BB120_21 Depth=1
	s_mov_b64 s[14:15], -1
	s_mov_b64 s[44:45], 0
                                        ; implicit-def: $sgpr40_sgpr41
                                        ; implicit-def: $vgpr19
	s_mov_b64 s[42:43], s[14:15]
	s_cbranch_execnz .LBB120_227
	s_branch .LBB120_237
.LBB120_225:                            ;   in Loop: Header=BB120_21 Depth=1
	s_or_b64 exec, exec, s[42:43]
	s_and_b64 s[44:45], s[44:45], exec
.LBB120_226:                            ;   in Loop: Header=BB120_21 Depth=1
	s_or_b64 exec, exec, s[40:41]
	s_mov_b64 s[40:41], -1
	s_mov_b64 s[14:15], 0
	s_mov_b64 s[42:43], s[14:15]
	s_branch .LBB120_237
.LBB120_227:                            ;   in Loop: Header=BB120_21 Depth=1
	s_mov_b64 s[44:45], 0
                                        ; implicit-def: $vgpr19
	s_mov_b64 s[40:41], exec
	v_readlane_b32 s8, v50, 31
	v_readlane_b32 s9, v50, 32
	s_and_b64 s[8:9], s[40:41], s[8:9]
	s_mov_b64 exec, s[8:9]
	s_cbranch_execz .LBB120_236
; %bb.228:                              ;   in Loop: Header=BB120_21 Depth=1
	s_mov_b64 s[42:43], 0
	v_mov_b32_e32 v8, v6
	v_mov_b32_e32 v2, v0
                                        ; implicit-def: $sgpr44_sgpr45
	s_branch .LBB120_230
.LBB120_229:                            ;   in Loop: Header=BB120_230 Depth=2
	s_or_b64 exec, exec, s[14:15]
	s_waitcnt lgkmcnt(0)
	s_barrier
	ds_read_b64 v[18:19], v9 offset:3072
	v_add_u32_e32 v2, s59, v2
	v_cmp_le_u32_e64 s[14:15], s74, v2
	v_add_u32_e32 v8, s78, v8
	s_waitcnt lgkmcnt(0)
	v_cmp_neq_f32_e32 vcc, 0, v18
	s_or_b64 s[8:9], s[14:15], vcc
	s_and_b64 s[8:9], exec, s[8:9]
	s_or_b64 s[42:43], s[8:9], s[42:43]
	s_andn2_b64 s[8:9], s[44:45], exec
	s_and_b64 s[14:15], vcc, exec
	s_or_b64 s[44:45], s[8:9], s[14:15]
	s_barrier
	s_andn2_b64 exec, exec, s[42:43]
	s_cbranch_execz .LBB120_235
.LBB120_230:                            ;   Parent Loop BB120_21 Depth=1
                                        ; =>  This Inner Loop Header: Depth=2
	v_cmp_gt_u32_e32 vcc, s56, v2
	s_waitcnt vmcnt(0)
	v_mov_b32_e32 v17, 0
	s_and_saveexec_b64 s[46:47], vcc
	s_cbranch_execz .LBB120_232
; %bb.231:                              ;   in Loop: Header=BB120_230 Depth=2
	v_lshlrev_b64 v[4:5], 2, v[8:9]
	v_mov_b32_e32 v3, s33
	v_add_co_u32_e64 v4, s[14:15], s57, v4
	v_addc_co_u32_e64 v5, s[14:15], v3, v5, s[14:15]
	global_load_dword v17, v[4:5], off
.LBB120_232:                            ;   in Loop: Header=BB120_230 Depth=2
	s_or_b64 exec, exec, s[46:47]
	s_and_saveexec_b64 s[14:15], vcc
	s_cbranch_execz .LBB120_229
; %bb.233:                              ;   in Loop: Header=BB120_230 Depth=2
	s_waitcnt vmcnt(0)
	v_cmp_lt_i32_e32 vcc, -1, v17
	v_cndmask_b32_e32 v3, -1, v32, vcc
	v_xor_b32_e32 v3, v3, v17
	v_cmp_o_f32_e32 vcc, v17, v17
	v_cndmask_b32_e32 v3, -1, v3, vcc
	v_and_b32_e32 v3, s69, v3
	v_cmp_eq_u32_e32 vcc, s2, v3
	s_and_b64 exec, exec, vcc
	s_cbranch_execz .LBB120_229
; %bb.234:                              ;   in Loop: Header=BB120_230 Depth=2
	ds_write_b64 v9, v[16:17] offset:3072
	s_branch .LBB120_229
.LBB120_235:                            ;   in Loop: Header=BB120_21 Depth=1
	s_or_b64 exec, exec, s[42:43]
	s_and_b64 s[44:45], s[44:45], exec
.LBB120_236:                            ;   in Loop: Header=BB120_21 Depth=1
	s_or_b64 exec, exec, s[40:41]
	s_mov_b64 s[42:43], -1
	s_mov_b64 s[14:15], 0
	s_mov_b64 s[40:41], 0
.LBB120_237:                            ;   in Loop: Header=BB120_21 Depth=1
	s_mov_b64 s[48:49], 0
                                        ; implicit-def: $sgpr52
	s_and_saveexec_b64 s[46:47], s[44:45]
	s_cbranch_execz .LBB120_251
; %bb.238:                              ;   in Loop: Header=BB120_21 Depth=1
	s_xor_b64 s[8:9], s[38:39], -1
	s_andn2_b64 vcc, exec, s[8:9]
	s_mov_b32 s52, 1
	s_cbranch_vccnz .LBB120_245
; %bb.239:                              ;   in Loop: Header=BB120_21 Depth=1
	s_cmp_gt_u32 s3, s50
	s_cbranch_scc1 .LBB120_246
; %bb.240:                              ;   in Loop: Header=BB120_21 Depth=1
	ds_read_b32 v2, v9 offset:4104
	s_waitcnt lgkmcnt(0)
	v_cmp_ne_u32_e32 vcc, 0, v2
	s_cbranch_vccnz .LBB120_244
; %bb.241:                              ;   in Loop: Header=BB120_21 Depth=1
	s_mov_b64 s[38:39], exec
	v_readlane_b32 s8, v50, 5
	v_readlane_b32 s9, v50, 6
	s_and_b64 s[8:9], s[38:39], s[8:9]
	s_mov_b64 exec, s[8:9]
	s_cbranch_execz .LBB120_243
; %bb.242:                              ;   in Loop: Header=BB120_21 Depth=1
	v_mov_b32_e32 v2, s50
	ds_write_b32 v9, v2 offset:4108
.LBB120_243:                            ;   in Loop: Header=BB120_21 Depth=1
	s_or_b64 exec, exec, s[38:39]
	s_waitcnt lgkmcnt(0)
	s_barrier
.LBB120_244:                            ;   in Loop: Header=BB120_21 Depth=1
	s_or_b32 s8, s2, s51
	s_or_b32 s9, s69, s51
	s_mov_b64 s[38:39], 0
	s_mov_b32 s52, 8
	s_branch .LBB120_247
.LBB120_245:                            ;   in Loop: Header=BB120_21 Depth=1
	s_mov_b32 s3, 1
	s_branch .LBB120_250
.LBB120_246:                            ;   in Loop: Header=BB120_21 Depth=1
	s_mov_b64 s[38:39], -1
                                        ; implicit-def: $sgpr52
                                        ; implicit-def: $sgpr8
                                        ; implicit-def: $sgpr9
.LBB120_247:                            ;   in Loop: Header=BB120_21 Depth=1
	s_andn2_b64 vcc, exec, s[38:39]
	s_cbranch_vccnz .LBB120_249
; %bb.248:                              ;   in Loop: Header=BB120_21 Depth=1
	s_sub_i32 s3, s3, s50
	s_mov_b32 s52, 8
	s_mov_b32 s8, s2
	;; [unrolled: 1-line block ×3, first 2 shown]
.LBB120_249:                            ;   in Loop: Header=BB120_21 Depth=1
	s_mov_b32 s2, s8
	s_mov_b32 s69, s9
.LBB120_250:                            ;   in Loop: Header=BB120_21 Depth=1
	s_mov_b64 s[48:49], exec
.LBB120_251:                            ;   in Loop: Header=BB120_21 Depth=1
	s_or_b64 exec, exec, s[46:47]
.LBB120_252:                            ;   in Loop: Header=BB120_21 Depth=1
	s_andn2_b64 s[8:9], s[28:29], exec
	s_and_b64 s[14:15], s[14:15], exec
	s_or_b64 s[28:29], s[8:9], s[14:15]
	s_andn2_b64 s[8:9], s[34:35], exec
	s_and_b64 s[14:15], s[42:43], exec
	s_or_b64 s[34:35], s[8:9], s[14:15]
	;; [unrolled: 3-line block ×3, first 2 shown]
	s_and_b64 s[40:41], s[48:49], exec
	s_mov_b32 s45, s3
.LBB120_253:                            ;   in Loop: Header=BB120_21 Depth=1
	s_or_b64 exec, exec, s[36:37]
.LBB120_254:                            ;   in Loop: Header=BB120_21 Depth=1
	s_andn2_b64 s[8:9], s[22:23], exec
	s_and_b64 s[14:15], s[28:29], exec
	s_or_b64 s[22:23], s[8:9], s[14:15]
	s_andn2_b64 s[8:9], s[24:25], exec
	s_and_b64 s[14:15], s[34:35], exec
	s_or_b64 s[24:25], s[8:9], s[14:15]
	;; [unrolled: 3-line block ×3, first 2 shown]
	s_and_b64 s[30:31], s[40:41], exec
	s_mov_b32 s35, s45
.LBB120_255:                            ;   in Loop: Header=BB120_21 Depth=1
	s_or_b64 exec, exec, s[26:27]
                                        ; implicit-def: $sgpr3
	s_and_saveexec_b64 s[8:9], s[30:31]
	s_xor_b64 s[14:15], exec, s[8:9]
	s_cbranch_execz .LBB120_19
.LBB120_256:                            ;   in Loop: Header=BB120_21 Depth=1
	s_and_b32 s3, s52, -9
	s_cmp_eq_u32 s3, 0
	s_cbranch_scc1 .LBB120_17
; %bb.257:                              ;   in Loop: Header=BB120_21 Depth=1
	s_mov_b64 s[18:19], -1
                                        ; implicit-def: $sgpr69
                                        ; implicit-def: $sgpr35
                                        ; implicit-def: $sgpr13
                                        ; implicit-def: $sgpr68
	s_mov_b64 s[26:27], -1
	s_branch .LBB120_18
.LBB120_258:
	s_or_b64 exec, exec, s[82:83]
	s_xor_b64 s[8:9], s[88:89], -1
	s_xor_b64 s[2:3], s[84:85], -1
	;; [unrolled: 1-line block ×3, first 2 shown]
	s_mov_b64 s[4:5], 0
	s_and_saveexec_b64 s[10:11], s[2:3]
	s_xor_b64 s[2:3], exec, s[10:11]
	s_cbranch_execnz .LBB120_263
; %bb.259:
	s_andn2_saveexec_b64 s[0:1], s[2:3]
	s_cbranch_execnz .LBB120_276
.LBB120_260:
	s_or_b64 exec, exec, s[0:1]
	s_and_saveexec_b64 s[0:1], s[4:5]
.LBB120_261:
	; divergent unreachable
.LBB120_262:
	s_endpgm
.LBB120_263:
	s_and_saveexec_b64 s[4:5], s[8:9]
	s_xor_b64 s[4:5], exec, s[4:5]
	s_cbranch_execz .LBB120_274
; %bb.264:
	s_and_saveexec_b64 s[8:9], s[6:7]
	s_xor_b64 s[6:7], exec, s[8:9]
; %bb.265:
	v_bfrev_b32_e32 v1, 1
	v_cmp_lt_i32_e32 vcc, -1, v2
	v_cndmask_b32_e64 v1, v1, -1, vcc
	v_xor_b32_e32 v19, v1, v2
; %bb.266:
	s_or_b64 exec, exec, s[6:7]
	v_readlane_b32 s6, v50, 4
	v_readlane_b32 s7, v50, 8
	s_mul_i32 s6, s7, s6
	s_mov_b32 s7, 0
	s_lshl_b64 s[6:7], s[6:7], 2
	v_readlane_b32 s8, v50, 2
	v_readlane_b32 s9, v50, 3
	s_add_u32 s6, s8, s6
	s_addc_u32 s7, s9, s7
	v_mov_b32_e32 v7, 0
	global_store_dword v7, v19, s[6:7]
	s_and_saveexec_b64 s[6:7], s[0:1]
	s_cbranch_execz .LBB120_273
; %bb.267:
	v_cmp_u_f32_e32 vcc, v19, v19
	s_mov_b64 s[8:9], 0
	v_mov_b32_e32 v1, s33
	s_xor_b64 s[12:13], vcc, -1
                                        ; implicit-def: $sgpr10_sgpr11
                                        ; implicit-def: $sgpr16_sgpr17
                                        ; implicit-def: $sgpr14_sgpr15
	s_branch .LBB120_269
.LBB120_268:                            ;   in Loop: Header=BB120_269 Depth=1
	s_or_b64 exec, exec, s[0:1]
	s_and_b64 s[0:1], exec, s[16:17]
	s_or_b64 s[8:9], s[0:1], s[8:9]
	s_andn2_b64 s[0:1], s[10:11], exec
	s_and_b64 s[10:11], s[14:15], exec
	s_or_b64 s[10:11], s[0:1], s[10:11]
	s_andn2_b64 exec, exec, s[8:9]
	s_cbranch_execz .LBB120_271
.LBB120_269:                            ; =>This Inner Loop Header: Depth=1
	v_lshlrev_b64 v[2:3], 2, v[6:7]
	v_add_co_u32_e32 v2, vcc, s57, v2
	v_addc_co_u32_e32 v3, vcc, v1, v3, vcc
	global_load_dword v3, v[2:3], off
	v_mov_b32_e32 v2, v0
	s_or_b64 s[14:15], s[14:15], exec
	s_or_b64 s[16:17], s[16:17], exec
                                        ; implicit-def: $vgpr0
	s_waitcnt vmcnt(0)
	v_cmp_o_f32_e64 s[0:1], v3, v3
	v_cmp_neq_f32_e32 vcc, v3, v19
	s_or_b64 s[0:1], s[0:1], s[12:13]
	s_and_b64 s[18:19], vcc, s[0:1]
	s_and_saveexec_b64 s[0:1], s[18:19]
	s_cbranch_execz .LBB120_268
; %bb.270:                              ;   in Loop: Header=BB120_269 Depth=1
	v_add_u32_e32 v0, s59, v2
	v_cmp_le_u32_e32 vcc, s56, v0
	s_andn2_b64 s[16:17], s[16:17], exec
	s_and_b64 s[18:19], vcc, exec
	v_add_u32_e32 v6, s78, v6
	s_andn2_b64 s[14:15], s[14:15], exec
	s_or_b64 s[16:17], s[16:17], s[18:19]
	s_branch .LBB120_268
.LBB120_271:
	s_or_b64 exec, exec, s[8:9]
	s_and_saveexec_b64 s[0:1], s[10:11]
	s_xor_b64 s[0:1], exec, s[0:1]
	s_cbranch_execz .LBB120_273
; %bb.272:
	v_readlane_b32 s0, v50, 4
	v_readlane_b32 s1, v50, 7
	s_mul_i32 s0, s1, s0
	s_mov_b32 s1, 0
	s_lshl_b64 s[0:1], s[0:1], 3
	v_readlane_b32 s8, v50, 0
	v_readlane_b32 s9, v50, 1
	s_add_u32 s0, s8, s0
	s_addc_u32 s1, s9, s1
	v_mov_b32_e32 v3, 0
	global_store_dwordx2 v3, v[2:3], s[0:1]
.LBB120_273:
	s_or_b64 exec, exec, s[6:7]
.LBB120_274:
	s_or_saveexec_b64 s[0:1], s[4:5]
	s_mov_b64 s[4:5], 0
	s_xor_b64 exec, exec, s[0:1]
	s_cbranch_execnz .LBB120_277
.LBB120_275:
	s_or_b64 exec, exec, s[0:1]
	s_and_b64 s[4:5], s[4:5], exec
	s_andn2_saveexec_b64 s[0:1], s[2:3]
	s_cbranch_execz .LBB120_260
.LBB120_276:
	s_or_b64 s[4:5], s[4:5], exec
	s_trap 2
	s_or_b64 exec, exec, s[0:1]
	s_and_saveexec_b64 s[0:1], s[4:5]
	s_cbranch_execnz .LBB120_261
	s_branch .LBB120_262
.LBB120_277:
	s_mov_b64 s[4:5], exec
	s_trap 2
	s_branch .LBB120_275
	.section	.rodata,"a",@progbits
	.p2align	6, 0x0
	.amdhsa_kernel _ZN2at6native12_GLOBAL__N_112gatherMedianIfjLi1EEEvNS_4cuda6detail10TensorInfoIT_T0_EENS5_IlS7_EENS5_IKS6_S7_EES7_S7_S7_b
		.amdhsa_group_segment_fixed_size 4120
		.amdhsa_private_segment_fixed_size 0
		.amdhsa_kernarg_size 920
		.amdhsa_user_sgpr_count 6
		.amdhsa_user_sgpr_private_segment_buffer 1
		.amdhsa_user_sgpr_dispatch_ptr 0
		.amdhsa_user_sgpr_queue_ptr 0
		.amdhsa_user_sgpr_kernarg_segment_ptr 1
		.amdhsa_user_sgpr_dispatch_id 0
		.amdhsa_user_sgpr_flat_scratch_init 0
		.amdhsa_user_sgpr_kernarg_preload_length 0
		.amdhsa_user_sgpr_kernarg_preload_offset 0
		.amdhsa_user_sgpr_private_segment_size 0
		.amdhsa_uses_dynamic_stack 0
		.amdhsa_system_sgpr_private_segment_wavefront_offset 0
		.amdhsa_system_sgpr_workgroup_id_x 1
		.amdhsa_system_sgpr_workgroup_id_y 1
		.amdhsa_system_sgpr_workgroup_id_z 1
		.amdhsa_system_sgpr_workgroup_info 0
		.amdhsa_system_vgpr_workitem_id 0
		.amdhsa_next_free_vgpr 51
		.amdhsa_next_free_sgpr 96
		.amdhsa_accum_offset 52
		.amdhsa_reserve_vcc 1
		.amdhsa_reserve_flat_scratch 0
		.amdhsa_float_round_mode_32 0
		.amdhsa_float_round_mode_16_64 0
		.amdhsa_float_denorm_mode_32 3
		.amdhsa_float_denorm_mode_16_64 3
		.amdhsa_dx10_clamp 1
		.amdhsa_ieee_mode 1
		.amdhsa_fp16_overflow 0
		.amdhsa_tg_split 0
		.amdhsa_exception_fp_ieee_invalid_op 0
		.amdhsa_exception_fp_denorm_src 0
		.amdhsa_exception_fp_ieee_div_zero 0
		.amdhsa_exception_fp_ieee_overflow 0
		.amdhsa_exception_fp_ieee_underflow 0
		.amdhsa_exception_fp_ieee_inexact 0
		.amdhsa_exception_int_div_zero 0
	.end_amdhsa_kernel
	.section	.text._ZN2at6native12_GLOBAL__N_112gatherMedianIfjLi1EEEvNS_4cuda6detail10TensorInfoIT_T0_EENS5_IlS7_EENS5_IKS6_S7_EES7_S7_S7_b,"axG",@progbits,_ZN2at6native12_GLOBAL__N_112gatherMedianIfjLi1EEEvNS_4cuda6detail10TensorInfoIT_T0_EENS5_IlS7_EENS5_IKS6_S7_EES7_S7_S7_b,comdat
.Lfunc_end120:
	.size	_ZN2at6native12_GLOBAL__N_112gatherMedianIfjLi1EEEvNS_4cuda6detail10TensorInfoIT_T0_EENS5_IlS7_EENS5_IKS6_S7_EES7_S7_S7_b, .Lfunc_end120-_ZN2at6native12_GLOBAL__N_112gatherMedianIfjLi1EEEvNS_4cuda6detail10TensorInfoIT_T0_EENS5_IlS7_EENS5_IKS6_S7_EES7_S7_S7_b
                                        ; -- End function
	.section	.AMDGPU.csdata,"",@progbits
; Kernel info:
; codeLenInByte = 10240
; NumSgprs: 100
; NumVgprs: 51
; NumAgprs: 0
; TotalNumVgprs: 51
; ScratchSize: 0
; MemoryBound: 0
; FloatMode: 240
; IeeeMode: 1
; LDSByteSize: 4120 bytes/workgroup (compile time only)
; SGPRBlocks: 12
; VGPRBlocks: 6
; NumSGPRsForWavesPerEU: 100
; NumVGPRsForWavesPerEU: 51
; AccumOffset: 52
; Occupancy: 8
; WaveLimiterHint : 1
; COMPUTE_PGM_RSRC2:SCRATCH_EN: 0
; COMPUTE_PGM_RSRC2:USER_SGPR: 6
; COMPUTE_PGM_RSRC2:TRAP_HANDLER: 0
; COMPUTE_PGM_RSRC2:TGID_X_EN: 1
; COMPUTE_PGM_RSRC2:TGID_Y_EN: 1
; COMPUTE_PGM_RSRC2:TGID_Z_EN: 1
; COMPUTE_PGM_RSRC2:TIDIG_COMP_CNT: 0
; COMPUTE_PGM_RSRC3_GFX90A:ACCUM_OFFSET: 12
; COMPUTE_PGM_RSRC3_GFX90A:TG_SPLIT: 0
	.section	.text._ZN2at6native12_GLOBAL__N_112gatherMedianIfjLi2EEEvNS_4cuda6detail10TensorInfoIT_T0_EENS5_IlS7_EENS5_IKS6_S7_EES7_S7_S7_b,"axG",@progbits,_ZN2at6native12_GLOBAL__N_112gatherMedianIfjLi2EEEvNS_4cuda6detail10TensorInfoIT_T0_EENS5_IlS7_EENS5_IKS6_S7_EES7_S7_S7_b,comdat
	.globl	_ZN2at6native12_GLOBAL__N_112gatherMedianIfjLi2EEEvNS_4cuda6detail10TensorInfoIT_T0_EENS5_IlS7_EENS5_IKS6_S7_EES7_S7_S7_b ; -- Begin function _ZN2at6native12_GLOBAL__N_112gatherMedianIfjLi2EEEvNS_4cuda6detail10TensorInfoIT_T0_EENS5_IlS7_EENS5_IKS6_S7_EES7_S7_S7_b
	.p2align	8
	.type	_ZN2at6native12_GLOBAL__N_112gatherMedianIfjLi2EEEvNS_4cuda6detail10TensorInfoIT_T0_EENS5_IlS7_EENS5_IKS6_S7_EES7_S7_S7_b,@function
_ZN2at6native12_GLOBAL__N_112gatherMedianIfjLi2EEEvNS_4cuda6detail10TensorInfoIT_T0_EENS5_IlS7_EENS5_IKS6_S7_EES7_S7_S7_b: ; @_ZN2at6native12_GLOBAL__N_112gatherMedianIfjLi2EEEvNS_4cuda6detail10TensorInfoIT_T0_EENS5_IlS7_EENS5_IKS6_S7_EES7_S7_S7_b
; %bb.0:
	s_load_dwordx2 s[12:13], s[4:5], 0x298
	s_load_dwordx4 s[56:59], s[4:5], 0x288
	s_add_u32 s10, s4, 0x298
	s_addc_u32 s11, s5, 0
	s_waitcnt lgkmcnt(0)
	s_mul_i32 s0, s13, s8
	s_add_i32 s0, s0, s7
	s_mul_i32 s0, s0, s12
	s_add_i32 s14, s0, s6
	s_cmp_ge_u32 s14, s57
	s_cbranch_scc1 .LBB121_262
; %bb.1:
	s_load_dword s8, s[4:5], 0xc
	s_load_dword s9, s[4:5], 0xe4
	;; [unrolled: 1-line block ×3, first 2 shown]
	s_load_dwordx2 s[0:1], s[4:5], 0x1b0
	s_load_dwordx2 s[2:3], s[4:5], 0x144
                                        ; implicit-def: $vgpr50 : SGPR spill to VGPR lane
	s_waitcnt lgkmcnt(0)
	v_cvt_f32_u32_e32 v1, s8
	v_cvt_f32_u32_e32 v2, s9
                                        ; kill: killed $sgpr4 killed $sgpr5
	v_mul_lo_u32 v6, v0, s58
	v_writelane_b32 v50, s2, 0
	v_writelane_b32 v50, s3, 1
	s_load_dwordx2 s[2:3], s[4:5], 0xd8
	v_rcp_iflag_f32_e32 v1, v1
	v_rcp_iflag_f32_e32 v2, v2
	v_mul_f32_e32 v1, 0x4f7ffffe, v1
	s_waitcnt lgkmcnt(0)
	v_writelane_b32 v50, s2, 2
	v_writelane_b32 v50, s3, 3
	s_load_dwordx2 s[2:3], s[4:5], 0x6c
	v_cvt_u32_f32_e32 v1, v1
	v_mul_f32_e32 v2, 0x4f7ffffe, v2
	v_cvt_u32_f32_e32 v2, v2
	s_waitcnt lgkmcnt(0)
	v_writelane_b32 v50, s2, 4
	v_writelane_b32 v50, s3, 5
	s_load_dwordx2 s[2:3], s[4:5], 0x0
	s_waitcnt lgkmcnt(0)
	v_writelane_b32 v50, s2, 6
	v_writelane_b32 v50, s3, 7
	s_load_dwordx2 s[2:3], s[4:5], 0x21c
	v_writelane_b32 v50, s8, 8
	s_sub_i32 s4, 0, s8
	v_readfirstlane_b32 s8, v1
	v_cvt_f32_u32_e32 v1, s7
	s_mul_i32 s4, s4, s8
	s_mul_hi_u32 s4, s8, s4
	s_add_i32 s8, s8, s4
	v_rcp_iflag_f32_e32 v1, v1
	s_mul_hi_u32 s4, s14, s8
	v_writelane_b32 v50, s4, 9
	s_sub_i32 s4, 0, s9
	v_readfirstlane_b32 s8, v2
	v_mul_f32_e32 v1, 0x4f7ffffe, v1
	s_mul_i32 s4, s4, s8
	v_cvt_u32_f32_e32 v1, v1
	s_mul_hi_u32 s4, s8, s4
	s_add_i32 s8, s8, s4
	v_writelane_b32 v50, s9, 10
	s_mul_hi_u32 s4, s14, s8
	v_writelane_b32 v50, s4, 11
	s_sub_i32 s4, 0, s7
	v_readfirstlane_b32 s8, v1
	s_mul_i32 s4, s4, s8
	s_mul_hi_u32 s4, s8, s4
	s_add_i32 s8, s8, s4
	s_mul_hi_u32 s4, s14, s8
	s_mul_i32 s8, s4, s7
	s_sub_i32 s8, s14, s8
	s_add_i32 s9, s4, 1
	s_sub_i32 s13, s8, s7
	s_cmp_ge_u32 s8, s7
	s_cselect_b32 s4, s9, s4
	s_cselect_b32 s8, s13, s8
	s_add_i32 s9, s4, 1
	s_cmp_ge_u32 s8, s7
	s_cselect_b32 s4, s9, s4
	s_mul_i32 s7, s4, s7
	s_sub_i32 s7, s14, s7
	s_waitcnt lgkmcnt(0)
	s_mul_i32 s7, s7, s3
	s_mul_i32 s2, s4, s2
	s_mov_b32 s5, 0
	s_add_i32 s4, s2, s7
	s_lshl_b64 s[2:3], s[4:5], 2
	s_add_u32 s57, s0, s2
	v_writelane_b32 v50, s14, 12
	s_addc_u32 s82, s1, s3
	v_cmp_gt_u32_e64 s[0:1], s56, v0
	v_mov_b32_e32 v2, 0
	v_writelane_b32 v50, s0, 13
	v_writelane_b32 v50, s1, 14
	s_and_saveexec_b64 s[2:3], s[0:1]
	s_cbranch_execz .LBB121_5
; %bb.2:
	s_load_dword s7, s[10:11], 0xc
	v_mov_b32_e32 v5, 0
	v_mul_lo_u32 v4, v0, s58
	s_mov_b64 s[4:5], 0
	v_mov_b32_e32 v1, s82
	s_waitcnt lgkmcnt(0)
	s_and_b32 s7, s7, 0xffff
	s_mul_i32 s8, s58, s7
	v_mov_b32_e32 v2, v5
	v_mov_b32_e32 v3, v0
.LBB121_3:                              ; =>This Inner Loop Header: Depth=1
	v_lshlrev_b64 v[8:9], 2, v[4:5]
	v_add_co_u32_e32 v8, vcc, s57, v8
	v_addc_co_u32_e32 v9, vcc, v1, v9, vcc
	global_load_dword v7, v[8:9], off
	v_add_u32_e32 v3, s7, v3
	v_cmp_le_u32_e32 vcc, s56, v3
	s_or_b64 s[4:5], vcc, s[4:5]
	v_add_u32_e32 v4, s8, v4
	s_waitcnt vmcnt(0)
	v_cmp_u_f32_e32 vcc, v7, v7
	v_addc_co_u32_e32 v2, vcc, 0, v2, vcc
	s_andn2_b64 exec, exec, s[4:5]
	s_cbranch_execnz .LBB121_3
; %bb.4:
	s_or_b64 exec, exec, s[4:5]
.LBB121_5:
	s_or_b64 exec, exec, s[2:3]
	v_cmp_eq_u32_e64 s[2:3], 0, v0
	s_mov_b64 s[4:5], exec
	v_writelane_b32 v50, s2, 15
	v_writelane_b32 v50, s3, 16
	s_and_b64 s[2:3], s[4:5], s[2:3]
	s_mov_b64 exec, s[2:3]
	s_cbranch_execz .LBB121_7
; %bb.6:
	v_mov_b32_e32 v4, 0
	v_mov_b32_e32 v5, v4
	ds_write_b64 v4, v[4:5] offset:4096
.LBB121_7:
	s_or_b64 exec, exec, s[4:5]
	v_cmp_ne_u32_e32 vcc, 0, v2
	s_waitcnt lgkmcnt(0)
	s_barrier
	s_and_saveexec_b64 s[4:5], vcc
	s_cbranch_execz .LBB121_12
; %bb.8:
	s_mov_b64 s[14:15], exec
	v_mov_b32_e32 v1, 0
	s_mov_b64 s[8:9], 0
.LBB121_9:                              ; =>This Inner Loop Header: Depth=1
	s_ff1_i32_b64 s2, s[14:15]
	v_readlane_b32 s7, v2, s2
	v_readlane_b32 s3, v1, s2
	s_add_u32 s8, s8, s7
	s_addc_u32 s9, s9, s3
	s_lshl_b64 s[2:3], 1, s2
	s_andn2_b64 s[14:15], s[14:15], s[2:3]
	s_cmp_lg_u64 s[14:15], 0
	s_cbranch_scc1 .LBB121_9
; %bb.10:
	v_mbcnt_lo_u32_b32 v1, exec_lo, 0
	v_mbcnt_hi_u32_b32 v1, exec_hi, v1
	v_cmp_eq_u32_e32 vcc, 0, v1
	s_and_saveexec_b64 s[2:3], vcc
	s_xor_b64 s[2:3], exec, s[2:3]
	s_cbranch_execz .LBB121_12
; %bb.11:
	v_mov_b32_e32 v1, 0
	v_pk_mov_b32 v[2:3], s[8:9], s[8:9] op_sel:[0,1]
	ds_add_u64 v1, v[2:3] offset:4096
.LBB121_12:
	s_or_b64 exec, exec, s[4:5]
	v_mov_b32_e32 v1, 0
	s_waitcnt lgkmcnt(0)
	s_barrier
	ds_read_b64 v[2:3], v1 offset:4096
	s_bitcmp1_b32 s59, 0
	s_cselect_b64 s[2:3], -1, 0
	s_waitcnt lgkmcnt(0)
	v_cmp_gt_i64_e32 vcc, 1, v[2:3]
	s_or_b64 s[2:3], s[2:3], vcc
	s_andn2_b64 vcc, exec, s[2:3]
	s_mov_b32 s3, s56
	s_cbranch_vccnz .LBB121_14
; %bb.13:
	v_not_b32_e32 v1, v2
	v_not_b32_e32 v2, v3
	v_add_co_u32_e32 v1, vcc, s56, v1
	v_addc_co_u32_e32 v2, vcc, 0, v2, vcc
	v_lshrrev_b32_e32 v3, 31, v2
	v_add_co_u32_e32 v1, vcc, v1, v3
	v_addc_co_u32_e32 v2, vcc, 0, v2, vcc
	v_alignbit_b32 v1, v2, v1, 1
	v_readfirstlane_b32 s2, v1
	s_add_i32 s3, s2, 1
.LBB121_14:
	s_mov_b64 s[4:5], exec
	v_readlane_b32 s8, v50, 15
	v_readlane_b32 s9, v50, 16
	s_and_b64 s[8:9], s[4:5], s[8:9]
	s_mov_b64 exec, s[8:9]
	s_cbranch_execz .LBB121_16
; %bb.15:
	v_mov_b32_e32 v2, 0
	v_mov_b32_e32 v3, s56
	ds_write_b32 v2, v2 offset:4112
	ds_write_b64 v2, v[2:3] offset:4104
.LBB121_16:
	s_or_b64 exec, exec, s[4:5]
	s_waitcnt lgkmcnt(0)
	s_barrier
	s_load_dword s2, s[10:11], 0xc
	v_mbcnt_lo_u32_b32 v1, -1, 0
	v_mbcnt_hi_u32_b32 v13, -1, v1
	v_cmp_gt_u32_e32 vcc, 64, v0
	v_cmp_gt_i32_e64 s[4:5], 4, v13
	s_waitcnt lgkmcnt(0)
	s_and_b32 s59, s2, 0xffff
	s_bfe_u32 s13, s2, 0xa0006
	s_add_i32 s2, s59, -1
	s_lshl_b32 s85, s59, 2
	s_and_b64 s[70:71], vcc, s[4:5]
	v_writelane_b32 v50, s2, 17
	s_add_i32 s2, s2, s56
	s_cmpk_gt_u32 s56, 0x300
	s_cselect_b64 s[4:5], -1, 0
	s_cmp_gt_u32 s59, 63
	v_writelane_b32 v50, s4, 18
	s_cselect_b64 s[54:55], -1, 0
	s_cmp_lt_u32 s6, s12
	v_mov_b32_e32 v9, 0
	v_writelane_b32 v50, s5, 19
	s_cselect_b32 s4, 12, 18
	s_add_u32 s0, s10, s4
	v_mov_b32_e32 v7, v9
	s_addc_u32 s1, s11, 0
	s_add_i32 s8, s13, -2
	v_lshlrev_b64 v[2:3], 2, v[6:7]
	s_lshr_b32 s4, s8, 1
	v_mov_b32_e32 v7, s82
	v_add_co_u32_e32 v10, vcc, s57, v2
	s_add_i32 s9, s4, 1
	v_addc_co_u32_e32 v11, vcc, v7, v3, vcc
	v_lshlrev_b64 v[2:3], v13, -1
	v_writelane_b32 v50, s0, 20
	s_cmpk_gt_u32 s59, 0x7f
	v_not_b32_e32 v12, v2
	v_cvt_f32_u32_e32 v2, s85
	v_writelane_b32 v50, s1, 21
	s_cselect_b64 s[0:1], -1, 0
	v_writelane_b32 v50, s0, 22
	v_writelane_b32 v50, s1, 23
	s_and_b32 s0, s13, 0x3fe
	s_and_b32 s1, s9, 7
	s_cmp_gt_u32 s8, 13
	v_rcp_iflag_f32_e32 v2, v2
	s_cselect_b64 s[10:11], -1, 0
	v_writelane_b32 v50, s10, 24
	v_writelane_b32 v50, s11, 25
	s_and_b32 s8, s9, -8
	v_writelane_b32 v50, s8, 26
	s_cmp_lg_u32 s1, 0
	v_mul_f32_e32 v2, 0x4f7ffffe, v2
	v_writelane_b32 v50, s1, 27
	s_cselect_b64 s[8:9], -1, 0
	v_cvt_u32_f32_e32 v2, v2
	v_writelane_b32 v50, s8, 28
	v_writelane_b32 v50, s9, 29
	;; [unrolled: 1-line block ×3, first 2 shown]
	s_cmp_lg_u32 s0, s13
	v_writelane_b32 v50, s0, 31
	s_cselect_b64 s[0:1], -1, 0
	s_sub_i32 s8, 0, s85
	v_readfirstlane_b32 s9, v2
	v_cvt_f32_u32_e32 v2, s59
	s_mul_i32 s8, s8, s9
	s_mul_hi_u32 s8, s9, s8
	s_add_i32 s77, s9, s8
	s_mul_hi_u32 s8, s56, s77
	v_rcp_iflag_f32_e32 v5, v2
	s_mul_i32 s8, s8, s85
	s_sub_i32 s8, s56, s8
	s_sub_i32 s9, s8, s85
	s_cmp_ge_u32 s8, s85
	v_mul_f32_e32 v5, 0x4f7ffffe, v5
	s_cselect_b32 s8, s9, s8
	v_cvt_u32_f32_e32 v5, v5
	s_sub_i32 s9, s8, s85
	s_cmp_ge_u32 s8, s85
	s_cselect_b32 s8, s9, s8
	v_lshlrev_b32_e32 v20, 2, v0
	v_writelane_b32 v50, s0, 32
	s_sub_i32 s84, s56, s8
	s_sub_i32 s9, 0, s59
	v_readfirstlane_b32 s12, v5
	v_writelane_b32 v50, s1, 33
	v_cmp_gt_u32_e64 s[0:1], s84, v20
	s_mul_i32 s9, s9, s12
	v_writelane_b32 v50, s0, 34
	s_mul_hi_u32 s9, s12, s9
	v_writelane_b32 v50, s1, 35
	s_add_i32 s0, s12, s9
	s_mul_hi_u32 s9, s2, s0
	s_mul_i32 s9, s9, s59
	s_sub_i32 s9, s2, s9
	s_sub_i32 s12, s9, s59
	v_add_u32_e32 v24, s84, v0
	s_cmp_ge_u32 s9, s59
	v_lshrrev_b32_e32 v1, 4, v0
	v_mul_lo_u32 v8, v24, s58
	s_cselect_b32 s9, s12, s9
	v_and_b32_e32 v22, 60, v1
	v_not_b32_e32 v1, v3
	v_lshlrev_b64 v[2:3], 2, v[8:9]
	s_sub_i32 s12, s9, s59
	v_add_co_u32_e32 v14, vcc, s57, v2
	s_cmp_ge_u32 s9, s59
	v_mul_lo_u32 v2, s58, v20
	s_cselect_b32 s9, s12, s9
	v_add_u32_e32 v25, s58, v2
	v_or_b32_e32 v2, 2, v20
	s_sub_i32 s78, s2, s9
	v_mul_lo_u32 v26, s58, v2
	v_or_b32_e32 v2, 3, v20
	s_add_i32 s2, s59, s56
	v_mul_lo_u32 v27, s58, v2
	v_add_u32_e32 v2, s2, v0
	v_lshlrev_b32_e32 v4, 2, v13
	v_mov_b32_e32 v8, s82
	v_writelane_b32 v50, s0, 36
	v_cmp_gt_u32_e64 s[0:1], s78, v0
	s_mul_i32 s83, s58, s59
	v_subrev_u32_e32 v2, s8, v2
	s_mov_b32 s68, 0
	v_cmp_eq_u32_e64 s[4:5], 0, v13
	v_cmp_gt_u32_e64 s[6:7], 2, v0
	v_add_u32_e32 v21, 0xc00, v20
	v_and_b32_e32 v23, 0x100, v4
	v_cmp_gt_u32_e64 s[10:11], s56, v24
	v_addc_co_u32_e32 v15, vcc, v8, v3, vcc
	v_writelane_b32 v50, s0, 37
	s_lshl_b32 s79, s83, 2
	v_lshlrev_b32_e32 v28, 2, v6
	v_mul_lo_u32 v29, s58, v2
	v_lshlrev_b32_e32 v30, 4, v0
	s_lshl_b32 s12, s59, 4
	v_or_b32_e32 v31, 0xc00, v4
	s_mov_b32 s13, 30
	s_mov_b64 s[86:87], 0
	v_mov_b32_e32 v16, 1.0
	v_bfrev_b32_e32 v32, 1
	v_mov_b32_e32 v33, 0xc00
	v_mov_b32_e32 v19, 0
	s_mov_b32 s72, 0
	s_mov_b32 s2, 0
	;; [unrolled: 1-line block ×3, first 2 shown]
	v_writelane_b32 v50, s1, 38
                                        ; implicit-def: $sgpr88_sgpr89
                                        ; implicit-def: $sgpr92_sgpr93
                                        ; implicit-def: $sgpr90_sgpr91
                                        ; implicit-def: $sgpr94_sgpr95
                                        ; implicit-def: $sgpr60_sgpr61
                                        ; implicit-def: $sgpr62_sgpr63
	s_branch .LBB121_21
.LBB121_17:                             ;   in Loop: Header=BB121_21 Depth=1
	s_xor_b32 s72, s72, 1
	s_add_i32 s3, s13, -2
	s_cmp_eq_u32 s13, 0
	s_mov_b64 s[18:19], 0
	s_cselect_b64 s[26:27], -1, 0
	s_mov_b32 s13, s3
.LBB121_18:                             ;   in Loop: Header=BB121_21 Depth=1
	s_andn2_b64 s[8:9], s[22:23], exec
	s_and_b64 s[18:19], s[18:19], exec
	s_or_b64 s[22:23], s[8:9], s[18:19]
	s_andn2_b64 s[24:25], s[24:25], exec
	s_andn2_b64 s[20:21], s[20:21], exec
	s_orn2_b64 s[18:19], s[26:27], exec
	s_mov_b32 s3, s35
.LBB121_19:                             ;   in Loop: Header=BB121_21 Depth=1
	s_or_b64 exec, exec, s[14:15]
	s_andn2_b64 s[8:9], s[62:63], exec
	s_and_b64 s[14:15], s[22:23], exec
	s_or_b64 s[62:63], s[8:9], s[14:15]
	s_andn2_b64 s[8:9], s[60:61], exec
	s_and_b64 s[14:15], s[24:25], exec
	s_or_b64 s[60:61], s[8:9], s[14:15]
	;; [unrolled: 3-line block ×3, first 2 shown]
	s_orn2_b64 s[18:19], s[18:19], exec
.LBB121_20:                             ;   in Loop: Header=BB121_21 Depth=1
	s_or_b64 exec, exec, s[16:17]
	s_and_b64 s[8:9], exec, s[18:19]
	s_or_b64 s[86:87], s[8:9], s[86:87]
	s_andn2_b64 s[8:9], s[90:91], exec
	s_and_b64 s[14:15], s[62:63], exec
	s_or_b64 s[90:91], s[8:9], s[14:15]
	s_andn2_b64 s[8:9], s[92:93], exec
	s_and_b64 s[14:15], s[60:61], exec
	;; [unrolled: 3-line block ×3, first 2 shown]
	v_mov_b32_e32 v2, s2
	s_or_b64 s[88:89], s[8:9], s[14:15]
	s_andn2_b64 exec, exec, s[86:87]
	s_cbranch_execz .LBB121_258
.LBB121_21:                             ; =>This Loop Header: Depth=1
                                        ;     Child Loop BB121_29 Depth 2
                                        ;     Child Loop BB121_47 Depth 2
	;; [unrolled: 1-line block ×17, first 2 shown]
	ds_read_b64 v[2:3], v9 offset:4104
	s_waitcnt lgkmcnt(0)
	v_readfirstlane_b32 s69, v2
	s_cmp_lg_u32 s69, 0
	s_cbranch_scc1 .LBB121_54
; %bb.22:                               ;   in Loop: Header=BB121_21 Depth=1
	v_readlane_b32 s8, v50, 18
	v_readlane_b32 s9, v50, 19
	s_and_b64 vcc, exec, s[8:9]
	s_cbranch_vccz .LBB121_37
; %bb.23:                               ;   in Loop: Header=BB121_21 Depth=1
	s_movk_i32 s0, 0x301
	v_cmp_gt_u32_e32 vcc, s0, v3
	s_mov_b64 s[18:19], 0
	s_mov_b64 s[14:15], 0
	s_cbranch_vccz .LBB121_38
; %bb.24:                               ;   in Loop: Header=BB121_21 Depth=1
	v_readlane_b32 s0, v50, 13
	v_mov_b32_e32 v2, 0
	v_readlane_b32 s1, v50, 14
	s_and_saveexec_b64 s[14:15], s[0:1]
	s_cbranch_execz .LBB121_26
; %bb.25:                               ;   in Loop: Header=BB121_21 Depth=1
	global_load_dword v2, v[10:11], off
.LBB121_26:                             ;   in Loop: Header=BB121_21 Depth=1
	s_or_b64 exec, exec, s[14:15]
	v_readlane_b32 s0, v50, 13
	v_readlane_b32 s1, v50, 14
	s_and_saveexec_b64 s[20:21], s[0:1]
	s_cbranch_execz .LBB121_39
; %bb.27:                               ;   in Loop: Header=BB121_21 Depth=1
	v_readlane_b32 s0, v50, 20
	v_readlane_b32 s1, v50, 21
	s_mov_b64 s[22:23], 0
	s_nop 3
	global_load_ushort v3, v9, s[0:1]
	s_waitcnt vmcnt(0)
	v_add_u32_e32 v5, v0, v3
	v_mul_lo_u32 v4, s58, v3
	v_mul_lo_u32 v8, s58, v5
	v_mov_b32_e32 v5, v0
	s_branch .LBB121_29
.LBB121_28:                             ;   in Loop: Header=BB121_29 Depth=2
	s_or_b64 exec, exec, s[16:17]
	v_add_u32_e32 v8, v8, v4
	s_waitcnt vmcnt(0)
	v_mov_b32_e32 v2, v17
	s_andn2_b64 exec, exec, s[22:23]
	s_cbranch_execz .LBB121_39
.LBB121_29:                             ;   Parent Loop BB121_21 Depth=1
                                        ; =>  This Inner Loop Header: Depth=2
	v_add_u32_e32 v5, v5, v3
	v_cmp_gt_u32_e64 s[14:15], s56, v5
	v_cmp_le_u32_e32 vcc, s56, v5
	s_waitcnt lgkmcnt(0)
	v_mov_b32_e32 v18, 0
	v_mov_b32_e32 v17, 0
	s_and_saveexec_b64 s[16:17], s[14:15]
	s_cbranch_execz .LBB121_31
; %bb.30:                               ;   in Loop: Header=BB121_29 Depth=2
	v_lshlrev_b64 v[34:35], 2, v[8:9]
	v_add_co_u32_e64 v34, s[14:15], s57, v34
	v_addc_co_u32_e64 v35, s[14:15], v7, v35, s[14:15]
	global_load_dword v17, v[34:35], off
.LBB121_31:                             ;   in Loop: Header=BB121_29 Depth=2
	s_or_b64 exec, exec, s[16:17]
	v_cmp_lt_i32_e64 s[14:15], -1, v2
	v_cndmask_b32_e64 v34, -1, v32, s[14:15]
	v_xor_b32_e32 v34, v34, v2
	v_cmp_o_f32_e64 s[14:15], v2, v2
	v_cndmask_b32_e64 v34, -1, v34, s[14:15]
	v_and_b32_e32 v34, s73, v34
	v_cmp_eq_u32_e64 s[14:15], s2, v34
	s_cmp_lg_u64 s[14:15], 0
	s_cselect_b64 s[8:9], -1, 0
	s_and_b64 s[8:9], s[4:5], s[8:9]
	s_and_saveexec_b64 s[24:25], s[8:9]
	s_cbranch_execz .LBB121_35
; %bb.32:                               ;   in Loop: Header=BB121_29 Depth=2
	s_mov_b64 s[28:29], exec
	v_mbcnt_lo_u32_b32 v18, s28, 0
	v_mbcnt_hi_u32_b32 v18, s29, v18
	s_bcnt1_i32_b64 s8, s[14:15]
	v_cmp_eq_u32_e64 s[16:17], 0, v18
                                        ; implicit-def: $vgpr34
	s_and_saveexec_b64 s[26:27], s[16:17]
	s_cbranch_execz .LBB121_34
; %bb.33:                               ;   in Loop: Header=BB121_29 Depth=2
	s_bcnt1_i32_b64 s9, s[28:29]
	s_mul_i32 s9, s8, s9
	v_mov_b32_e32 v34, s9
	ds_add_rtn_u32 v34, v9, v34 offset:4112
.LBB121_34:                             ;   in Loop: Header=BB121_29 Depth=2
	s_or_b64 exec, exec, s[26:27]
	s_waitcnt lgkmcnt(0)
	v_readfirstlane_b32 s9, v34
	v_mov_b32_e32 v34, s9
	v_mad_u32_u24 v18, s8, v18, v34
.LBB121_35:                             ;   in Loop: Header=BB121_29 Depth=2
	s_or_b64 exec, exec, s[24:25]
	ds_bpermute_b32 v18, v23, v18
	s_and_b64 s[8:9], exec, vcc
	s_or_b64 s[22:23], s[8:9], s[22:23]
	s_and_saveexec_b64 s[16:17], s[14:15]
	s_cbranch_execz .LBB121_28
; %bb.36:                               ;   in Loop: Header=BB121_29 Depth=2
	v_and_b32_e32 v35, s14, v12
	v_and_b32_e32 v34, s15, v1
	v_bcnt_u32_b32 v35, v35, 0
	v_bcnt_u32_b32 v34, v34, v35
	v_lshlrev_b32_e32 v34, 2, v34
	s_waitcnt lgkmcnt(0)
	v_lshl_add_u32 v18, v18, 2, v34
	ds_write_b32 v18, v2
	s_branch .LBB121_28
.LBB121_37:                             ;   in Loop: Header=BB121_21 Depth=1
	s_mov_b64 s[14:15], 0
                                        ; implicit-def: $sgpr69
	s_cbranch_execnz .LBB121_42
	s_branch .LBB121_52
.LBB121_38:                             ;   in Loop: Header=BB121_21 Depth=1
	s_mov_b32 s69, 0
	s_and_b64 vcc, exec, s[18:19]
	s_cbranch_vccnz .LBB121_42
	s_branch .LBB121_52
.LBB121_39:                             ;   in Loop: Header=BB121_21 Depth=1
	s_or_b64 exec, exec, s[20:21]
	s_waitcnt lgkmcnt(0)
	s_barrier
	s_mov_b64 s[14:15], exec
	v_readlane_b32 s8, v50, 15
	v_readlane_b32 s9, v50, 16
	s_and_b64 s[8:9], s[14:15], s[8:9]
	s_mov_b64 exec, s[8:9]
	s_cbranch_execz .LBB121_41
; %bb.40:                               ;   in Loop: Header=BB121_21 Depth=1
	s_waitcnt vmcnt(0)
	ds_read_b32 v2, v9 offset:4112
	s_waitcnt lgkmcnt(0)
	ds_write_b32 v9, v2 offset:4104
.LBB121_41:                             ;   in Loop: Header=BB121_21 Depth=1
	s_or_b64 exec, exec, s[14:15]
	s_waitcnt lgkmcnt(0)
	s_barrier
	s_mov_b64 s[14:15], -1
	s_mov_b32 s69, 0
	s_and_b64 vcc, exec, s[18:19]
	s_cbranch_vccz .LBB121_52
.LBB121_42:                             ;   in Loop: Header=BB121_21 Depth=1
	v_readlane_b32 s0, v50, 13
	s_waitcnt vmcnt(0)
	v_mov_b32_e32 v2, 0
	v_readlane_b32 s1, v50, 14
	s_and_saveexec_b64 s[14:15], s[0:1]
	s_cbranch_execz .LBB121_44
; %bb.43:                               ;   in Loop: Header=BB121_21 Depth=1
	global_load_dword v2, v[10:11], off
.LBB121_44:                             ;   in Loop: Header=BB121_21 Depth=1
	s_or_b64 exec, exec, s[14:15]
	v_readlane_b32 s0, v50, 13
	v_readlane_b32 s1, v50, 14
	s_and_saveexec_b64 s[16:17], s[0:1]
	s_cbranch_execz .LBB121_49
; %bb.45:                               ;   in Loop: Header=BB121_21 Depth=1
	v_readlane_b32 s0, v50, 20
	v_readlane_b32 s1, v50, 21
	s_mov_b64 s[18:19], 0
	v_mov_b32_e32 v4, v20
	v_mov_b32_e32 v18, v0
	s_nop 1
	global_load_ushort v3, v9, s[0:1]
	s_waitcnt vmcnt(0)
	v_add_u32_e32 v8, v0, v3
	v_lshlrev_b32_e32 v5, 2, v3
	v_mul_lo_u32 v17, s58, v3
	v_mul_lo_u32 v8, s58, v8
	s_branch .LBB121_47
.LBB121_46:                             ;   in Loop: Header=BB121_47 Depth=2
	s_or_b64 exec, exec, s[20:21]
	s_and_b64 s[8:9], exec, vcc
	s_or_b64 s[18:19], s[8:9], s[18:19]
	ds_write_b32 v4, v2
	v_add_u32_e32 v4, v4, v5
	v_add_u32_e32 v8, v8, v17
	s_waitcnt vmcnt(0)
	v_mov_b32_e32 v2, v34
	s_andn2_b64 exec, exec, s[18:19]
	s_cbranch_execz .LBB121_49
.LBB121_47:                             ;   Parent Loop BB121_21 Depth=1
                                        ; =>  This Inner Loop Header: Depth=2
	v_add_u32_e32 v18, v18, v3
	v_cmp_gt_u32_e64 s[14:15], s56, v18
	v_cmp_le_u32_e32 vcc, s56, v18
	v_mov_b32_e32 v34, 0
	s_and_saveexec_b64 s[20:21], s[14:15]
	s_cbranch_execz .LBB121_46
; %bb.48:                               ;   in Loop: Header=BB121_47 Depth=2
	v_lshlrev_b64 v[34:35], 2, v[8:9]
	v_mov_b32_e32 v36, s82
	v_add_co_u32_e64 v34, s[14:15], s57, v34
	v_addc_co_u32_e64 v35, s[14:15], v36, v35, s[14:15]
	global_load_dword v34, v[34:35], off
	s_branch .LBB121_46
.LBB121_49:                             ;   in Loop: Header=BB121_21 Depth=1
	s_or_b64 exec, exec, s[16:17]
	s_waitcnt lgkmcnt(0)
	s_barrier
	s_mov_b64 s[14:15], exec
	v_readlane_b32 s8, v50, 15
	v_readlane_b32 s9, v50, 16
	s_and_b64 s[8:9], s[14:15], s[8:9]
	s_mov_b64 exec, s[8:9]
	s_cbranch_execz .LBB121_51
; %bb.50:                               ;   in Loop: Header=BB121_21 Depth=1
	s_waitcnt vmcnt(0)
	v_mov_b32_e32 v2, s56
	ds_write_b32 v9, v2 offset:4104
.LBB121_51:                             ;   in Loop: Header=BB121_21 Depth=1
	s_or_b64 exec, exec, s[14:15]
	s_mov_b64 s[14:15], -1
	s_waitcnt lgkmcnt(0)
	s_barrier
                                        ; implicit-def: $sgpr69
.LBB121_52:                             ;   in Loop: Header=BB121_21 Depth=1
	s_and_b64 vcc, exec, s[14:15]
	s_cbranch_vccz .LBB121_54
; %bb.53:                               ;   in Loop: Header=BB121_21 Depth=1
	s_waitcnt vmcnt(0)
	ds_read_b32 v2, v9 offset:4104
	s_waitcnt lgkmcnt(0)
	v_readfirstlane_b32 s69, v2
.LBB121_54:                             ;   in Loop: Header=BB121_21 Depth=1
	s_cmp_lt_i32 s69, 1
	s_cbranch_scc0 .LBB121_66
; %bb.55:                               ;   in Loop: Header=BB121_21 Depth=1
	s_waitcnt vmcnt(0)
	v_mov_b32_e32 v2, 0
	v_readlane_b32 s0, v50, 34
	s_mov_b32 s48, 0
	v_mov_b32_e32 v3, 0
	v_mov_b32_e32 v4, v2
	;; [unrolled: 1-line block ×3, first 2 shown]
	v_readlane_b32 s1, v50, 35
	s_and_saveexec_b64 s[44:45], s[0:1]
	s_cbranch_execz .LBB121_59
; %bb.56:                               ;   in Loop: Header=BB121_21 Depth=1
	s_and_b32 s49, s13, 0xfe
	s_mov_b64 s[46:47], 0
	s_mov_b32 s50, 0
	s_mov_b32 s51, 0
	;; [unrolled: 1-line block ×4, first 2 shown]
	v_mov_b32_e32 v17, v20
.LBB121_57:                             ;   Parent Loop BB121_21 Depth=1
                                        ; =>  This Inner Loop Header: Depth=2
	v_add_u32_e32 v8, s48, v28
	v_lshlrev_b64 v[2:3], 2, v[8:9]
	v_mov_b32_e32 v18, s82
	v_add_u32_e32 v8, s48, v25
	v_add_co_u32_e64 v2, s[14:15], s57, v2
	v_lshlrev_b64 v[4:5], 2, v[8:9]
	v_addc_co_u32_e64 v3, s[14:15], v18, v3, s[14:15]
	v_add_u32_e32 v8, s48, v26
	global_load_dword v36, v[2:3], off
	v_add_co_u32_e64 v2, s[14:15], s57, v4
	v_lshlrev_b64 v[34:35], 2, v[8:9]
	v_add_u32_e32 v8, s48, v27
	v_addc_co_u32_e64 v3, s[14:15], v18, v5, s[14:15]
	v_lshlrev_b64 v[4:5], 2, v[8:9]
	global_load_dword v8, v[2:3], off
	v_add_co_u32_e64 v2, s[14:15], s57, v34
	v_addc_co_u32_e64 v3, s[14:15], v18, v35, s[14:15]
	global_load_dword v34, v[2:3], off
	v_add_co_u32_e64 v2, s[14:15], s57, v4
	v_addc_co_u32_e64 v3, s[14:15], v18, v5, s[14:15]
	global_load_dword v2, v[2:3], off
	v_add_u32_e32 v17, s85, v17
	v_cmp_le_u32_e32 vcc, s84, v17
	s_add_i32 s48, s48, s79
	s_waitcnt vmcnt(3)
	v_cmp_lt_i32_e64 s[14:15], -1, v36
	v_cndmask_b32_e64 v3, -1, v32, s[14:15]
	v_xor_b32_e32 v3, v3, v36
	s_waitcnt vmcnt(2)
	v_cmp_lt_i32_e64 s[14:15], -1, v8
	v_cndmask_b32_e64 v4, -1, v32, s[14:15]
	v_cmp_o_f32_e64 s[14:15], v36, v36
	v_cndmask_b32_e64 v3, -1, v3, s[14:15]
	v_xor_b32_e32 v4, v4, v8
	s_waitcnt vmcnt(1)
	v_cmp_lt_i32_e64 s[14:15], -1, v34
	v_cndmask_b32_e64 v5, -1, v32, s[14:15]
	v_cmp_o_f32_e64 s[14:15], v8, v8
	v_cndmask_b32_e64 v4, -1, v4, s[14:15]
	v_xor_b32_e32 v5, v5, v34
	s_waitcnt vmcnt(0)
	v_cmp_lt_i32_e64 s[14:15], -1, v2
	v_cndmask_b32_e64 v8, -1, v32, s[14:15]
	v_and_b32_e32 v18, s73, v3
	v_bfe_u32 v3, v3, s49, 2
	v_cmp_o_f32_e64 s[14:15], v34, v34
	v_cndmask_b32_e64 v5, -1, v5, s[14:15]
	v_cmp_eq_u32_e64 s[14:15], s2, v18
	v_cmp_eq_u32_e64 s[16:17], 0, v3
	v_and_b32_e32 v18, s73, v4
	v_bfe_u32 v4, v4, s49, 2
	v_cmp_eq_u32_e64 s[18:19], 1, v3
	s_and_b64 s[8:9], s[14:15], s[16:17]
	v_xor_b32_e32 v8, v8, v2
	v_cmp_eq_u32_e64 s[20:21], 2, v3
	v_cmp_o_f32_e64 s[24:25], v2, v2
	v_cmp_eq_u32_e64 s[26:27], 0, v4
	v_cmp_eq_u32_e64 s[28:29], 1, v4
	;; [unrolled: 1-line block ×4, first 2 shown]
	v_cndmask_b32_e64 v4, 0, 1, s[8:9]
	s_and_b64 s[8:9], s[14:15], s[18:19]
	v_cmp_eq_u32_e64 s[22:23], 3, v3
	v_cndmask_b32_e64 v2, -1, v8, s[24:25]
	v_cndmask_b32_e64 v8, 0, 1, s[8:9]
	s_and_b64 s[8:9], s[14:15], s[20:21]
	v_cmp_eq_u32_e64 s[24:25], s2, v18
	v_cndmask_b32_e64 v18, 0, 1, s[8:9]
	s_and_b64 s[8:9], s[14:15], s[22:23]
	v_cndmask_b32_e64 v34, 0, 1, s[8:9]
	s_and_b64 s[8:9], s[24:25], s[26:27]
	v_and_b32_e32 v3, s73, v5
	v_bfe_u32 v5, v5, s49, 2
	v_cmp_ne_u32_e64 s[36:37], 0, v4
	v_cndmask_b32_e64 v4, 0, 1, s[8:9]
	s_and_b64 s[8:9], s[24:25], s[28:29]
	v_cmp_eq_u32_e64 s[16:17], 0, v5
	v_cmp_eq_u32_e64 s[18:19], 1, v5
	;; [unrolled: 1-line block ×4, first 2 shown]
	v_cndmask_b32_e64 v5, 0, 1, s[8:9]
	s_and_b64 s[8:9], s[24:25], s[30:31]
	v_cmp_eq_u32_e64 s[14:15], s2, v3
	v_cmp_ne_u32_e64 s[26:27], 0, v8
	v_cndmask_b32_e64 v8, 0, 1, s[8:9]
	s_and_b64 s[8:9], s[24:25], s[34:35]
	v_and_b32_e32 v3, s73, v2
	v_bfe_u32 v2, v2, s49, 2
	v_cmp_ne_u32_e64 s[28:29], 0, v18
	v_cndmask_b32_e64 v18, 0, 1, s[8:9]
	s_and_b64 s[8:9], s[14:15], s[16:17]
	v_cmp_eq_u32_e64 s[34:35], 0, v2
	v_cmp_eq_u32_e64 s[38:39], 1, v2
	;; [unrolled: 1-line block ×4, first 2 shown]
	v_cndmask_b32_e64 v2, 0, 1, s[8:9]
	s_and_b64 s[8:9], s[14:15], s[18:19]
	v_cmp_eq_u32_e64 s[24:25], s2, v3
	v_cndmask_b32_e64 v3, 0, 1, s[8:9]
	s_and_b64 s[8:9], s[14:15], s[20:21]
	s_bcnt1_i32_b64 s33, s[36:37]
	v_cmp_ne_u32_e64 s[36:37], 0, v4
	v_cndmask_b32_e64 v4, 0, 1, s[8:9]
	s_and_b64 s[8:9], s[14:15], s[22:23]
	v_cmp_ne_u32_e64 s[16:17], 0, v5
	v_cndmask_b32_e64 v5, 0, 1, s[8:9]
	s_and_b64 s[8:9], s[24:25], s[34:35]
	;; [unrolled: 3-line block ×3, first 2 shown]
	v_cmp_ne_u32_e64 s[30:31], 0, v34
	s_bcnt1_i32_b64 s26, s[26:27]
	s_bcnt1_i32_b64 s27, s[28:29]
	v_cmp_ne_u32_e64 s[18:19], 0, v8
	s_bcnt1_i32_b64 s29, s[16:17]
	v_cmp_ne_u32_e64 s[16:17], 0, v3
	v_cndmask_b32_e64 v3, 0, 1, s[8:9]
	s_and_b64 s[8:9], s[24:25], s[40:41]
	s_bcnt1_i32_b64 s28, s[30:31]
	v_cmp_ne_u32_e64 s[20:21], 0, v18
	s_bcnt1_i32_b64 s30, s[18:19]
	v_cmp_ne_u32_e64 s[18:19], 0, v4
	v_cndmask_b32_e64 v4, 0, 1, s[8:9]
	s_and_b64 s[8:9], s[24:25], s[42:43]
	s_bcnt1_i32_b64 s22, s[36:37]
	s_add_i32 s23, s53, s33
	s_add_i32 s26, s52, s26
	;; [unrolled: 1-line block ×3, first 2 shown]
	s_bcnt1_i32_b64 s31, s[20:21]
	v_cmp_ne_u32_e64 s[20:21], 0, v5
	v_cndmask_b32_e64 v5, 0, 1, s[8:9]
	s_add_i32 s8, s50, s28
	s_bcnt1_i32_b64 s9, s[14:15]
	v_cmp_ne_u32_e64 s[14:15], 0, v2
	s_add_i32 s22, s23, s22
	s_bcnt1_i32_b64 s23, s[16:17]
	v_cmp_ne_u32_e64 s[16:17], 0, v3
	;; [unrolled: 3-line block ×4, first 2 shown]
	s_add_i32 s8, s8, s31
	s_bcnt1_i32_b64 s14, s[14:15]
	s_add_i32 s9, s22, s9
	s_bcnt1_i32_b64 s15, s[16:17]
	;; [unrolled: 2-line block ×4, first 2 shown]
	s_add_i32 s8, s8, s27
	s_add_i32 s53, s9, s14
	;; [unrolled: 1-line block ×5, first 2 shown]
	s_or_b64 s[46:47], vcc, s[46:47]
	v_mov_b32_e32 v2, s53
	v_mov_b32_e32 v3, s52
	;; [unrolled: 1-line block ×4, first 2 shown]
	s_andn2_b64 exec, exec, s[46:47]
	s_cbranch_execnz .LBB121_57
; %bb.58:                               ;   in Loop: Header=BB121_21 Depth=1
	s_or_b64 exec, exec, s[46:47]
.LBB121_59:                             ;   in Loop: Header=BB121_21 Depth=1
	s_or_b64 exec, exec, s[44:45]
	v_mov_b32_e32 v17, 0
	s_and_saveexec_b64 s[14:15], s[10:11]
	s_cbranch_execz .LBB121_61
; %bb.60:                               ;   in Loop: Header=BB121_21 Depth=1
	global_load_dword v17, v[14:15], off
.LBB121_61:                             ;   in Loop: Header=BB121_21 Depth=1
	s_or_b64 exec, exec, s[14:15]
	s_mov_b64 s[16:17], 0
	s_mov_b64 s[64:65], 0
	s_and_saveexec_b64 s[18:19], s[10:11]
	s_cbranch_execz .LBB121_68
; %bb.62:                               ;   in Loop: Header=BB121_21 Depth=1
	s_and_b32 s8, s13, 0xfe
	s_mov_b64 s[20:21], 0
	v_mov_b32_e32 v8, v29
	v_mov_b32_e32 v18, v24
	s_branch .LBB121_64
.LBB121_63:                             ;   in Loop: Header=BB121_64 Depth=2
	s_or_b64 exec, exec, s[22:23]
	s_and_b64 s[14:15], exec, vcc
	s_waitcnt vmcnt(0)
	v_cmp_lt_i32_e32 vcc, -1, v17
	v_cndmask_b32_e32 v35, -1, v32, vcc
	v_xor_b32_e32 v35, v35, v17
	v_cmp_o_f32_e32 vcc, v17, v17
	v_cndmask_b32_e32 v17, -1, v35, vcc
	v_and_b32_e32 v35, s73, v17
	v_bfe_u32 v17, v17, s8, 2
	s_or_b64 s[20:21], s[14:15], s[20:21]
	v_cmp_eq_u32_e32 vcc, s2, v35
	v_cmp_eq_u32_e64 s[14:15], 0, v17
	s_and_b64 s[14:15], vcc, s[14:15]
	v_cndmask_b32_e64 v35, 0, 1, s[14:15]
	v_cmp_ne_u32_e64 s[14:15], 0, v35
	s_bcnt1_i32_b64 s9, s[14:15]
	v_cmp_eq_u32_e64 s[14:15], 1, v17
	s_and_b64 s[14:15], vcc, s[14:15]
	v_cndmask_b32_e64 v35, 0, 1, s[14:15]
	v_cmp_ne_u32_e64 s[14:15], 0, v35
	v_add_u32_e32 v2, s9, v2
	s_bcnt1_i32_b64 s9, s[14:15]
	v_cmp_eq_u32_e64 s[14:15], 2, v17
	s_and_b64 s[14:15], vcc, s[14:15]
	v_cndmask_b32_e64 v35, 0, 1, s[14:15]
	v_cmp_ne_u32_e64 s[14:15], 0, v35
	v_add_u32_e32 v3, s9, v3
	s_bcnt1_i32_b64 s9, s[14:15]
	v_cmp_eq_u32_e64 s[14:15], 3, v17
	s_and_b64 s[14:15], vcc, s[14:15]
	v_cndmask_b32_e64 v17, 0, 1, s[14:15]
	v_cmp_ne_u32_e32 vcc, 0, v17
	v_add_u32_e32 v4, s9, v4
	s_bcnt1_i32_b64 s9, vcc
	v_add_u32_e32 v5, s9, v5
	v_add_u32_e32 v8, s83, v8
	v_mov_b32_e32 v17, v34
	s_andn2_b64 exec, exec, s[20:21]
	s_cbranch_execz .LBB121_67
.LBB121_64:                             ;   Parent Loop BB121_21 Depth=1
                                        ; =>  This Inner Loop Header: Depth=2
	v_add_u32_e32 v18, s59, v18
	v_cmp_gt_u32_e64 s[14:15], s56, v18
	v_cmp_le_u32_e32 vcc, s56, v18
	v_mov_b32_e32 v34, 0
	s_and_saveexec_b64 s[22:23], s[14:15]
	s_cbranch_execz .LBB121_63
; %bb.65:                               ;   in Loop: Header=BB121_64 Depth=2
	v_lshlrev_b64 v[34:35], 2, v[8:9]
	v_mov_b32_e32 v36, s82
	v_add_co_u32_e64 v34, s[14:15], s57, v34
	v_addc_co_u32_e64 v35, s[14:15], v36, v35, s[14:15]
	global_load_dword v34, v[34:35], off
	s_branch .LBB121_63
.LBB121_66:                             ;   in Loop: Header=BB121_21 Depth=1
	s_mov_b64 s[64:65], 0
                                        ; implicit-def: $vgpr5
	s_cbranch_execnz .LBB121_69
	s_branch .LBB121_78
.LBB121_67:                             ;   in Loop: Header=BB121_21 Depth=1
	s_or_b64 exec, exec, s[20:21]
	s_mov_b64 s[64:65], exec
.LBB121_68:                             ;   in Loop: Header=BB121_21 Depth=1
	s_or_b64 exec, exec, s[18:19]
	s_and_b64 vcc, exec, s[16:17]
	s_cbranch_vccz .LBB121_78
.LBB121_69:                             ;   in Loop: Header=BB121_21 Depth=1
	s_mul_hi_u32 s8, s69, s77
	s_mul_i32 s8, s8, s85
	s_sub_i32 s8, s69, s8
	s_sub_i32 s9, s8, s85
	s_cmp_ge_u32 s8, s85
	s_cselect_b32 s8, s9, s8
	s_sub_i32 s9, s8, s85
	s_cmp_ge_u32 s8, s85
	s_cselect_b32 s8, s9, s8
	s_sub_i32 s76, s69, s8
	v_cmp_gt_u32_e32 vcc, s76, v20
	s_mov_b32 s74, 0
	s_waitcnt vmcnt(0)
	v_mov_b32_e32 v2, 0
	v_mov_b32_e32 v3, 0
	;; [unrolled: 1-line block ×4, first 2 shown]
	s_and_saveexec_b64 s[66:67], vcc
	s_cbranch_execz .LBB121_73
; %bb.70:                               ;   in Loop: Header=BB121_21 Depth=1
	s_mov_b64 s[0:1], s[54:55]
	s_and_b32 s33, s13, 0xfe
	s_mov_b64 s[80:81], 0
	v_mov_b32_e32 v8, v30
	s_mov_b32 s75, 0
	s_mov_b32 s8, 0
	;; [unrolled: 1-line block ×3, first 2 shown]
	v_mov_b32_e32 v17, v20
.LBB121_71:                             ;   Parent Loop BB121_21 Depth=1
                                        ; =>  This Inner Loop Header: Depth=2
	ds_read_b128 v[2:5], v8
	v_add_u32_e32 v17, s85, v17
	v_cmp_le_u32_e32 vcc, s76, v17
	v_add_u32_e32 v8, s12, v8
	s_waitcnt lgkmcnt(0)
	v_cmp_lt_i32_e64 s[14:15], -1, v2
	v_cndmask_b32_e64 v18, -1, v32, s[14:15]
	v_cmp_lt_i32_e64 s[14:15], -1, v3
	v_cndmask_b32_e64 v34, -1, v32, s[14:15]
	;; [unrolled: 2-line block ×4, first 2 shown]
	v_xor_b32_e32 v34, v34, v3
	v_cmp_o_f32_e64 s[14:15], v3, v3
	v_xor_b32_e32 v3, v35, v4
	v_cmp_o_f32_e64 s[16:17], v4, v4
	;; [unrolled: 2-line block ×4, first 2 shown]
	v_cndmask_b32_e64 v2, -1, v5, s[20:21]
	v_cndmask_b32_e64 v5, -1, v34, s[14:15]
	v_and_b32_e32 v18, s73, v2
	v_bfe_u32 v2, v2, s33, 2
	v_cndmask_b32_e64 v3, -1, v3, s[16:17]
	v_and_b32_e32 v34, s73, v5
	v_bfe_u32 v5, v5, s33, 2
	v_cmp_eq_u32_e64 s[14:15], s2, v18
	v_cmp_eq_u32_e64 s[22:23], 0, v2
	v_cndmask_b32_e64 v4, -1, v4, s[18:19]
	v_and_b32_e32 v35, s73, v3
	v_bfe_u32 v3, v3, s33, 2
	v_cmp_eq_u32_e64 s[16:17], s2, v34
	v_cmp_eq_u32_e64 s[24:25], 0, v5
	s_and_b64 s[22:23], s[14:15], s[22:23]
	v_and_b32_e32 v36, s73, v4
	v_bfe_u32 v4, v4, s33, 2
	v_cmp_eq_u32_e64 s[18:19], s2, v35
	v_cmp_eq_u32_e64 s[26:27], 0, v3
	v_cmp_eq_u32_e64 s[30:31], 1, v2
	v_cmp_eq_u32_e64 s[40:41], 2, v2
	v_cmp_eq_u32_e64 s[48:49], 3, v2
	v_cndmask_b32_e64 v2, 0, 1, s[22:23]
	s_and_b64 s[22:23], s[16:17], s[24:25]
	v_cmp_eq_u32_e64 s[20:21], s2, v36
	v_cmp_eq_u32_e64 s[28:29], 0, v4
	;; [unrolled: 1-line block ×5, first 2 shown]
	v_cndmask_b32_e64 v3, 0, 1, s[22:23]
	s_and_b64 s[22:23], s[18:19], s[26:27]
	v_cmp_eq_u32_e64 s[38:39], 1, v4
	v_cmp_eq_u32_e64 s[46:47], 2, v4
	;; [unrolled: 1-line block ×3, first 2 shown]
	v_cndmask_b32_e64 v4, 0, 1, s[22:23]
	s_and_b64 s[22:23], s[20:21], s[28:29]
	v_cmp_eq_u32_e64 s[34:35], 1, v5
	v_cmp_eq_u32_e64 s[42:43], 2, v5
	;; [unrolled: 1-line block ×3, first 2 shown]
	v_cndmask_b32_e64 v5, 0, 1, s[22:23]
	s_and_b64 s[22:23], s[14:15], s[30:31]
	v_cndmask_b32_e64 v18, 0, 1, s[22:23]
	s_and_b64 s[22:23], s[16:17], s[34:35]
	;; [unrolled: 2-line block ×5, first 2 shown]
	s_and_b64 s[14:15], s[14:15], s[48:49]
	v_cndmask_b32_e64 v37, 0, 1, s[22:23]
	s_and_b64 s[22:23], s[16:17], s[42:43]
	v_cndmask_b32_e64 v41, 0, 1, s[14:15]
	s_and_b64 s[14:15], s[16:17], s[50:51]
	v_cndmask_b32_e64 v38, 0, 1, s[22:23]
	s_and_b64 s[22:23], s[18:19], s[44:45]
	v_cndmask_b32_e64 v42, 0, 1, s[14:15]
	s_and_b64 s[14:15], s[18:19], s[52:53]
	v_cndmask_b32_e64 v39, 0, 1, s[22:23]
	s_and_b64 s[22:23], s[20:21], s[46:47]
	v_cndmask_b32_e64 v43, 0, 1, s[14:15]
	s_and_b64 s[14:15], s[20:21], s[54:55]
	v_cndmask_b32_e64 v40, 0, 1, s[22:23]
	v_cndmask_b32_e64 v44, 0, 1, s[14:15]
	v_cmp_ne_u32_e64 s[14:15], 0, v2
	v_cmp_ne_u32_e64 s[16:17], 0, v3
	;; [unrolled: 1-line block ×11, first 2 shown]
	s_bcnt1_i32_b64 s14, s[14:15]
	s_bcnt1_i32_b64 s15, s[16:17]
	;; [unrolled: 1-line block ×8, first 2 shown]
	v_cmp_ne_u32_e64 s[28:29], 0, v36
	v_cmp_ne_u32_e64 s[36:37], 0, v39
	;; [unrolled: 1-line block ×3, first 2 shown]
	s_bcnt1_i32_b64 s19, s[24:25]
	s_bcnt1_i32_b64 s23, s[34:35]
	;; [unrolled: 1-line block ×3, first 2 shown]
	s_add_i32 s9, s9, s14
	s_add_i32 s8, s8, s18
	;; [unrolled: 1-line block ×4, first 2 shown]
	v_cmp_ne_u32_e64 s[38:39], 0, v40
	v_cmp_ne_u32_e64 s[46:47], 0, v44
	s_bcnt1_i32_b64 s21, s[28:29]
	s_bcnt1_i32_b64 s24, s[36:37]
	s_bcnt1_i32_b64 s28, s[44:45]
	s_add_i32 s9, s9, s15
	s_add_i32 s8, s8, s19
	;; [unrolled: 1-line block ×4, first 2 shown]
	s_bcnt1_i32_b64 s25, s[38:39]
	s_bcnt1_i32_b64 s29, s[46:47]
	s_add_i32 s9, s9, s16
	s_add_i32 s8, s8, s20
	;; [unrolled: 1-line block ×8, first 2 shown]
	s_or_b64 s[80:81], vcc, s[80:81]
	v_mov_b32_e32 v2, s9
	v_mov_b32_e32 v3, s8
	;; [unrolled: 1-line block ×4, first 2 shown]
	s_andn2_b64 exec, exec, s[80:81]
	s_cbranch_execnz .LBB121_71
; %bb.72:                               ;   in Loop: Header=BB121_21 Depth=1
	s_or_b64 exec, exec, s[80:81]
	s_mov_b64 s[54:55], s[0:1]
.LBB121_73:                             ;   in Loop: Header=BB121_21 Depth=1
	s_or_b64 exec, exec, s[66:67]
	v_add_u32_e32 v8, s76, v0
	v_cmp_gt_u32_e32 vcc, s69, v8
	s_and_saveexec_b64 s[24:25], vcc
	s_cbranch_execz .LBB121_77
; %bb.74:                               ;   in Loop: Header=BB121_21 Depth=1
	s_and_b32 s8, s13, 0xfe
	v_lshlrev_b32_e32 v17, 2, v8
	s_mov_b64 s[26:27], 0
.LBB121_75:                             ;   Parent Loop BB121_21 Depth=1
                                        ; =>  This Inner Loop Header: Depth=2
	ds_read_b32 v18, v17
	v_add_u32_e32 v8, s59, v8
	v_cmp_le_u32_e32 vcc, s69, v8
	v_add_u32_e32 v17, s85, v17
	s_waitcnt lgkmcnt(0)
	v_cmp_lt_i32_e64 s[14:15], -1, v18
	v_cndmask_b32_e64 v34, -1, v32, s[14:15]
	v_xor_b32_e32 v34, v34, v18
	v_cmp_o_f32_e64 s[14:15], v18, v18
	v_cndmask_b32_e64 v18, -1, v34, s[14:15]
	v_and_b32_e32 v34, s73, v18
	v_bfe_u32 v18, v18, s8, 2
	v_cmp_eq_u32_e64 s[14:15], s2, v34
	v_cmp_eq_u32_e64 s[16:17], 0, v18
	;; [unrolled: 1-line block ×3, first 2 shown]
	s_and_b64 s[16:17], s[14:15], s[16:17]
	v_cmp_eq_u32_e64 s[20:21], 2, v18
	v_cmp_eq_u32_e64 s[22:23], 3, v18
	v_cndmask_b32_e64 v18, 0, 1, s[16:17]
	s_and_b64 s[16:17], s[14:15], s[18:19]
	v_cndmask_b32_e64 v34, 0, 1, s[16:17]
	s_and_b64 s[16:17], s[14:15], s[20:21]
	s_and_b64 s[14:15], s[14:15], s[22:23]
	v_cndmask_b32_e64 v35, 0, 1, s[16:17]
	v_cndmask_b32_e64 v36, 0, 1, s[14:15]
	v_cmp_ne_u32_e64 s[14:15], 0, v18
	v_cmp_ne_u32_e64 s[16:17], 0, v34
	;; [unrolled: 1-line block ×4, first 2 shown]
	s_bcnt1_i32_b64 s9, s[14:15]
	s_bcnt1_i32_b64 s14, s[16:17]
	;; [unrolled: 1-line block ×4, first 2 shown]
	v_add_u32_e32 v2, s9, v2
	v_add_u32_e32 v3, s14, v3
	;; [unrolled: 1-line block ×3, first 2 shown]
	s_or_b64 s[26:27], vcc, s[26:27]
	v_add_u32_e32 v5, s16, v5
	s_andn2_b64 exec, exec, s[26:27]
	s_cbranch_execnz .LBB121_75
; %bb.76:                               ;   in Loop: Header=BB121_21 Depth=1
	s_or_b64 exec, exec, s[26:27]
	s_or_b64 s[64:65], s[64:65], exec
.LBB121_77:                             ;   in Loop: Header=BB121_21 Depth=1
	s_or_b64 exec, exec, s[24:25]
.LBB121_78:                             ;   in Loop: Header=BB121_21 Depth=1
	s_and_saveexec_b64 s[14:15], s[64:65]
	s_or_b64 exec, exec, s[14:15]
	s_lshl_b32 s8, s72, 6
	s_and_saveexec_b64 s[14:15], s[4:5]
	s_cbranch_execz .LBB121_80
; %bb.79:                               ;   in Loop: Header=BB121_21 Depth=1
	v_or_b32_e32 v8, s8, v22
	v_lshlrev_b32_e32 v8, 2, v8
	s_waitcnt vmcnt(0)
	ds_write_b128 v8, v[2:5] offset:3072
.LBB121_80:                             ;   in Loop: Header=BB121_21 Depth=1
	s_or_b64 exec, exec, s[14:15]
	s_waitcnt lgkmcnt(0)
	s_barrier
	s_and_saveexec_b64 s[14:15], s[70:71]
	s_cbranch_execz .LBB121_94
; %bb.81:                               ;   in Loop: Header=BB121_21 Depth=1
	v_add_u32_e32 v4, s8, v13
	s_andn2_b64 vcc, exec, s[54:55]
	s_waitcnt vmcnt(0)
	v_mov_b32_e32 v2, 0
	s_cbranch_vccnz .LBB121_93
; %bb.82:                               ;   in Loop: Header=BB121_21 Depth=1
	v_readlane_b32 s0, v50, 22
	v_readlane_b32 s1, v50, 23
	s_mov_b32 s9, 0
	s_and_b64 vcc, exec, s[0:1]
	v_mov_b32_e32 v2, 0
	s_cbranch_vccz .LBB121_86
; %bb.83:                               ;   in Loop: Header=BB121_21 Depth=1
	v_readlane_b32 s0, v50, 24
	v_readlane_b32 s1, v50, 25
	v_lshl_add_u32 v5, v4, 2, v33
	s_andn2_b64 vcc, exec, s[0:1]
	s_cbranch_vccnz .LBB121_87
; %bb.84:                               ;   in Loop: Header=BB121_21 Depth=1
	s_mov_b32 s17, 1
	s_mov_b32 s16, 0
	v_mov_b32_e32 v2, 0
	v_readlane_b32 s9, v50, 26
	v_mov_b32_e32 v3, 0
.LBB121_85:                             ;   Parent Loop BB121_21 Depth=1
                                        ; =>  This Inner Loop Header: Depth=2
	v_lshl_add_u32 v8, s16, 4, v5
	v_lshl_add_u32 v17, s17, 4, v5
	ds_read2_b32 v[34:35], v8 offset1:8
	ds_read2_b32 v[36:37], v17 offset1:8
	ds_read2_b32 v[38:39], v8 offset0:16 offset1:24
	ds_read2_b32 v[40:41], v17 offset0:16 offset1:24
	;; [unrolled: 1-line block ×6, first 2 shown]
	s_waitcnt lgkmcnt(7)
	v_add3_u32 v2, v34, v2, v35
	s_waitcnt lgkmcnt(6)
	v_add3_u32 v3, v36, v3, v37
	;; [unrolled: 2-line block ×3, first 2 shown]
	v_add3_u32 v2, v38, v2, v39
	s_add_i32 s17, s17, 16
	s_add_i32 s16, s16, 16
	s_add_i32 s9, s9, -8
	s_waitcnt lgkmcnt(3)
	v_add3_u32 v2, v42, v2, v43
	s_waitcnt lgkmcnt(2)
	v_add3_u32 v3, v44, v3, v45
	s_cmp_lg_u32 s9, 0
	s_waitcnt lgkmcnt(0)
	v_add3_u32 v3, v48, v3, v49
	v_add3_u32 v2, v46, v2, v47
	s_cbranch_scc1 .LBB121_85
	s_branch .LBB121_88
.LBB121_86:                             ;   in Loop: Header=BB121_21 Depth=1
	s_cbranch_execnz .LBB121_91
	s_branch .LBB121_93
.LBB121_87:                             ;   in Loop: Header=BB121_21 Depth=1
	s_mov_b32 s69, s68
	v_pk_mov_b32 v[2:3], s[68:69], s[68:69] op_sel:[0,1]
	s_mov_b32 s69, 1
	s_mov_b64 s[16:17], s[68:69]
.LBB121_88:                             ;   in Loop: Header=BB121_21 Depth=1
	v_readlane_b32 s0, v50, 28
	v_readlane_b32 s1, v50, 29
	s_andn2_b64 vcc, exec, s[0:1]
	v_readlane_b32 s9, v50, 27
	s_cbranch_vccnz .LBB121_90
.LBB121_89:                             ;   Parent Loop BB121_21 Depth=1
                                        ; =>  This Inner Loop Header: Depth=2
	v_lshl_add_u32 v8, s16, 4, v5
	v_lshl_add_u32 v17, s17, 4, v5
	ds_read_b32 v17, v17
	ds_read_b32 v8, v8
	s_add_i32 s17, s17, 2
	s_add_i32 s16, s16, 2
	s_add_i32 s9, s9, -1
	s_cmp_lg_u32 s9, 0
	s_waitcnt lgkmcnt(1)
	v_add_u32_e32 v3, v17, v3
	s_waitcnt lgkmcnt(0)
	v_add_u32_e32 v2, v8, v2
	s_cbranch_scc1 .LBB121_89
.LBB121_90:                             ;   in Loop: Header=BB121_21 Depth=1
	v_readlane_b32 s16, v50, 32
	v_add_u32_e32 v2, v2, v3
	v_readlane_b32 s9, v50, 31
	v_readlane_b32 s17, v50, 33
	s_and_b64 vcc, exec, s[16:17]
	s_cbranch_vccz .LBB121_93
.LBB121_91:                             ;   in Loop: Header=BB121_21 Depth=1
	s_lshl_b32 s16, s72, 8
	s_lshl_b32 s17, s9, 4
	s_add_i32 s16, s16, s17
	v_add_u32_e32 v3, s16, v31
	v_readlane_b32 s16, v50, 30
	s_sub_i32 s9, s16, s9
.LBB121_92:                             ;   Parent Loop BB121_21 Depth=1
                                        ; =>  This Inner Loop Header: Depth=2
	ds_read_b32 v5, v3
	s_add_i32 s9, s9, -1
	v_add_u32_e32 v3, 16, v3
	s_cmp_eq_u32 s9, 0
	s_waitcnt lgkmcnt(0)
	v_add_u32_e32 v2, v5, v2
	s_cbranch_scc0 .LBB121_92
.LBB121_93:                             ;   in Loop: Header=BB121_21 Depth=1
	v_lshlrev_b32_e32 v3, 2, v4
	ds_write_b32 v3, v2 offset:3072
.LBB121_94:                             ;   in Loop: Header=BB121_21 Depth=1
	s_or_b64 exec, exec, s[14:15]
	s_lshl_b32 s8, s8, 2
	s_waitcnt vmcnt(0)
	v_mov_b32_e32 v2, s8
	s_waitcnt lgkmcnt(0)
	s_barrier
	ds_read_b128 v[2:5], v2 offset:3072
	s_and_b32 s43, s13, 0xfe
	s_lshl_b32 s51, 3, s43
	s_not_b32 s44, s51
	s_mov_b64 s[18:19], -1
	s_waitcnt lgkmcnt(0)
	v_readfirstlane_b32 s28, v2
	s_cmp_eq_u32 s28, 1
	s_cselect_b64 s[8:9], -1, 0
	s_cmp_eq_u32 s3, 1
	s_cselect_b64 s[14:15], -1, 0
	s_and_b64 s[20:21], s[8:9], s[14:15]
	v_readfirstlane_b32 s34, v3
	v_readfirstlane_b32 s42, v4
	;; [unrolled: 1-line block ×3, first 2 shown]
	s_and_b64 vcc, exec, s[20:21]
	s_cbranch_vccz .LBB121_106
; %bb.95:                               ;   in Loop: Header=BB121_21 Depth=1
	ds_read_b32 v2, v9 offset:4104
	s_waitcnt lgkmcnt(0)
	s_barrier
	v_readfirstlane_b32 s8, v2
	s_and_saveexec_b64 s[14:15], s[6:7]
	s_cbranch_execz .LBB121_97
; %bb.96:                               ;   in Loop: Header=BB121_21 Depth=1
	ds_write_b32 v21, v9
.LBB121_97:                             ;   in Loop: Header=BB121_21 Depth=1
	s_or_b64 exec, exec, s[14:15]
	s_and_b32 s2, s2, s44
	s_or_b32 s73, s73, s51
	s_cmp_eq_u32 s8, 0
	s_waitcnt lgkmcnt(0)
	s_barrier
	s_cbranch_scc1 .LBB121_107
; %bb.98:                               ;   in Loop: Header=BB121_21 Depth=1
	v_readlane_b32 s9, v50, 17
	s_add_i32 s9, s8, s9
	v_readlane_b32 s0, v50, 36
	s_mul_hi_u32 s14, s9, s0
	s_mul_i32 s14, s14, s59
	s_sub_i32 s14, s9, s14
	s_sub_i32 s15, s14, s59
	s_cmp_ge_u32 s14, s59
	s_cselect_b32 s14, s15, s14
	s_sub_i32 s15, s14, s59
	s_cmp_ge_u32 s14, s59
	s_cselect_b32 s14, s15, s14
	s_sub_i32 s9, s9, s14
	v_cmp_gt_u32_e32 vcc, s9, v0
	s_mov_b64 s[14:15], 0
                                        ; implicit-def: $vgpr19
	s_and_saveexec_b64 s[16:17], vcc
	s_cbranch_execz .LBB121_109
; %bb.99:                               ;   in Loop: Header=BB121_21 Depth=1
	s_mov_b64 s[22:23], 0
	v_mov_b32_e32 v2, v20
	v_mov_b32_e32 v3, v0
                                        ; implicit-def: $sgpr24_sgpr25
	s_branch .LBB121_101
.LBB121_100:                            ;   in Loop: Header=BB121_101 Depth=2
	s_or_b64 exec, exec, s[14:15]
	s_waitcnt lgkmcnt(0)
	s_barrier
	ds_read_b64 v[18:19], v9 offset:3072
	v_add_u32_e32 v3, s59, v3
	v_cmp_le_u32_e64 s[14:15], s9, v3
	v_add_u32_e32 v2, s85, v2
	s_waitcnt lgkmcnt(0)
	v_cmp_neq_f32_e32 vcc, 0, v18
	s_or_b64 s[14:15], s[14:15], vcc
	s_and_b64 s[14:15], exec, s[14:15]
	s_or_b64 s[22:23], s[14:15], s[22:23]
	s_andn2_b64 s[14:15], s[24:25], exec
	s_and_b64 s[24:25], vcc, exec
	s_or_b64 s[24:25], s[14:15], s[24:25]
	s_barrier
	s_andn2_b64 exec, exec, s[22:23]
	s_cbranch_execz .LBB121_108
.LBB121_101:                            ;   Parent Loop BB121_21 Depth=1
                                        ; =>  This Inner Loop Header: Depth=2
	v_cmp_gt_u32_e32 vcc, s8, v3
	v_mov_b32_e32 v17, 0
	s_and_saveexec_b64 s[14:15], vcc
	s_cbranch_execz .LBB121_103
; %bb.102:                              ;   in Loop: Header=BB121_101 Depth=2
	ds_read_b32 v17, v2
.LBB121_103:                            ;   in Loop: Header=BB121_101 Depth=2
	s_or_b64 exec, exec, s[14:15]
	s_and_saveexec_b64 s[14:15], vcc
	s_cbranch_execz .LBB121_100
; %bb.104:                              ;   in Loop: Header=BB121_101 Depth=2
	s_waitcnt lgkmcnt(0)
	v_cmp_lt_i32_e32 vcc, -1, v17
	v_cndmask_b32_e32 v4, -1, v32, vcc
	v_xor_b32_e32 v4, v4, v17
	v_cmp_o_f32_e32 vcc, v17, v17
	v_cndmask_b32_e32 v4, -1, v4, vcc
	v_and_b32_e32 v4, s73, v4
	v_cmp_eq_u32_e32 vcc, s2, v4
	s_and_b64 exec, exec, vcc
	s_cbranch_execz .LBB121_100
; %bb.105:                              ;   in Loop: Header=BB121_101 Depth=2
	ds_write_b64 v9, v[16:17] offset:3072
	s_branch .LBB121_100
.LBB121_106:                            ;   in Loop: Header=BB121_21 Depth=1
	s_mov_b64 s[14:15], -1
                                        ; implicit-def: $sgpr16_sgpr17
                                        ; implicit-def: $sgpr24_sgpr25
                                        ; implicit-def: $sgpr22_sgpr23
	s_branch .LBB121_120
.LBB121_107:                            ;   in Loop: Header=BB121_21 Depth=1
	s_mov_b64 s[16:17], -1
	s_mov_b64 s[14:15], 0
                                        ; implicit-def: $sgpr22_sgpr23
                                        ; implicit-def: $vgpr19
	s_mov_b64 s[24:25], s[16:17]
	s_cbranch_execnz .LBB121_110
	s_branch .LBB121_120
.LBB121_108:                            ;   in Loop: Header=BB121_21 Depth=1
	s_or_b64 exec, exec, s[22:23]
	s_and_b64 s[14:15], s[24:25], exec
.LBB121_109:                            ;   in Loop: Header=BB121_21 Depth=1
	s_or_b64 exec, exec, s[16:17]
	s_mov_b64 s[22:23], -1
	s_mov_b64 s[16:17], 0
	s_mov_b64 s[24:25], s[16:17]
	s_branch .LBB121_120
.LBB121_110:                            ;   in Loop: Header=BB121_21 Depth=1
	v_readlane_b32 s0, v50, 37
	s_mov_b64 s[14:15], 0
	v_readlane_b32 s1, v50, 38
                                        ; implicit-def: $vgpr19
	s_and_saveexec_b64 s[16:17], s[0:1]
	s_cbranch_execz .LBB121_119
; %bb.111:                              ;   in Loop: Header=BB121_21 Depth=1
	s_mov_b64 s[22:23], 0
	v_mov_b32_e32 v8, v6
	v_mov_b32_e32 v2, v0
                                        ; implicit-def: $sgpr24_sgpr25
	s_branch .LBB121_113
.LBB121_112:                            ;   in Loop: Header=BB121_113 Depth=2
	s_or_b64 exec, exec, s[14:15]
	s_waitcnt lgkmcnt(0)
	s_barrier
	ds_read_b64 v[18:19], v9 offset:3072
	v_add_u32_e32 v2, s59, v2
	v_cmp_le_u32_e64 s[14:15], s78, v2
	v_add_u32_e32 v8, s83, v8
	s_waitcnt lgkmcnt(0)
	v_cmp_neq_f32_e32 vcc, 0, v18
	s_or_b64 s[8:9], s[14:15], vcc
	s_and_b64 s[8:9], exec, s[8:9]
	s_or_b64 s[22:23], s[8:9], s[22:23]
	s_andn2_b64 s[8:9], s[24:25], exec
	s_and_b64 s[14:15], vcc, exec
	s_or_b64 s[24:25], s[8:9], s[14:15]
	s_barrier
	s_andn2_b64 exec, exec, s[22:23]
	s_cbranch_execz .LBB121_118
.LBB121_113:                            ;   Parent Loop BB121_21 Depth=1
                                        ; =>  This Inner Loop Header: Depth=2
	v_cmp_gt_u32_e32 vcc, s56, v2
	s_waitcnt vmcnt(0)
	v_mov_b32_e32 v17, 0
	s_and_saveexec_b64 s[26:27], vcc
	s_cbranch_execz .LBB121_115
; %bb.114:                              ;   in Loop: Header=BB121_113 Depth=2
	v_lshlrev_b64 v[4:5], 2, v[8:9]
	v_mov_b32_e32 v3, s82
	v_add_co_u32_e64 v4, s[14:15], s57, v4
	v_addc_co_u32_e64 v5, s[14:15], v3, v5, s[14:15]
	global_load_dword v17, v[4:5], off
.LBB121_115:                            ;   in Loop: Header=BB121_113 Depth=2
	s_or_b64 exec, exec, s[26:27]
	s_and_saveexec_b64 s[14:15], vcc
	s_cbranch_execz .LBB121_112
; %bb.116:                              ;   in Loop: Header=BB121_113 Depth=2
	s_waitcnt vmcnt(0)
	v_cmp_lt_i32_e32 vcc, -1, v17
	v_cndmask_b32_e32 v3, -1, v32, vcc
	v_xor_b32_e32 v3, v3, v17
	v_cmp_o_f32_e32 vcc, v17, v17
	v_cndmask_b32_e32 v3, -1, v3, vcc
	v_and_b32_e32 v3, s73, v3
	v_cmp_eq_u32_e32 vcc, s2, v3
	s_and_b64 exec, exec, vcc
	s_cbranch_execz .LBB121_112
; %bb.117:                              ;   in Loop: Header=BB121_113 Depth=2
	ds_write_b64 v9, v[16:17] offset:3072
	s_branch .LBB121_112
.LBB121_118:                            ;   in Loop: Header=BB121_21 Depth=1
	s_or_b64 exec, exec, s[22:23]
	s_and_b64 s[14:15], s[24:25], exec
.LBB121_119:                            ;   in Loop: Header=BB121_21 Depth=1
	s_or_b64 exec, exec, s[16:17]
	s_mov_b64 s[24:25], -1
	s_mov_b64 s[16:17], 0
	s_mov_b64 s[22:23], 0
.LBB121_120:                            ;   in Loop: Header=BB121_21 Depth=1
	s_andn2_b64 s[8:9], s[62:63], exec
	s_and_b64 s[16:17], s[16:17], exec
	s_or_b64 s[62:63], s[8:9], s[16:17]
	s_andn2_b64 s[8:9], s[60:61], exec
	s_and_b64 s[16:17], s[24:25], exec
	s_or_b64 s[60:61], s[8:9], s[16:17]
	s_andn2_b64 s[8:9], s[94:95], exec
	s_and_b64 s[16:17], s[22:23], exec
	s_or_b64 s[94:95], s[8:9], s[16:17]
	s_and_saveexec_b64 s[16:17], s[14:15]
	s_cbranch_execz .LBB121_20
; %bb.121:                              ;   in Loop: Header=BB121_21 Depth=1
	s_xor_b64 s[8:9], s[20:21], -1
	s_mov_b64 s[14:15], 0
	s_andn2_b64 vcc, exec, s[8:9]
	s_mov_b32 s35, 1
	s_cbranch_vccnz .LBB121_132
; %bb.122:                              ;   in Loop: Header=BB121_21 Depth=1
	s_cmp_gt_u32 s3, s28
	s_mov_b64 s[14:15], -1
                                        ; implicit-def: $sgpr52
                                        ; implicit-def: $sgpr8
                                        ; implicit-def: $sgpr9
	s_cbranch_scc1 .LBB121_128
; %bb.123:                              ;   in Loop: Header=BB121_21 Depth=1
	ds_read_b32 v2, v9 offset:4104
	s_waitcnt lgkmcnt(0)
	v_cmp_ne_u32_e32 vcc, 0, v2
	s_cbranch_vccnz .LBB121_127
; %bb.124:                              ;   in Loop: Header=BB121_21 Depth=1
	s_mov_b64 s[14:15], exec
	v_readlane_b32 s8, v50, 15
	v_readlane_b32 s9, v50, 16
	s_and_b64 s[8:9], s[14:15], s[8:9]
	s_mov_b64 exec, s[8:9]
	s_cbranch_execz .LBB121_126
; %bb.125:                              ;   in Loop: Header=BB121_21 Depth=1
	v_mov_b32_e32 v2, s28
	ds_write_b32 v9, v2 offset:4108
.LBB121_126:                            ;   in Loop: Header=BB121_21 Depth=1
	s_or_b64 exec, exec, s[14:15]
	s_waitcnt lgkmcnt(0)
	s_barrier
.LBB121_127:                            ;   in Loop: Header=BB121_21 Depth=1
	s_and_b32 s8, s2, s44
	s_or_b32 s9, s73, s51
	s_mov_b64 s[14:15], 0
	s_mov_b32 s52, 8
.LBB121_128:                            ;   in Loop: Header=BB121_21 Depth=1
	s_andn2_b64 vcc, exec, s[14:15]
	s_cbranch_vccnz .LBB121_130
; %bb.129:                              ;   in Loop: Header=BB121_21 Depth=1
	s_sub_i32 s3, s3, s28
	s_mov_b64 s[14:15], -1
	s_mov_b32 s52, 0
	s_mov_b32 s8, s2
	;; [unrolled: 1-line block ×3, first 2 shown]
.LBB121_130:                            ;   in Loop: Header=BB121_21 Depth=1
	s_mov_b32 s73, s9
	s_mov_b32 s2, s8
	;; [unrolled: 1-line block ×3, first 2 shown]
	s_mov_b64 s[18:19], -1
	s_and_b64 vcc, exec, s[14:15]
	s_cbranch_vccnz .LBB121_133
.LBB121_131:                            ;   in Loop: Header=BB121_21 Depth=1
	s_mov_b64 s[30:31], -1
                                        ; implicit-def: $sgpr20_sgpr21
                                        ; implicit-def: $sgpr24_sgpr25
                                        ; implicit-def: $sgpr22_sgpr23
                                        ; implicit-def: $sgpr3
	s_and_saveexec_b64 s[8:9], s[30:31]
	s_xor_b64 s[14:15], exec, s[8:9]
	s_cbranch_execz .LBB121_19
	s_branch .LBB121_256
.LBB121_132:                            ;   in Loop: Header=BB121_21 Depth=1
	s_mov_b32 s52, 1
	s_mov_b64 s[18:19], -1
	s_and_b64 vcc, exec, s[14:15]
	s_cbranch_vccz .LBB121_131
.LBB121_133:                            ;   in Loop: Header=BB121_21 Depth=1
	s_cmp_eq_u32 s34, 1
	s_cselect_b64 s[8:9], -1, 0
	s_cmp_eq_u32 s35, 1
	s_cselect_b64 s[14:15], -1, 0
	s_and_b64 s[28:29], s[8:9], s[14:15]
	s_mov_b64 s[14:15], -1
	s_and_b64 vcc, exec, s[28:29]
	s_cbranch_vccz .LBB121_145
; %bb.134:                              ;   in Loop: Header=BB121_21 Depth=1
	ds_read_b32 v2, v9 offset:4104
	s_waitcnt lgkmcnt(0)
	s_barrier
	v_readfirstlane_b32 s3, v2
	s_and_saveexec_b64 s[14:15], s[6:7]
	s_cbranch_execz .LBB121_136
; %bb.135:                              ;   in Loop: Header=BB121_21 Depth=1
	ds_write_b32 v21, v9
.LBB121_136:                            ;   in Loop: Header=BB121_21 Depth=1
	s_or_b64 exec, exec, s[14:15]
	s_lshl_b32 s8, 1, s43
	s_and_b32 s2, s2, s44
	s_or_b32 s2, s2, s8
	s_or_b32 s73, s73, s51
	s_cmp_eq_u32 s3, 0
	s_waitcnt lgkmcnt(0)
	s_barrier
	s_cbranch_scc1 .LBB121_146
; %bb.137:                              ;   in Loop: Header=BB121_21 Depth=1
	v_readlane_b32 s8, v50, 17
	s_add_i32 s8, s3, s8
	v_readlane_b32 s0, v50, 36
	s_mul_hi_u32 s9, s8, s0
	s_mul_i32 s9, s9, s59
	s_sub_i32 s9, s8, s9
	s_sub_i32 s14, s9, s59
	s_cmp_ge_u32 s9, s59
	s_cselect_b32 s9, s14, s9
	s_sub_i32 s14, s9, s59
	s_cmp_ge_u32 s9, s59
	s_cselect_b32 s9, s14, s9
	s_sub_i32 s8, s8, s9
	v_cmp_gt_u32_e32 vcc, s8, v0
	s_mov_b64 s[14:15], 0
                                        ; implicit-def: $vgpr19
	s_and_saveexec_b64 s[20:21], vcc
	s_cbranch_execz .LBB121_148
; %bb.138:                              ;   in Loop: Header=BB121_21 Depth=1
	s_mov_b64 s[22:23], 0
	v_mov_b32_e32 v2, v20
	v_mov_b32_e32 v3, v0
                                        ; implicit-def: $sgpr24_sgpr25
	s_branch .LBB121_140
.LBB121_139:                            ;   in Loop: Header=BB121_140 Depth=2
	s_or_b64 exec, exec, s[14:15]
	s_waitcnt lgkmcnt(0)
	s_barrier
	ds_read_b64 v[18:19], v9 offset:3072
	v_add_u32_e32 v3, s59, v3
	v_cmp_le_u32_e64 s[14:15], s8, v3
	v_add_u32_e32 v2, s85, v2
	s_waitcnt lgkmcnt(0)
	v_cmp_neq_f32_e32 vcc, 0, v18
	s_or_b64 s[14:15], s[14:15], vcc
	s_and_b64 s[14:15], exec, s[14:15]
	s_or_b64 s[22:23], s[14:15], s[22:23]
	s_andn2_b64 s[14:15], s[24:25], exec
	s_and_b64 s[24:25], vcc, exec
	s_or_b64 s[24:25], s[14:15], s[24:25]
	s_barrier
	s_andn2_b64 exec, exec, s[22:23]
	s_cbranch_execz .LBB121_147
.LBB121_140:                            ;   Parent Loop BB121_21 Depth=1
                                        ; =>  This Inner Loop Header: Depth=2
	v_cmp_gt_u32_e32 vcc, s3, v3
	s_waitcnt vmcnt(0)
	v_mov_b32_e32 v17, 0
	s_and_saveexec_b64 s[14:15], vcc
	s_cbranch_execz .LBB121_142
; %bb.141:                              ;   in Loop: Header=BB121_140 Depth=2
	ds_read_b32 v17, v2
.LBB121_142:                            ;   in Loop: Header=BB121_140 Depth=2
	s_or_b64 exec, exec, s[14:15]
	s_and_saveexec_b64 s[14:15], vcc
	s_cbranch_execz .LBB121_139
; %bb.143:                              ;   in Loop: Header=BB121_140 Depth=2
	s_waitcnt lgkmcnt(0)
	v_cmp_lt_i32_e32 vcc, -1, v17
	v_cndmask_b32_e32 v4, -1, v32, vcc
	v_xor_b32_e32 v4, v4, v17
	v_cmp_o_f32_e32 vcc, v17, v17
	v_cndmask_b32_e32 v4, -1, v4, vcc
	v_and_b32_e32 v4, s73, v4
	v_cmp_eq_u32_e32 vcc, s2, v4
	s_and_b64 exec, exec, vcc
	s_cbranch_execz .LBB121_139
; %bb.144:                              ;   in Loop: Header=BB121_140 Depth=2
	ds_write_b64 v9, v[16:17] offset:3072
	s_branch .LBB121_139
.LBB121_145:                            ;   in Loop: Header=BB121_21 Depth=1
                                        ; implicit-def: $sgpr22_sgpr23
                                        ; implicit-def: $sgpr24_sgpr25
                                        ; implicit-def: $sgpr20_sgpr21
	s_branch .LBB121_159
.LBB121_146:                            ;   in Loop: Header=BB121_21 Depth=1
	s_mov_b64 s[22:23], -1
	s_mov_b64 s[14:15], 0
                                        ; implicit-def: $sgpr20_sgpr21
                                        ; implicit-def: $vgpr19
	s_mov_b64 s[24:25], s[22:23]
	s_cbranch_execnz .LBB121_149
	s_branch .LBB121_159
.LBB121_147:                            ;   in Loop: Header=BB121_21 Depth=1
	s_or_b64 exec, exec, s[22:23]
	s_and_b64 s[14:15], s[24:25], exec
.LBB121_148:                            ;   in Loop: Header=BB121_21 Depth=1
	s_or_b64 exec, exec, s[20:21]
	s_mov_b64 s[20:21], -1
	s_mov_b64 s[22:23], 0
	s_mov_b64 s[24:25], s[22:23]
	s_branch .LBB121_159
.LBB121_149:                            ;   in Loop: Header=BB121_21 Depth=1
	v_readlane_b32 s0, v50, 37
	s_mov_b64 s[14:15], 0
	v_readlane_b32 s1, v50, 38
                                        ; implicit-def: $vgpr19
	s_and_saveexec_b64 s[20:21], s[0:1]
	s_cbranch_execz .LBB121_158
; %bb.150:                              ;   in Loop: Header=BB121_21 Depth=1
	s_mov_b64 s[22:23], 0
	v_mov_b32_e32 v8, v6
	v_mov_b32_e32 v2, v0
                                        ; implicit-def: $sgpr24_sgpr25
	s_branch .LBB121_152
.LBB121_151:                            ;   in Loop: Header=BB121_152 Depth=2
	s_or_b64 exec, exec, s[14:15]
	s_waitcnt lgkmcnt(0)
	s_barrier
	ds_read_b64 v[18:19], v9 offset:3072
	v_add_u32_e32 v2, s59, v2
	v_cmp_le_u32_e64 s[14:15], s78, v2
	v_add_u32_e32 v8, s83, v8
	s_waitcnt lgkmcnt(0)
	v_cmp_neq_f32_e32 vcc, 0, v18
	s_or_b64 s[8:9], s[14:15], vcc
	s_and_b64 s[8:9], exec, s[8:9]
	s_or_b64 s[22:23], s[8:9], s[22:23]
	s_andn2_b64 s[8:9], s[24:25], exec
	s_and_b64 s[14:15], vcc, exec
	s_or_b64 s[24:25], s[8:9], s[14:15]
	s_barrier
	s_andn2_b64 exec, exec, s[22:23]
	s_cbranch_execz .LBB121_157
.LBB121_152:                            ;   Parent Loop BB121_21 Depth=1
                                        ; =>  This Inner Loop Header: Depth=2
	v_cmp_gt_u32_e32 vcc, s56, v2
	s_waitcnt vmcnt(0)
	v_mov_b32_e32 v17, 0
	s_and_saveexec_b64 s[26:27], vcc
	s_cbranch_execz .LBB121_154
; %bb.153:                              ;   in Loop: Header=BB121_152 Depth=2
	v_lshlrev_b64 v[4:5], 2, v[8:9]
	v_mov_b32_e32 v3, s82
	v_add_co_u32_e64 v4, s[14:15], s57, v4
	v_addc_co_u32_e64 v5, s[14:15], v3, v5, s[14:15]
	global_load_dword v17, v[4:5], off
.LBB121_154:                            ;   in Loop: Header=BB121_152 Depth=2
	s_or_b64 exec, exec, s[26:27]
	s_and_saveexec_b64 s[14:15], vcc
	s_cbranch_execz .LBB121_151
; %bb.155:                              ;   in Loop: Header=BB121_152 Depth=2
	s_waitcnt vmcnt(0)
	v_cmp_lt_i32_e32 vcc, -1, v17
	v_cndmask_b32_e32 v3, -1, v32, vcc
	v_xor_b32_e32 v3, v3, v17
	v_cmp_o_f32_e32 vcc, v17, v17
	v_cndmask_b32_e32 v3, -1, v3, vcc
	v_and_b32_e32 v3, s73, v3
	v_cmp_eq_u32_e32 vcc, s2, v3
	s_and_b64 exec, exec, vcc
	s_cbranch_execz .LBB121_151
; %bb.156:                              ;   in Loop: Header=BB121_152 Depth=2
	ds_write_b64 v9, v[16:17] offset:3072
	s_branch .LBB121_151
.LBB121_157:                            ;   in Loop: Header=BB121_21 Depth=1
	s_or_b64 exec, exec, s[22:23]
	s_and_b64 s[14:15], s[24:25], exec
.LBB121_158:                            ;   in Loop: Header=BB121_21 Depth=1
	s_or_b64 exec, exec, s[20:21]
	s_mov_b64 s[24:25], -1
	s_mov_b64 s[22:23], 0
	s_mov_b64 s[20:21], 0
.LBB121_159:                            ;   in Loop: Header=BB121_21 Depth=1
	s_mov_b64 s[30:31], 0
                                        ; implicit-def: $sgpr52
	s_and_saveexec_b64 s[26:27], s[14:15]
	s_cbranch_execz .LBB121_255
; %bb.160:                              ;   in Loop: Header=BB121_21 Depth=1
	s_xor_b64 s[8:9], s[28:29], -1
	s_mov_b64 s[14:15], 0
	s_andn2_b64 vcc, exec, s[8:9]
	s_mov_b32 s45, 1
	s_cbranch_vccnz .LBB121_171
; %bb.161:                              ;   in Loop: Header=BB121_21 Depth=1
	s_cmp_gt_u32 s35, s34
	s_mov_b64 s[14:15], -1
                                        ; implicit-def: $sgpr52
                                        ; implicit-def: $sgpr3
                                        ; implicit-def: $sgpr8
	s_cbranch_scc1 .LBB121_167
; %bb.162:                              ;   in Loop: Header=BB121_21 Depth=1
	ds_read_b32 v2, v9 offset:4104
	s_waitcnt lgkmcnt(0)
	v_cmp_ne_u32_e32 vcc, 0, v2
	s_cbranch_vccnz .LBB121_166
; %bb.163:                              ;   in Loop: Header=BB121_21 Depth=1
	s_mov_b64 s[14:15], exec
	v_readlane_b32 s8, v50, 15
	v_readlane_b32 s9, v50, 16
	s_and_b64 s[8:9], s[14:15], s[8:9]
	s_mov_b64 exec, s[8:9]
	s_cbranch_execz .LBB121_165
; %bb.164:                              ;   in Loop: Header=BB121_21 Depth=1
	v_mov_b32_e32 v2, s34
	ds_write_b32 v9, v2 offset:4108
.LBB121_165:                            ;   in Loop: Header=BB121_21 Depth=1
	s_or_b64 exec, exec, s[14:15]
	s_waitcnt lgkmcnt(0)
	s_barrier
.LBB121_166:                            ;   in Loop: Header=BB121_21 Depth=1
	s_lshl_b32 s3, 1, s43
	s_and_b32 s8, s2, s44
	s_or_b32 s3, s8, s3
	s_or_b32 s8, s73, s51
	s_mov_b64 s[14:15], 0
	s_mov_b32 s52, 8
.LBB121_167:                            ;   in Loop: Header=BB121_21 Depth=1
	s_andn2_b64 vcc, exec, s[14:15]
	s_cbranch_vccnz .LBB121_169
; %bb.168:                              ;   in Loop: Header=BB121_21 Depth=1
	s_sub_i32 s35, s35, s34
	s_mov_b64 s[14:15], -1
	s_mov_b32 s52, 0
	s_mov_b32 s3, s2
	;; [unrolled: 1-line block ×3, first 2 shown]
.LBB121_169:                            ;   in Loop: Header=BB121_21 Depth=1
	s_mov_b32 s73, s8
	s_mov_b32 s2, s3
	;; [unrolled: 1-line block ×3, first 2 shown]
	s_andn2_b64 vcc, exec, s[14:15]
	s_mov_b64 s[40:41], -1
	s_cbranch_vccz .LBB121_172
.LBB121_170:                            ;   in Loop: Header=BB121_21 Depth=1
                                        ; implicit-def: $sgpr30_sgpr31
                                        ; implicit-def: $sgpr34_sgpr35
                                        ; implicit-def: $sgpr28_sgpr29
	s_branch .LBB121_254
.LBB121_171:                            ;   in Loop: Header=BB121_21 Depth=1
	s_mov_b32 s52, 1
	s_andn2_b64 vcc, exec, s[14:15]
	s_mov_b64 s[40:41], -1
	s_cbranch_vccnz .LBB121_170
.LBB121_172:                            ;   in Loop: Header=BB121_21 Depth=1
	s_cmp_eq_u32 s42, 1
	s_cselect_b64 s[8:9], -1, 0
	s_cmp_eq_u32 s45, 1
	s_cselect_b64 s[14:15], -1, 0
	s_and_b64 s[38:39], s[8:9], s[14:15]
	s_mov_b64 s[14:15], -1
	s_and_b64 vcc, exec, s[38:39]
	s_cbranch_vccz .LBB121_184
; %bb.173:                              ;   in Loop: Header=BB121_21 Depth=1
	ds_read_b32 v2, v9 offset:4104
	s_waitcnt lgkmcnt(0)
	s_barrier
	v_readfirstlane_b32 s3, v2
	s_and_saveexec_b64 s[14:15], s[6:7]
	s_cbranch_execz .LBB121_175
; %bb.174:                              ;   in Loop: Header=BB121_21 Depth=1
	ds_write_b32 v21, v9
.LBB121_175:                            ;   in Loop: Header=BB121_21 Depth=1
	s_or_b64 exec, exec, s[14:15]
	s_lshl_b32 s8, 2, s43
	s_and_b32 s2, s2, s44
	s_or_b32 s2, s2, s8
	s_or_b32 s73, s73, s51
	s_cmp_eq_u32 s3, 0
	s_waitcnt lgkmcnt(0)
	s_barrier
	s_cbranch_scc1 .LBB121_185
; %bb.176:                              ;   in Loop: Header=BB121_21 Depth=1
	v_readlane_b32 s8, v50, 17
	s_add_i32 s8, s3, s8
	v_readlane_b32 s0, v50, 36
	s_mul_hi_u32 s9, s8, s0
	s_mul_i32 s9, s9, s59
	s_sub_i32 s9, s8, s9
	s_sub_i32 s14, s9, s59
	s_cmp_ge_u32 s9, s59
	s_cselect_b32 s9, s14, s9
	s_sub_i32 s14, s9, s59
	s_cmp_ge_u32 s9, s59
	s_cselect_b32 s9, s14, s9
	s_sub_i32 s8, s8, s9
	v_cmp_gt_u32_e32 vcc, s8, v0
	s_mov_b64 s[14:15], 0
                                        ; implicit-def: $vgpr19
	s_and_saveexec_b64 s[28:29], vcc
	s_cbranch_execz .LBB121_187
; %bb.177:                              ;   in Loop: Header=BB121_21 Depth=1
	v_mov_b32_e32 v2, v20
	v_mov_b32_e32 v3, v0
                                        ; implicit-def: $sgpr34_sgpr35
	s_branch .LBB121_179
.LBB121_178:                            ;   in Loop: Header=BB121_179 Depth=2
	s_or_b64 exec, exec, s[14:15]
	s_waitcnt lgkmcnt(0)
	s_barrier
	ds_read_b64 v[18:19], v9 offset:3072
	v_add_u32_e32 v3, s59, v3
	v_cmp_le_u32_e64 s[14:15], s8, v3
	v_add_u32_e32 v2, s85, v2
	s_waitcnt lgkmcnt(0)
	v_cmp_neq_f32_e32 vcc, 0, v18
	s_or_b64 s[14:15], s[14:15], vcc
	s_and_b64 s[14:15], exec, s[14:15]
	s_or_b64 s[30:31], s[14:15], s[30:31]
	s_andn2_b64 s[14:15], s[34:35], exec
	s_and_b64 s[34:35], vcc, exec
	s_or_b64 s[34:35], s[14:15], s[34:35]
	s_barrier
	s_andn2_b64 exec, exec, s[30:31]
	s_cbranch_execz .LBB121_186
.LBB121_179:                            ;   Parent Loop BB121_21 Depth=1
                                        ; =>  This Inner Loop Header: Depth=2
	v_cmp_gt_u32_e32 vcc, s3, v3
	s_waitcnt vmcnt(0)
	v_mov_b32_e32 v17, 0
	s_and_saveexec_b64 s[14:15], vcc
	s_cbranch_execz .LBB121_181
; %bb.180:                              ;   in Loop: Header=BB121_179 Depth=2
	ds_read_b32 v17, v2
.LBB121_181:                            ;   in Loop: Header=BB121_179 Depth=2
	s_or_b64 exec, exec, s[14:15]
	s_and_saveexec_b64 s[14:15], vcc
	s_cbranch_execz .LBB121_178
; %bb.182:                              ;   in Loop: Header=BB121_179 Depth=2
	s_waitcnt lgkmcnt(0)
	v_cmp_lt_i32_e32 vcc, -1, v17
	v_cndmask_b32_e32 v4, -1, v32, vcc
	v_xor_b32_e32 v4, v4, v17
	v_cmp_o_f32_e32 vcc, v17, v17
	v_cndmask_b32_e32 v4, -1, v4, vcc
	v_and_b32_e32 v4, s73, v4
	v_cmp_eq_u32_e32 vcc, s2, v4
	s_and_b64 exec, exec, vcc
	s_cbranch_execz .LBB121_178
; %bb.183:                              ;   in Loop: Header=BB121_179 Depth=2
	ds_write_b64 v9, v[16:17] offset:3072
	s_branch .LBB121_178
.LBB121_184:                            ;   in Loop: Header=BB121_21 Depth=1
                                        ; implicit-def: $sgpr28_sgpr29
                                        ; implicit-def: $sgpr34_sgpr35
                                        ; implicit-def: $sgpr30_sgpr31
	s_branch .LBB121_198
.LBB121_185:                            ;   in Loop: Header=BB121_21 Depth=1
	s_mov_b64 s[28:29], -1
	s_mov_b64 s[14:15], 0
                                        ; implicit-def: $sgpr30_sgpr31
                                        ; implicit-def: $vgpr19
	s_mov_b64 s[34:35], s[28:29]
	s_cbranch_execnz .LBB121_188
	s_branch .LBB121_198
.LBB121_186:                            ;   in Loop: Header=BB121_21 Depth=1
	s_or_b64 exec, exec, s[30:31]
	s_and_b64 s[14:15], s[34:35], exec
.LBB121_187:                            ;   in Loop: Header=BB121_21 Depth=1
	s_or_b64 exec, exec, s[28:29]
	s_mov_b64 s[30:31], -1
	s_mov_b64 s[28:29], 0
	s_mov_b64 s[34:35], s[28:29]
	s_branch .LBB121_198
.LBB121_188:                            ;   in Loop: Header=BB121_21 Depth=1
	v_readlane_b32 s0, v50, 37
	s_mov_b64 s[14:15], 0
	v_readlane_b32 s1, v50, 38
                                        ; implicit-def: $vgpr19
	s_and_saveexec_b64 s[28:29], s[0:1]
	s_cbranch_execz .LBB121_197
; %bb.189:                              ;   in Loop: Header=BB121_21 Depth=1
	s_mov_b64 s[30:31], 0
	v_mov_b32_e32 v8, v6
	v_mov_b32_e32 v2, v0
                                        ; implicit-def: $sgpr34_sgpr35
	s_branch .LBB121_191
.LBB121_190:                            ;   in Loop: Header=BB121_191 Depth=2
	s_or_b64 exec, exec, s[14:15]
	s_waitcnt lgkmcnt(0)
	s_barrier
	ds_read_b64 v[18:19], v9 offset:3072
	v_add_u32_e32 v2, s59, v2
	v_cmp_le_u32_e64 s[14:15], s78, v2
	v_add_u32_e32 v8, s83, v8
	s_waitcnt lgkmcnt(0)
	v_cmp_neq_f32_e32 vcc, 0, v18
	s_or_b64 s[8:9], s[14:15], vcc
	s_and_b64 s[8:9], exec, s[8:9]
	s_or_b64 s[30:31], s[8:9], s[30:31]
	s_andn2_b64 s[8:9], s[34:35], exec
	s_and_b64 s[14:15], vcc, exec
	s_or_b64 s[34:35], s[8:9], s[14:15]
	s_barrier
	s_andn2_b64 exec, exec, s[30:31]
	s_cbranch_execz .LBB121_196
.LBB121_191:                            ;   Parent Loop BB121_21 Depth=1
                                        ; =>  This Inner Loop Header: Depth=2
	v_cmp_gt_u32_e32 vcc, s56, v2
	s_waitcnt vmcnt(0)
	v_mov_b32_e32 v17, 0
	s_and_saveexec_b64 s[36:37], vcc
	s_cbranch_execz .LBB121_193
; %bb.192:                              ;   in Loop: Header=BB121_191 Depth=2
	v_lshlrev_b64 v[4:5], 2, v[8:9]
	v_mov_b32_e32 v3, s82
	v_add_co_u32_e64 v4, s[14:15], s57, v4
	v_addc_co_u32_e64 v5, s[14:15], v3, v5, s[14:15]
	global_load_dword v17, v[4:5], off
.LBB121_193:                            ;   in Loop: Header=BB121_191 Depth=2
	s_or_b64 exec, exec, s[36:37]
	s_and_saveexec_b64 s[14:15], vcc
	s_cbranch_execz .LBB121_190
; %bb.194:                              ;   in Loop: Header=BB121_191 Depth=2
	s_waitcnt vmcnt(0)
	v_cmp_lt_i32_e32 vcc, -1, v17
	v_cndmask_b32_e32 v3, -1, v32, vcc
	v_xor_b32_e32 v3, v3, v17
	v_cmp_o_f32_e32 vcc, v17, v17
	v_cndmask_b32_e32 v3, -1, v3, vcc
	v_and_b32_e32 v3, s73, v3
	v_cmp_eq_u32_e32 vcc, s2, v3
	s_and_b64 exec, exec, vcc
	s_cbranch_execz .LBB121_190
; %bb.195:                              ;   in Loop: Header=BB121_191 Depth=2
	ds_write_b64 v9, v[16:17] offset:3072
	s_branch .LBB121_190
.LBB121_196:                            ;   in Loop: Header=BB121_21 Depth=1
	s_or_b64 exec, exec, s[30:31]
	s_and_b64 s[14:15], s[34:35], exec
.LBB121_197:                            ;   in Loop: Header=BB121_21 Depth=1
	s_or_b64 exec, exec, s[28:29]
	s_mov_b64 s[34:35], -1
	s_mov_b64 s[28:29], 0
	s_mov_b64 s[30:31], 0
.LBB121_198:                            ;   in Loop: Header=BB121_21 Depth=1
	s_mov_b64 s[40:41], 0
                                        ; implicit-def: $sgpr52
	s_and_saveexec_b64 s[36:37], s[14:15]
	s_cbranch_execz .LBB121_253
; %bb.199:                              ;   in Loop: Header=BB121_21 Depth=1
	s_xor_b64 s[8:9], s[38:39], -1
	s_mov_b64 s[14:15], 0
	s_andn2_b64 vcc, exec, s[8:9]
	s_mov_b32 s3, 1
	s_cbranch_vccnz .LBB121_210
; %bb.200:                              ;   in Loop: Header=BB121_21 Depth=1
	s_cmp_gt_u32 s45, s42
	s_mov_b64 s[14:15], -1
                                        ; implicit-def: $sgpr52
                                        ; implicit-def: $sgpr3
                                        ; implicit-def: $sgpr8
	s_cbranch_scc1 .LBB121_206
; %bb.201:                              ;   in Loop: Header=BB121_21 Depth=1
	ds_read_b32 v2, v9 offset:4104
	s_waitcnt lgkmcnt(0)
	v_cmp_ne_u32_e32 vcc, 0, v2
	s_cbranch_vccnz .LBB121_205
; %bb.202:                              ;   in Loop: Header=BB121_21 Depth=1
	s_mov_b64 s[14:15], exec
	v_readlane_b32 s8, v50, 15
	v_readlane_b32 s9, v50, 16
	s_and_b64 s[8:9], s[14:15], s[8:9]
	s_mov_b64 exec, s[8:9]
	s_cbranch_execz .LBB121_204
; %bb.203:                              ;   in Loop: Header=BB121_21 Depth=1
	v_mov_b32_e32 v2, s42
	ds_write_b32 v9, v2 offset:4108
.LBB121_204:                            ;   in Loop: Header=BB121_21 Depth=1
	s_or_b64 exec, exec, s[14:15]
	s_waitcnt lgkmcnt(0)
	s_barrier
.LBB121_205:                            ;   in Loop: Header=BB121_21 Depth=1
	s_lshl_b32 s3, 2, s43
	s_and_b32 s8, s2, s44
	s_or_b32 s3, s8, s3
	s_or_b32 s8, s73, s51
	s_mov_b64 s[14:15], 0
	s_mov_b32 s52, 8
.LBB121_206:                            ;   in Loop: Header=BB121_21 Depth=1
	s_andn2_b64 vcc, exec, s[14:15]
	s_cbranch_vccnz .LBB121_208
; %bb.207:                              ;   in Loop: Header=BB121_21 Depth=1
	s_sub_i32 s45, s45, s42
	s_mov_b64 s[14:15], -1
	s_mov_b32 s52, 0
	s_mov_b32 s3, s2
	;; [unrolled: 1-line block ×3, first 2 shown]
.LBB121_208:                            ;   in Loop: Header=BB121_21 Depth=1
	s_mov_b32 s73, s8
	s_mov_b32 s2, s3
	;; [unrolled: 1-line block ×3, first 2 shown]
	s_andn2_b64 vcc, exec, s[14:15]
	s_mov_b64 s[48:49], -1
	s_cbranch_vccz .LBB121_211
.LBB121_209:                            ;   in Loop: Header=BB121_21 Depth=1
                                        ; implicit-def: $sgpr14_sgpr15
                                        ; implicit-def: $sgpr42_sgpr43
                                        ; implicit-def: $sgpr40_sgpr41
	s_branch .LBB121_252
.LBB121_210:                            ;   in Loop: Header=BB121_21 Depth=1
	s_mov_b32 s52, 1
	s_andn2_b64 vcc, exec, s[14:15]
	s_mov_b64 s[48:49], -1
	s_cbranch_vccnz .LBB121_209
.LBB121_211:                            ;   in Loop: Header=BB121_21 Depth=1
	s_cmp_eq_u32 s50, 1
	s_cselect_b64 s[8:9], -1, 0
	s_cmp_eq_u32 s3, 1
	s_cselect_b64 s[14:15], -1, 0
	s_and_b64 s[38:39], s[8:9], s[14:15]
	s_mov_b64 s[44:45], -1
	s_and_b64 vcc, exec, s[38:39]
	s_cbranch_vccz .LBB121_223
; %bb.212:                              ;   in Loop: Header=BB121_21 Depth=1
	ds_read_b32 v2, v9 offset:4104
	s_waitcnt lgkmcnt(0)
	s_barrier
	v_readfirstlane_b32 s8, v2
	s_and_saveexec_b64 s[14:15], s[6:7]
	s_cbranch_execz .LBB121_214
; %bb.213:                              ;   in Loop: Header=BB121_21 Depth=1
	ds_write_b32 v21, v9
.LBB121_214:                            ;   in Loop: Header=BB121_21 Depth=1
	s_or_b64 exec, exec, s[14:15]
	s_or_b32 s2, s2, s51
	s_or_b32 s73, s73, s51
	s_cmp_eq_u32 s8, 0
	s_waitcnt lgkmcnt(0)
	s_barrier
	s_cbranch_scc1 .LBB121_224
; %bb.215:                              ;   in Loop: Header=BB121_21 Depth=1
	v_readlane_b32 s9, v50, 17
	s_add_i32 s9, s8, s9
	v_readlane_b32 s0, v50, 36
	s_mul_hi_u32 s14, s9, s0
	s_mul_i32 s14, s14, s59
	s_sub_i32 s14, s9, s14
	s_sub_i32 s15, s14, s59
	s_cmp_ge_u32 s14, s59
	s_cselect_b32 s14, s15, s14
	s_sub_i32 s15, s14, s59
	s_cmp_ge_u32 s14, s59
	s_cselect_b32 s14, s15, s14
	s_sub_i32 s9, s9, s14
	v_cmp_gt_u32_e32 vcc, s9, v0
	s_mov_b64 s[44:45], 0
                                        ; implicit-def: $vgpr19
	s_and_saveexec_b64 s[40:41], vcc
	s_cbranch_execz .LBB121_226
; %bb.216:                              ;   in Loop: Header=BB121_21 Depth=1
	s_mov_b64 s[42:43], 0
	v_mov_b32_e32 v2, v20
	v_mov_b32_e32 v3, v0
                                        ; implicit-def: $sgpr44_sgpr45
	s_branch .LBB121_218
.LBB121_217:                            ;   in Loop: Header=BB121_218 Depth=2
	s_or_b64 exec, exec, s[14:15]
	s_waitcnt lgkmcnt(0)
	s_barrier
	ds_read_b64 v[18:19], v9 offset:3072
	v_add_u32_e32 v3, s59, v3
	v_cmp_le_u32_e64 s[14:15], s9, v3
	v_add_u32_e32 v2, s85, v2
	s_waitcnt lgkmcnt(0)
	v_cmp_neq_f32_e32 vcc, 0, v18
	s_or_b64 s[14:15], s[14:15], vcc
	s_and_b64 s[14:15], exec, s[14:15]
	s_or_b64 s[42:43], s[14:15], s[42:43]
	s_andn2_b64 s[14:15], s[44:45], exec
	s_and_b64 s[44:45], vcc, exec
	s_or_b64 s[44:45], s[14:15], s[44:45]
	s_barrier
	s_andn2_b64 exec, exec, s[42:43]
	s_cbranch_execz .LBB121_225
.LBB121_218:                            ;   Parent Loop BB121_21 Depth=1
                                        ; =>  This Inner Loop Header: Depth=2
	v_cmp_gt_u32_e32 vcc, s8, v3
	s_waitcnt vmcnt(0)
	v_mov_b32_e32 v17, 0
	s_and_saveexec_b64 s[14:15], vcc
	s_cbranch_execz .LBB121_220
; %bb.219:                              ;   in Loop: Header=BB121_218 Depth=2
	ds_read_b32 v17, v2
.LBB121_220:                            ;   in Loop: Header=BB121_218 Depth=2
	s_or_b64 exec, exec, s[14:15]
	s_and_saveexec_b64 s[14:15], vcc
	s_cbranch_execz .LBB121_217
; %bb.221:                              ;   in Loop: Header=BB121_218 Depth=2
	s_waitcnt lgkmcnt(0)
	v_cmp_lt_i32_e32 vcc, -1, v17
	v_cndmask_b32_e32 v4, -1, v32, vcc
	v_xor_b32_e32 v4, v4, v17
	v_cmp_o_f32_e32 vcc, v17, v17
	v_cndmask_b32_e32 v4, -1, v4, vcc
	v_and_b32_e32 v4, s73, v4
	v_cmp_eq_u32_e32 vcc, s2, v4
	s_and_b64 exec, exec, vcc
	s_cbranch_execz .LBB121_217
; %bb.222:                              ;   in Loop: Header=BB121_218 Depth=2
	ds_write_b64 v9, v[16:17] offset:3072
	s_branch .LBB121_217
.LBB121_223:                            ;   in Loop: Header=BB121_21 Depth=1
                                        ; implicit-def: $sgpr14_sgpr15
                                        ; implicit-def: $sgpr42_sgpr43
                                        ; implicit-def: $sgpr40_sgpr41
	s_branch .LBB121_237
.LBB121_224:                            ;   in Loop: Header=BB121_21 Depth=1
	s_mov_b64 s[14:15], -1
	s_mov_b64 s[44:45], 0
                                        ; implicit-def: $sgpr40_sgpr41
                                        ; implicit-def: $vgpr19
	s_mov_b64 s[42:43], s[14:15]
	s_cbranch_execnz .LBB121_227
	s_branch .LBB121_237
.LBB121_225:                            ;   in Loop: Header=BB121_21 Depth=1
	s_or_b64 exec, exec, s[42:43]
	s_and_b64 s[44:45], s[44:45], exec
.LBB121_226:                            ;   in Loop: Header=BB121_21 Depth=1
	s_or_b64 exec, exec, s[40:41]
	s_mov_b64 s[40:41], -1
	s_mov_b64 s[14:15], 0
	s_mov_b64 s[42:43], s[14:15]
	s_branch .LBB121_237
.LBB121_227:                            ;   in Loop: Header=BB121_21 Depth=1
	v_readlane_b32 s0, v50, 37
	s_mov_b64 s[44:45], 0
	v_readlane_b32 s1, v50, 38
                                        ; implicit-def: $vgpr19
	s_and_saveexec_b64 s[40:41], s[0:1]
	s_cbranch_execz .LBB121_236
; %bb.228:                              ;   in Loop: Header=BB121_21 Depth=1
	s_mov_b64 s[42:43], 0
	v_mov_b32_e32 v8, v6
	v_mov_b32_e32 v2, v0
                                        ; implicit-def: $sgpr44_sgpr45
	s_branch .LBB121_230
.LBB121_229:                            ;   in Loop: Header=BB121_230 Depth=2
	s_or_b64 exec, exec, s[14:15]
	s_waitcnt lgkmcnt(0)
	s_barrier
	ds_read_b64 v[18:19], v9 offset:3072
	v_add_u32_e32 v2, s59, v2
	v_cmp_le_u32_e64 s[14:15], s78, v2
	v_add_u32_e32 v8, s83, v8
	s_waitcnt lgkmcnt(0)
	v_cmp_neq_f32_e32 vcc, 0, v18
	s_or_b64 s[8:9], s[14:15], vcc
	s_and_b64 s[8:9], exec, s[8:9]
	s_or_b64 s[42:43], s[8:9], s[42:43]
	s_andn2_b64 s[8:9], s[44:45], exec
	s_and_b64 s[14:15], vcc, exec
	s_or_b64 s[44:45], s[8:9], s[14:15]
	s_barrier
	s_andn2_b64 exec, exec, s[42:43]
	s_cbranch_execz .LBB121_235
.LBB121_230:                            ;   Parent Loop BB121_21 Depth=1
                                        ; =>  This Inner Loop Header: Depth=2
	v_cmp_gt_u32_e32 vcc, s56, v2
	s_waitcnt vmcnt(0)
	v_mov_b32_e32 v17, 0
	s_and_saveexec_b64 s[46:47], vcc
	s_cbranch_execz .LBB121_232
; %bb.231:                              ;   in Loop: Header=BB121_230 Depth=2
	v_lshlrev_b64 v[4:5], 2, v[8:9]
	v_mov_b32_e32 v3, s82
	v_add_co_u32_e64 v4, s[14:15], s57, v4
	v_addc_co_u32_e64 v5, s[14:15], v3, v5, s[14:15]
	global_load_dword v17, v[4:5], off
.LBB121_232:                            ;   in Loop: Header=BB121_230 Depth=2
	s_or_b64 exec, exec, s[46:47]
	s_and_saveexec_b64 s[14:15], vcc
	s_cbranch_execz .LBB121_229
; %bb.233:                              ;   in Loop: Header=BB121_230 Depth=2
	s_waitcnt vmcnt(0)
	v_cmp_lt_i32_e32 vcc, -1, v17
	v_cndmask_b32_e32 v3, -1, v32, vcc
	v_xor_b32_e32 v3, v3, v17
	v_cmp_o_f32_e32 vcc, v17, v17
	v_cndmask_b32_e32 v3, -1, v3, vcc
	v_and_b32_e32 v3, s73, v3
	v_cmp_eq_u32_e32 vcc, s2, v3
	s_and_b64 exec, exec, vcc
	s_cbranch_execz .LBB121_229
; %bb.234:                              ;   in Loop: Header=BB121_230 Depth=2
	ds_write_b64 v9, v[16:17] offset:3072
	s_branch .LBB121_229
.LBB121_235:                            ;   in Loop: Header=BB121_21 Depth=1
	s_or_b64 exec, exec, s[42:43]
	s_and_b64 s[44:45], s[44:45], exec
.LBB121_236:                            ;   in Loop: Header=BB121_21 Depth=1
	s_or_b64 exec, exec, s[40:41]
	s_mov_b64 s[42:43], -1
	s_mov_b64 s[14:15], 0
	s_mov_b64 s[40:41], 0
.LBB121_237:                            ;   in Loop: Header=BB121_21 Depth=1
	s_mov_b64 s[48:49], 0
                                        ; implicit-def: $sgpr52
	s_and_saveexec_b64 s[46:47], s[44:45]
	s_cbranch_execz .LBB121_251
; %bb.238:                              ;   in Loop: Header=BB121_21 Depth=1
	s_xor_b64 s[8:9], s[38:39], -1
	s_andn2_b64 vcc, exec, s[8:9]
	s_mov_b32 s52, 1
	s_cbranch_vccnz .LBB121_245
; %bb.239:                              ;   in Loop: Header=BB121_21 Depth=1
	s_cmp_gt_u32 s3, s50
	s_cbranch_scc1 .LBB121_246
; %bb.240:                              ;   in Loop: Header=BB121_21 Depth=1
	ds_read_b32 v2, v9 offset:4104
	s_waitcnt lgkmcnt(0)
	v_cmp_ne_u32_e32 vcc, 0, v2
	s_cbranch_vccnz .LBB121_244
; %bb.241:                              ;   in Loop: Header=BB121_21 Depth=1
	s_mov_b64 s[38:39], exec
	v_readlane_b32 s8, v50, 15
	v_readlane_b32 s9, v50, 16
	s_and_b64 s[8:9], s[38:39], s[8:9]
	s_mov_b64 exec, s[8:9]
	s_cbranch_execz .LBB121_243
; %bb.242:                              ;   in Loop: Header=BB121_21 Depth=1
	v_mov_b32_e32 v2, s50
	ds_write_b32 v9, v2 offset:4108
.LBB121_243:                            ;   in Loop: Header=BB121_21 Depth=1
	s_or_b64 exec, exec, s[38:39]
	s_waitcnt lgkmcnt(0)
	s_barrier
.LBB121_244:                            ;   in Loop: Header=BB121_21 Depth=1
	s_or_b32 s8, s2, s51
	s_or_b32 s9, s73, s51
	s_mov_b64 s[38:39], 0
	s_mov_b32 s52, 8
	s_branch .LBB121_247
.LBB121_245:                            ;   in Loop: Header=BB121_21 Depth=1
	s_mov_b32 s3, 1
	s_branch .LBB121_250
.LBB121_246:                            ;   in Loop: Header=BB121_21 Depth=1
	s_mov_b64 s[38:39], -1
                                        ; implicit-def: $sgpr52
                                        ; implicit-def: $sgpr8
                                        ; implicit-def: $sgpr9
.LBB121_247:                            ;   in Loop: Header=BB121_21 Depth=1
	s_andn2_b64 vcc, exec, s[38:39]
	s_cbranch_vccnz .LBB121_249
; %bb.248:                              ;   in Loop: Header=BB121_21 Depth=1
	s_sub_i32 s3, s3, s50
	s_mov_b32 s52, 8
	s_mov_b32 s8, s2
	;; [unrolled: 1-line block ×3, first 2 shown]
.LBB121_249:                            ;   in Loop: Header=BB121_21 Depth=1
	s_mov_b32 s2, s8
	s_mov_b32 s73, s9
.LBB121_250:                            ;   in Loop: Header=BB121_21 Depth=1
	s_mov_b64 s[48:49], exec
.LBB121_251:                            ;   in Loop: Header=BB121_21 Depth=1
	s_or_b64 exec, exec, s[46:47]
.LBB121_252:                            ;   in Loop: Header=BB121_21 Depth=1
	s_andn2_b64 s[8:9], s[28:29], exec
	s_and_b64 s[14:15], s[14:15], exec
	s_or_b64 s[28:29], s[8:9], s[14:15]
	s_andn2_b64 s[8:9], s[34:35], exec
	s_and_b64 s[14:15], s[42:43], exec
	s_or_b64 s[34:35], s[8:9], s[14:15]
	;; [unrolled: 3-line block ×3, first 2 shown]
	s_and_b64 s[40:41], s[48:49], exec
	s_mov_b32 s45, s3
.LBB121_253:                            ;   in Loop: Header=BB121_21 Depth=1
	s_or_b64 exec, exec, s[36:37]
.LBB121_254:                            ;   in Loop: Header=BB121_21 Depth=1
	s_andn2_b64 s[8:9], s[22:23], exec
	s_and_b64 s[14:15], s[28:29], exec
	s_or_b64 s[22:23], s[8:9], s[14:15]
	s_andn2_b64 s[8:9], s[24:25], exec
	s_and_b64 s[14:15], s[34:35], exec
	s_or_b64 s[24:25], s[8:9], s[14:15]
	s_andn2_b64 s[8:9], s[20:21], exec
	s_and_b64 s[14:15], s[30:31], exec
	s_or_b64 s[20:21], s[8:9], s[14:15]
	s_and_b64 s[30:31], s[40:41], exec
	s_mov_b32 s35, s45
.LBB121_255:                            ;   in Loop: Header=BB121_21 Depth=1
	s_or_b64 exec, exec, s[26:27]
                                        ; implicit-def: $sgpr3
	s_and_saveexec_b64 s[8:9], s[30:31]
	s_xor_b64 s[14:15], exec, s[8:9]
	s_cbranch_execz .LBB121_19
.LBB121_256:                            ;   in Loop: Header=BB121_21 Depth=1
	s_and_b32 s3, s52, -9
	s_cmp_eq_u32 s3, 0
	s_cbranch_scc1 .LBB121_17
; %bb.257:                              ;   in Loop: Header=BB121_21 Depth=1
	s_mov_b64 s[18:19], -1
                                        ; implicit-def: $sgpr73
                                        ; implicit-def: $sgpr35
                                        ; implicit-def: $sgpr13
                                        ; implicit-def: $sgpr72
	s_mov_b64 s[26:27], -1
	s_branch .LBB121_18
.LBB121_258:
	s_or_b64 exec, exec, s[86:87]
	s_xor_b64 s[8:9], s[92:93], -1
	s_xor_b64 s[2:3], s[88:89], -1
	;; [unrolled: 1-line block ×3, first 2 shown]
	s_mov_b64 s[4:5], 0
	s_and_saveexec_b64 s[10:11], s[2:3]
	s_xor_b64 s[2:3], exec, s[10:11]
	s_cbranch_execnz .LBB121_263
; %bb.259:
	s_andn2_saveexec_b64 s[0:1], s[2:3]
	s_cbranch_execnz .LBB121_276
.LBB121_260:
	s_or_b64 exec, exec, s[0:1]
	s_and_saveexec_b64 s[0:1], s[4:5]
.LBB121_261:
	; divergent unreachable
.LBB121_262:
	s_endpgm
.LBB121_263:
	s_and_saveexec_b64 s[4:5], s[8:9]
	s_xor_b64 s[4:5], exec, s[4:5]
	s_cbranch_execz .LBB121_274
; %bb.264:
	s_and_saveexec_b64 s[8:9], s[6:7]
	s_xor_b64 s[6:7], exec, s[8:9]
; %bb.265:
	v_bfrev_b32_e32 v1, 1
	v_cmp_lt_i32_e32 vcc, -1, v2
	v_cndmask_b32_e64 v1, v1, -1, vcc
	v_xor_b32_e32 v19, v1, v2
; %bb.266:
	s_or_b64 exec, exec, s[6:7]
	v_readlane_b32 s10, v50, 8
	v_readlane_b32 s11, v50, 9
	s_mul_i32 s6, s11, s10
	v_readlane_b32 s9, v50, 12
	s_sub_i32 s6, s9, s6
	s_add_i32 s7, s11, 1
	s_sub_i32 s8, s6, s10
	s_cmp_ge_u32 s6, s10
	s_cselect_b32 s7, s7, s11
	s_cselect_b32 s6, s8, s6
	s_add_i32 s8, s7, 1
	s_cmp_ge_u32 s6, s10
	s_cselect_b32 s6, s8, s7
	s_mul_i32 s7, s6, s10
	s_sub_i32 s7, s9, s7
	v_readlane_b32 s8, v50, 4
	v_readlane_b32 s9, v50, 5
	s_mul_i32 s7, s7, s9
	s_mul_i32 s6, s6, s8
	s_add_i32 s6, s6, s7
	s_mov_b32 s7, 0
	s_lshl_b64 s[6:7], s[6:7], 2
	v_readlane_b32 s8, v50, 6
	v_readlane_b32 s9, v50, 7
	s_add_u32 s6, s8, s6
	s_addc_u32 s7, s9, s7
	v_mov_b32_e32 v7, 0
	global_store_dword v7, v19, s[6:7]
	s_mov_b64 s[6:7], exec
	v_readlane_b32 s0, v50, 13
	v_readlane_b32 s1, v50, 14
	s_and_b64 s[0:1], s[6:7], s[0:1]
	s_mov_b64 exec, s[0:1]
	s_cbranch_execz .LBB121_273
; %bb.267:
	v_cmp_u_f32_e32 vcc, v19, v19
	s_mov_b64 s[8:9], 0
	v_mov_b32_e32 v1, s82
	s_xor_b64 s[12:13], vcc, -1
                                        ; implicit-def: $sgpr10_sgpr11
                                        ; implicit-def: $sgpr16_sgpr17
                                        ; implicit-def: $sgpr14_sgpr15
	s_branch .LBB121_269
.LBB121_268:                            ;   in Loop: Header=BB121_269 Depth=1
	s_or_b64 exec, exec, s[0:1]
	s_and_b64 s[0:1], exec, s[16:17]
	s_or_b64 s[8:9], s[0:1], s[8:9]
	s_andn2_b64 s[0:1], s[10:11], exec
	s_and_b64 s[10:11], s[14:15], exec
	s_or_b64 s[10:11], s[0:1], s[10:11]
	s_andn2_b64 exec, exec, s[8:9]
	s_cbranch_execz .LBB121_271
.LBB121_269:                            ; =>This Inner Loop Header: Depth=1
	v_lshlrev_b64 v[2:3], 2, v[6:7]
	v_add_co_u32_e32 v2, vcc, s57, v2
	v_addc_co_u32_e32 v3, vcc, v1, v3, vcc
	global_load_dword v3, v[2:3], off
	v_mov_b32_e32 v2, v0
	s_or_b64 s[14:15], s[14:15], exec
	s_or_b64 s[16:17], s[16:17], exec
                                        ; implicit-def: $vgpr0
	s_waitcnt vmcnt(0)
	v_cmp_o_f32_e64 s[0:1], v3, v3
	v_cmp_neq_f32_e32 vcc, v3, v19
	s_or_b64 s[0:1], s[0:1], s[12:13]
	s_and_b64 s[18:19], vcc, s[0:1]
	s_and_saveexec_b64 s[0:1], s[18:19]
	s_cbranch_execz .LBB121_268
; %bb.270:                              ;   in Loop: Header=BB121_269 Depth=1
	v_add_u32_e32 v0, s59, v2
	v_cmp_le_u32_e32 vcc, s56, v0
	s_andn2_b64 s[16:17], s[16:17], exec
	s_and_b64 s[18:19], vcc, exec
	v_add_u32_e32 v6, s83, v6
	s_andn2_b64 s[14:15], s[14:15], exec
	s_or_b64 s[16:17], s[16:17], s[18:19]
	s_branch .LBB121_268
.LBB121_271:
	s_or_b64 exec, exec, s[8:9]
	s_and_saveexec_b64 s[0:1], s[10:11]
	s_xor_b64 s[0:1], exec, s[0:1]
	s_cbranch_execz .LBB121_273
; %bb.272:
	v_readlane_b32 s10, v50, 10
	v_readlane_b32 s11, v50, 11
	s_mul_i32 s0, s11, s10
	v_readlane_b32 s9, v50, 12
	s_sub_i32 s0, s9, s0
	s_add_i32 s1, s11, 1
	s_sub_i32 s8, s0, s10
	s_cmp_ge_u32 s0, s10
	s_cselect_b32 s1, s1, s11
	s_cselect_b32 s0, s8, s0
	s_add_i32 s8, s1, 1
	s_cmp_ge_u32 s0, s10
	s_cselect_b32 s0, s8, s1
	s_mul_i32 s1, s0, s10
	s_sub_i32 s1, s9, s1
	v_readlane_b32 s8, v50, 0
	v_readlane_b32 s9, v50, 1
	s_mul_i32 s1, s1, s9
	s_mul_i32 s0, s0, s8
	s_add_i32 s0, s0, s1
	s_mov_b32 s1, 0
	s_lshl_b64 s[0:1], s[0:1], 3
	v_readlane_b32 s8, v50, 2
	v_readlane_b32 s9, v50, 3
	s_add_u32 s0, s8, s0
	s_addc_u32 s1, s9, s1
	v_mov_b32_e32 v3, 0
	global_store_dwordx2 v3, v[2:3], s[0:1]
.LBB121_273:
	s_or_b64 exec, exec, s[6:7]
.LBB121_274:
	s_or_saveexec_b64 s[0:1], s[4:5]
	s_mov_b64 s[4:5], 0
	s_xor_b64 exec, exec, s[0:1]
	s_cbranch_execnz .LBB121_277
.LBB121_275:
	s_or_b64 exec, exec, s[0:1]
	s_and_b64 s[4:5], s[4:5], exec
	s_andn2_saveexec_b64 s[0:1], s[2:3]
	s_cbranch_execz .LBB121_260
.LBB121_276:
	s_or_b64 s[4:5], s[4:5], exec
	s_trap 2
	s_or_b64 exec, exec, s[0:1]
	s_and_saveexec_b64 s[0:1], s[4:5]
	s_cbranch_execnz .LBB121_261
	s_branch .LBB121_262
.LBB121_277:
	s_mov_b64 s[4:5], exec
	s_trap 2
	s_branch .LBB121_275
	.section	.rodata,"a",@progbits
	.p2align	6, 0x0
	.amdhsa_kernel _ZN2at6native12_GLOBAL__N_112gatherMedianIfjLi2EEEvNS_4cuda6detail10TensorInfoIT_T0_EENS5_IlS7_EENS5_IKS6_S7_EES7_S7_S7_b
		.amdhsa_group_segment_fixed_size 4120
		.amdhsa_private_segment_fixed_size 0
		.amdhsa_kernarg_size 920
		.amdhsa_user_sgpr_count 6
		.amdhsa_user_sgpr_private_segment_buffer 1
		.amdhsa_user_sgpr_dispatch_ptr 0
		.amdhsa_user_sgpr_queue_ptr 0
		.amdhsa_user_sgpr_kernarg_segment_ptr 1
		.amdhsa_user_sgpr_dispatch_id 0
		.amdhsa_user_sgpr_flat_scratch_init 0
		.amdhsa_user_sgpr_kernarg_preload_length 0
		.amdhsa_user_sgpr_kernarg_preload_offset 0
		.amdhsa_user_sgpr_private_segment_size 0
		.amdhsa_uses_dynamic_stack 0
		.amdhsa_system_sgpr_private_segment_wavefront_offset 0
		.amdhsa_system_sgpr_workgroup_id_x 1
		.amdhsa_system_sgpr_workgroup_id_y 1
		.amdhsa_system_sgpr_workgroup_id_z 1
		.amdhsa_system_sgpr_workgroup_info 0
		.amdhsa_system_vgpr_workitem_id 0
		.amdhsa_next_free_vgpr 51
		.amdhsa_next_free_sgpr 96
		.amdhsa_accum_offset 52
		.amdhsa_reserve_vcc 1
		.amdhsa_reserve_flat_scratch 0
		.amdhsa_float_round_mode_32 0
		.amdhsa_float_round_mode_16_64 0
		.amdhsa_float_denorm_mode_32 3
		.amdhsa_float_denorm_mode_16_64 3
		.amdhsa_dx10_clamp 1
		.amdhsa_ieee_mode 1
		.amdhsa_fp16_overflow 0
		.amdhsa_tg_split 0
		.amdhsa_exception_fp_ieee_invalid_op 0
		.amdhsa_exception_fp_denorm_src 0
		.amdhsa_exception_fp_ieee_div_zero 0
		.amdhsa_exception_fp_ieee_overflow 0
		.amdhsa_exception_fp_ieee_underflow 0
		.amdhsa_exception_fp_ieee_inexact 0
		.amdhsa_exception_int_div_zero 0
	.end_amdhsa_kernel
	.section	.text._ZN2at6native12_GLOBAL__N_112gatherMedianIfjLi2EEEvNS_4cuda6detail10TensorInfoIT_T0_EENS5_IlS7_EENS5_IKS6_S7_EES7_S7_S7_b,"axG",@progbits,_ZN2at6native12_GLOBAL__N_112gatherMedianIfjLi2EEEvNS_4cuda6detail10TensorInfoIT_T0_EENS5_IlS7_EENS5_IKS6_S7_EES7_S7_S7_b,comdat
.Lfunc_end121:
	.size	_ZN2at6native12_GLOBAL__N_112gatherMedianIfjLi2EEEvNS_4cuda6detail10TensorInfoIT_T0_EENS5_IlS7_EENS5_IKS6_S7_EES7_S7_S7_b, .Lfunc_end121-_ZN2at6native12_GLOBAL__N_112gatherMedianIfjLi2EEEvNS_4cuda6detail10TensorInfoIT_T0_EENS5_IlS7_EENS5_IKS6_S7_EES7_S7_S7_b
                                        ; -- End function
	.section	.AMDGPU.csdata,"",@progbits
; Kernel info:
; codeLenInByte = 10704
; NumSgprs: 100
; NumVgprs: 51
; NumAgprs: 0
; TotalNumVgprs: 51
; ScratchSize: 0
; MemoryBound: 0
; FloatMode: 240
; IeeeMode: 1
; LDSByteSize: 4120 bytes/workgroup (compile time only)
; SGPRBlocks: 12
; VGPRBlocks: 6
; NumSGPRsForWavesPerEU: 100
; NumVGPRsForWavesPerEU: 51
; AccumOffset: 52
; Occupancy: 8
; WaveLimiterHint : 1
; COMPUTE_PGM_RSRC2:SCRATCH_EN: 0
; COMPUTE_PGM_RSRC2:USER_SGPR: 6
; COMPUTE_PGM_RSRC2:TRAP_HANDLER: 0
; COMPUTE_PGM_RSRC2:TGID_X_EN: 1
; COMPUTE_PGM_RSRC2:TGID_Y_EN: 1
; COMPUTE_PGM_RSRC2:TGID_Z_EN: 1
; COMPUTE_PGM_RSRC2:TIDIG_COMP_CNT: 0
; COMPUTE_PGM_RSRC3_GFX90A:ACCUM_OFFSET: 12
; COMPUTE_PGM_RSRC3_GFX90A:TG_SPLIT: 0
	.section	.text._ZN2at6native12_GLOBAL__N_112gatherMedianIfjLi3EEEvNS_4cuda6detail10TensorInfoIT_T0_EENS5_IlS7_EENS5_IKS6_S7_EES7_S7_S7_b,"axG",@progbits,_ZN2at6native12_GLOBAL__N_112gatherMedianIfjLi3EEEvNS_4cuda6detail10TensorInfoIT_T0_EENS5_IlS7_EENS5_IKS6_S7_EES7_S7_S7_b,comdat
	.globl	_ZN2at6native12_GLOBAL__N_112gatherMedianIfjLi3EEEvNS_4cuda6detail10TensorInfoIT_T0_EENS5_IlS7_EENS5_IKS6_S7_EES7_S7_S7_b ; -- Begin function _ZN2at6native12_GLOBAL__N_112gatherMedianIfjLi3EEEvNS_4cuda6detail10TensorInfoIT_T0_EENS5_IlS7_EENS5_IKS6_S7_EES7_S7_S7_b
	.p2align	8
	.type	_ZN2at6native12_GLOBAL__N_112gatherMedianIfjLi3EEEvNS_4cuda6detail10TensorInfoIT_T0_EENS5_IlS7_EENS5_IKS6_S7_EES7_S7_S7_b,@function
_ZN2at6native12_GLOBAL__N_112gatherMedianIfjLi3EEEvNS_4cuda6detail10TensorInfoIT_T0_EENS5_IlS7_EENS5_IKS6_S7_EES7_S7_S7_b: ; @_ZN2at6native12_GLOBAL__N_112gatherMedianIfjLi3EEEvNS_4cuda6detail10TensorInfoIT_T0_EENS5_IlS7_EENS5_IKS6_S7_EES7_S7_S7_b
; %bb.0:
	s_load_dwordx2 s[12:13], s[4:5], 0x298
	s_load_dwordx4 s[56:59], s[4:5], 0x288
	s_add_u32 s10, s4, 0x298
	s_addc_u32 s11, s5, 0
	s_waitcnt lgkmcnt(0)
	s_mul_i32 s0, s13, s8
	s_add_i32 s0, s0, s7
	s_mul_i32 s0, s0, s12
	s_add_i32 s16, s0, s6
	s_cmp_ge_u32 s16, s57
	s_cbranch_scc1 .LBB122_262
; %bb.1:
	s_load_dwordx2 s[24:25], s[4:5], 0xc
	s_load_dwordx2 s[0:1], s[4:5], 0x0
	;; [unrolled: 1-line block ×4, first 2 shown]
	s_load_dwordx4 s[20:23], s[4:5], 0x144
                                        ; implicit-def: $vgpr50 : SGPR spill to VGPR lane
	s_load_dwordx2 s[18:19], s[4:5], 0xd8
	s_load_dwordx4 s[28:31], s[4:5], 0x6c
	s_waitcnt lgkmcnt(0)
	v_cvt_f32_u32_e32 v1, s25
	v_writelane_b32 v50, s0, 0
	v_writelane_b32 v50, s1, 1
	v_writelane_b32 v50, s20, 2
	v_rcp_iflag_f32_e32 v1, v1
	v_cvt_f32_u32_e32 v2, s24
	v_writelane_b32 v50, s21, 3
	v_writelane_b32 v50, s22, 4
	v_mul_f32_e32 v1, 0x4f7ffffe, v1
	v_cvt_u32_f32_e32 v1, v1
	s_load_dwordx4 s[0:3], s[4:5], 0x21c
	v_writelane_b32 v50, s23, 5
	s_load_dwordx2 s[20:21], s[4:5], 0xe4
	v_rcp_iflag_f32_e32 v2, v2
                                        ; kill: killed $sgpr4 killed $sgpr5
	s_sub_i32 s4, 0, s25
	v_readfirstlane_b32 s5, v1
	s_mul_i32 s4, s4, s5
	s_mul_hi_u32 s4, s5, s4
	s_add_i32 s5, s5, s4
	v_mul_f32_e32 v1, 0x4f7ffffe, v2
	s_waitcnt lgkmcnt(0)
	v_cvt_f32_u32_e32 v2, s21
	s_mul_hi_u32 s4, s16, s5
	s_mul_i32 s5, s4, s25
	v_writelane_b32 v50, s18, 6
	s_sub_i32 s5, s16, s5
	v_writelane_b32 v50, s19, 7
	s_add_i32 s7, s4, 1
	s_sub_i32 s13, s5, s25
	v_cvt_u32_f32_e32 v1, v1
	v_rcp_iflag_f32_e32 v2, v2
	v_writelane_b32 v50, s28, 8
	s_cmp_ge_u32 s5, s25
	v_writelane_b32 v50, s29, 9
	s_cselect_b32 s4, s7, s4
	v_writelane_b32 v50, s30, 10
	s_cselect_b32 s5, s13, s5
	s_add_i32 s7, s4, 1
	v_writelane_b32 v50, s31, 11
	s_cmp_ge_u32 s5, s25
	v_readfirstlane_b32 s5, v1
	v_mul_f32_e32 v1, 0x4f7ffffe, v2
	s_cselect_b32 s7, s7, s4
	v_writelane_b32 v50, s24, 12
	s_sub_i32 s4, 0, s24
	v_cvt_u32_f32_e32 v1, v1
	s_mul_i32 s4, s4, s5
	s_mul_hi_u32 s4, s5, s4
	v_writelane_b32 v50, s25, 13
	s_add_i32 s5, s5, s4
	v_writelane_b32 v50, s7, 14
	s_mul_hi_u32 s4, s7, s5
	v_readfirstlane_b32 s5, v1
	v_cvt_f32_u32_e32 v1, s20
	v_writelane_b32 v50, s4, 15
	s_sub_i32 s4, 0, s21
	s_mul_i32 s4, s4, s5
	s_mul_hi_u32 s4, s5, s4
	s_add_i32 s5, s5, s4
	v_rcp_iflag_f32_e32 v1, v1
	s_mul_hi_u32 s4, s16, s5
	v_cvt_f32_u32_e32 v2, s15
	s_mul_i32 s5, s4, s21
	s_sub_i32 s5, s16, s5
	s_add_i32 s7, s4, 1
	s_sub_i32 s13, s5, s21
	v_mul_f32_e32 v1, 0x4f7ffffe, v1
	s_cmp_ge_u32 s5, s21
	v_cvt_u32_f32_e32 v1, v1
	v_rcp_iflag_f32_e32 v2, v2
	s_cselect_b32 s4, s7, s4
	s_cselect_b32 s5, s13, s5
	s_add_i32 s7, s4, 1
	s_cmp_ge_u32 s5, s21
	s_cselect_b32 s7, s7, s4
	v_writelane_b32 v50, s20, 16
	s_sub_i32 s4, 0, s20
	v_readfirstlane_b32 s5, v1
	v_mul_f32_e32 v1, 0x4f7ffffe, v2
	s_mul_i32 s4, s4, s5
	v_cvt_u32_f32_e32 v1, v1
	s_mul_hi_u32 s4, s5, s4
	v_writelane_b32 v50, s21, 17
	s_add_i32 s5, s5, s4
	v_writelane_b32 v50, s7, 18
	s_mul_hi_u32 s4, s7, s5
	v_writelane_b32 v50, s4, 19
	s_sub_i32 s4, 0, s15
	v_readfirstlane_b32 s5, v1
	s_mul_i32 s4, s4, s5
	s_mul_hi_u32 s4, s5, s4
	v_cvt_f32_u32_e32 v1, s14
	s_add_i32 s5, s5, s4
	s_mul_hi_u32 s4, s16, s5
	s_mul_i32 s5, s4, s15
	s_sub_i32 s5, s16, s5
	v_rcp_iflag_f32_e32 v1, v1
	s_add_i32 s7, s4, 1
	s_sub_i32 s13, s5, s15
	s_cmp_ge_u32 s5, s15
	s_cselect_b32 s4, s7, s4
	s_cselect_b32 s5, s13, s5
	s_add_i32 s7, s4, 1
	v_mul_f32_e32 v1, 0x4f7ffffe, v1
	s_cmp_ge_u32 s5, s15
	v_cvt_u32_f32_e32 v1, v1
	s_cselect_b32 s4, s7, s4
	s_mul_i32 s5, s4, s15
	s_sub_i32 s5, s16, s5
	s_mul_i32 s5, s5, s2
	s_sub_i32 s2, 0, s14
	v_readfirstlane_b32 s7, v1
	s_mul_i32 s2, s2, s7
	s_mul_hi_u32 s2, s7, s2
	s_add_i32 s7, s7, s2
	s_mul_hi_u32 s2, s4, s7
	s_mul_i32 s7, s2, s14
	s_sub_i32 s7, s4, s7
	s_add_i32 s13, s2, 1
	s_sub_i32 s15, s7, s14
	s_cmp_ge_u32 s7, s14
	s_cselect_b32 s2, s13, s2
	s_cselect_b32 s7, s15, s7
	s_add_i32 s13, s2, 1
	s_cmp_ge_u32 s7, s14
	s_cselect_b32 s2, s13, s2
	s_mul_i32 s7, s2, s14
	s_sub_i32 s4, s4, s7
	s_mul_i32 s1, s4, s1
	s_add_i32 s1, s1, s5
	s_mul_i32 s2, s2, s0
	s_mov_b32 s3, 0
	s_add_i32 s2, s1, s2
	s_lshl_b64 s[0:1], s[2:3], 2
	s_add_u32 s57, s8, s0
	s_addc_u32 s90, s9, s1
	v_cmp_gt_u32_e64 s[0:1], s56, v0
	v_mov_b32_e32 v2, 0
	v_mul_lo_u32 v6, v0, s58
	v_writelane_b32 v50, s16, 20
	s_and_saveexec_b64 s[2:3], s[0:1]
	s_cbranch_execz .LBB122_5
; %bb.2:
	s_load_dword s7, s[10:11], 0xc
	v_mov_b32_e32 v5, 0
	v_mul_lo_u32 v4, v0, s58
	s_mov_b64 s[4:5], 0
	v_mov_b32_e32 v1, s90
	s_waitcnt lgkmcnt(0)
	s_and_b32 s7, s7, 0xffff
	s_mul_i32 s8, s58, s7
	v_mov_b32_e32 v2, v5
	v_mov_b32_e32 v3, v0
.LBB122_3:                              ; =>This Inner Loop Header: Depth=1
	v_lshlrev_b64 v[8:9], 2, v[4:5]
	v_add_co_u32_e32 v8, vcc, s57, v8
	v_addc_co_u32_e32 v9, vcc, v1, v9, vcc
	global_load_dword v7, v[8:9], off
	v_add_u32_e32 v3, s7, v3
	v_cmp_le_u32_e32 vcc, s56, v3
	s_or_b64 s[4:5], vcc, s[4:5]
	v_add_u32_e32 v4, s8, v4
	s_waitcnt vmcnt(0)
	v_cmp_u_f32_e32 vcc, v7, v7
	v_addc_co_u32_e32 v2, vcc, 0, v2, vcc
	s_andn2_b64 exec, exec, s[4:5]
	s_cbranch_execnz .LBB122_3
; %bb.4:
	s_or_b64 exec, exec, s[4:5]
.LBB122_5:
	s_or_b64 exec, exec, s[2:3]
	v_cmp_eq_u32_e64 s[2:3], 0, v0
	s_mov_b64 s[4:5], exec
	v_writelane_b32 v50, s2, 21
	v_writelane_b32 v50, s3, 22
	s_and_b64 s[2:3], s[4:5], s[2:3]
	s_mov_b64 exec, s[2:3]
	s_cbranch_execz .LBB122_7
; %bb.6:
	v_mov_b32_e32 v4, 0
	v_mov_b32_e32 v5, v4
	ds_write_b64 v4, v[4:5] offset:4096
.LBB122_7:
	s_or_b64 exec, exec, s[4:5]
	v_cmp_ne_u32_e32 vcc, 0, v2
	s_waitcnt lgkmcnt(0)
	s_barrier
	s_and_saveexec_b64 s[4:5], vcc
	s_cbranch_execz .LBB122_12
; %bb.8:
	s_mov_b64 s[14:15], exec
	v_mov_b32_e32 v1, 0
	s_mov_b64 s[8:9], 0
.LBB122_9:                              ; =>This Inner Loop Header: Depth=1
	s_ff1_i32_b64 s2, s[14:15]
	v_readlane_b32 s7, v2, s2
	v_readlane_b32 s3, v1, s2
	s_add_u32 s8, s8, s7
	s_addc_u32 s9, s9, s3
	s_lshl_b64 s[2:3], 1, s2
	s_andn2_b64 s[14:15], s[14:15], s[2:3]
	s_cmp_lg_u64 s[14:15], 0
	s_cbranch_scc1 .LBB122_9
; %bb.10:
	v_mbcnt_lo_u32_b32 v1, exec_lo, 0
	v_mbcnt_hi_u32_b32 v1, exec_hi, v1
	v_cmp_eq_u32_e32 vcc, 0, v1
	s_and_saveexec_b64 s[2:3], vcc
	s_xor_b64 s[2:3], exec, s[2:3]
	s_cbranch_execz .LBB122_12
; %bb.11:
	v_mov_b32_e32 v1, 0
	v_pk_mov_b32 v[2:3], s[8:9], s[8:9] op_sel:[0,1]
	ds_add_u64 v1, v[2:3] offset:4096
.LBB122_12:
	s_or_b64 exec, exec, s[4:5]
	v_mov_b32_e32 v1, 0
	s_waitcnt lgkmcnt(0)
	s_barrier
	ds_read_b64 v[2:3], v1 offset:4096
	s_bitcmp1_b32 s59, 0
	s_cselect_b64 s[2:3], -1, 0
	s_waitcnt lgkmcnt(0)
	v_cmp_gt_i64_e32 vcc, 1, v[2:3]
	s_or_b64 s[2:3], s[2:3], vcc
	s_andn2_b64 vcc, exec, s[2:3]
	s_mov_b32 s3, s56
	s_cbranch_vccnz .LBB122_14
; %bb.13:
	v_not_b32_e32 v1, v2
	v_not_b32_e32 v2, v3
	v_add_co_u32_e32 v1, vcc, s56, v1
	v_addc_co_u32_e32 v2, vcc, 0, v2, vcc
	v_lshrrev_b32_e32 v3, 31, v2
	v_add_co_u32_e32 v1, vcc, v1, v3
	v_addc_co_u32_e32 v2, vcc, 0, v2, vcc
	v_alignbit_b32 v1, v2, v1, 1
	v_readfirstlane_b32 s2, v1
	s_add_i32 s3, s2, 1
.LBB122_14:
	s_mov_b64 s[4:5], exec
	v_readlane_b32 s8, v50, 21
	v_readlane_b32 s9, v50, 22
	s_and_b64 s[8:9], s[4:5], s[8:9]
	s_mov_b64 exec, s[8:9]
	s_cbranch_execz .LBB122_16
; %bb.15:
	v_mov_b32_e32 v2, 0
	v_mov_b32_e32 v3, s56
	ds_write_b32 v2, v2 offset:4112
	ds_write_b64 v2, v[2:3] offset:4104
.LBB122_16:
	s_or_b64 exec, exec, s[4:5]
	s_waitcnt lgkmcnt(0)
	s_barrier
	s_load_dword s2, s[10:11], 0xc
	v_mbcnt_lo_u32_b32 v1, -1, 0
	v_mbcnt_hi_u32_b32 v13, -1, v1
	v_cmp_gt_u32_e32 vcc, 64, v0
	v_cmp_gt_i32_e64 s[4:5], 4, v13
	s_waitcnt lgkmcnt(0)
	s_and_b32 s59, s2, 0xffff
	s_bfe_u32 s13, s2, 0xa0006
	s_add_i32 s2, s59, -1
	s_lshl_b32 s93, s59, 2
	s_and_b64 s[78:79], vcc, s[4:5]
	v_writelane_b32 v50, s2, 23
	s_add_i32 s2, s2, s56
	s_cmpk_gt_u32 s56, 0x300
	s_cselect_b64 s[4:5], -1, 0
	v_writelane_b32 v50, s4, 24
	s_cmp_gt_u32 s59, 63
	v_writelane_b32 v50, s5, 25
	s_cselect_b64 s[4:5], -1, 0
	v_writelane_b32 v50, s4, 26
	s_cmp_lt_u32 s6, s12
	v_writelane_b32 v50, s5, 27
	s_cselect_b32 s4, 12, 18
	v_mov_b32_e32 v9, 0
	s_add_u32 s4, s10, s4
	s_addc_u32 s5, s11, 0
	v_mov_b32_e32 v7, v9
	v_writelane_b32 v50, s4, 28
	s_add_i32 s8, s13, -2
	v_lshlrev_b64 v[2:3], 2, v[6:7]
	v_writelane_b32 v50, s5, 29
	s_lshr_b32 s4, s8, 1
	v_mov_b32_e32 v7, s90
	v_add_co_u32_e32 v10, vcc, s57, v2
	s_add_i32 s9, s4, 1
	v_addc_co_u32_e32 v11, vcc, v7, v3, vcc
	v_lshlrev_b64 v[2:3], v13, -1
	s_cmpk_gt_u32 s59, 0x7f
	v_not_b32_e32 v12, v2
	v_cvt_f32_u32_e32 v2, s93
	s_cselect_b64 s[4:5], -1, 0
	s_and_b32 s10, s13, 0x3fe
	s_and_b32 s11, s9, 7
	v_writelane_b32 v50, s4, 30
	s_cmp_gt_u32 s8, 13
	v_writelane_b32 v50, s5, 31
	s_cselect_b64 s[14:15], -1, 0
	v_writelane_b32 v50, s14, 32
	v_rcp_iflag_f32_e32 v2, v2
	v_writelane_b32 v50, s15, 33
	s_and_b32 s8, s9, -8
	v_writelane_b32 v50, s8, 34
	s_cmp_lg_u32 s11, 0
	v_writelane_b32 v50, s11, 35
	s_cselect_b64 s[8:9], -1, 0
	v_writelane_b32 v50, s8, 36
	v_mul_f32_e32 v2, 0x4f7ffffe, v2
	v_writelane_b32 v50, s9, 37
	v_cvt_u32_f32_e32 v2, v2
	v_writelane_b32 v50, s13, 38
	s_cmp_lg_u32 s10, s13
	v_writelane_b32 v50, s10, 39
	s_cselect_b64 s[8:9], -1, 0
	v_writelane_b32 v50, s8, 40
	v_writelane_b32 v50, s9, 41
	s_sub_i32 s8, 0, s93
	v_readfirstlane_b32 s9, v2
	v_cvt_f32_u32_e32 v2, s59
	s_mul_i32 s8, s8, s9
	s_mul_hi_u32 s8, s9, s8
	s_add_i32 s85, s9, s8
	s_mul_hi_u32 s8, s56, s85
	v_rcp_iflag_f32_e32 v5, v2
	s_mul_i32 s8, s8, s93
	s_sub_i32 s8, s56, s8
	s_sub_i32 s9, s8, s93
	s_cmp_ge_u32 s8, s93
	v_mul_f32_e32 v5, 0x4f7ffffe, v5
	s_cselect_b32 s8, s9, s8
	v_cvt_u32_f32_e32 v5, v5
	s_sub_i32 s9, s8, s93
	s_cmp_ge_u32 s8, s93
	s_cselect_b32 s8, s9, s8
	v_lshlrev_b32_e32 v20, 2, v0
	s_sub_i32 s92, s56, s8
	s_sub_i32 s9, 0, s59
	v_readfirstlane_b32 s12, v5
	v_cmp_gt_u32_e64 s[10:11], s92, v20
	s_mul_i32 s9, s9, s12
	v_writelane_b32 v50, s10, 42
	s_mul_hi_u32 s9, s12, s9
	v_writelane_b32 v50, s11, 43
	s_add_i32 s9, s12, s9
	v_writelane_b32 v50, s9, 44
	s_mul_hi_u32 s9, s2, s9
	s_mul_i32 s9, s9, s59
	s_sub_i32 s9, s2, s9
	s_sub_i32 s12, s9, s59
	v_add_u32_e32 v24, s92, v0
	s_cmp_ge_u32 s9, s59
	v_lshrrev_b32_e32 v1, 4, v0
	v_mul_lo_u32 v8, v24, s58
	s_cselect_b32 s9, s12, s9
	v_and_b32_e32 v22, 60, v1
	v_not_b32_e32 v1, v3
	v_lshlrev_b64 v[2:3], 2, v[8:9]
	s_sub_i32 s12, s9, s59
	v_add_co_u32_e32 v14, vcc, s57, v2
	s_cmp_ge_u32 s9, s59
	v_mul_lo_u32 v2, s58, v20
	s_cselect_b32 s9, s12, s9
	v_add_u32_e32 v25, s58, v2
	v_or_b32_e32 v2, 2, v20
	s_sub_i32 s87, s2, s9
	v_mul_lo_u32 v26, s58, v2
	v_or_b32_e32 v2, 3, v20
	s_add_i32 s2, s59, s56
	v_cmp_gt_u32_e64 s[12:13], s87, v0
	v_mul_lo_u32 v27, s58, v2
	v_add_u32_e32 v2, s2, v0
	v_lshlrev_b32_e32 v4, 2, v13
	v_mov_b32_e32 v8, s90
	v_writelane_b32 v50, s12, 45
	s_mul_i32 s91, s58, s59
	v_subrev_u32_e32 v2, s8, v2
	s_mov_b32 s76, 0
	v_cmp_eq_u32_e64 s[4:5], 0, v13
	v_cmp_gt_u32_e64 s[6:7], 2, v0
	v_add_u32_e32 v21, 0xc00, v20
	v_and_b32_e32 v23, 0x100, v4
	v_cmp_gt_u32_e64 s[10:11], s56, v24
	v_addc_co_u32_e32 v15, vcc, v8, v3, vcc
	v_writelane_b32 v50, s13, 46
	s_lshl_b32 s33, s91, 2
	v_lshlrev_b32_e32 v28, 2, v6
	v_mul_lo_u32 v29, s58, v2
	v_lshlrev_b32_e32 v30, 4, v0
	s_lshl_b32 s12, s59, 4
	v_or_b32_e32 v31, 0xc00, v4
	s_mov_b32 s13, 30
	s_mov_b64 s[94:95], 0
	v_mov_b32_e32 v16, 1.0
	v_bfrev_b32_e32 v32, 1
	v_mov_b32_e32 v33, 0xc00
	v_mov_b32_e32 v19, 0
	s_mov_b32 s80, 0
	s_mov_b32 s2, 0
	s_mov_b32 s81, 0
                                        ; implicit-def: $sgpr68_sgpr69
                                        ; implicit-def: $sgpr62_sgpr63
                                        ; implicit-def: $sgpr60_sgpr61
                                        ; implicit-def: $sgpr72_sgpr73
                                        ; implicit-def: $sgpr64_sgpr65
                                        ; implicit-def: $sgpr66_sgpr67
	s_branch .LBB122_21
.LBB122_17:                             ;   in Loop: Header=BB122_21 Depth=1
	s_xor_b32 s80, s80, 1
	s_add_i32 s3, s13, -2
	s_cmp_eq_u32 s13, 0
	s_mov_b64 s[18:19], 0
	s_cselect_b64 s[26:27], -1, 0
	s_mov_b32 s13, s3
.LBB122_18:                             ;   in Loop: Header=BB122_21 Depth=1
	s_andn2_b64 s[8:9], s[22:23], exec
	s_and_b64 s[18:19], s[18:19], exec
	s_or_b64 s[22:23], s[8:9], s[18:19]
	s_andn2_b64 s[24:25], s[24:25], exec
	s_andn2_b64 s[20:21], s[20:21], exec
	s_orn2_b64 s[18:19], s[26:27], exec
	s_mov_b32 s3, s35
.LBB122_19:                             ;   in Loop: Header=BB122_21 Depth=1
	s_or_b64 exec, exec, s[14:15]
	s_andn2_b64 s[8:9], s[66:67], exec
	s_and_b64 s[14:15], s[22:23], exec
	s_or_b64 s[66:67], s[8:9], s[14:15]
	s_andn2_b64 s[8:9], s[64:65], exec
	s_and_b64 s[14:15], s[24:25], exec
	s_or_b64 s[64:65], s[8:9], s[14:15]
	;; [unrolled: 3-line block ×3, first 2 shown]
	s_orn2_b64 s[18:19], s[18:19], exec
.LBB122_20:                             ;   in Loop: Header=BB122_21 Depth=1
	s_or_b64 exec, exec, s[16:17]
	s_and_b64 s[8:9], exec, s[18:19]
	s_or_b64 s[94:95], s[8:9], s[94:95]
	s_andn2_b64 s[8:9], s[60:61], exec
	s_and_b64 s[14:15], s[66:67], exec
	s_or_b64 s[60:61], s[8:9], s[14:15]
	s_andn2_b64 s[8:9], s[62:63], exec
	s_and_b64 s[14:15], s[64:65], exec
	;; [unrolled: 3-line block ×3, first 2 shown]
	v_mov_b32_e32 v2, s2
	s_or_b64 s[68:69], s[8:9], s[14:15]
	s_andn2_b64 exec, exec, s[94:95]
	s_cbranch_execz .LBB122_258
.LBB122_21:                             ; =>This Loop Header: Depth=1
                                        ;     Child Loop BB122_29 Depth 2
                                        ;     Child Loop BB122_47 Depth 2
	;; [unrolled: 1-line block ×17, first 2 shown]
	ds_read_b64 v[2:3], v9 offset:4104
	s_waitcnt lgkmcnt(0)
	v_readfirstlane_b32 s77, v2
	s_cmp_lg_u32 s77, 0
	s_cbranch_scc1 .LBB122_54
; %bb.22:                               ;   in Loop: Header=BB122_21 Depth=1
	v_readlane_b32 s8, v50, 24
	v_readlane_b32 s9, v50, 25
	s_and_b64 vcc, exec, s[8:9]
	s_cbranch_vccz .LBB122_37
; %bb.23:                               ;   in Loop: Header=BB122_21 Depth=1
	s_movk_i32 s8, 0x301
	v_cmp_gt_u32_e32 vcc, s8, v3
	s_mov_b64 s[18:19], 0
	s_mov_b64 s[14:15], 0
	s_cbranch_vccz .LBB122_38
; %bb.24:                               ;   in Loop: Header=BB122_21 Depth=1
	v_mov_b32_e32 v2, 0
	s_and_saveexec_b64 s[14:15], s[0:1]
	s_cbranch_execz .LBB122_26
; %bb.25:                               ;   in Loop: Header=BB122_21 Depth=1
	global_load_dword v2, v[10:11], off
.LBB122_26:                             ;   in Loop: Header=BB122_21 Depth=1
	s_or_b64 exec, exec, s[14:15]
	s_and_saveexec_b64 s[20:21], s[0:1]
	s_cbranch_execz .LBB122_39
; %bb.27:                               ;   in Loop: Header=BB122_21 Depth=1
	v_readlane_b32 s8, v50, 28
	v_readlane_b32 s9, v50, 29
	s_mov_b64 s[22:23], 0
	s_nop 3
	global_load_ushort v3, v9, s[8:9]
	s_waitcnt vmcnt(0)
	v_add_u32_e32 v5, v0, v3
	v_mul_lo_u32 v4, s58, v3
	v_mul_lo_u32 v8, s58, v5
	v_mov_b32_e32 v5, v0
	s_branch .LBB122_29
.LBB122_28:                             ;   in Loop: Header=BB122_29 Depth=2
	s_or_b64 exec, exec, s[16:17]
	v_add_u32_e32 v8, v8, v4
	s_waitcnt vmcnt(0)
	v_mov_b32_e32 v2, v17
	s_andn2_b64 exec, exec, s[22:23]
	s_cbranch_execz .LBB122_39
.LBB122_29:                             ;   Parent Loop BB122_21 Depth=1
                                        ; =>  This Inner Loop Header: Depth=2
	v_add_u32_e32 v5, v5, v3
	v_cmp_gt_u32_e64 s[14:15], s56, v5
	v_cmp_le_u32_e32 vcc, s56, v5
	s_waitcnt lgkmcnt(0)
	v_mov_b32_e32 v18, 0
	v_mov_b32_e32 v17, 0
	s_and_saveexec_b64 s[16:17], s[14:15]
	s_cbranch_execz .LBB122_31
; %bb.30:                               ;   in Loop: Header=BB122_29 Depth=2
	v_lshlrev_b64 v[34:35], 2, v[8:9]
	v_add_co_u32_e64 v34, s[14:15], s57, v34
	v_addc_co_u32_e64 v35, s[14:15], v7, v35, s[14:15]
	global_load_dword v17, v[34:35], off
.LBB122_31:                             ;   in Loop: Header=BB122_29 Depth=2
	s_or_b64 exec, exec, s[16:17]
	v_cmp_lt_i32_e64 s[14:15], -1, v2
	v_cndmask_b32_e64 v34, -1, v32, s[14:15]
	v_xor_b32_e32 v34, v34, v2
	v_cmp_o_f32_e64 s[14:15], v2, v2
	v_cndmask_b32_e64 v34, -1, v34, s[14:15]
	v_and_b32_e32 v34, s81, v34
	v_cmp_eq_u32_e64 s[14:15], s2, v34
	s_cmp_lg_u64 s[14:15], 0
	s_cselect_b64 s[8:9], -1, 0
	s_and_b64 s[8:9], s[4:5], s[8:9]
	s_and_saveexec_b64 s[24:25], s[8:9]
	s_cbranch_execz .LBB122_35
; %bb.32:                               ;   in Loop: Header=BB122_29 Depth=2
	s_mov_b64 s[28:29], exec
	v_mbcnt_lo_u32_b32 v18, s28, 0
	v_mbcnt_hi_u32_b32 v18, s29, v18
	s_bcnt1_i32_b64 s8, s[14:15]
	v_cmp_eq_u32_e64 s[16:17], 0, v18
                                        ; implicit-def: $vgpr34
	s_and_saveexec_b64 s[26:27], s[16:17]
	s_cbranch_execz .LBB122_34
; %bb.33:                               ;   in Loop: Header=BB122_29 Depth=2
	s_bcnt1_i32_b64 s9, s[28:29]
	s_mul_i32 s9, s8, s9
	v_mov_b32_e32 v34, s9
	ds_add_rtn_u32 v34, v9, v34 offset:4112
.LBB122_34:                             ;   in Loop: Header=BB122_29 Depth=2
	s_or_b64 exec, exec, s[26:27]
	s_waitcnt lgkmcnt(0)
	v_readfirstlane_b32 s9, v34
	v_mov_b32_e32 v34, s9
	v_mad_u32_u24 v18, s8, v18, v34
.LBB122_35:                             ;   in Loop: Header=BB122_29 Depth=2
	s_or_b64 exec, exec, s[24:25]
	ds_bpermute_b32 v18, v23, v18
	s_and_b64 s[8:9], exec, vcc
	s_or_b64 s[22:23], s[8:9], s[22:23]
	s_and_saveexec_b64 s[16:17], s[14:15]
	s_cbranch_execz .LBB122_28
; %bb.36:                               ;   in Loop: Header=BB122_29 Depth=2
	v_and_b32_e32 v35, s14, v12
	v_and_b32_e32 v34, s15, v1
	v_bcnt_u32_b32 v35, v35, 0
	v_bcnt_u32_b32 v34, v34, v35
	v_lshlrev_b32_e32 v34, 2, v34
	s_waitcnt lgkmcnt(0)
	v_lshl_add_u32 v18, v18, 2, v34
	ds_write_b32 v18, v2
	s_branch .LBB122_28
.LBB122_37:                             ;   in Loop: Header=BB122_21 Depth=1
	s_mov_b64 s[14:15], 0
                                        ; implicit-def: $sgpr77
	s_cbranch_execnz .LBB122_42
	s_branch .LBB122_52
.LBB122_38:                             ;   in Loop: Header=BB122_21 Depth=1
	s_mov_b32 s77, 0
	s_and_b64 vcc, exec, s[18:19]
	s_cbranch_vccnz .LBB122_42
	s_branch .LBB122_52
.LBB122_39:                             ;   in Loop: Header=BB122_21 Depth=1
	s_or_b64 exec, exec, s[20:21]
	s_waitcnt lgkmcnt(0)
	s_barrier
	s_mov_b64 s[14:15], exec
	v_readlane_b32 s8, v50, 21
	v_readlane_b32 s9, v50, 22
	s_and_b64 s[8:9], s[14:15], s[8:9]
	s_mov_b64 exec, s[8:9]
	s_cbranch_execz .LBB122_41
; %bb.40:                               ;   in Loop: Header=BB122_21 Depth=1
	s_waitcnt vmcnt(0)
	ds_read_b32 v2, v9 offset:4112
	s_waitcnt lgkmcnt(0)
	ds_write_b32 v9, v2 offset:4104
.LBB122_41:                             ;   in Loop: Header=BB122_21 Depth=1
	s_or_b64 exec, exec, s[14:15]
	s_waitcnt lgkmcnt(0)
	s_barrier
	s_mov_b64 s[14:15], -1
	s_mov_b32 s77, 0
	s_and_b64 vcc, exec, s[18:19]
	s_cbranch_vccz .LBB122_52
.LBB122_42:                             ;   in Loop: Header=BB122_21 Depth=1
	s_waitcnt vmcnt(0)
	v_mov_b32_e32 v2, 0
	s_and_saveexec_b64 s[14:15], s[0:1]
	s_cbranch_execz .LBB122_44
; %bb.43:                               ;   in Loop: Header=BB122_21 Depth=1
	global_load_dword v2, v[10:11], off
.LBB122_44:                             ;   in Loop: Header=BB122_21 Depth=1
	s_or_b64 exec, exec, s[14:15]
	s_and_saveexec_b64 s[16:17], s[0:1]
	s_cbranch_execz .LBB122_49
; %bb.45:                               ;   in Loop: Header=BB122_21 Depth=1
	v_readlane_b32 s8, v50, 28
	v_readlane_b32 s9, v50, 29
	s_mov_b64 s[18:19], 0
	v_mov_b32_e32 v4, v20
	v_mov_b32_e32 v18, v0
	s_nop 1
	global_load_ushort v3, v9, s[8:9]
	s_waitcnt vmcnt(0)
	v_add_u32_e32 v8, v0, v3
	v_lshlrev_b32_e32 v5, 2, v3
	v_mul_lo_u32 v17, s58, v3
	v_mul_lo_u32 v8, s58, v8
	s_branch .LBB122_47
.LBB122_46:                             ;   in Loop: Header=BB122_47 Depth=2
	s_or_b64 exec, exec, s[20:21]
	s_and_b64 s[8:9], exec, vcc
	s_or_b64 s[18:19], s[8:9], s[18:19]
	ds_write_b32 v4, v2
	v_add_u32_e32 v4, v4, v5
	v_add_u32_e32 v8, v8, v17
	s_waitcnt vmcnt(0)
	v_mov_b32_e32 v2, v34
	s_andn2_b64 exec, exec, s[18:19]
	s_cbranch_execz .LBB122_49
.LBB122_47:                             ;   Parent Loop BB122_21 Depth=1
                                        ; =>  This Inner Loop Header: Depth=2
	v_add_u32_e32 v18, v18, v3
	v_cmp_gt_u32_e64 s[14:15], s56, v18
	v_cmp_le_u32_e32 vcc, s56, v18
	v_mov_b32_e32 v34, 0
	s_and_saveexec_b64 s[20:21], s[14:15]
	s_cbranch_execz .LBB122_46
; %bb.48:                               ;   in Loop: Header=BB122_47 Depth=2
	v_lshlrev_b64 v[34:35], 2, v[8:9]
	v_mov_b32_e32 v36, s90
	v_add_co_u32_e64 v34, s[14:15], s57, v34
	v_addc_co_u32_e64 v35, s[14:15], v36, v35, s[14:15]
	global_load_dword v34, v[34:35], off
	s_branch .LBB122_46
.LBB122_49:                             ;   in Loop: Header=BB122_21 Depth=1
	s_or_b64 exec, exec, s[16:17]
	s_waitcnt lgkmcnt(0)
	s_barrier
	s_mov_b64 s[14:15], exec
	v_readlane_b32 s8, v50, 21
	v_readlane_b32 s9, v50, 22
	s_and_b64 s[8:9], s[14:15], s[8:9]
	s_mov_b64 exec, s[8:9]
	s_cbranch_execz .LBB122_51
; %bb.50:                               ;   in Loop: Header=BB122_21 Depth=1
	s_waitcnt vmcnt(0)
	v_mov_b32_e32 v2, s56
	ds_write_b32 v9, v2 offset:4104
.LBB122_51:                             ;   in Loop: Header=BB122_21 Depth=1
	s_or_b64 exec, exec, s[14:15]
	s_mov_b64 s[14:15], -1
	s_waitcnt lgkmcnt(0)
	s_barrier
                                        ; implicit-def: $sgpr77
.LBB122_52:                             ;   in Loop: Header=BB122_21 Depth=1
	s_and_b64 vcc, exec, s[14:15]
	s_cbranch_vccz .LBB122_54
; %bb.53:                               ;   in Loop: Header=BB122_21 Depth=1
	s_waitcnt vmcnt(0)
	ds_read_b32 v2, v9 offset:4104
	s_waitcnt lgkmcnt(0)
	v_readfirstlane_b32 s77, v2
.LBB122_54:                             ;   in Loop: Header=BB122_21 Depth=1
	s_cmp_lt_i32 s77, 1
	s_cbranch_scc0 .LBB122_66
; %bb.55:                               ;   in Loop: Header=BB122_21 Depth=1
	s_waitcnt vmcnt(0)
	v_mov_b32_e32 v2, 0
	s_mov_b32 s48, 0
	v_mov_b32_e32 v3, 0
	v_mov_b32_e32 v4, v2
	;; [unrolled: 1-line block ×3, first 2 shown]
	s_mov_b64 s[44:45], exec
	v_readlane_b32 s8, v50, 42
	v_readlane_b32 s9, v50, 43
	s_and_b64 s[8:9], s[44:45], s[8:9]
	s_mov_b64 exec, s[8:9]
	s_cbranch_execz .LBB122_59
; %bb.56:                               ;   in Loop: Header=BB122_21 Depth=1
	s_and_b32 s49, s13, 0xfe
	s_mov_b64 s[46:47], 0
	s_mov_b32 s50, 0
	s_mov_b32 s51, 0
	;; [unrolled: 1-line block ×4, first 2 shown]
	v_mov_b32_e32 v17, v20
.LBB122_57:                             ;   Parent Loop BB122_21 Depth=1
                                        ; =>  This Inner Loop Header: Depth=2
	v_add_u32_e32 v8, s48, v28
	v_lshlrev_b64 v[2:3], 2, v[8:9]
	v_mov_b32_e32 v18, s90
	v_add_u32_e32 v8, s48, v25
	v_add_co_u32_e64 v2, s[14:15], s57, v2
	v_lshlrev_b64 v[4:5], 2, v[8:9]
	v_addc_co_u32_e64 v3, s[14:15], v18, v3, s[14:15]
	v_add_u32_e32 v8, s48, v26
	global_load_dword v36, v[2:3], off
	v_add_co_u32_e64 v2, s[14:15], s57, v4
	v_lshlrev_b64 v[34:35], 2, v[8:9]
	v_add_u32_e32 v8, s48, v27
	v_addc_co_u32_e64 v3, s[14:15], v18, v5, s[14:15]
	v_lshlrev_b64 v[4:5], 2, v[8:9]
	global_load_dword v8, v[2:3], off
	v_add_co_u32_e64 v2, s[14:15], s57, v34
	v_addc_co_u32_e64 v3, s[14:15], v18, v35, s[14:15]
	global_load_dword v34, v[2:3], off
	v_add_co_u32_e64 v2, s[14:15], s57, v4
	v_addc_co_u32_e64 v3, s[14:15], v18, v5, s[14:15]
	global_load_dword v2, v[2:3], off
	v_add_u32_e32 v17, s93, v17
	v_cmp_le_u32_e32 vcc, s92, v17
	s_add_i32 s48, s48, s33
	s_waitcnt vmcnt(3)
	v_cmp_lt_i32_e64 s[14:15], -1, v36
	v_cndmask_b32_e64 v3, -1, v32, s[14:15]
	v_xor_b32_e32 v3, v3, v36
	s_waitcnt vmcnt(2)
	v_cmp_lt_i32_e64 s[14:15], -1, v8
	v_cndmask_b32_e64 v4, -1, v32, s[14:15]
	v_cmp_o_f32_e64 s[14:15], v36, v36
	v_cndmask_b32_e64 v3, -1, v3, s[14:15]
	v_xor_b32_e32 v4, v4, v8
	s_waitcnt vmcnt(1)
	v_cmp_lt_i32_e64 s[14:15], -1, v34
	v_cndmask_b32_e64 v5, -1, v32, s[14:15]
	v_cmp_o_f32_e64 s[14:15], v8, v8
	v_cndmask_b32_e64 v4, -1, v4, s[14:15]
	v_xor_b32_e32 v5, v5, v34
	s_waitcnt vmcnt(0)
	v_cmp_lt_i32_e64 s[14:15], -1, v2
	v_cndmask_b32_e64 v8, -1, v32, s[14:15]
	v_and_b32_e32 v18, s81, v3
	v_bfe_u32 v3, v3, s49, 2
	v_cmp_o_f32_e64 s[14:15], v34, v34
	v_cndmask_b32_e64 v5, -1, v5, s[14:15]
	v_cmp_eq_u32_e64 s[14:15], s2, v18
	v_cmp_eq_u32_e64 s[16:17], 0, v3
	v_and_b32_e32 v18, s81, v4
	v_bfe_u32 v4, v4, s49, 2
	v_cmp_eq_u32_e64 s[18:19], 1, v3
	s_and_b64 s[8:9], s[14:15], s[16:17]
	v_xor_b32_e32 v8, v8, v2
	v_cmp_eq_u32_e64 s[20:21], 2, v3
	v_cmp_o_f32_e64 s[24:25], v2, v2
	v_cmp_eq_u32_e64 s[26:27], 0, v4
	v_cmp_eq_u32_e64 s[28:29], 1, v4
	;; [unrolled: 1-line block ×4, first 2 shown]
	v_cndmask_b32_e64 v4, 0, 1, s[8:9]
	s_and_b64 s[8:9], s[14:15], s[18:19]
	v_cmp_eq_u32_e64 s[22:23], 3, v3
	v_cndmask_b32_e64 v2, -1, v8, s[24:25]
	v_cndmask_b32_e64 v8, 0, 1, s[8:9]
	s_and_b64 s[8:9], s[14:15], s[20:21]
	v_cmp_eq_u32_e64 s[24:25], s2, v18
	v_cndmask_b32_e64 v18, 0, 1, s[8:9]
	s_and_b64 s[8:9], s[14:15], s[22:23]
	v_cndmask_b32_e64 v34, 0, 1, s[8:9]
	s_and_b64 s[8:9], s[24:25], s[26:27]
	v_and_b32_e32 v3, s81, v5
	v_bfe_u32 v5, v5, s49, 2
	v_cmp_ne_u32_e64 s[36:37], 0, v4
	v_cndmask_b32_e64 v4, 0, 1, s[8:9]
	s_and_b64 s[8:9], s[24:25], s[28:29]
	v_cmp_eq_u32_e64 s[16:17], 0, v5
	v_cmp_eq_u32_e64 s[18:19], 1, v5
	;; [unrolled: 1-line block ×4, first 2 shown]
	v_cndmask_b32_e64 v5, 0, 1, s[8:9]
	s_and_b64 s[8:9], s[24:25], s[30:31]
	v_cmp_eq_u32_e64 s[14:15], s2, v3
	v_cmp_ne_u32_e64 s[26:27], 0, v8
	v_cndmask_b32_e64 v8, 0, 1, s[8:9]
	s_and_b64 s[8:9], s[24:25], s[34:35]
	v_and_b32_e32 v3, s81, v2
	v_bfe_u32 v2, v2, s49, 2
	v_cmp_ne_u32_e64 s[28:29], 0, v18
	v_cndmask_b32_e64 v18, 0, 1, s[8:9]
	s_and_b64 s[8:9], s[14:15], s[16:17]
	v_cmp_eq_u32_e64 s[34:35], 0, v2
	v_cmp_eq_u32_e64 s[38:39], 1, v2
	;; [unrolled: 1-line block ×4, first 2 shown]
	v_cndmask_b32_e64 v2, 0, 1, s[8:9]
	s_and_b64 s[8:9], s[14:15], s[18:19]
	v_cmp_eq_u32_e64 s[24:25], s2, v3
	v_cndmask_b32_e64 v3, 0, 1, s[8:9]
	s_and_b64 s[8:9], s[14:15], s[20:21]
	s_bcnt1_i32_b64 s54, s[36:37]
	v_cmp_ne_u32_e64 s[36:37], 0, v4
	v_cndmask_b32_e64 v4, 0, 1, s[8:9]
	s_and_b64 s[8:9], s[14:15], s[22:23]
	v_cmp_ne_u32_e64 s[16:17], 0, v5
	v_cndmask_b32_e64 v5, 0, 1, s[8:9]
	s_and_b64 s[8:9], s[24:25], s[34:35]
	;; [unrolled: 3-line block ×3, first 2 shown]
	v_cmp_ne_u32_e64 s[30:31], 0, v34
	s_bcnt1_i32_b64 s26, s[26:27]
	s_bcnt1_i32_b64 s27, s[28:29]
	v_cmp_ne_u32_e64 s[18:19], 0, v8
	s_bcnt1_i32_b64 s29, s[16:17]
	v_cmp_ne_u32_e64 s[16:17], 0, v3
	v_cndmask_b32_e64 v3, 0, 1, s[8:9]
	s_and_b64 s[8:9], s[24:25], s[40:41]
	s_bcnt1_i32_b64 s28, s[30:31]
	v_cmp_ne_u32_e64 s[20:21], 0, v18
	s_bcnt1_i32_b64 s30, s[18:19]
	v_cmp_ne_u32_e64 s[18:19], 0, v4
	v_cndmask_b32_e64 v4, 0, 1, s[8:9]
	s_and_b64 s[8:9], s[24:25], s[42:43]
	s_bcnt1_i32_b64 s22, s[36:37]
	s_add_i32 s23, s53, s54
	s_add_i32 s26, s52, s26
	;; [unrolled: 1-line block ×3, first 2 shown]
	s_bcnt1_i32_b64 s31, s[20:21]
	v_cmp_ne_u32_e64 s[20:21], 0, v5
	v_cndmask_b32_e64 v5, 0, 1, s[8:9]
	s_add_i32 s8, s50, s28
	s_bcnt1_i32_b64 s9, s[14:15]
	v_cmp_ne_u32_e64 s[14:15], 0, v2
	s_add_i32 s22, s23, s22
	s_bcnt1_i32_b64 s23, s[16:17]
	v_cmp_ne_u32_e64 s[16:17], 0, v3
	;; [unrolled: 3-line block ×4, first 2 shown]
	s_add_i32 s8, s8, s31
	s_bcnt1_i32_b64 s14, s[14:15]
	s_add_i32 s9, s22, s9
	s_bcnt1_i32_b64 s15, s[16:17]
	s_add_i32 s16, s24, s23
	s_bcnt1_i32_b64 s17, s[18:19]
	s_add_i32 s18, s26, s25
	s_bcnt1_i32_b64 s19, s[20:21]
	s_add_i32 s8, s8, s27
	s_add_i32 s53, s9, s14
	;; [unrolled: 1-line block ×5, first 2 shown]
	s_or_b64 s[46:47], vcc, s[46:47]
	v_mov_b32_e32 v2, s53
	v_mov_b32_e32 v3, s52
	;; [unrolled: 1-line block ×4, first 2 shown]
	s_andn2_b64 exec, exec, s[46:47]
	s_cbranch_execnz .LBB122_57
; %bb.58:                               ;   in Loop: Header=BB122_21 Depth=1
	s_or_b64 exec, exec, s[46:47]
.LBB122_59:                             ;   in Loop: Header=BB122_21 Depth=1
	s_or_b64 exec, exec, s[44:45]
	v_mov_b32_e32 v17, 0
	s_and_saveexec_b64 s[14:15], s[10:11]
	s_cbranch_execz .LBB122_61
; %bb.60:                               ;   in Loop: Header=BB122_21 Depth=1
	global_load_dword v17, v[14:15], off
.LBB122_61:                             ;   in Loop: Header=BB122_21 Depth=1
	s_or_b64 exec, exec, s[14:15]
	s_mov_b64 s[16:17], 0
	s_mov_b64 s[70:71], 0
	s_and_saveexec_b64 s[18:19], s[10:11]
	s_cbranch_execz .LBB122_68
; %bb.62:                               ;   in Loop: Header=BB122_21 Depth=1
	s_and_b32 s8, s13, 0xfe
	s_mov_b64 s[20:21], 0
	v_mov_b32_e32 v8, v29
	v_mov_b32_e32 v18, v24
	s_branch .LBB122_64
.LBB122_63:                             ;   in Loop: Header=BB122_64 Depth=2
	s_or_b64 exec, exec, s[22:23]
	s_and_b64 s[14:15], exec, vcc
	s_waitcnt vmcnt(0)
	v_cmp_lt_i32_e32 vcc, -1, v17
	v_cndmask_b32_e32 v35, -1, v32, vcc
	v_xor_b32_e32 v35, v35, v17
	v_cmp_o_f32_e32 vcc, v17, v17
	v_cndmask_b32_e32 v17, -1, v35, vcc
	v_and_b32_e32 v35, s81, v17
	v_bfe_u32 v17, v17, s8, 2
	s_or_b64 s[20:21], s[14:15], s[20:21]
	v_cmp_eq_u32_e32 vcc, s2, v35
	v_cmp_eq_u32_e64 s[14:15], 0, v17
	s_and_b64 s[14:15], vcc, s[14:15]
	v_cndmask_b32_e64 v35, 0, 1, s[14:15]
	v_cmp_ne_u32_e64 s[14:15], 0, v35
	s_bcnt1_i32_b64 s9, s[14:15]
	v_cmp_eq_u32_e64 s[14:15], 1, v17
	s_and_b64 s[14:15], vcc, s[14:15]
	v_cndmask_b32_e64 v35, 0, 1, s[14:15]
	v_cmp_ne_u32_e64 s[14:15], 0, v35
	v_add_u32_e32 v2, s9, v2
	s_bcnt1_i32_b64 s9, s[14:15]
	v_cmp_eq_u32_e64 s[14:15], 2, v17
	s_and_b64 s[14:15], vcc, s[14:15]
	v_cndmask_b32_e64 v35, 0, 1, s[14:15]
	v_cmp_ne_u32_e64 s[14:15], 0, v35
	v_add_u32_e32 v3, s9, v3
	s_bcnt1_i32_b64 s9, s[14:15]
	v_cmp_eq_u32_e64 s[14:15], 3, v17
	s_and_b64 s[14:15], vcc, s[14:15]
	v_cndmask_b32_e64 v17, 0, 1, s[14:15]
	v_cmp_ne_u32_e32 vcc, 0, v17
	v_add_u32_e32 v4, s9, v4
	s_bcnt1_i32_b64 s9, vcc
	v_add_u32_e32 v5, s9, v5
	v_add_u32_e32 v8, s91, v8
	v_mov_b32_e32 v17, v34
	s_andn2_b64 exec, exec, s[20:21]
	s_cbranch_execz .LBB122_67
.LBB122_64:                             ;   Parent Loop BB122_21 Depth=1
                                        ; =>  This Inner Loop Header: Depth=2
	v_add_u32_e32 v18, s59, v18
	v_cmp_gt_u32_e64 s[14:15], s56, v18
	v_cmp_le_u32_e32 vcc, s56, v18
	v_mov_b32_e32 v34, 0
	s_and_saveexec_b64 s[22:23], s[14:15]
	s_cbranch_execz .LBB122_63
; %bb.65:                               ;   in Loop: Header=BB122_64 Depth=2
	v_lshlrev_b64 v[34:35], 2, v[8:9]
	v_mov_b32_e32 v36, s90
	v_add_co_u32_e64 v34, s[14:15], s57, v34
	v_addc_co_u32_e64 v35, s[14:15], v36, v35, s[14:15]
	global_load_dword v34, v[34:35], off
	s_branch .LBB122_63
.LBB122_66:                             ;   in Loop: Header=BB122_21 Depth=1
	s_mov_b64 s[70:71], 0
                                        ; implicit-def: $vgpr5
	s_cbranch_execnz .LBB122_69
	s_branch .LBB122_78
.LBB122_67:                             ;   in Loop: Header=BB122_21 Depth=1
	s_or_b64 exec, exec, s[20:21]
	s_mov_b64 s[70:71], exec
.LBB122_68:                             ;   in Loop: Header=BB122_21 Depth=1
	s_or_b64 exec, exec, s[18:19]
	s_and_b64 vcc, exec, s[16:17]
	s_cbranch_vccz .LBB122_78
.LBB122_69:                             ;   in Loop: Header=BB122_21 Depth=1
	s_mul_hi_u32 s8, s77, s85
	s_mul_i32 s8, s8, s93
	s_sub_i32 s8, s77, s8
	s_sub_i32 s9, s8, s93
	s_cmp_ge_u32 s8, s93
	s_cselect_b32 s8, s9, s8
	s_sub_i32 s9, s8, s93
	s_cmp_ge_u32 s8, s93
	s_cselect_b32 s8, s9, s8
	s_sub_i32 s84, s77, s8
	v_cmp_gt_u32_e32 vcc, s84, v20
	s_mov_b32 s82, 0
	s_waitcnt vmcnt(0)
	v_mov_b32_e32 v2, 0
	v_mov_b32_e32 v3, 0
	;; [unrolled: 1-line block ×4, first 2 shown]
	s_and_saveexec_b64 s[74:75], vcc
	s_cbranch_execz .LBB122_73
; %bb.70:                               ;   in Loop: Header=BB122_21 Depth=1
	s_and_b32 s86, s13, 0xfe
	s_mov_b64 s[88:89], 0
	v_mov_b32_e32 v8, v30
	s_mov_b32 s83, 0
	s_mov_b32 s8, 0
	s_mov_b32 s9, 0
	v_mov_b32_e32 v17, v20
.LBB122_71:                             ;   Parent Loop BB122_21 Depth=1
                                        ; =>  This Inner Loop Header: Depth=2
	ds_read_b128 v[2:5], v8
	v_add_u32_e32 v17, s93, v17
	v_cmp_le_u32_e32 vcc, s84, v17
	v_add_u32_e32 v8, s12, v8
	s_waitcnt lgkmcnt(0)
	v_cmp_lt_i32_e64 s[14:15], -1, v2
	v_cndmask_b32_e64 v18, -1, v32, s[14:15]
	v_cmp_lt_i32_e64 s[14:15], -1, v3
	v_cndmask_b32_e64 v34, -1, v32, s[14:15]
	;; [unrolled: 2-line block ×4, first 2 shown]
	v_xor_b32_e32 v34, v34, v3
	v_cmp_o_f32_e64 s[14:15], v3, v3
	v_xor_b32_e32 v3, v35, v4
	v_cmp_o_f32_e64 s[16:17], v4, v4
	;; [unrolled: 2-line block ×4, first 2 shown]
	v_cndmask_b32_e64 v2, -1, v5, s[20:21]
	v_cndmask_b32_e64 v5, -1, v34, s[14:15]
	v_and_b32_e32 v18, s81, v2
	v_bfe_u32 v2, v2, s86, 2
	v_cndmask_b32_e64 v3, -1, v3, s[16:17]
	v_and_b32_e32 v34, s81, v5
	v_bfe_u32 v5, v5, s86, 2
	v_cmp_eq_u32_e64 s[14:15], s2, v18
	v_cmp_eq_u32_e64 s[22:23], 0, v2
	v_cndmask_b32_e64 v4, -1, v4, s[18:19]
	v_and_b32_e32 v35, s81, v3
	v_bfe_u32 v3, v3, s86, 2
	v_cmp_eq_u32_e64 s[16:17], s2, v34
	v_cmp_eq_u32_e64 s[24:25], 0, v5
	s_and_b64 s[22:23], s[14:15], s[22:23]
	v_and_b32_e32 v36, s81, v4
	v_bfe_u32 v4, v4, s86, 2
	v_cmp_eq_u32_e64 s[18:19], s2, v35
	v_cmp_eq_u32_e64 s[26:27], 0, v3
	;; [unrolled: 1-line block ×5, first 2 shown]
	v_cndmask_b32_e64 v2, 0, 1, s[22:23]
	s_and_b64 s[22:23], s[16:17], s[24:25]
	v_cmp_eq_u32_e64 s[20:21], s2, v36
	v_cmp_eq_u32_e64 s[28:29], 0, v4
	;; [unrolled: 1-line block ×5, first 2 shown]
	v_cndmask_b32_e64 v3, 0, 1, s[22:23]
	s_and_b64 s[22:23], s[18:19], s[26:27]
	v_cmp_eq_u32_e64 s[38:39], 1, v4
	v_cmp_eq_u32_e64 s[46:47], 2, v4
	v_cmp_eq_u32_e64 s[54:55], 3, v4
	v_cndmask_b32_e64 v4, 0, 1, s[22:23]
	s_and_b64 s[22:23], s[20:21], s[28:29]
	v_cmp_eq_u32_e64 s[34:35], 1, v5
	v_cmp_eq_u32_e64 s[42:43], 2, v5
	;; [unrolled: 1-line block ×3, first 2 shown]
	v_cndmask_b32_e64 v5, 0, 1, s[22:23]
	s_and_b64 s[22:23], s[14:15], s[30:31]
	v_cndmask_b32_e64 v18, 0, 1, s[22:23]
	s_and_b64 s[22:23], s[16:17], s[34:35]
	;; [unrolled: 2-line block ×5, first 2 shown]
	s_and_b64 s[14:15], s[14:15], s[48:49]
	v_cndmask_b32_e64 v37, 0, 1, s[22:23]
	s_and_b64 s[22:23], s[16:17], s[42:43]
	v_cndmask_b32_e64 v41, 0, 1, s[14:15]
	;; [unrolled: 2-line block ×7, first 2 shown]
	v_cndmask_b32_e64 v44, 0, 1, s[14:15]
	v_cmp_ne_u32_e64 s[14:15], 0, v2
	v_cmp_ne_u32_e64 s[16:17], 0, v3
	v_cmp_ne_u32_e64 s[18:19], 0, v4
	v_cmp_ne_u32_e64 s[20:21], 0, v5
	v_cmp_ne_u32_e64 s[22:23], 0, v18
	v_cmp_ne_u32_e64 s[26:27], 0, v35
	v_cmp_ne_u32_e64 s[30:31], 0, v37
	v_cmp_ne_u32_e64 s[40:41], 0, v41
	v_cmp_ne_u32_e64 s[24:25], 0, v34
	v_cmp_ne_u32_e64 s[34:35], 0, v38
	v_cmp_ne_u32_e64 s[42:43], 0, v42
	s_bcnt1_i32_b64 s14, s[14:15]
	s_bcnt1_i32_b64 s15, s[16:17]
	s_bcnt1_i32_b64 s16, s[18:19]
	s_bcnt1_i32_b64 s17, s[20:21]
	s_bcnt1_i32_b64 s18, s[22:23]
	s_bcnt1_i32_b64 s20, s[26:27]
	s_bcnt1_i32_b64 s22, s[30:31]
	s_bcnt1_i32_b64 s26, s[40:41]
	v_cmp_ne_u32_e64 s[28:29], 0, v36
	v_cmp_ne_u32_e64 s[36:37], 0, v39
	;; [unrolled: 1-line block ×3, first 2 shown]
	s_bcnt1_i32_b64 s19, s[24:25]
	s_bcnt1_i32_b64 s23, s[34:35]
	;; [unrolled: 1-line block ×3, first 2 shown]
	s_add_i32 s9, s9, s14
	s_add_i32 s8, s8, s18
	;; [unrolled: 1-line block ×4, first 2 shown]
	v_cmp_ne_u32_e64 s[38:39], 0, v40
	v_cmp_ne_u32_e64 s[46:47], 0, v44
	s_bcnt1_i32_b64 s21, s[28:29]
	s_bcnt1_i32_b64 s24, s[36:37]
	;; [unrolled: 1-line block ×3, first 2 shown]
	s_add_i32 s9, s9, s15
	s_add_i32 s8, s8, s19
	;; [unrolled: 1-line block ×4, first 2 shown]
	s_bcnt1_i32_b64 s25, s[38:39]
	s_bcnt1_i32_b64 s29, s[46:47]
	s_add_i32 s9, s9, s16
	s_add_i32 s8, s8, s20
	;; [unrolled: 1-line block ×8, first 2 shown]
	s_or_b64 s[88:89], vcc, s[88:89]
	v_mov_b32_e32 v2, s9
	v_mov_b32_e32 v3, s8
	;; [unrolled: 1-line block ×4, first 2 shown]
	s_andn2_b64 exec, exec, s[88:89]
	s_cbranch_execnz .LBB122_71
; %bb.72:                               ;   in Loop: Header=BB122_21 Depth=1
	s_or_b64 exec, exec, s[88:89]
.LBB122_73:                             ;   in Loop: Header=BB122_21 Depth=1
	s_or_b64 exec, exec, s[74:75]
	v_add_u32_e32 v8, s84, v0
	v_cmp_gt_u32_e32 vcc, s77, v8
	s_and_saveexec_b64 s[24:25], vcc
	s_cbranch_execz .LBB122_77
; %bb.74:                               ;   in Loop: Header=BB122_21 Depth=1
	s_and_b32 s8, s13, 0xfe
	v_lshlrev_b32_e32 v17, 2, v8
	s_mov_b64 s[26:27], 0
.LBB122_75:                             ;   Parent Loop BB122_21 Depth=1
                                        ; =>  This Inner Loop Header: Depth=2
	ds_read_b32 v18, v17
	v_add_u32_e32 v8, s59, v8
	v_cmp_le_u32_e32 vcc, s77, v8
	v_add_u32_e32 v17, s93, v17
	s_waitcnt lgkmcnt(0)
	v_cmp_lt_i32_e64 s[14:15], -1, v18
	v_cndmask_b32_e64 v34, -1, v32, s[14:15]
	v_xor_b32_e32 v34, v34, v18
	v_cmp_o_f32_e64 s[14:15], v18, v18
	v_cndmask_b32_e64 v18, -1, v34, s[14:15]
	v_and_b32_e32 v34, s81, v18
	v_bfe_u32 v18, v18, s8, 2
	v_cmp_eq_u32_e64 s[14:15], s2, v34
	v_cmp_eq_u32_e64 s[16:17], 0, v18
	;; [unrolled: 1-line block ×3, first 2 shown]
	s_and_b64 s[16:17], s[14:15], s[16:17]
	v_cmp_eq_u32_e64 s[20:21], 2, v18
	v_cmp_eq_u32_e64 s[22:23], 3, v18
	v_cndmask_b32_e64 v18, 0, 1, s[16:17]
	s_and_b64 s[16:17], s[14:15], s[18:19]
	v_cndmask_b32_e64 v34, 0, 1, s[16:17]
	s_and_b64 s[16:17], s[14:15], s[20:21]
	s_and_b64 s[14:15], s[14:15], s[22:23]
	v_cndmask_b32_e64 v35, 0, 1, s[16:17]
	v_cndmask_b32_e64 v36, 0, 1, s[14:15]
	v_cmp_ne_u32_e64 s[14:15], 0, v18
	v_cmp_ne_u32_e64 s[16:17], 0, v34
	v_cmp_ne_u32_e64 s[18:19], 0, v35
	v_cmp_ne_u32_e64 s[20:21], 0, v36
	s_bcnt1_i32_b64 s9, s[14:15]
	s_bcnt1_i32_b64 s14, s[16:17]
	;; [unrolled: 1-line block ×4, first 2 shown]
	v_add_u32_e32 v2, s9, v2
	v_add_u32_e32 v3, s14, v3
	;; [unrolled: 1-line block ×3, first 2 shown]
	s_or_b64 s[26:27], vcc, s[26:27]
	v_add_u32_e32 v5, s16, v5
	s_andn2_b64 exec, exec, s[26:27]
	s_cbranch_execnz .LBB122_75
; %bb.76:                               ;   in Loop: Header=BB122_21 Depth=1
	s_or_b64 exec, exec, s[26:27]
	s_or_b64 s[70:71], s[70:71], exec
.LBB122_77:                             ;   in Loop: Header=BB122_21 Depth=1
	s_or_b64 exec, exec, s[24:25]
.LBB122_78:                             ;   in Loop: Header=BB122_21 Depth=1
	s_and_saveexec_b64 s[14:15], s[70:71]
	s_or_b64 exec, exec, s[14:15]
	s_lshl_b32 s8, s80, 6
	s_and_saveexec_b64 s[14:15], s[4:5]
	s_cbranch_execz .LBB122_80
; %bb.79:                               ;   in Loop: Header=BB122_21 Depth=1
	v_or_b32_e32 v8, s8, v22
	v_lshlrev_b32_e32 v8, 2, v8
	s_waitcnt vmcnt(0)
	ds_write_b128 v8, v[2:5] offset:3072
.LBB122_80:                             ;   in Loop: Header=BB122_21 Depth=1
	s_or_b64 exec, exec, s[14:15]
	s_waitcnt lgkmcnt(0)
	s_barrier
	s_and_saveexec_b64 s[14:15], s[78:79]
	s_cbranch_execz .LBB122_94
; %bb.81:                               ;   in Loop: Header=BB122_21 Depth=1
	v_readlane_b32 s16, v50, 26
	v_readlane_b32 s17, v50, 27
	v_add_u32_e32 v4, s8, v13
	s_andn2_b64 vcc, exec, s[16:17]
	s_waitcnt vmcnt(0)
	v_mov_b32_e32 v2, 0
	s_cbranch_vccnz .LBB122_93
; %bb.82:                               ;   in Loop: Header=BB122_21 Depth=1
	v_readlane_b32 s16, v50, 30
	v_readlane_b32 s17, v50, 31
	s_mov_b32 s9, 0
	s_and_b64 vcc, exec, s[16:17]
	v_mov_b32_e32 v2, 0
	s_cbranch_vccz .LBB122_86
; %bb.83:                               ;   in Loop: Header=BB122_21 Depth=1
	v_readlane_b32 s16, v50, 32
	v_readlane_b32 s17, v50, 33
	v_lshl_add_u32 v5, v4, 2, v33
	s_andn2_b64 vcc, exec, s[16:17]
	s_cbranch_vccnz .LBB122_87
; %bb.84:                               ;   in Loop: Header=BB122_21 Depth=1
	s_mov_b32 s17, 1
	s_mov_b32 s16, 0
	v_mov_b32_e32 v2, 0
	v_readlane_b32 s9, v50, 34
	v_mov_b32_e32 v3, 0
.LBB122_85:                             ;   Parent Loop BB122_21 Depth=1
                                        ; =>  This Inner Loop Header: Depth=2
	v_lshl_add_u32 v8, s16, 4, v5
	v_lshl_add_u32 v17, s17, 4, v5
	ds_read2_b32 v[34:35], v8 offset1:8
	ds_read2_b32 v[36:37], v17 offset1:8
	ds_read2_b32 v[38:39], v8 offset0:16 offset1:24
	ds_read2_b32 v[40:41], v17 offset0:16 offset1:24
	ds_read2_b32 v[42:43], v8 offset0:32 offset1:40
	ds_read2_b32 v[44:45], v17 offset0:32 offset1:40
	ds_read2_b32 v[46:47], v8 offset0:48 offset1:56
	ds_read2_b32 v[48:49], v17 offset0:48 offset1:56
	s_waitcnt lgkmcnt(7)
	v_add3_u32 v2, v34, v2, v35
	s_waitcnt lgkmcnt(6)
	v_add3_u32 v3, v36, v3, v37
	;; [unrolled: 2-line block ×3, first 2 shown]
	v_add3_u32 v2, v38, v2, v39
	s_add_i32 s17, s17, 16
	s_add_i32 s16, s16, 16
	s_add_i32 s9, s9, -8
	s_waitcnt lgkmcnt(3)
	v_add3_u32 v2, v42, v2, v43
	s_waitcnt lgkmcnt(2)
	v_add3_u32 v3, v44, v3, v45
	s_cmp_lg_u32 s9, 0
	s_waitcnt lgkmcnt(0)
	v_add3_u32 v3, v48, v3, v49
	v_add3_u32 v2, v46, v2, v47
	s_cbranch_scc1 .LBB122_85
	s_branch .LBB122_88
.LBB122_86:                             ;   in Loop: Header=BB122_21 Depth=1
	s_cbranch_execnz .LBB122_91
	s_branch .LBB122_93
.LBB122_87:                             ;   in Loop: Header=BB122_21 Depth=1
	s_mov_b32 s77, s76
	v_pk_mov_b32 v[2:3], s[76:77], s[76:77] op_sel:[0,1]
	s_mov_b32 s77, 1
	s_mov_b64 s[16:17], s[76:77]
.LBB122_88:                             ;   in Loop: Header=BB122_21 Depth=1
	v_readlane_b32 s18, v50, 36
	v_readlane_b32 s19, v50, 37
	s_andn2_b64 vcc, exec, s[18:19]
	v_readlane_b32 s9, v50, 35
	s_cbranch_vccnz .LBB122_90
.LBB122_89:                             ;   Parent Loop BB122_21 Depth=1
                                        ; =>  This Inner Loop Header: Depth=2
	v_lshl_add_u32 v8, s16, 4, v5
	v_lshl_add_u32 v17, s17, 4, v5
	ds_read_b32 v17, v17
	ds_read_b32 v8, v8
	s_add_i32 s17, s17, 2
	s_add_i32 s16, s16, 2
	s_add_i32 s9, s9, -1
	s_cmp_lg_u32 s9, 0
	s_waitcnt lgkmcnt(1)
	v_add_u32_e32 v3, v17, v3
	s_waitcnt lgkmcnt(0)
	v_add_u32_e32 v2, v8, v2
	s_cbranch_scc1 .LBB122_89
.LBB122_90:                             ;   in Loop: Header=BB122_21 Depth=1
	v_readlane_b32 s16, v50, 40
	v_add_u32_e32 v2, v2, v3
	v_readlane_b32 s9, v50, 39
	v_readlane_b32 s17, v50, 41
	s_and_b64 vcc, exec, s[16:17]
	s_cbranch_vccz .LBB122_93
.LBB122_91:                             ;   in Loop: Header=BB122_21 Depth=1
	s_lshl_b32 s16, s80, 8
	s_lshl_b32 s17, s9, 4
	s_add_i32 s16, s16, s17
	v_add_u32_e32 v3, s16, v31
	v_readlane_b32 s16, v50, 38
	s_sub_i32 s9, s16, s9
.LBB122_92:                             ;   Parent Loop BB122_21 Depth=1
                                        ; =>  This Inner Loop Header: Depth=2
	ds_read_b32 v5, v3
	s_add_i32 s9, s9, -1
	v_add_u32_e32 v3, 16, v3
	s_cmp_eq_u32 s9, 0
	s_waitcnt lgkmcnt(0)
	v_add_u32_e32 v2, v5, v2
	s_cbranch_scc0 .LBB122_92
.LBB122_93:                             ;   in Loop: Header=BB122_21 Depth=1
	v_lshlrev_b32_e32 v3, 2, v4
	ds_write_b32 v3, v2 offset:3072
.LBB122_94:                             ;   in Loop: Header=BB122_21 Depth=1
	s_or_b64 exec, exec, s[14:15]
	s_lshl_b32 s8, s8, 2
	s_waitcnt vmcnt(0)
	v_mov_b32_e32 v2, s8
	s_waitcnt lgkmcnt(0)
	s_barrier
	ds_read_b128 v[2:5], v2 offset:3072
	s_and_b32 s43, s13, 0xfe
	s_lshl_b32 s51, 3, s43
	s_not_b32 s44, s51
	s_mov_b64 s[18:19], -1
	s_waitcnt lgkmcnt(0)
	v_readfirstlane_b32 s28, v2
	s_cmp_eq_u32 s28, 1
	s_cselect_b64 s[8:9], -1, 0
	s_cmp_eq_u32 s3, 1
	s_cselect_b64 s[14:15], -1, 0
	s_and_b64 s[20:21], s[8:9], s[14:15]
	v_readfirstlane_b32 s34, v3
	v_readfirstlane_b32 s42, v4
	;; [unrolled: 1-line block ×3, first 2 shown]
	s_and_b64 vcc, exec, s[20:21]
	s_cbranch_vccz .LBB122_106
; %bb.95:                               ;   in Loop: Header=BB122_21 Depth=1
	ds_read_b32 v2, v9 offset:4104
	s_waitcnt lgkmcnt(0)
	s_barrier
	v_readfirstlane_b32 s8, v2
	s_and_saveexec_b64 s[14:15], s[6:7]
	s_cbranch_execz .LBB122_97
; %bb.96:                               ;   in Loop: Header=BB122_21 Depth=1
	ds_write_b32 v21, v9
.LBB122_97:                             ;   in Loop: Header=BB122_21 Depth=1
	s_or_b64 exec, exec, s[14:15]
	s_and_b32 s2, s2, s44
	s_or_b32 s81, s81, s51
	s_cmp_eq_u32 s8, 0
	s_waitcnt lgkmcnt(0)
	s_barrier
	s_cbranch_scc1 .LBB122_107
; %bb.98:                               ;   in Loop: Header=BB122_21 Depth=1
	v_readlane_b32 s9, v50, 23
	s_add_i32 s9, s8, s9
	v_readlane_b32 s14, v50, 44
	s_mul_hi_u32 s14, s9, s14
	s_mul_i32 s14, s14, s59
	s_sub_i32 s14, s9, s14
	s_sub_i32 s15, s14, s59
	s_cmp_ge_u32 s14, s59
	s_cselect_b32 s14, s15, s14
	s_sub_i32 s15, s14, s59
	s_cmp_ge_u32 s14, s59
	s_cselect_b32 s14, s15, s14
	s_sub_i32 s9, s9, s14
	v_cmp_gt_u32_e32 vcc, s9, v0
	s_mov_b64 s[14:15], 0
                                        ; implicit-def: $vgpr19
	s_and_saveexec_b64 s[16:17], vcc
	s_cbranch_execz .LBB122_109
; %bb.99:                               ;   in Loop: Header=BB122_21 Depth=1
	s_mov_b64 s[22:23], 0
	v_mov_b32_e32 v2, v20
	v_mov_b32_e32 v3, v0
                                        ; implicit-def: $sgpr24_sgpr25
	s_branch .LBB122_101
.LBB122_100:                            ;   in Loop: Header=BB122_101 Depth=2
	s_or_b64 exec, exec, s[14:15]
	s_waitcnt lgkmcnt(0)
	s_barrier
	ds_read_b64 v[18:19], v9 offset:3072
	v_add_u32_e32 v3, s59, v3
	v_cmp_le_u32_e64 s[14:15], s9, v3
	v_add_u32_e32 v2, s93, v2
	s_waitcnt lgkmcnt(0)
	v_cmp_neq_f32_e32 vcc, 0, v18
	s_or_b64 s[14:15], s[14:15], vcc
	s_and_b64 s[14:15], exec, s[14:15]
	s_or_b64 s[22:23], s[14:15], s[22:23]
	s_andn2_b64 s[14:15], s[24:25], exec
	s_and_b64 s[24:25], vcc, exec
	s_or_b64 s[24:25], s[14:15], s[24:25]
	s_barrier
	s_andn2_b64 exec, exec, s[22:23]
	s_cbranch_execz .LBB122_108
.LBB122_101:                            ;   Parent Loop BB122_21 Depth=1
                                        ; =>  This Inner Loop Header: Depth=2
	v_cmp_gt_u32_e32 vcc, s8, v3
	v_mov_b32_e32 v17, 0
	s_and_saveexec_b64 s[14:15], vcc
	s_cbranch_execz .LBB122_103
; %bb.102:                              ;   in Loop: Header=BB122_101 Depth=2
	ds_read_b32 v17, v2
.LBB122_103:                            ;   in Loop: Header=BB122_101 Depth=2
	s_or_b64 exec, exec, s[14:15]
	s_and_saveexec_b64 s[14:15], vcc
	s_cbranch_execz .LBB122_100
; %bb.104:                              ;   in Loop: Header=BB122_101 Depth=2
	s_waitcnt lgkmcnt(0)
	v_cmp_lt_i32_e32 vcc, -1, v17
	v_cndmask_b32_e32 v4, -1, v32, vcc
	v_xor_b32_e32 v4, v4, v17
	v_cmp_o_f32_e32 vcc, v17, v17
	v_cndmask_b32_e32 v4, -1, v4, vcc
	v_and_b32_e32 v4, s81, v4
	v_cmp_eq_u32_e32 vcc, s2, v4
	s_and_b64 exec, exec, vcc
	s_cbranch_execz .LBB122_100
; %bb.105:                              ;   in Loop: Header=BB122_101 Depth=2
	ds_write_b64 v9, v[16:17] offset:3072
	s_branch .LBB122_100
.LBB122_106:                            ;   in Loop: Header=BB122_21 Depth=1
	s_mov_b64 s[14:15], -1
                                        ; implicit-def: $sgpr16_sgpr17
                                        ; implicit-def: $sgpr24_sgpr25
                                        ; implicit-def: $sgpr22_sgpr23
	s_branch .LBB122_120
.LBB122_107:                            ;   in Loop: Header=BB122_21 Depth=1
	s_mov_b64 s[16:17], -1
	s_mov_b64 s[14:15], 0
                                        ; implicit-def: $sgpr22_sgpr23
                                        ; implicit-def: $vgpr19
	s_mov_b64 s[24:25], s[16:17]
	s_cbranch_execnz .LBB122_110
	s_branch .LBB122_120
.LBB122_108:                            ;   in Loop: Header=BB122_21 Depth=1
	s_or_b64 exec, exec, s[22:23]
	s_and_b64 s[14:15], s[24:25], exec
.LBB122_109:                            ;   in Loop: Header=BB122_21 Depth=1
	s_or_b64 exec, exec, s[16:17]
	s_mov_b64 s[22:23], -1
	s_mov_b64 s[16:17], 0
	s_mov_b64 s[24:25], s[16:17]
	s_branch .LBB122_120
.LBB122_110:                            ;   in Loop: Header=BB122_21 Depth=1
	s_mov_b64 s[14:15], 0
                                        ; implicit-def: $vgpr19
	s_mov_b64 s[16:17], exec
	v_readlane_b32 s8, v50, 45
	v_readlane_b32 s9, v50, 46
	s_and_b64 s[8:9], s[16:17], s[8:9]
	s_mov_b64 exec, s[8:9]
	s_cbranch_execz .LBB122_119
; %bb.111:                              ;   in Loop: Header=BB122_21 Depth=1
	s_mov_b64 s[22:23], 0
	v_mov_b32_e32 v8, v6
	v_mov_b32_e32 v2, v0
                                        ; implicit-def: $sgpr24_sgpr25
	s_branch .LBB122_113
.LBB122_112:                            ;   in Loop: Header=BB122_113 Depth=2
	s_or_b64 exec, exec, s[14:15]
	s_waitcnt lgkmcnt(0)
	s_barrier
	ds_read_b64 v[18:19], v9 offset:3072
	v_add_u32_e32 v2, s59, v2
	v_cmp_le_u32_e64 s[14:15], s87, v2
	v_add_u32_e32 v8, s91, v8
	s_waitcnt lgkmcnt(0)
	v_cmp_neq_f32_e32 vcc, 0, v18
	s_or_b64 s[8:9], s[14:15], vcc
	s_and_b64 s[8:9], exec, s[8:9]
	s_or_b64 s[22:23], s[8:9], s[22:23]
	s_andn2_b64 s[8:9], s[24:25], exec
	s_and_b64 s[14:15], vcc, exec
	s_or_b64 s[24:25], s[8:9], s[14:15]
	s_barrier
	s_andn2_b64 exec, exec, s[22:23]
	s_cbranch_execz .LBB122_118
.LBB122_113:                            ;   Parent Loop BB122_21 Depth=1
                                        ; =>  This Inner Loop Header: Depth=2
	v_cmp_gt_u32_e32 vcc, s56, v2
	s_waitcnt vmcnt(0)
	v_mov_b32_e32 v17, 0
	s_and_saveexec_b64 s[26:27], vcc
	s_cbranch_execz .LBB122_115
; %bb.114:                              ;   in Loop: Header=BB122_113 Depth=2
	v_lshlrev_b64 v[4:5], 2, v[8:9]
	v_mov_b32_e32 v3, s90
	v_add_co_u32_e64 v4, s[14:15], s57, v4
	v_addc_co_u32_e64 v5, s[14:15], v3, v5, s[14:15]
	global_load_dword v17, v[4:5], off
.LBB122_115:                            ;   in Loop: Header=BB122_113 Depth=2
	s_or_b64 exec, exec, s[26:27]
	s_and_saveexec_b64 s[14:15], vcc
	s_cbranch_execz .LBB122_112
; %bb.116:                              ;   in Loop: Header=BB122_113 Depth=2
	s_waitcnt vmcnt(0)
	v_cmp_lt_i32_e32 vcc, -1, v17
	v_cndmask_b32_e32 v3, -1, v32, vcc
	v_xor_b32_e32 v3, v3, v17
	v_cmp_o_f32_e32 vcc, v17, v17
	v_cndmask_b32_e32 v3, -1, v3, vcc
	v_and_b32_e32 v3, s81, v3
	v_cmp_eq_u32_e32 vcc, s2, v3
	s_and_b64 exec, exec, vcc
	s_cbranch_execz .LBB122_112
; %bb.117:                              ;   in Loop: Header=BB122_113 Depth=2
	ds_write_b64 v9, v[16:17] offset:3072
	s_branch .LBB122_112
.LBB122_118:                            ;   in Loop: Header=BB122_21 Depth=1
	s_or_b64 exec, exec, s[22:23]
	s_and_b64 s[14:15], s[24:25], exec
.LBB122_119:                            ;   in Loop: Header=BB122_21 Depth=1
	s_or_b64 exec, exec, s[16:17]
	s_mov_b64 s[24:25], -1
	s_mov_b64 s[16:17], 0
	s_mov_b64 s[22:23], 0
.LBB122_120:                            ;   in Loop: Header=BB122_21 Depth=1
	s_andn2_b64 s[8:9], s[66:67], exec
	s_and_b64 s[16:17], s[16:17], exec
	s_or_b64 s[66:67], s[8:9], s[16:17]
	s_andn2_b64 s[8:9], s[64:65], exec
	s_and_b64 s[16:17], s[24:25], exec
	s_or_b64 s[64:65], s[8:9], s[16:17]
	;; [unrolled: 3-line block ×3, first 2 shown]
	s_and_saveexec_b64 s[16:17], s[14:15]
	s_cbranch_execz .LBB122_20
; %bb.121:                              ;   in Loop: Header=BB122_21 Depth=1
	s_xor_b64 s[8:9], s[20:21], -1
	s_mov_b64 s[14:15], 0
	s_andn2_b64 vcc, exec, s[8:9]
	s_mov_b32 s35, 1
	s_cbranch_vccnz .LBB122_132
; %bb.122:                              ;   in Loop: Header=BB122_21 Depth=1
	s_cmp_gt_u32 s3, s28
	s_mov_b64 s[14:15], -1
                                        ; implicit-def: $sgpr52
                                        ; implicit-def: $sgpr8
                                        ; implicit-def: $sgpr9
	s_cbranch_scc1 .LBB122_128
; %bb.123:                              ;   in Loop: Header=BB122_21 Depth=1
	ds_read_b32 v2, v9 offset:4104
	s_waitcnt lgkmcnt(0)
	v_cmp_ne_u32_e32 vcc, 0, v2
	s_cbranch_vccnz .LBB122_127
; %bb.124:                              ;   in Loop: Header=BB122_21 Depth=1
	s_mov_b64 s[14:15], exec
	v_readlane_b32 s8, v50, 21
	v_readlane_b32 s9, v50, 22
	s_and_b64 s[8:9], s[14:15], s[8:9]
	s_mov_b64 exec, s[8:9]
	s_cbranch_execz .LBB122_126
; %bb.125:                              ;   in Loop: Header=BB122_21 Depth=1
	v_mov_b32_e32 v2, s28
	ds_write_b32 v9, v2 offset:4108
.LBB122_126:                            ;   in Loop: Header=BB122_21 Depth=1
	s_or_b64 exec, exec, s[14:15]
	s_waitcnt lgkmcnt(0)
	s_barrier
.LBB122_127:                            ;   in Loop: Header=BB122_21 Depth=1
	s_and_b32 s8, s2, s44
	s_or_b32 s9, s81, s51
	s_mov_b64 s[14:15], 0
	s_mov_b32 s52, 8
.LBB122_128:                            ;   in Loop: Header=BB122_21 Depth=1
	s_andn2_b64 vcc, exec, s[14:15]
	s_cbranch_vccnz .LBB122_130
; %bb.129:                              ;   in Loop: Header=BB122_21 Depth=1
	s_sub_i32 s3, s3, s28
	s_mov_b64 s[14:15], -1
	s_mov_b32 s52, 0
	s_mov_b32 s8, s2
	;; [unrolled: 1-line block ×3, first 2 shown]
.LBB122_130:                            ;   in Loop: Header=BB122_21 Depth=1
	s_mov_b32 s81, s9
	s_mov_b32 s2, s8
	;; [unrolled: 1-line block ×3, first 2 shown]
	s_mov_b64 s[18:19], -1
	s_and_b64 vcc, exec, s[14:15]
	s_cbranch_vccnz .LBB122_133
.LBB122_131:                            ;   in Loop: Header=BB122_21 Depth=1
	s_mov_b64 s[30:31], -1
                                        ; implicit-def: $sgpr20_sgpr21
                                        ; implicit-def: $sgpr24_sgpr25
                                        ; implicit-def: $sgpr22_sgpr23
                                        ; implicit-def: $sgpr3
	s_and_saveexec_b64 s[8:9], s[30:31]
	s_xor_b64 s[14:15], exec, s[8:9]
	s_cbranch_execz .LBB122_19
	s_branch .LBB122_256
.LBB122_132:                            ;   in Loop: Header=BB122_21 Depth=1
	s_mov_b32 s52, 1
	s_mov_b64 s[18:19], -1
	s_and_b64 vcc, exec, s[14:15]
	s_cbranch_vccz .LBB122_131
.LBB122_133:                            ;   in Loop: Header=BB122_21 Depth=1
	s_cmp_eq_u32 s34, 1
	s_cselect_b64 s[8:9], -1, 0
	s_cmp_eq_u32 s35, 1
	s_cselect_b64 s[14:15], -1, 0
	s_and_b64 s[28:29], s[8:9], s[14:15]
	s_mov_b64 s[14:15], -1
	s_and_b64 vcc, exec, s[28:29]
	s_cbranch_vccz .LBB122_145
; %bb.134:                              ;   in Loop: Header=BB122_21 Depth=1
	ds_read_b32 v2, v9 offset:4104
	s_waitcnt lgkmcnt(0)
	s_barrier
	v_readfirstlane_b32 s3, v2
	s_and_saveexec_b64 s[14:15], s[6:7]
	s_cbranch_execz .LBB122_136
; %bb.135:                              ;   in Loop: Header=BB122_21 Depth=1
	ds_write_b32 v21, v9
.LBB122_136:                            ;   in Loop: Header=BB122_21 Depth=1
	s_or_b64 exec, exec, s[14:15]
	s_lshl_b32 s8, 1, s43
	s_and_b32 s2, s2, s44
	s_or_b32 s2, s2, s8
	s_or_b32 s81, s81, s51
	s_cmp_eq_u32 s3, 0
	s_waitcnt lgkmcnt(0)
	s_barrier
	s_cbranch_scc1 .LBB122_146
; %bb.137:                              ;   in Loop: Header=BB122_21 Depth=1
	v_readlane_b32 s8, v50, 23
	s_add_i32 s8, s3, s8
	v_readlane_b32 s9, v50, 44
	s_mul_hi_u32 s9, s8, s9
	s_mul_i32 s9, s9, s59
	s_sub_i32 s9, s8, s9
	s_sub_i32 s14, s9, s59
	s_cmp_ge_u32 s9, s59
	s_cselect_b32 s9, s14, s9
	s_sub_i32 s14, s9, s59
	s_cmp_ge_u32 s9, s59
	s_cselect_b32 s9, s14, s9
	s_sub_i32 s8, s8, s9
	v_cmp_gt_u32_e32 vcc, s8, v0
	s_mov_b64 s[14:15], 0
                                        ; implicit-def: $vgpr19
	s_and_saveexec_b64 s[20:21], vcc
	s_cbranch_execz .LBB122_148
; %bb.138:                              ;   in Loop: Header=BB122_21 Depth=1
	s_mov_b64 s[22:23], 0
	v_mov_b32_e32 v2, v20
	v_mov_b32_e32 v3, v0
                                        ; implicit-def: $sgpr24_sgpr25
	s_branch .LBB122_140
.LBB122_139:                            ;   in Loop: Header=BB122_140 Depth=2
	s_or_b64 exec, exec, s[14:15]
	s_waitcnt lgkmcnt(0)
	s_barrier
	ds_read_b64 v[18:19], v9 offset:3072
	v_add_u32_e32 v3, s59, v3
	v_cmp_le_u32_e64 s[14:15], s8, v3
	v_add_u32_e32 v2, s93, v2
	s_waitcnt lgkmcnt(0)
	v_cmp_neq_f32_e32 vcc, 0, v18
	s_or_b64 s[14:15], s[14:15], vcc
	s_and_b64 s[14:15], exec, s[14:15]
	s_or_b64 s[22:23], s[14:15], s[22:23]
	s_andn2_b64 s[14:15], s[24:25], exec
	s_and_b64 s[24:25], vcc, exec
	s_or_b64 s[24:25], s[14:15], s[24:25]
	s_barrier
	s_andn2_b64 exec, exec, s[22:23]
	s_cbranch_execz .LBB122_147
.LBB122_140:                            ;   Parent Loop BB122_21 Depth=1
                                        ; =>  This Inner Loop Header: Depth=2
	v_cmp_gt_u32_e32 vcc, s3, v3
	s_waitcnt vmcnt(0)
	v_mov_b32_e32 v17, 0
	s_and_saveexec_b64 s[14:15], vcc
	s_cbranch_execz .LBB122_142
; %bb.141:                              ;   in Loop: Header=BB122_140 Depth=2
	ds_read_b32 v17, v2
.LBB122_142:                            ;   in Loop: Header=BB122_140 Depth=2
	s_or_b64 exec, exec, s[14:15]
	s_and_saveexec_b64 s[14:15], vcc
	s_cbranch_execz .LBB122_139
; %bb.143:                              ;   in Loop: Header=BB122_140 Depth=2
	s_waitcnt lgkmcnt(0)
	v_cmp_lt_i32_e32 vcc, -1, v17
	v_cndmask_b32_e32 v4, -1, v32, vcc
	v_xor_b32_e32 v4, v4, v17
	v_cmp_o_f32_e32 vcc, v17, v17
	v_cndmask_b32_e32 v4, -1, v4, vcc
	v_and_b32_e32 v4, s81, v4
	v_cmp_eq_u32_e32 vcc, s2, v4
	s_and_b64 exec, exec, vcc
	s_cbranch_execz .LBB122_139
; %bb.144:                              ;   in Loop: Header=BB122_140 Depth=2
	ds_write_b64 v9, v[16:17] offset:3072
	s_branch .LBB122_139
.LBB122_145:                            ;   in Loop: Header=BB122_21 Depth=1
                                        ; implicit-def: $sgpr22_sgpr23
                                        ; implicit-def: $sgpr24_sgpr25
                                        ; implicit-def: $sgpr20_sgpr21
	s_branch .LBB122_159
.LBB122_146:                            ;   in Loop: Header=BB122_21 Depth=1
	s_mov_b64 s[22:23], -1
	s_mov_b64 s[14:15], 0
                                        ; implicit-def: $sgpr20_sgpr21
                                        ; implicit-def: $vgpr19
	s_mov_b64 s[24:25], s[22:23]
	s_cbranch_execnz .LBB122_149
	s_branch .LBB122_159
.LBB122_147:                            ;   in Loop: Header=BB122_21 Depth=1
	s_or_b64 exec, exec, s[22:23]
	s_and_b64 s[14:15], s[24:25], exec
.LBB122_148:                            ;   in Loop: Header=BB122_21 Depth=1
	s_or_b64 exec, exec, s[20:21]
	s_mov_b64 s[20:21], -1
	s_mov_b64 s[22:23], 0
	s_mov_b64 s[24:25], s[22:23]
	s_branch .LBB122_159
.LBB122_149:                            ;   in Loop: Header=BB122_21 Depth=1
	s_mov_b64 s[14:15], 0
                                        ; implicit-def: $vgpr19
	s_mov_b64 s[20:21], exec
	v_readlane_b32 s8, v50, 45
	v_readlane_b32 s9, v50, 46
	s_and_b64 s[8:9], s[20:21], s[8:9]
	s_mov_b64 exec, s[8:9]
	s_cbranch_execz .LBB122_158
; %bb.150:                              ;   in Loop: Header=BB122_21 Depth=1
	s_mov_b64 s[22:23], 0
	v_mov_b32_e32 v8, v6
	v_mov_b32_e32 v2, v0
                                        ; implicit-def: $sgpr24_sgpr25
	s_branch .LBB122_152
.LBB122_151:                            ;   in Loop: Header=BB122_152 Depth=2
	s_or_b64 exec, exec, s[14:15]
	s_waitcnt lgkmcnt(0)
	s_barrier
	ds_read_b64 v[18:19], v9 offset:3072
	v_add_u32_e32 v2, s59, v2
	v_cmp_le_u32_e64 s[14:15], s87, v2
	v_add_u32_e32 v8, s91, v8
	s_waitcnt lgkmcnt(0)
	v_cmp_neq_f32_e32 vcc, 0, v18
	s_or_b64 s[8:9], s[14:15], vcc
	s_and_b64 s[8:9], exec, s[8:9]
	s_or_b64 s[22:23], s[8:9], s[22:23]
	s_andn2_b64 s[8:9], s[24:25], exec
	s_and_b64 s[14:15], vcc, exec
	s_or_b64 s[24:25], s[8:9], s[14:15]
	s_barrier
	s_andn2_b64 exec, exec, s[22:23]
	s_cbranch_execz .LBB122_157
.LBB122_152:                            ;   Parent Loop BB122_21 Depth=1
                                        ; =>  This Inner Loop Header: Depth=2
	v_cmp_gt_u32_e32 vcc, s56, v2
	s_waitcnt vmcnt(0)
	v_mov_b32_e32 v17, 0
	s_and_saveexec_b64 s[26:27], vcc
	s_cbranch_execz .LBB122_154
; %bb.153:                              ;   in Loop: Header=BB122_152 Depth=2
	v_lshlrev_b64 v[4:5], 2, v[8:9]
	v_mov_b32_e32 v3, s90
	v_add_co_u32_e64 v4, s[14:15], s57, v4
	v_addc_co_u32_e64 v5, s[14:15], v3, v5, s[14:15]
	global_load_dword v17, v[4:5], off
.LBB122_154:                            ;   in Loop: Header=BB122_152 Depth=2
	s_or_b64 exec, exec, s[26:27]
	s_and_saveexec_b64 s[14:15], vcc
	s_cbranch_execz .LBB122_151
; %bb.155:                              ;   in Loop: Header=BB122_152 Depth=2
	s_waitcnt vmcnt(0)
	v_cmp_lt_i32_e32 vcc, -1, v17
	v_cndmask_b32_e32 v3, -1, v32, vcc
	v_xor_b32_e32 v3, v3, v17
	v_cmp_o_f32_e32 vcc, v17, v17
	v_cndmask_b32_e32 v3, -1, v3, vcc
	v_and_b32_e32 v3, s81, v3
	v_cmp_eq_u32_e32 vcc, s2, v3
	s_and_b64 exec, exec, vcc
	s_cbranch_execz .LBB122_151
; %bb.156:                              ;   in Loop: Header=BB122_152 Depth=2
	ds_write_b64 v9, v[16:17] offset:3072
	s_branch .LBB122_151
.LBB122_157:                            ;   in Loop: Header=BB122_21 Depth=1
	s_or_b64 exec, exec, s[22:23]
	s_and_b64 s[14:15], s[24:25], exec
.LBB122_158:                            ;   in Loop: Header=BB122_21 Depth=1
	s_or_b64 exec, exec, s[20:21]
	s_mov_b64 s[24:25], -1
	s_mov_b64 s[22:23], 0
	s_mov_b64 s[20:21], 0
.LBB122_159:                            ;   in Loop: Header=BB122_21 Depth=1
	s_mov_b64 s[30:31], 0
                                        ; implicit-def: $sgpr52
	s_and_saveexec_b64 s[26:27], s[14:15]
	s_cbranch_execz .LBB122_255
; %bb.160:                              ;   in Loop: Header=BB122_21 Depth=1
	s_xor_b64 s[8:9], s[28:29], -1
	s_mov_b64 s[14:15], 0
	s_andn2_b64 vcc, exec, s[8:9]
	s_mov_b32 s45, 1
	s_cbranch_vccnz .LBB122_171
; %bb.161:                              ;   in Loop: Header=BB122_21 Depth=1
	s_cmp_gt_u32 s35, s34
	s_mov_b64 s[14:15], -1
                                        ; implicit-def: $sgpr52
                                        ; implicit-def: $sgpr3
                                        ; implicit-def: $sgpr8
	s_cbranch_scc1 .LBB122_167
; %bb.162:                              ;   in Loop: Header=BB122_21 Depth=1
	ds_read_b32 v2, v9 offset:4104
	s_waitcnt lgkmcnt(0)
	v_cmp_ne_u32_e32 vcc, 0, v2
	s_cbranch_vccnz .LBB122_166
; %bb.163:                              ;   in Loop: Header=BB122_21 Depth=1
	s_mov_b64 s[14:15], exec
	v_readlane_b32 s8, v50, 21
	v_readlane_b32 s9, v50, 22
	s_and_b64 s[8:9], s[14:15], s[8:9]
	s_mov_b64 exec, s[8:9]
	s_cbranch_execz .LBB122_165
; %bb.164:                              ;   in Loop: Header=BB122_21 Depth=1
	v_mov_b32_e32 v2, s34
	ds_write_b32 v9, v2 offset:4108
.LBB122_165:                            ;   in Loop: Header=BB122_21 Depth=1
	s_or_b64 exec, exec, s[14:15]
	s_waitcnt lgkmcnt(0)
	s_barrier
.LBB122_166:                            ;   in Loop: Header=BB122_21 Depth=1
	s_lshl_b32 s3, 1, s43
	s_and_b32 s8, s2, s44
	s_or_b32 s3, s8, s3
	s_or_b32 s8, s81, s51
	s_mov_b64 s[14:15], 0
	s_mov_b32 s52, 8
.LBB122_167:                            ;   in Loop: Header=BB122_21 Depth=1
	s_andn2_b64 vcc, exec, s[14:15]
	s_cbranch_vccnz .LBB122_169
; %bb.168:                              ;   in Loop: Header=BB122_21 Depth=1
	s_sub_i32 s35, s35, s34
	s_mov_b64 s[14:15], -1
	s_mov_b32 s52, 0
	s_mov_b32 s3, s2
	s_mov_b32 s8, s81
.LBB122_169:                            ;   in Loop: Header=BB122_21 Depth=1
	s_mov_b32 s81, s8
	s_mov_b32 s2, s3
	;; [unrolled: 1-line block ×3, first 2 shown]
	s_andn2_b64 vcc, exec, s[14:15]
	s_mov_b64 s[40:41], -1
	s_cbranch_vccz .LBB122_172
.LBB122_170:                            ;   in Loop: Header=BB122_21 Depth=1
                                        ; implicit-def: $sgpr30_sgpr31
                                        ; implicit-def: $sgpr34_sgpr35
                                        ; implicit-def: $sgpr28_sgpr29
	s_branch .LBB122_254
.LBB122_171:                            ;   in Loop: Header=BB122_21 Depth=1
	s_mov_b32 s52, 1
	s_andn2_b64 vcc, exec, s[14:15]
	s_mov_b64 s[40:41], -1
	s_cbranch_vccnz .LBB122_170
.LBB122_172:                            ;   in Loop: Header=BB122_21 Depth=1
	s_cmp_eq_u32 s42, 1
	s_cselect_b64 s[8:9], -1, 0
	s_cmp_eq_u32 s45, 1
	s_cselect_b64 s[14:15], -1, 0
	s_and_b64 s[38:39], s[8:9], s[14:15]
	s_mov_b64 s[14:15], -1
	s_and_b64 vcc, exec, s[38:39]
	s_cbranch_vccz .LBB122_184
; %bb.173:                              ;   in Loop: Header=BB122_21 Depth=1
	ds_read_b32 v2, v9 offset:4104
	s_waitcnt lgkmcnt(0)
	s_barrier
	v_readfirstlane_b32 s3, v2
	s_and_saveexec_b64 s[14:15], s[6:7]
	s_cbranch_execz .LBB122_175
; %bb.174:                              ;   in Loop: Header=BB122_21 Depth=1
	ds_write_b32 v21, v9
.LBB122_175:                            ;   in Loop: Header=BB122_21 Depth=1
	s_or_b64 exec, exec, s[14:15]
	s_lshl_b32 s8, 2, s43
	s_and_b32 s2, s2, s44
	s_or_b32 s2, s2, s8
	s_or_b32 s81, s81, s51
	s_cmp_eq_u32 s3, 0
	s_waitcnt lgkmcnt(0)
	s_barrier
	s_cbranch_scc1 .LBB122_185
; %bb.176:                              ;   in Loop: Header=BB122_21 Depth=1
	v_readlane_b32 s8, v50, 23
	s_add_i32 s8, s3, s8
	v_readlane_b32 s9, v50, 44
	s_mul_hi_u32 s9, s8, s9
	s_mul_i32 s9, s9, s59
	s_sub_i32 s9, s8, s9
	s_sub_i32 s14, s9, s59
	s_cmp_ge_u32 s9, s59
	s_cselect_b32 s9, s14, s9
	s_sub_i32 s14, s9, s59
	s_cmp_ge_u32 s9, s59
	s_cselect_b32 s9, s14, s9
	s_sub_i32 s8, s8, s9
	v_cmp_gt_u32_e32 vcc, s8, v0
	s_mov_b64 s[14:15], 0
                                        ; implicit-def: $vgpr19
	s_and_saveexec_b64 s[28:29], vcc
	s_cbranch_execz .LBB122_187
; %bb.177:                              ;   in Loop: Header=BB122_21 Depth=1
	v_mov_b32_e32 v2, v20
	v_mov_b32_e32 v3, v0
                                        ; implicit-def: $sgpr34_sgpr35
	s_branch .LBB122_179
.LBB122_178:                            ;   in Loop: Header=BB122_179 Depth=2
	s_or_b64 exec, exec, s[14:15]
	s_waitcnt lgkmcnt(0)
	s_barrier
	ds_read_b64 v[18:19], v9 offset:3072
	v_add_u32_e32 v3, s59, v3
	v_cmp_le_u32_e64 s[14:15], s8, v3
	v_add_u32_e32 v2, s93, v2
	s_waitcnt lgkmcnt(0)
	v_cmp_neq_f32_e32 vcc, 0, v18
	s_or_b64 s[14:15], s[14:15], vcc
	s_and_b64 s[14:15], exec, s[14:15]
	s_or_b64 s[30:31], s[14:15], s[30:31]
	s_andn2_b64 s[14:15], s[34:35], exec
	s_and_b64 s[34:35], vcc, exec
	s_or_b64 s[34:35], s[14:15], s[34:35]
	s_barrier
	s_andn2_b64 exec, exec, s[30:31]
	s_cbranch_execz .LBB122_186
.LBB122_179:                            ;   Parent Loop BB122_21 Depth=1
                                        ; =>  This Inner Loop Header: Depth=2
	v_cmp_gt_u32_e32 vcc, s3, v3
	s_waitcnt vmcnt(0)
	v_mov_b32_e32 v17, 0
	s_and_saveexec_b64 s[14:15], vcc
	s_cbranch_execz .LBB122_181
; %bb.180:                              ;   in Loop: Header=BB122_179 Depth=2
	ds_read_b32 v17, v2
.LBB122_181:                            ;   in Loop: Header=BB122_179 Depth=2
	s_or_b64 exec, exec, s[14:15]
	s_and_saveexec_b64 s[14:15], vcc
	s_cbranch_execz .LBB122_178
; %bb.182:                              ;   in Loop: Header=BB122_179 Depth=2
	s_waitcnt lgkmcnt(0)
	v_cmp_lt_i32_e32 vcc, -1, v17
	v_cndmask_b32_e32 v4, -1, v32, vcc
	v_xor_b32_e32 v4, v4, v17
	v_cmp_o_f32_e32 vcc, v17, v17
	v_cndmask_b32_e32 v4, -1, v4, vcc
	v_and_b32_e32 v4, s81, v4
	v_cmp_eq_u32_e32 vcc, s2, v4
	s_and_b64 exec, exec, vcc
	s_cbranch_execz .LBB122_178
; %bb.183:                              ;   in Loop: Header=BB122_179 Depth=2
	ds_write_b64 v9, v[16:17] offset:3072
	s_branch .LBB122_178
.LBB122_184:                            ;   in Loop: Header=BB122_21 Depth=1
                                        ; implicit-def: $sgpr28_sgpr29
                                        ; implicit-def: $sgpr34_sgpr35
                                        ; implicit-def: $sgpr30_sgpr31
	s_branch .LBB122_198
.LBB122_185:                            ;   in Loop: Header=BB122_21 Depth=1
	s_mov_b64 s[28:29], -1
	s_mov_b64 s[14:15], 0
                                        ; implicit-def: $sgpr30_sgpr31
                                        ; implicit-def: $vgpr19
	s_mov_b64 s[34:35], s[28:29]
	s_cbranch_execnz .LBB122_188
	s_branch .LBB122_198
.LBB122_186:                            ;   in Loop: Header=BB122_21 Depth=1
	s_or_b64 exec, exec, s[30:31]
	s_and_b64 s[14:15], s[34:35], exec
.LBB122_187:                            ;   in Loop: Header=BB122_21 Depth=1
	s_or_b64 exec, exec, s[28:29]
	s_mov_b64 s[30:31], -1
	s_mov_b64 s[28:29], 0
	s_mov_b64 s[34:35], s[28:29]
	s_branch .LBB122_198
.LBB122_188:                            ;   in Loop: Header=BB122_21 Depth=1
	s_mov_b64 s[14:15], 0
                                        ; implicit-def: $vgpr19
	s_mov_b64 s[28:29], exec
	v_readlane_b32 s8, v50, 45
	v_readlane_b32 s9, v50, 46
	s_and_b64 s[8:9], s[28:29], s[8:9]
	s_mov_b64 exec, s[8:9]
	s_cbranch_execz .LBB122_197
; %bb.189:                              ;   in Loop: Header=BB122_21 Depth=1
	s_mov_b64 s[30:31], 0
	v_mov_b32_e32 v8, v6
	v_mov_b32_e32 v2, v0
                                        ; implicit-def: $sgpr34_sgpr35
	s_branch .LBB122_191
.LBB122_190:                            ;   in Loop: Header=BB122_191 Depth=2
	s_or_b64 exec, exec, s[14:15]
	s_waitcnt lgkmcnt(0)
	s_barrier
	ds_read_b64 v[18:19], v9 offset:3072
	v_add_u32_e32 v2, s59, v2
	v_cmp_le_u32_e64 s[14:15], s87, v2
	v_add_u32_e32 v8, s91, v8
	s_waitcnt lgkmcnt(0)
	v_cmp_neq_f32_e32 vcc, 0, v18
	s_or_b64 s[8:9], s[14:15], vcc
	s_and_b64 s[8:9], exec, s[8:9]
	s_or_b64 s[30:31], s[8:9], s[30:31]
	s_andn2_b64 s[8:9], s[34:35], exec
	s_and_b64 s[14:15], vcc, exec
	s_or_b64 s[34:35], s[8:9], s[14:15]
	s_barrier
	s_andn2_b64 exec, exec, s[30:31]
	s_cbranch_execz .LBB122_196
.LBB122_191:                            ;   Parent Loop BB122_21 Depth=1
                                        ; =>  This Inner Loop Header: Depth=2
	v_cmp_gt_u32_e32 vcc, s56, v2
	s_waitcnt vmcnt(0)
	v_mov_b32_e32 v17, 0
	s_and_saveexec_b64 s[36:37], vcc
	s_cbranch_execz .LBB122_193
; %bb.192:                              ;   in Loop: Header=BB122_191 Depth=2
	v_lshlrev_b64 v[4:5], 2, v[8:9]
	v_mov_b32_e32 v3, s90
	v_add_co_u32_e64 v4, s[14:15], s57, v4
	v_addc_co_u32_e64 v5, s[14:15], v3, v5, s[14:15]
	global_load_dword v17, v[4:5], off
.LBB122_193:                            ;   in Loop: Header=BB122_191 Depth=2
	s_or_b64 exec, exec, s[36:37]
	s_and_saveexec_b64 s[14:15], vcc
	s_cbranch_execz .LBB122_190
; %bb.194:                              ;   in Loop: Header=BB122_191 Depth=2
	s_waitcnt vmcnt(0)
	v_cmp_lt_i32_e32 vcc, -1, v17
	v_cndmask_b32_e32 v3, -1, v32, vcc
	v_xor_b32_e32 v3, v3, v17
	v_cmp_o_f32_e32 vcc, v17, v17
	v_cndmask_b32_e32 v3, -1, v3, vcc
	v_and_b32_e32 v3, s81, v3
	v_cmp_eq_u32_e32 vcc, s2, v3
	s_and_b64 exec, exec, vcc
	s_cbranch_execz .LBB122_190
; %bb.195:                              ;   in Loop: Header=BB122_191 Depth=2
	ds_write_b64 v9, v[16:17] offset:3072
	s_branch .LBB122_190
.LBB122_196:                            ;   in Loop: Header=BB122_21 Depth=1
	s_or_b64 exec, exec, s[30:31]
	s_and_b64 s[14:15], s[34:35], exec
.LBB122_197:                            ;   in Loop: Header=BB122_21 Depth=1
	s_or_b64 exec, exec, s[28:29]
	s_mov_b64 s[34:35], -1
	s_mov_b64 s[28:29], 0
	s_mov_b64 s[30:31], 0
.LBB122_198:                            ;   in Loop: Header=BB122_21 Depth=1
	s_mov_b64 s[40:41], 0
                                        ; implicit-def: $sgpr52
	s_and_saveexec_b64 s[36:37], s[14:15]
	s_cbranch_execz .LBB122_253
; %bb.199:                              ;   in Loop: Header=BB122_21 Depth=1
	s_xor_b64 s[8:9], s[38:39], -1
	s_mov_b64 s[14:15], 0
	s_andn2_b64 vcc, exec, s[8:9]
	s_mov_b32 s3, 1
	s_cbranch_vccnz .LBB122_210
; %bb.200:                              ;   in Loop: Header=BB122_21 Depth=1
	s_cmp_gt_u32 s45, s42
	s_mov_b64 s[14:15], -1
                                        ; implicit-def: $sgpr52
                                        ; implicit-def: $sgpr3
                                        ; implicit-def: $sgpr8
	s_cbranch_scc1 .LBB122_206
; %bb.201:                              ;   in Loop: Header=BB122_21 Depth=1
	ds_read_b32 v2, v9 offset:4104
	s_waitcnt lgkmcnt(0)
	v_cmp_ne_u32_e32 vcc, 0, v2
	s_cbranch_vccnz .LBB122_205
; %bb.202:                              ;   in Loop: Header=BB122_21 Depth=1
	s_mov_b64 s[14:15], exec
	v_readlane_b32 s8, v50, 21
	v_readlane_b32 s9, v50, 22
	s_and_b64 s[8:9], s[14:15], s[8:9]
	s_mov_b64 exec, s[8:9]
	s_cbranch_execz .LBB122_204
; %bb.203:                              ;   in Loop: Header=BB122_21 Depth=1
	v_mov_b32_e32 v2, s42
	ds_write_b32 v9, v2 offset:4108
.LBB122_204:                            ;   in Loop: Header=BB122_21 Depth=1
	s_or_b64 exec, exec, s[14:15]
	s_waitcnt lgkmcnt(0)
	s_barrier
.LBB122_205:                            ;   in Loop: Header=BB122_21 Depth=1
	s_lshl_b32 s3, 2, s43
	s_and_b32 s8, s2, s44
	s_or_b32 s3, s8, s3
	s_or_b32 s8, s81, s51
	s_mov_b64 s[14:15], 0
	s_mov_b32 s52, 8
.LBB122_206:                            ;   in Loop: Header=BB122_21 Depth=1
	s_andn2_b64 vcc, exec, s[14:15]
	s_cbranch_vccnz .LBB122_208
; %bb.207:                              ;   in Loop: Header=BB122_21 Depth=1
	s_sub_i32 s45, s45, s42
	s_mov_b64 s[14:15], -1
	s_mov_b32 s52, 0
	s_mov_b32 s3, s2
	;; [unrolled: 1-line block ×3, first 2 shown]
.LBB122_208:                            ;   in Loop: Header=BB122_21 Depth=1
	s_mov_b32 s81, s8
	s_mov_b32 s2, s3
	;; [unrolled: 1-line block ×3, first 2 shown]
	s_andn2_b64 vcc, exec, s[14:15]
	s_mov_b64 s[48:49], -1
	s_cbranch_vccz .LBB122_211
.LBB122_209:                            ;   in Loop: Header=BB122_21 Depth=1
                                        ; implicit-def: $sgpr14_sgpr15
                                        ; implicit-def: $sgpr42_sgpr43
                                        ; implicit-def: $sgpr40_sgpr41
	s_branch .LBB122_252
.LBB122_210:                            ;   in Loop: Header=BB122_21 Depth=1
	s_mov_b32 s52, 1
	s_andn2_b64 vcc, exec, s[14:15]
	s_mov_b64 s[48:49], -1
	s_cbranch_vccnz .LBB122_209
.LBB122_211:                            ;   in Loop: Header=BB122_21 Depth=1
	s_cmp_eq_u32 s50, 1
	s_cselect_b64 s[8:9], -1, 0
	s_cmp_eq_u32 s3, 1
	s_cselect_b64 s[14:15], -1, 0
	s_and_b64 s[38:39], s[8:9], s[14:15]
	s_mov_b64 s[44:45], -1
	s_and_b64 vcc, exec, s[38:39]
	s_cbranch_vccz .LBB122_223
; %bb.212:                              ;   in Loop: Header=BB122_21 Depth=1
	ds_read_b32 v2, v9 offset:4104
	s_waitcnt lgkmcnt(0)
	s_barrier
	v_readfirstlane_b32 s8, v2
	s_and_saveexec_b64 s[14:15], s[6:7]
	s_cbranch_execz .LBB122_214
; %bb.213:                              ;   in Loop: Header=BB122_21 Depth=1
	ds_write_b32 v21, v9
.LBB122_214:                            ;   in Loop: Header=BB122_21 Depth=1
	s_or_b64 exec, exec, s[14:15]
	s_or_b32 s2, s2, s51
	s_or_b32 s81, s81, s51
	s_cmp_eq_u32 s8, 0
	s_waitcnt lgkmcnt(0)
	s_barrier
	s_cbranch_scc1 .LBB122_224
; %bb.215:                              ;   in Loop: Header=BB122_21 Depth=1
	v_readlane_b32 s9, v50, 23
	s_add_i32 s9, s8, s9
	v_readlane_b32 s14, v50, 44
	s_mul_hi_u32 s14, s9, s14
	s_mul_i32 s14, s14, s59
	s_sub_i32 s14, s9, s14
	s_sub_i32 s15, s14, s59
	s_cmp_ge_u32 s14, s59
	s_cselect_b32 s14, s15, s14
	s_sub_i32 s15, s14, s59
	s_cmp_ge_u32 s14, s59
	s_cselect_b32 s14, s15, s14
	s_sub_i32 s9, s9, s14
	v_cmp_gt_u32_e32 vcc, s9, v0
	s_mov_b64 s[44:45], 0
                                        ; implicit-def: $vgpr19
	s_and_saveexec_b64 s[40:41], vcc
	s_cbranch_execz .LBB122_226
; %bb.216:                              ;   in Loop: Header=BB122_21 Depth=1
	s_mov_b64 s[42:43], 0
	v_mov_b32_e32 v2, v20
	v_mov_b32_e32 v3, v0
                                        ; implicit-def: $sgpr44_sgpr45
	s_branch .LBB122_218
.LBB122_217:                            ;   in Loop: Header=BB122_218 Depth=2
	s_or_b64 exec, exec, s[14:15]
	s_waitcnt lgkmcnt(0)
	s_barrier
	ds_read_b64 v[18:19], v9 offset:3072
	v_add_u32_e32 v3, s59, v3
	v_cmp_le_u32_e64 s[14:15], s9, v3
	v_add_u32_e32 v2, s93, v2
	s_waitcnt lgkmcnt(0)
	v_cmp_neq_f32_e32 vcc, 0, v18
	s_or_b64 s[14:15], s[14:15], vcc
	s_and_b64 s[14:15], exec, s[14:15]
	s_or_b64 s[42:43], s[14:15], s[42:43]
	s_andn2_b64 s[14:15], s[44:45], exec
	s_and_b64 s[44:45], vcc, exec
	s_or_b64 s[44:45], s[14:15], s[44:45]
	s_barrier
	s_andn2_b64 exec, exec, s[42:43]
	s_cbranch_execz .LBB122_225
.LBB122_218:                            ;   Parent Loop BB122_21 Depth=1
                                        ; =>  This Inner Loop Header: Depth=2
	v_cmp_gt_u32_e32 vcc, s8, v3
	s_waitcnt vmcnt(0)
	v_mov_b32_e32 v17, 0
	s_and_saveexec_b64 s[14:15], vcc
	s_cbranch_execz .LBB122_220
; %bb.219:                              ;   in Loop: Header=BB122_218 Depth=2
	ds_read_b32 v17, v2
.LBB122_220:                            ;   in Loop: Header=BB122_218 Depth=2
	s_or_b64 exec, exec, s[14:15]
	s_and_saveexec_b64 s[14:15], vcc
	s_cbranch_execz .LBB122_217
; %bb.221:                              ;   in Loop: Header=BB122_218 Depth=2
	s_waitcnt lgkmcnt(0)
	v_cmp_lt_i32_e32 vcc, -1, v17
	v_cndmask_b32_e32 v4, -1, v32, vcc
	v_xor_b32_e32 v4, v4, v17
	v_cmp_o_f32_e32 vcc, v17, v17
	v_cndmask_b32_e32 v4, -1, v4, vcc
	v_and_b32_e32 v4, s81, v4
	v_cmp_eq_u32_e32 vcc, s2, v4
	s_and_b64 exec, exec, vcc
	s_cbranch_execz .LBB122_217
; %bb.222:                              ;   in Loop: Header=BB122_218 Depth=2
	ds_write_b64 v9, v[16:17] offset:3072
	s_branch .LBB122_217
.LBB122_223:                            ;   in Loop: Header=BB122_21 Depth=1
                                        ; implicit-def: $sgpr14_sgpr15
                                        ; implicit-def: $sgpr42_sgpr43
                                        ; implicit-def: $sgpr40_sgpr41
	s_branch .LBB122_237
.LBB122_224:                            ;   in Loop: Header=BB122_21 Depth=1
	s_mov_b64 s[14:15], -1
	s_mov_b64 s[44:45], 0
                                        ; implicit-def: $sgpr40_sgpr41
                                        ; implicit-def: $vgpr19
	s_mov_b64 s[42:43], s[14:15]
	s_cbranch_execnz .LBB122_227
	s_branch .LBB122_237
.LBB122_225:                            ;   in Loop: Header=BB122_21 Depth=1
	s_or_b64 exec, exec, s[42:43]
	s_and_b64 s[44:45], s[44:45], exec
.LBB122_226:                            ;   in Loop: Header=BB122_21 Depth=1
	s_or_b64 exec, exec, s[40:41]
	s_mov_b64 s[40:41], -1
	s_mov_b64 s[14:15], 0
	s_mov_b64 s[42:43], s[14:15]
	s_branch .LBB122_237
.LBB122_227:                            ;   in Loop: Header=BB122_21 Depth=1
	s_mov_b64 s[44:45], 0
                                        ; implicit-def: $vgpr19
	s_mov_b64 s[40:41], exec
	v_readlane_b32 s8, v50, 45
	v_readlane_b32 s9, v50, 46
	s_and_b64 s[8:9], s[40:41], s[8:9]
	s_mov_b64 exec, s[8:9]
	s_cbranch_execz .LBB122_236
; %bb.228:                              ;   in Loop: Header=BB122_21 Depth=1
	s_mov_b64 s[42:43], 0
	v_mov_b32_e32 v8, v6
	v_mov_b32_e32 v2, v0
                                        ; implicit-def: $sgpr44_sgpr45
	s_branch .LBB122_230
.LBB122_229:                            ;   in Loop: Header=BB122_230 Depth=2
	s_or_b64 exec, exec, s[14:15]
	s_waitcnt lgkmcnt(0)
	s_barrier
	ds_read_b64 v[18:19], v9 offset:3072
	v_add_u32_e32 v2, s59, v2
	v_cmp_le_u32_e64 s[14:15], s87, v2
	v_add_u32_e32 v8, s91, v8
	s_waitcnt lgkmcnt(0)
	v_cmp_neq_f32_e32 vcc, 0, v18
	s_or_b64 s[8:9], s[14:15], vcc
	s_and_b64 s[8:9], exec, s[8:9]
	s_or_b64 s[42:43], s[8:9], s[42:43]
	s_andn2_b64 s[8:9], s[44:45], exec
	s_and_b64 s[14:15], vcc, exec
	s_or_b64 s[44:45], s[8:9], s[14:15]
	s_barrier
	s_andn2_b64 exec, exec, s[42:43]
	s_cbranch_execz .LBB122_235
.LBB122_230:                            ;   Parent Loop BB122_21 Depth=1
                                        ; =>  This Inner Loop Header: Depth=2
	v_cmp_gt_u32_e32 vcc, s56, v2
	s_waitcnt vmcnt(0)
	v_mov_b32_e32 v17, 0
	s_and_saveexec_b64 s[46:47], vcc
	s_cbranch_execz .LBB122_232
; %bb.231:                              ;   in Loop: Header=BB122_230 Depth=2
	v_lshlrev_b64 v[4:5], 2, v[8:9]
	v_mov_b32_e32 v3, s90
	v_add_co_u32_e64 v4, s[14:15], s57, v4
	v_addc_co_u32_e64 v5, s[14:15], v3, v5, s[14:15]
	global_load_dword v17, v[4:5], off
.LBB122_232:                            ;   in Loop: Header=BB122_230 Depth=2
	s_or_b64 exec, exec, s[46:47]
	s_and_saveexec_b64 s[14:15], vcc
	s_cbranch_execz .LBB122_229
; %bb.233:                              ;   in Loop: Header=BB122_230 Depth=2
	s_waitcnt vmcnt(0)
	v_cmp_lt_i32_e32 vcc, -1, v17
	v_cndmask_b32_e32 v3, -1, v32, vcc
	v_xor_b32_e32 v3, v3, v17
	v_cmp_o_f32_e32 vcc, v17, v17
	v_cndmask_b32_e32 v3, -1, v3, vcc
	v_and_b32_e32 v3, s81, v3
	v_cmp_eq_u32_e32 vcc, s2, v3
	s_and_b64 exec, exec, vcc
	s_cbranch_execz .LBB122_229
; %bb.234:                              ;   in Loop: Header=BB122_230 Depth=2
	ds_write_b64 v9, v[16:17] offset:3072
	s_branch .LBB122_229
.LBB122_235:                            ;   in Loop: Header=BB122_21 Depth=1
	s_or_b64 exec, exec, s[42:43]
	s_and_b64 s[44:45], s[44:45], exec
.LBB122_236:                            ;   in Loop: Header=BB122_21 Depth=1
	s_or_b64 exec, exec, s[40:41]
	s_mov_b64 s[42:43], -1
	s_mov_b64 s[14:15], 0
	s_mov_b64 s[40:41], 0
.LBB122_237:                            ;   in Loop: Header=BB122_21 Depth=1
	s_mov_b64 s[48:49], 0
                                        ; implicit-def: $sgpr52
	s_and_saveexec_b64 s[46:47], s[44:45]
	s_cbranch_execz .LBB122_251
; %bb.238:                              ;   in Loop: Header=BB122_21 Depth=1
	s_xor_b64 s[8:9], s[38:39], -1
	s_andn2_b64 vcc, exec, s[8:9]
	s_mov_b32 s52, 1
	s_cbranch_vccnz .LBB122_245
; %bb.239:                              ;   in Loop: Header=BB122_21 Depth=1
	s_cmp_gt_u32 s3, s50
	s_cbranch_scc1 .LBB122_246
; %bb.240:                              ;   in Loop: Header=BB122_21 Depth=1
	ds_read_b32 v2, v9 offset:4104
	s_waitcnt lgkmcnt(0)
	v_cmp_ne_u32_e32 vcc, 0, v2
	s_cbranch_vccnz .LBB122_244
; %bb.241:                              ;   in Loop: Header=BB122_21 Depth=1
	s_mov_b64 s[38:39], exec
	v_readlane_b32 s8, v50, 21
	v_readlane_b32 s9, v50, 22
	s_and_b64 s[8:9], s[38:39], s[8:9]
	s_mov_b64 exec, s[8:9]
	s_cbranch_execz .LBB122_243
; %bb.242:                              ;   in Loop: Header=BB122_21 Depth=1
	v_mov_b32_e32 v2, s50
	ds_write_b32 v9, v2 offset:4108
.LBB122_243:                            ;   in Loop: Header=BB122_21 Depth=1
	s_or_b64 exec, exec, s[38:39]
	s_waitcnt lgkmcnt(0)
	s_barrier
.LBB122_244:                            ;   in Loop: Header=BB122_21 Depth=1
	s_or_b32 s8, s2, s51
	s_or_b32 s9, s81, s51
	s_mov_b64 s[38:39], 0
	s_mov_b32 s52, 8
	s_branch .LBB122_247
.LBB122_245:                            ;   in Loop: Header=BB122_21 Depth=1
	s_mov_b32 s3, 1
	s_branch .LBB122_250
.LBB122_246:                            ;   in Loop: Header=BB122_21 Depth=1
	s_mov_b64 s[38:39], -1
                                        ; implicit-def: $sgpr52
                                        ; implicit-def: $sgpr8
                                        ; implicit-def: $sgpr9
.LBB122_247:                            ;   in Loop: Header=BB122_21 Depth=1
	s_andn2_b64 vcc, exec, s[38:39]
	s_cbranch_vccnz .LBB122_249
; %bb.248:                              ;   in Loop: Header=BB122_21 Depth=1
	s_sub_i32 s3, s3, s50
	s_mov_b32 s52, 8
	s_mov_b32 s8, s2
	;; [unrolled: 1-line block ×3, first 2 shown]
.LBB122_249:                            ;   in Loop: Header=BB122_21 Depth=1
	s_mov_b32 s2, s8
	s_mov_b32 s81, s9
.LBB122_250:                            ;   in Loop: Header=BB122_21 Depth=1
	s_mov_b64 s[48:49], exec
.LBB122_251:                            ;   in Loop: Header=BB122_21 Depth=1
	s_or_b64 exec, exec, s[46:47]
.LBB122_252:                            ;   in Loop: Header=BB122_21 Depth=1
	s_andn2_b64 s[8:9], s[28:29], exec
	s_and_b64 s[14:15], s[14:15], exec
	s_or_b64 s[28:29], s[8:9], s[14:15]
	s_andn2_b64 s[8:9], s[34:35], exec
	s_and_b64 s[14:15], s[42:43], exec
	s_or_b64 s[34:35], s[8:9], s[14:15]
	;; [unrolled: 3-line block ×3, first 2 shown]
	s_and_b64 s[40:41], s[48:49], exec
	s_mov_b32 s45, s3
.LBB122_253:                            ;   in Loop: Header=BB122_21 Depth=1
	s_or_b64 exec, exec, s[36:37]
.LBB122_254:                            ;   in Loop: Header=BB122_21 Depth=1
	s_andn2_b64 s[8:9], s[22:23], exec
	s_and_b64 s[14:15], s[28:29], exec
	s_or_b64 s[22:23], s[8:9], s[14:15]
	s_andn2_b64 s[8:9], s[24:25], exec
	s_and_b64 s[14:15], s[34:35], exec
	s_or_b64 s[24:25], s[8:9], s[14:15]
	;; [unrolled: 3-line block ×3, first 2 shown]
	s_and_b64 s[30:31], s[40:41], exec
	s_mov_b32 s35, s45
.LBB122_255:                            ;   in Loop: Header=BB122_21 Depth=1
	s_or_b64 exec, exec, s[26:27]
                                        ; implicit-def: $sgpr3
	s_and_saveexec_b64 s[8:9], s[30:31]
	s_xor_b64 s[14:15], exec, s[8:9]
	s_cbranch_execz .LBB122_19
.LBB122_256:                            ;   in Loop: Header=BB122_21 Depth=1
	s_and_b32 s3, s52, -9
	s_cmp_eq_u32 s3, 0
	s_cbranch_scc1 .LBB122_17
; %bb.257:                              ;   in Loop: Header=BB122_21 Depth=1
	s_mov_b64 s[18:19], -1
                                        ; implicit-def: $sgpr81
                                        ; implicit-def: $sgpr35
                                        ; implicit-def: $sgpr13
                                        ; implicit-def: $sgpr80
	s_mov_b64 s[26:27], -1
	s_branch .LBB122_18
.LBB122_258:
	s_or_b64 exec, exec, s[94:95]
	s_xor_b64 s[8:9], s[62:63], -1
	s_xor_b64 s[2:3], s[68:69], -1
	;; [unrolled: 1-line block ×3, first 2 shown]
	s_mov_b64 s[4:5], 0
	s_and_saveexec_b64 s[10:11], s[2:3]
	s_xor_b64 s[2:3], exec, s[10:11]
	s_cbranch_execnz .LBB122_263
; %bb.259:
	s_andn2_saveexec_b64 s[0:1], s[2:3]
	s_cbranch_execnz .LBB122_276
.LBB122_260:
	s_or_b64 exec, exec, s[0:1]
	s_and_saveexec_b64 s[0:1], s[4:5]
.LBB122_261:
	; divergent unreachable
.LBB122_262:
	s_endpgm
.LBB122_263:
	s_and_saveexec_b64 s[4:5], s[8:9]
	s_xor_b64 s[4:5], exec, s[4:5]
	s_cbranch_execz .LBB122_274
; %bb.264:
	s_and_saveexec_b64 s[8:9], s[6:7]
	s_xor_b64 s[6:7], exec, s[8:9]
; %bb.265:
	v_bfrev_b32_e32 v1, 1
	v_cmp_lt_i32_e32 vcc, -1, v2
	v_cndmask_b32_e64 v1, v1, -1, vcc
	v_xor_b32_e32 v19, v1, v2
; %bb.266:
	s_or_b64 exec, exec, s[6:7]
	v_readlane_b32 s10, v50, 12
	v_readlane_b32 s11, v50, 13
	;; [unrolled: 1-line block ×3, first 2 shown]
	s_mul_i32 s6, s16, s11
	v_readlane_b32 s7, v50, 20
	v_readlane_b32 s11, v50, 15
	s_sub_i32 s6, s7, s6
	s_mul_i32 s7, s11, s10
	s_sub_i32 s7, s16, s7
	s_add_i32 s8, s11, 1
	s_sub_i32 s9, s7, s10
	s_cmp_ge_u32 s7, s10
	s_cselect_b32 s8, s8, s11
	s_cselect_b32 s7, s9, s7
	s_add_i32 s9, s8, 1
	s_cmp_ge_u32 s7, s10
	s_cselect_b32 s7, s9, s8
	v_readlane_b32 s12, v50, 8
	s_mul_i32 s8, s7, s10
	v_readlane_b32 s13, v50, 9
	v_readlane_b32 s14, v50, 10
	s_sub_i32 s8, s16, s8
	s_mul_i32 s6, s6, s14
	s_mul_i32 s8, s8, s13
	s_add_i32 s6, s8, s6
	s_mul_i32 s7, s7, s12
	s_add_i32 s6, s6, s7
	s_mov_b32 s7, 0
	s_lshl_b64 s[6:7], s[6:7], 2
	v_readlane_b32 s8, v50, 0
	v_readlane_b32 s9, v50, 1
	s_add_u32 s6, s8, s6
	s_addc_u32 s7, s9, s7
	v_mov_b32_e32 v7, 0
	v_readlane_b32 s15, v50, 11
	global_store_dword v7, v19, s[6:7]
	s_and_saveexec_b64 s[6:7], s[0:1]
	s_cbranch_execz .LBB122_273
; %bb.267:
	v_cmp_u_f32_e32 vcc, v19, v19
	s_mov_b64 s[8:9], 0
	v_mov_b32_e32 v1, s90
	s_xor_b64 s[12:13], vcc, -1
                                        ; implicit-def: $sgpr10_sgpr11
                                        ; implicit-def: $sgpr16_sgpr17
                                        ; implicit-def: $sgpr14_sgpr15
	s_branch .LBB122_269
.LBB122_268:                            ;   in Loop: Header=BB122_269 Depth=1
	s_or_b64 exec, exec, s[0:1]
	s_and_b64 s[0:1], exec, s[16:17]
	s_or_b64 s[8:9], s[0:1], s[8:9]
	s_andn2_b64 s[0:1], s[10:11], exec
	s_and_b64 s[10:11], s[14:15], exec
	s_or_b64 s[10:11], s[0:1], s[10:11]
	s_andn2_b64 exec, exec, s[8:9]
	s_cbranch_execz .LBB122_271
.LBB122_269:                            ; =>This Inner Loop Header: Depth=1
	v_lshlrev_b64 v[2:3], 2, v[6:7]
	v_add_co_u32_e32 v2, vcc, s57, v2
	v_addc_co_u32_e32 v3, vcc, v1, v3, vcc
	global_load_dword v3, v[2:3], off
	v_mov_b32_e32 v2, v0
	s_or_b64 s[14:15], s[14:15], exec
	s_or_b64 s[16:17], s[16:17], exec
                                        ; implicit-def: $vgpr0
	s_waitcnt vmcnt(0)
	v_cmp_o_f32_e64 s[0:1], v3, v3
	v_cmp_neq_f32_e32 vcc, v3, v19
	s_or_b64 s[0:1], s[0:1], s[12:13]
	s_and_b64 s[18:19], vcc, s[0:1]
	s_and_saveexec_b64 s[0:1], s[18:19]
	s_cbranch_execz .LBB122_268
; %bb.270:                              ;   in Loop: Header=BB122_269 Depth=1
	v_add_u32_e32 v0, s59, v2
	v_cmp_le_u32_e32 vcc, s56, v0
	s_andn2_b64 s[16:17], s[16:17], exec
	s_and_b64 s[18:19], vcc, exec
	v_add_u32_e32 v6, s91, v6
	s_andn2_b64 s[14:15], s[14:15], exec
	s_or_b64 s[16:17], s[16:17], s[18:19]
	s_branch .LBB122_268
.LBB122_271:
	s_or_b64 exec, exec, s[8:9]
	s_and_saveexec_b64 s[0:1], s[10:11]
	s_xor_b64 s[0:1], exec, s[0:1]
	s_cbranch_execz .LBB122_273
; %bb.272:
	v_readlane_b32 s8, v50, 2
	v_readlane_b32 s16, v50, 16
	;; [unrolled: 1-line block ×6, first 2 shown]
	s_mov_b32 s14, s10
	s_mul_i32 s0, s15, s17
	v_readlane_b32 s1, v50, 20
	s_mov_b64 s[12:13], s[8:9]
	v_readlane_b32 s10, v50, 19
	s_sub_i32 s0, s1, s0
	s_mul_i32 s1, s10, s16
	s_sub_i32 s1, s15, s1
	s_add_i32 s8, s10, 1
	s_sub_i32 s9, s1, s16
	s_cmp_ge_u32 s1, s16
	s_cselect_b32 s8, s8, s10
	s_cselect_b32 s1, s9, s1
	s_add_i32 s9, s8, 1
	s_cmp_ge_u32 s1, s16
	s_cselect_b32 s1, s9, s8
	s_mul_i32 s8, s1, s16
	s_sub_i32 s8, s15, s8
	s_mul_i32 s0, s0, s14
	s_mul_i32 s8, s8, s13
	s_add_i32 s0, s8, s0
	s_mul_i32 s1, s1, s12
	s_add_i32 s0, s0, s1
	s_mov_b32 s1, 0
	s_lshl_b64 s[0:1], s[0:1], 3
	v_readlane_b32 s8, v50, 6
	v_readlane_b32 s9, v50, 7
	s_add_u32 s0, s8, s0
	s_addc_u32 s1, s9, s1
	v_mov_b32_e32 v3, 0
	v_readlane_b32 s11, v50, 5
	global_store_dwordx2 v3, v[2:3], s[0:1]
.LBB122_273:
	s_or_b64 exec, exec, s[6:7]
.LBB122_274:
	s_or_saveexec_b64 s[0:1], s[4:5]
	s_mov_b64 s[4:5], 0
	s_xor_b64 exec, exec, s[0:1]
	s_cbranch_execnz .LBB122_277
.LBB122_275:
	s_or_b64 exec, exec, s[0:1]
	s_and_b64 s[4:5], s[4:5], exec
	s_andn2_saveexec_b64 s[0:1], s[2:3]
	s_cbranch_execz .LBB122_260
.LBB122_276:
	s_or_b64 s[4:5], s[4:5], exec
	s_trap 2
	s_or_b64 exec, exec, s[0:1]
	s_and_saveexec_b64 s[0:1], s[4:5]
	s_cbranch_execnz .LBB122_261
	s_branch .LBB122_262
.LBB122_277:
	s_mov_b64 s[4:5], exec
	s_trap 2
	s_branch .LBB122_275
	.section	.rodata,"a",@progbits
	.p2align	6, 0x0
	.amdhsa_kernel _ZN2at6native12_GLOBAL__N_112gatherMedianIfjLi3EEEvNS_4cuda6detail10TensorInfoIT_T0_EENS5_IlS7_EENS5_IKS6_S7_EES7_S7_S7_b
		.amdhsa_group_segment_fixed_size 4120
		.amdhsa_private_segment_fixed_size 0
		.amdhsa_kernarg_size 920
		.amdhsa_user_sgpr_count 6
		.amdhsa_user_sgpr_private_segment_buffer 1
		.amdhsa_user_sgpr_dispatch_ptr 0
		.amdhsa_user_sgpr_queue_ptr 0
		.amdhsa_user_sgpr_kernarg_segment_ptr 1
		.amdhsa_user_sgpr_dispatch_id 0
		.amdhsa_user_sgpr_flat_scratch_init 0
		.amdhsa_user_sgpr_kernarg_preload_length 0
		.amdhsa_user_sgpr_kernarg_preload_offset 0
		.amdhsa_user_sgpr_private_segment_size 0
		.amdhsa_uses_dynamic_stack 0
		.amdhsa_system_sgpr_private_segment_wavefront_offset 0
		.amdhsa_system_sgpr_workgroup_id_x 1
		.amdhsa_system_sgpr_workgroup_id_y 1
		.amdhsa_system_sgpr_workgroup_id_z 1
		.amdhsa_system_sgpr_workgroup_info 0
		.amdhsa_system_vgpr_workitem_id 0
		.amdhsa_next_free_vgpr 51
		.amdhsa_next_free_sgpr 96
		.amdhsa_accum_offset 52
		.amdhsa_reserve_vcc 1
		.amdhsa_reserve_flat_scratch 0
		.amdhsa_float_round_mode_32 0
		.amdhsa_float_round_mode_16_64 0
		.amdhsa_float_denorm_mode_32 3
		.amdhsa_float_denorm_mode_16_64 3
		.amdhsa_dx10_clamp 1
		.amdhsa_ieee_mode 1
		.amdhsa_fp16_overflow 0
		.amdhsa_tg_split 0
		.amdhsa_exception_fp_ieee_invalid_op 0
		.amdhsa_exception_fp_denorm_src 0
		.amdhsa_exception_fp_ieee_div_zero 0
		.amdhsa_exception_fp_ieee_overflow 0
		.amdhsa_exception_fp_ieee_underflow 0
		.amdhsa_exception_fp_ieee_inexact 0
		.amdhsa_exception_int_div_zero 0
	.end_amdhsa_kernel
	.section	.text._ZN2at6native12_GLOBAL__N_112gatherMedianIfjLi3EEEvNS_4cuda6detail10TensorInfoIT_T0_EENS5_IlS7_EENS5_IKS6_S7_EES7_S7_S7_b,"axG",@progbits,_ZN2at6native12_GLOBAL__N_112gatherMedianIfjLi3EEEvNS_4cuda6detail10TensorInfoIT_T0_EENS5_IlS7_EENS5_IKS6_S7_EES7_S7_S7_b,comdat
.Lfunc_end122:
	.size	_ZN2at6native12_GLOBAL__N_112gatherMedianIfjLi3EEEvNS_4cuda6detail10TensorInfoIT_T0_EENS5_IlS7_EENS5_IKS6_S7_EES7_S7_S7_b, .Lfunc_end122-_ZN2at6native12_GLOBAL__N_112gatherMedianIfjLi3EEEvNS_4cuda6detail10TensorInfoIT_T0_EENS5_IlS7_EENS5_IKS6_S7_EES7_S7_S7_b
                                        ; -- End function
	.section	.AMDGPU.csdata,"",@progbits
; Kernel info:
; codeLenInByte = 11088
; NumSgprs: 100
; NumVgprs: 51
; NumAgprs: 0
; TotalNumVgprs: 51
; ScratchSize: 0
; MemoryBound: 0
; FloatMode: 240
; IeeeMode: 1
; LDSByteSize: 4120 bytes/workgroup (compile time only)
; SGPRBlocks: 12
; VGPRBlocks: 6
; NumSGPRsForWavesPerEU: 100
; NumVGPRsForWavesPerEU: 51
; AccumOffset: 52
; Occupancy: 8
; WaveLimiterHint : 1
; COMPUTE_PGM_RSRC2:SCRATCH_EN: 0
; COMPUTE_PGM_RSRC2:USER_SGPR: 6
; COMPUTE_PGM_RSRC2:TRAP_HANDLER: 0
; COMPUTE_PGM_RSRC2:TGID_X_EN: 1
; COMPUTE_PGM_RSRC2:TGID_Y_EN: 1
; COMPUTE_PGM_RSRC2:TGID_Z_EN: 1
; COMPUTE_PGM_RSRC2:TIDIG_COMP_CNT: 0
; COMPUTE_PGM_RSRC3_GFX90A:ACCUM_OFFSET: 12
; COMPUTE_PGM_RSRC3_GFX90A:TG_SPLIT: 0
	.section	.text._ZN2at6native12_GLOBAL__N_112gatherMedianIfjLin1EEEvNS_4cuda6detail10TensorInfoIT_T0_EENS5_IlS7_EENS5_IKS6_S7_EES7_S7_S7_b,"axG",@progbits,_ZN2at6native12_GLOBAL__N_112gatherMedianIfjLin1EEEvNS_4cuda6detail10TensorInfoIT_T0_EENS5_IlS7_EENS5_IKS6_S7_EES7_S7_S7_b,comdat
	.globl	_ZN2at6native12_GLOBAL__N_112gatherMedianIfjLin1EEEvNS_4cuda6detail10TensorInfoIT_T0_EENS5_IlS7_EENS5_IKS6_S7_EES7_S7_S7_b ; -- Begin function _ZN2at6native12_GLOBAL__N_112gatherMedianIfjLin1EEEvNS_4cuda6detail10TensorInfoIT_T0_EENS5_IlS7_EENS5_IKS6_S7_EES7_S7_S7_b
	.p2align	8
	.type	_ZN2at6native12_GLOBAL__N_112gatherMedianIfjLin1EEEvNS_4cuda6detail10TensorInfoIT_T0_EENS5_IlS7_EENS5_IKS6_S7_EES7_S7_S7_b,@function
_ZN2at6native12_GLOBAL__N_112gatherMedianIfjLin1EEEvNS_4cuda6detail10TensorInfoIT_T0_EENS5_IlS7_EENS5_IKS6_S7_EES7_S7_S7_b: ; @_ZN2at6native12_GLOBAL__N_112gatherMedianIfjLin1EEEvNS_4cuda6detail10TensorInfoIT_T0_EENS5_IlS7_EENS5_IKS6_S7_EES7_S7_S7_b
; %bb.0:
	s_load_dwordx2 s[12:13], s[4:5], 0x298
	s_load_dwordx4 s[56:59], s[4:5], 0x288
	s_add_u32 s10, s4, 0x298
	s_addc_u32 s11, s5, 0
	s_waitcnt lgkmcnt(0)
	s_mul_i32 s0, s13, s8
	s_add_i32 s0, s0, s7
	s_mul_i32 s0, s0, s12
	s_add_i32 s7, s0, s6
	s_cmp_ge_u32 s7, s57
	s_cbranch_scc1 .LBB123_271
; %bb.1:
	s_load_dword s0, s[4:5], 0xd0
	s_mov_b32 s61, 0
	s_mov_b32 s33, s7
	s_waitcnt lgkmcnt(0)
	s_cmp_lt_i32 s0, 2
	s_cbranch_scc1 .LBB123_4
; %bb.2:
	s_add_i32 s60, s0, -1
	s_add_i32 s2, s0, 1
	s_lshl_b64 s[0:1], s[60:61], 2
	s_add_u32 s0, s0, s4
	s_addc_u32 s1, s1, s5
	s_add_u32 s0, s0, 8
	s_addc_u32 s1, s1, 0
	s_mov_b32 s33, s7
.LBB123_3:                              ; =>This Inner Loop Header: Depth=1
	s_load_dword s3, s[0:1], 0x0
	s_load_dword s9, s[0:1], 0x64
	s_mov_b32 s8, s33
	s_waitcnt lgkmcnt(0)
	v_cvt_f32_u32_e32 v1, s3
	s_sub_i32 s13, 0, s3
	v_rcp_iflag_f32_e32 v1, v1
	v_mul_f32_e32 v1, 0x4f7ffffe, v1
	v_cvt_u32_f32_e32 v1, v1
	v_readfirstlane_b32 s14, v1
	s_mul_i32 s13, s13, s14
	s_mul_hi_u32 s13, s14, s13
	s_add_i32 s14, s14, s13
	s_mul_hi_u32 s13, s33, s14
	s_mul_i32 s14, s13, s3
	s_sub_i32 s14, s33, s14
	s_add_i32 s15, s13, 1
	s_sub_i32 s16, s14, s3
	s_cmp_ge_u32 s14, s3
	s_cselect_b32 s13, s15, s13
	s_cselect_b32 s14, s16, s14
	s_add_i32 s15, s13, 1
	s_cmp_ge_u32 s14, s3
	s_cselect_b32 s33, s15, s13
	s_mul_i32 s3, s33, s3
	s_sub_i32 s3, s8, s3
	s_mul_i32 s3, s9, s3
	s_add_i32 s2, s2, -1
	s_add_i32 s61, s3, s61
	s_add_u32 s0, s0, -4
	s_addc_u32 s1, s1, -1
	s_cmp_gt_u32 s2, 2
	s_cbranch_scc1 .LBB123_3
.LBB123_4:
	s_load_dword s2, s[4:5], 0x1a8
	s_add_u32 s0, s4, 0xd8
	s_addc_u32 s1, s5, 0
	s_mov_b32 s63, 0
	s_mov_b32 s57, s7
	s_waitcnt lgkmcnt(0)
	s_cmp_lt_i32 s2, 2
	s_cbranch_scc1 .LBB123_7
; %bb.5:
	s_add_i32 s62, s2, -1
	s_add_i32 s8, s2, 1
	s_lshl_b64 s[2:3], s[62:63], 2
	s_add_u32 s2, s2, s0
	s_addc_u32 s3, s3, s1
	s_add_u32 s2, s2, 8
	s_addc_u32 s3, s3, 0
	s_mov_b32 s57, s7
.LBB123_6:                              ; =>This Inner Loop Header: Depth=1
	s_load_dword s9, s[2:3], 0x0
	s_load_dword s14, s[2:3], 0x64
	s_mov_b32 s13, s57
	s_waitcnt lgkmcnt(0)
	v_cvt_f32_u32_e32 v1, s9
	s_sub_i32 s15, 0, s9
	v_rcp_iflag_f32_e32 v1, v1
	v_mul_f32_e32 v1, 0x4f7ffffe, v1
	v_cvt_u32_f32_e32 v1, v1
	v_readfirstlane_b32 s16, v1
	s_mul_i32 s15, s15, s16
	s_mul_hi_u32 s15, s16, s15
	s_add_i32 s16, s16, s15
	s_mul_hi_u32 s15, s57, s16
	s_mul_i32 s16, s15, s9
	s_sub_i32 s16, s57, s16
	s_add_i32 s17, s15, 1
	s_sub_i32 s18, s16, s9
	s_cmp_ge_u32 s16, s9
	s_cselect_b32 s15, s17, s15
	s_cselect_b32 s16, s18, s16
	s_add_i32 s17, s15, 1
	s_cmp_ge_u32 s16, s9
	s_cselect_b32 s57, s17, s15
	s_mul_i32 s9, s57, s9
	s_sub_i32 s9, s13, s9
	s_mul_i32 s9, s14, s9
	s_add_i32 s8, s8, -1
	s_add_i32 s63, s9, s63
	s_add_u32 s2, s2, -4
	s_addc_u32 s3, s3, -1
	s_cmp_gt_u32 s8, 2
	s_cbranch_scc1 .LBB123_6
.LBB123_7:
	s_load_dword s2, s[4:5], 0x6c
                                        ; implicit-def: $vgpr50 : SGPR spill to VGPR lane
	s_add_u32 s8, s4, 0x1b0
	s_addc_u32 s9, s5, 0
	s_mov_b32 s3, 0
	s_waitcnt lgkmcnt(0)
	v_writelane_b32 v50, s2, 0
	s_load_dword s2, s[4:5], 0x280
	s_waitcnt lgkmcnt(0)
	s_cmp_lt_i32 s2, 2
	s_cbranch_scc1 .LBB123_10
; %bb.8:
	s_add_i32 s13, s2, 1
	s_add_i32 s2, s2, -1
	s_lshl_b64 s[14:15], s[2:3], 2
	s_add_u32 s2, s14, s8
	s_addc_u32 s9, s15, s9
	s_add_u32 s8, s2, 8
	s_addc_u32 s9, s9, 0
.LBB123_9:                              ; =>This Inner Loop Header: Depth=1
	s_load_dword s2, s[8:9], 0x0
	s_load_dword s15, s[8:9], 0x64
	s_mov_b32 s14, s7
	s_waitcnt lgkmcnt(0)
	v_cvt_f32_u32_e32 v1, s2
	s_sub_i32 s7, 0, s2
	v_rcp_iflag_f32_e32 v1, v1
	v_mul_f32_e32 v1, 0x4f7ffffe, v1
	v_cvt_u32_f32_e32 v1, v1
	v_readfirstlane_b32 s16, v1
	s_mul_i32 s7, s7, s16
	s_mul_hi_u32 s7, s16, s7
	s_add_i32 s16, s16, s7
	s_mul_hi_u32 s7, s14, s16
	s_mul_i32 s16, s7, s2
	s_sub_i32 s16, s14, s16
	s_add_i32 s17, s7, 1
	s_sub_i32 s18, s16, s2
	s_cmp_ge_u32 s16, s2
	s_cselect_b32 s7, s17, s7
	s_cselect_b32 s16, s18, s16
	s_add_i32 s17, s7, 1
	s_cmp_ge_u32 s16, s2
	s_cselect_b32 s7, s17, s7
	s_mul_i32 s2, s7, s2
	s_sub_i32 s2, s14, s2
	s_mul_i32 s2, s15, s2
	s_add_i32 s13, s13, -1
	s_add_i32 s3, s2, s3
	s_add_u32 s8, s8, -4
	s_addc_u32 s9, s9, -1
	s_cmp_gt_u32 s13, 2
	s_cbranch_scc1 .LBB123_9
.LBB123_10:
	s_load_dword s0, s[0:1], 0x6c
                                        ; kill: killed $sgpr4 killed $sgpr5
	v_cmp_gt_u32_e64 s[54:55], s56, v0
	v_mov_b32_e32 v2, 0
	v_mul_lo_u32 v6, v0, s58
	s_waitcnt lgkmcnt(0)
	v_writelane_b32 v50, s0, 1
	s_load_dword s2, s[4:5], 0x21c
	s_load_dwordx2 s[0:1], s[4:5], 0x0
	s_waitcnt lgkmcnt(0)
	s_mul_i32 s2, s2, s7
	v_writelane_b32 v50, s0, 2
	v_writelane_b32 v50, s1, 3
	s_load_dwordx2 s[0:1], s[4:5], 0xd8
	s_waitcnt lgkmcnt(0)
	v_writelane_b32 v50, s0, 4
	v_writelane_b32 v50, s1, 5
	s_load_dwordx2 s[0:1], s[4:5], 0x1b0
	s_mov_b32 s5, 0
	s_add_i32 s4, s2, s3
	s_lshl_b64 s[2:3], s[4:5], 2
	s_waitcnt lgkmcnt(0)
	s_add_u32 s62, s0, s2
	s_addc_u32 s60, s1, s3
	s_and_saveexec_b64 s[2:3], s[54:55]
	s_cbranch_execz .LBB123_14
; %bb.11:
	s_load_dword s0, s[10:11], 0xc
	v_mov_b32_e32 v5, 0
	v_mul_lo_u32 v4, v0, s58
	s_mov_b64 s[4:5], 0
	v_mov_b32_e32 v1, s60
	s_waitcnt lgkmcnt(0)
	s_and_b32 s0, s0, 0xffff
	s_mul_i32 s1, s58, s0
	v_mov_b32_e32 v2, v5
	v_mov_b32_e32 v3, v0
.LBB123_12:                             ; =>This Inner Loop Header: Depth=1
	v_lshlrev_b64 v[8:9], 2, v[4:5]
	v_add_co_u32_e32 v8, vcc, s62, v8
	v_addc_co_u32_e32 v9, vcc, v1, v9, vcc
	global_load_dword v7, v[8:9], off
	v_add_u32_e32 v3, s0, v3
	v_cmp_le_u32_e32 vcc, s56, v3
	s_or_b64 s[4:5], vcc, s[4:5]
	v_add_u32_e32 v4, s1, v4
	s_waitcnt vmcnt(0)
	v_cmp_u_f32_e32 vcc, v7, v7
	v_addc_co_u32_e32 v2, vcc, 0, v2, vcc
	s_andn2_b64 exec, exec, s[4:5]
	s_cbranch_execnz .LBB123_12
; %bb.13:
	s_or_b64 exec, exec, s[4:5]
.LBB123_14:
	s_or_b64 exec, exec, s[2:3]
	v_cmp_eq_u32_e64 s[0:1], 0, v0
	s_mov_b64 s[4:5], exec
	v_writelane_b32 v50, s0, 6
	v_writelane_b32 v50, s1, 7
	s_and_b64 s[0:1], s[4:5], s[0:1]
	s_mov_b64 exec, s[0:1]
	s_cbranch_execz .LBB123_16
; %bb.15:
	v_mov_b32_e32 v4, 0
	v_mov_b32_e32 v5, v4
	ds_write_b64 v4, v[4:5] offset:4096
.LBB123_16:
	s_or_b64 exec, exec, s[4:5]
	v_cmp_ne_u32_e32 vcc, 0, v2
	s_waitcnt lgkmcnt(0)
	s_barrier
	s_and_saveexec_b64 s[4:5], vcc
	s_cbranch_execz .LBB123_21
; %bb.17:
	s_mov_b64 s[14:15], exec
	v_mov_b32_e32 v1, 0
	s_mov_b64 s[8:9], 0
.LBB123_18:                             ; =>This Inner Loop Header: Depth=1
	s_ff1_i32_b64 s0, s[14:15]
	v_readlane_b32 s2, v2, s0
	v_readlane_b32 s1, v1, s0
	s_add_u32 s8, s8, s2
	s_addc_u32 s9, s9, s1
	s_lshl_b64 s[0:1], 1, s0
	s_andn2_b64 s[14:15], s[14:15], s[0:1]
	s_cmp_lg_u64 s[14:15], 0
	s_cbranch_scc1 .LBB123_18
; %bb.19:
	v_mbcnt_lo_u32_b32 v1, exec_lo, 0
	v_mbcnt_hi_u32_b32 v1, exec_hi, v1
	v_cmp_eq_u32_e32 vcc, 0, v1
	s_and_saveexec_b64 s[0:1], vcc
	s_xor_b64 s[0:1], exec, s[0:1]
	s_cbranch_execz .LBB123_21
; %bb.20:
	v_mov_b32_e32 v1, 0
	v_pk_mov_b32 v[2:3], s[8:9], s[8:9] op_sel:[0,1]
	ds_add_u64 v1, v[2:3] offset:4096
.LBB123_21:
	s_or_b64 exec, exec, s[4:5]
	v_mov_b32_e32 v1, 0
	s_waitcnt lgkmcnt(0)
	s_barrier
	ds_read_b64 v[2:3], v1 offset:4096
	s_bitcmp1_b32 s59, 0
	s_cselect_b64 s[0:1], -1, 0
	s_mov_b32 s75, s56
	s_waitcnt lgkmcnt(0)
	v_cmp_gt_i64_e32 vcc, 1, v[2:3]
	s_or_b64 s[0:1], s[0:1], vcc
	s_andn2_b64 vcc, exec, s[0:1]
	s_cbranch_vccnz .LBB123_23
; %bb.22:
	v_not_b32_e32 v1, v2
	v_not_b32_e32 v2, v3
	v_add_co_u32_e32 v1, vcc, s56, v1
	v_addc_co_u32_e32 v2, vcc, 0, v2, vcc
	v_lshrrev_b32_e32 v3, 31, v2
	v_add_co_u32_e32 v1, vcc, v1, v3
	v_addc_co_u32_e32 v2, vcc, 0, v2, vcc
	v_alignbit_b32 v1, v2, v1, 1
	v_readfirstlane_b32 s0, v1
	s_add_i32 s75, s0, 1
.LBB123_23:
	s_mov_b64 s[4:5], exec
	v_readlane_b32 s0, v50, 6
	v_readlane_b32 s1, v50, 7
	s_and_b64 s[0:1], s[4:5], s[0:1]
	s_mov_b64 exec, s[0:1]
	s_cbranch_execz .LBB123_25
; %bb.24:
	v_mov_b32_e32 v2, 0
	v_mov_b32_e32 v3, s56
	ds_write_b32 v2, v2 offset:4112
	ds_write_b64 v2, v[2:3] offset:4104
.LBB123_25:
	s_or_b64 exec, exec, s[4:5]
	s_waitcnt lgkmcnt(0)
	s_barrier
	s_load_dword s0, s[10:11], 0xc
	v_mbcnt_lo_u32_b32 v1, -1, 0
	v_mbcnt_hi_u32_b32 v13, -1, v1
	v_cmp_gt_u32_e32 vcc, 64, v0
	v_cmp_gt_i32_e64 s[4:5], 4, v13
	s_waitcnt lgkmcnt(0)
	s_and_b32 s59, s0, 0xffff
	s_bfe_u32 s3, s0, 0xa0006
	s_and_b64 s[0:1], vcc, s[4:5]
	v_writelane_b32 v50, s0, 8
	v_writelane_b32 v50, s1, 9
	s_add_i32 s0, s59, -1
	s_lshl_b32 s77, s59, 2
	v_writelane_b32 v50, s0, 10
	s_add_i32 s0, s0, s56
	s_cmpk_gt_u32 s56, 0x300
	s_cselect_b64 s[4:5], -1, 0
	v_writelane_b32 v50, s4, 11
	s_cmp_gt_u32 s59, 63
	v_writelane_b32 v50, s5, 12
	s_cselect_b64 s[4:5], -1, 0
	s_cmp_lt_u32 s6, s12
	v_writelane_b32 v50, s4, 13
	s_cselect_b32 s1, 12, 18
	v_writelane_b32 v50, s5, 14
	s_add_u32 s4, s10, s1
	s_addc_u32 s5, s11, 0
	s_add_i32 s1, s3, -2
	s_lshr_b32 s2, s1, 1
	v_mov_b32_e32 v9, 0
	s_add_i32 s2, s2, 1
	v_writelane_b32 v50, s4, 15
	s_cmpk_gt_u32 s59, 0x7f
	v_mov_b32_e32 v7, v9
	v_writelane_b32 v50, s5, 16
	s_cselect_b64 s[4:5], -1, 0
	v_lshlrev_b64 v[2:3], 2, v[6:7]
	v_writelane_b32 v50, s4, 17
	v_mov_b32_e32 v7, s60
	v_add_co_u32_e32 v10, vcc, s62, v2
	v_writelane_b32 v50, s5, 18
	v_cmp_gt_u32_e64 s[6:7], 2, v0
	v_addc_co_u32_e32 v11, vcc, v7, v3, vcc
	v_lshlrev_b64 v[2:3], v13, -1
	v_writelane_b32 v50, s6, 19
	v_not_b32_e32 v12, v2
	v_cvt_f32_u32_e32 v2, s77
	v_writelane_b32 v50, s7, 20
	s_and_b32 s6, s3, 0x3fe
	s_and_b32 s7, s2, 7
	s_cmp_gt_u32 s1, 13
	s_cselect_b64 s[8:9], -1, 0
	v_writelane_b32 v50, s8, 21
	v_rcp_iflag_f32_e32 v2, v2
	v_writelane_b32 v50, s9, 22
	s_and_b32 s1, s2, -8
	v_writelane_b32 v50, s1, 23
	s_cmp_lg_u32 s7, 0
	v_writelane_b32 v50, s7, 24
	s_cselect_b64 s[8:9], -1, 0
	v_writelane_b32 v50, s8, 25
	v_mul_f32_e32 v2, 0x4f7ffffe, v2
	v_writelane_b32 v50, s9, 26
	v_cvt_u32_f32_e32 v2, v2
	v_writelane_b32 v50, s3, 27
	s_cmp_lg_u32 s6, s3
	v_writelane_b32 v50, s6, 28
	s_cselect_b64 s[2:3], -1, 0
	v_writelane_b32 v50, s2, 29
	v_writelane_b32 v50, s3, 30
	s_sub_i32 s1, 0, s77
	v_readfirstlane_b32 s2, v2
	s_mul_i32 s1, s1, s2
	s_mul_hi_u32 s1, s2, s1
	s_add_i32 s71, s2, s1
	v_cvt_f32_u32_e32 v2, s59
	s_mul_hi_u32 s1, s56, s71
	s_mul_i32 s1, s1, s77
	s_sub_i32 s1, s56, s1
	s_sub_i32 s2, s1, s77
	v_rcp_iflag_f32_e32 v5, v2
	s_cmp_ge_u32 s1, s77
	s_cselect_b32 s1, s2, s1
	s_sub_i32 s2, s1, s77
	s_cmp_ge_u32 s1, s77
	v_mul_f32_e32 v5, 0x4f7ffffe, v5
	s_cselect_b32 s1, s2, s1
	v_cvt_u32_f32_e32 v5, v5
	v_lshlrev_b32_e32 v20, 2, v0
	s_sub_i32 s12, s56, s1
	v_cmp_gt_u32_e64 s[2:3], s12, v20
	v_writelane_b32 v50, s2, 31
	v_writelane_b32 v50, s3, 32
	s_sub_i32 s2, 0, s59
	v_readfirstlane_b32 s3, v5
	s_mul_i32 s2, s2, s3
	s_mul_hi_u32 s2, s3, s2
	s_add_i32 s2, s3, s2
	v_writelane_b32 v50, s2, 33
	s_mul_hi_u32 s2, s0, s2
	s_mul_i32 s2, s2, s59
	s_sub_i32 s2, s0, s2
	s_sub_i32 s3, s2, s59
	v_add_u32_e32 v24, s12, v0
	s_cmp_ge_u32 s2, s59
	v_lshrrev_b32_e32 v1, 4, v0
	v_mul_lo_u32 v8, v24, s58
	s_cselect_b32 s2, s3, s2
	v_and_b32_e32 v22, 60, v1
	v_not_b32_e32 v1, v3
	v_lshlrev_b64 v[2:3], 2, v[8:9]
	s_sub_i32 s3, s2, s59
	v_add_co_u32_e32 v14, vcc, s62, v2
	s_cmp_ge_u32 s2, s59
	v_mul_lo_u32 v2, s58, v20
	s_cselect_b32 s2, s3, s2
	v_add_u32_e32 v25, s58, v2
	v_or_b32_e32 v2, 2, v20
	s_sub_i32 s72, s0, s2
	v_mul_lo_u32 v26, s58, v2
	v_or_b32_e32 v2, 3, v20
	s_add_i32 s0, s59, s56
	v_cmp_gt_u32_e64 s[2:3], s72, v0
	v_mul_lo_u32 v27, s58, v2
	v_add_u32_e32 v2, s0, v0
	v_lshlrev_b32_e32 v4, 2, v13
	v_mov_b32_e32 v8, s60
	v_writelane_b32 v50, s2, 34
	s_mul_i32 s76, s58, s59
	v_subrev_u32_e32 v2, s1, v2
	s_mov_b32 s36, 0
	v_cmp_eq_u32_e64 s[4:5], 0, v13
	v_add_u32_e32 v21, 0xc00, v20
	v_and_b32_e32 v23, 0x100, v4
	v_cmp_gt_u32_e64 s[10:11], s56, v24
	v_addc_co_u32_e32 v15, vcc, v8, v3, vcc
	v_writelane_b32 v50, s3, 35
	s_lshl_b32 s73, s76, 2
	v_lshlrev_b32_e32 v28, 2, v6
	v_mul_lo_u32 v29, s58, v2
	v_lshlrev_b32_e32 v30, 4, v0
	s_lshl_b32 s2, s59, 4
	v_or_b32_e32 v31, 0xc00, v4
	s_mov_b32 s3, 30
	s_mov_b64 s[86:87], 0
	v_mov_b32_e32 v16, 1.0
	v_bfrev_b32_e32 v32, 1
	v_mov_b32_e32 v33, 0xc00
	v_mov_b32_e32 v19, 0
	s_mov_b32 s78, 0
	s_mov_b32 s74, 0
	;; [unrolled: 1-line block ×3, first 2 shown]
                                        ; implicit-def: $sgpr88_sgpr89
                                        ; implicit-def: $sgpr92_sgpr93
                                        ; implicit-def: $sgpr90_sgpr91
                                        ; implicit-def: $sgpr94_sgpr95
                                        ; implicit-def: $sgpr64_sgpr65
                                        ; implicit-def: $sgpr66_sgpr67
	s_branch .LBB123_30
.LBB123_26:                             ;   in Loop: Header=BB123_30 Depth=1
	s_xor_b32 s78, s78, 1
	s_add_i32 s0, s3, -2
	s_cmp_eq_u32 s3, 0
	s_mov_b64 s[18:19], 0
	s_cselect_b64 s[26:27], -1, 0
	s_mov_b32 s3, s0
.LBB123_27:                             ;   in Loop: Header=BB123_30 Depth=1
	s_andn2_b64 s[0:1], s[22:23], exec
	s_and_b64 s[8:9], s[18:19], exec
	s_or_b64 s[22:23], s[0:1], s[8:9]
	s_andn2_b64 s[24:25], s[24:25], exec
	s_andn2_b64 s[20:21], s[20:21], exec
	s_orn2_b64 s[18:19], s[26:27], exec
	s_mov_b32 s75, s35
.LBB123_28:                             ;   in Loop: Header=BB123_30 Depth=1
	s_or_b64 exec, exec, s[14:15]
	s_andn2_b64 s[0:1], s[66:67], exec
	s_and_b64 s[8:9], s[22:23], exec
	s_or_b64 s[66:67], s[0:1], s[8:9]
	s_andn2_b64 s[0:1], s[64:65], exec
	s_and_b64 s[8:9], s[24:25], exec
	s_or_b64 s[64:65], s[0:1], s[8:9]
	;; [unrolled: 3-line block ×3, first 2 shown]
	s_orn2_b64 s[18:19], s[18:19], exec
.LBB123_29:                             ;   in Loop: Header=BB123_30 Depth=1
	s_or_b64 exec, exec, s[16:17]
	s_and_b64 s[0:1], exec, s[18:19]
	s_or_b64 s[86:87], s[0:1], s[86:87]
	s_andn2_b64 s[0:1], s[90:91], exec
	s_and_b64 s[8:9], s[66:67], exec
	s_or_b64 s[90:91], s[0:1], s[8:9]
	s_andn2_b64 s[0:1], s[92:93], exec
	s_and_b64 s[8:9], s[64:65], exec
	;; [unrolled: 3-line block ×3, first 2 shown]
	v_mov_b32_e32 v2, s74
	s_or_b64 s[88:89], s[0:1], s[8:9]
	s_andn2_b64 exec, exec, s[86:87]
	s_cbranch_execz .LBB123_267
.LBB123_30:                             ; =>This Loop Header: Depth=1
                                        ;     Child Loop BB123_38 Depth 2
                                        ;     Child Loop BB123_56 Depth 2
	;; [unrolled: 1-line block ×17, first 2 shown]
	ds_read_b64 v[2:3], v9 offset:4104
	s_waitcnt lgkmcnt(0)
	v_readfirstlane_b32 s69, v2
	s_cmp_lg_u32 s69, 0
	s_cbranch_scc1 .LBB123_63
; %bb.31:                               ;   in Loop: Header=BB123_30 Depth=1
	v_readlane_b32 s0, v50, 11
	v_readlane_b32 s1, v50, 12
	s_and_b64 vcc, exec, s[0:1]
	s_cbranch_vccz .LBB123_46
; %bb.32:                               ;   in Loop: Header=BB123_30 Depth=1
	s_movk_i32 s0, 0x301
	v_cmp_gt_u32_e32 vcc, s0, v3
	s_mov_b64 s[18:19], 0
	s_mov_b64 s[14:15], 0
	s_cbranch_vccz .LBB123_47
; %bb.33:                               ;   in Loop: Header=BB123_30 Depth=1
	v_mov_b32_e32 v2, 0
	s_and_saveexec_b64 s[14:15], s[54:55]
	s_cbranch_execz .LBB123_35
; %bb.34:                               ;   in Loop: Header=BB123_30 Depth=1
	global_load_dword v2, v[10:11], off
.LBB123_35:                             ;   in Loop: Header=BB123_30 Depth=1
	s_or_b64 exec, exec, s[14:15]
	s_and_saveexec_b64 s[20:21], s[54:55]
	s_cbranch_execz .LBB123_48
; %bb.36:                               ;   in Loop: Header=BB123_30 Depth=1
	v_readlane_b32 s0, v50, 15
	v_readlane_b32 s1, v50, 16
	s_mov_b64 s[22:23], 0
	s_nop 3
	global_load_ushort v3, v9, s[0:1]
	s_waitcnt vmcnt(0)
	v_add_u32_e32 v5, v0, v3
	v_mul_lo_u32 v4, s58, v3
	v_mul_lo_u32 v8, s58, v5
	v_mov_b32_e32 v5, v0
	s_branch .LBB123_38
.LBB123_37:                             ;   in Loop: Header=BB123_38 Depth=2
	s_or_b64 exec, exec, s[16:17]
	v_add_u32_e32 v8, v8, v4
	s_waitcnt vmcnt(0)
	v_mov_b32_e32 v2, v17
	s_andn2_b64 exec, exec, s[22:23]
	s_cbranch_execz .LBB123_48
.LBB123_38:                             ;   Parent Loop BB123_30 Depth=1
                                        ; =>  This Inner Loop Header: Depth=2
	v_add_u32_e32 v5, v5, v3
	v_cmp_gt_u32_e64 s[14:15], s56, v5
	v_cmp_le_u32_e32 vcc, s56, v5
	s_waitcnt lgkmcnt(0)
	v_mov_b32_e32 v18, 0
	v_mov_b32_e32 v17, 0
	s_and_saveexec_b64 s[16:17], s[14:15]
	s_cbranch_execz .LBB123_40
; %bb.39:                               ;   in Loop: Header=BB123_38 Depth=2
	v_lshlrev_b64 v[34:35], 2, v[8:9]
	v_add_co_u32_e64 v34, s[14:15], s62, v34
	v_addc_co_u32_e64 v35, s[14:15], v7, v35, s[14:15]
	global_load_dword v17, v[34:35], off
.LBB123_40:                             ;   in Loop: Header=BB123_38 Depth=2
	s_or_b64 exec, exec, s[16:17]
	v_cmp_lt_i32_e64 s[14:15], -1, v2
	v_cndmask_b32_e64 v34, -1, v32, s[14:15]
	v_xor_b32_e32 v34, v34, v2
	v_cmp_o_f32_e64 s[14:15], v2, v2
	v_cndmask_b32_e64 v34, -1, v34, s[14:15]
	v_and_b32_e32 v34, s13, v34
	v_cmp_eq_u32_e64 s[14:15], s74, v34
	s_cmp_lg_u64 s[14:15], 0
	s_cselect_b64 s[0:1], -1, 0
	s_and_b64 s[0:1], s[4:5], s[0:1]
	s_and_saveexec_b64 s[24:25], s[0:1]
	s_cbranch_execz .LBB123_44
; %bb.41:                               ;   in Loop: Header=BB123_38 Depth=2
	s_mov_b64 s[28:29], exec
	v_mbcnt_lo_u32_b32 v18, s28, 0
	v_mbcnt_hi_u32_b32 v18, s29, v18
	s_bcnt1_i32_b64 s0, s[14:15]
	v_cmp_eq_u32_e64 s[16:17], 0, v18
                                        ; implicit-def: $vgpr34
	s_and_saveexec_b64 s[26:27], s[16:17]
	s_cbranch_execz .LBB123_43
; %bb.42:                               ;   in Loop: Header=BB123_38 Depth=2
	s_bcnt1_i32_b64 s1, s[28:29]
	s_mul_i32 s1, s0, s1
	v_mov_b32_e32 v34, s1
	ds_add_rtn_u32 v34, v9, v34 offset:4112
.LBB123_43:                             ;   in Loop: Header=BB123_38 Depth=2
	s_or_b64 exec, exec, s[26:27]
	s_waitcnt lgkmcnt(0)
	v_readfirstlane_b32 s1, v34
	v_mov_b32_e32 v34, s1
	v_mad_u32_u24 v18, s0, v18, v34
.LBB123_44:                             ;   in Loop: Header=BB123_38 Depth=2
	s_or_b64 exec, exec, s[24:25]
	ds_bpermute_b32 v18, v23, v18
	s_and_b64 s[0:1], exec, vcc
	s_or_b64 s[22:23], s[0:1], s[22:23]
	s_and_saveexec_b64 s[16:17], s[14:15]
	s_cbranch_execz .LBB123_37
; %bb.45:                               ;   in Loop: Header=BB123_38 Depth=2
	v_and_b32_e32 v35, s14, v12
	v_and_b32_e32 v34, s15, v1
	v_bcnt_u32_b32 v35, v35, 0
	v_bcnt_u32_b32 v34, v34, v35
	v_lshlrev_b32_e32 v34, 2, v34
	s_waitcnt lgkmcnt(0)
	v_lshl_add_u32 v18, v18, 2, v34
	ds_write_b32 v18, v2
	s_branch .LBB123_37
.LBB123_46:                             ;   in Loop: Header=BB123_30 Depth=1
	s_mov_b64 s[14:15], 0
                                        ; implicit-def: $sgpr69
	s_cbranch_execnz .LBB123_51
	s_branch .LBB123_61
.LBB123_47:                             ;   in Loop: Header=BB123_30 Depth=1
	s_mov_b32 s69, 0
	s_and_b64 vcc, exec, s[18:19]
	s_cbranch_vccnz .LBB123_51
	s_branch .LBB123_61
.LBB123_48:                             ;   in Loop: Header=BB123_30 Depth=1
	s_or_b64 exec, exec, s[20:21]
	s_waitcnt lgkmcnt(0)
	s_barrier
	s_mov_b64 s[14:15], exec
	v_readlane_b32 s0, v50, 6
	v_readlane_b32 s1, v50, 7
	s_and_b64 s[0:1], s[14:15], s[0:1]
	s_mov_b64 exec, s[0:1]
	s_cbranch_execz .LBB123_50
; %bb.49:                               ;   in Loop: Header=BB123_30 Depth=1
	s_waitcnt vmcnt(0)
	ds_read_b32 v2, v9 offset:4112
	s_waitcnt lgkmcnt(0)
	ds_write_b32 v9, v2 offset:4104
.LBB123_50:                             ;   in Loop: Header=BB123_30 Depth=1
	s_or_b64 exec, exec, s[14:15]
	s_waitcnt lgkmcnt(0)
	s_barrier
	s_mov_b64 s[14:15], -1
	s_mov_b32 s69, 0
	s_and_b64 vcc, exec, s[18:19]
	s_cbranch_vccz .LBB123_61
.LBB123_51:                             ;   in Loop: Header=BB123_30 Depth=1
	s_waitcnt vmcnt(0)
	v_mov_b32_e32 v2, 0
	s_and_saveexec_b64 s[14:15], s[54:55]
	s_cbranch_execz .LBB123_53
; %bb.52:                               ;   in Loop: Header=BB123_30 Depth=1
	global_load_dword v2, v[10:11], off
.LBB123_53:                             ;   in Loop: Header=BB123_30 Depth=1
	s_or_b64 exec, exec, s[14:15]
	s_and_saveexec_b64 s[16:17], s[54:55]
	s_cbranch_execz .LBB123_58
; %bb.54:                               ;   in Loop: Header=BB123_30 Depth=1
	v_readlane_b32 s0, v50, 15
	v_readlane_b32 s1, v50, 16
	s_mov_b64 s[18:19], 0
	v_mov_b32_e32 v4, v20
	v_mov_b32_e32 v18, v0
	s_nop 1
	global_load_ushort v3, v9, s[0:1]
	s_waitcnt vmcnt(0)
	v_add_u32_e32 v8, v0, v3
	v_lshlrev_b32_e32 v5, 2, v3
	v_mul_lo_u32 v17, s58, v3
	v_mul_lo_u32 v8, s58, v8
	s_branch .LBB123_56
.LBB123_55:                             ;   in Loop: Header=BB123_56 Depth=2
	s_or_b64 exec, exec, s[20:21]
	s_and_b64 s[0:1], exec, vcc
	s_or_b64 s[18:19], s[0:1], s[18:19]
	ds_write_b32 v4, v2
	v_add_u32_e32 v4, v4, v5
	v_add_u32_e32 v8, v8, v17
	s_waitcnt vmcnt(0)
	v_mov_b32_e32 v2, v34
	s_andn2_b64 exec, exec, s[18:19]
	s_cbranch_execz .LBB123_58
.LBB123_56:                             ;   Parent Loop BB123_30 Depth=1
                                        ; =>  This Inner Loop Header: Depth=2
	v_add_u32_e32 v18, v18, v3
	v_cmp_gt_u32_e64 s[14:15], s56, v18
	v_cmp_le_u32_e32 vcc, s56, v18
	v_mov_b32_e32 v34, 0
	s_and_saveexec_b64 s[20:21], s[14:15]
	s_cbranch_execz .LBB123_55
; %bb.57:                               ;   in Loop: Header=BB123_56 Depth=2
	v_lshlrev_b64 v[34:35], 2, v[8:9]
	v_mov_b32_e32 v36, s60
	v_add_co_u32_e64 v34, s[14:15], s62, v34
	v_addc_co_u32_e64 v35, s[14:15], v36, v35, s[14:15]
	global_load_dword v34, v[34:35], off
	s_branch .LBB123_55
.LBB123_58:                             ;   in Loop: Header=BB123_30 Depth=1
	s_or_b64 exec, exec, s[16:17]
	s_waitcnt lgkmcnt(0)
	s_barrier
	s_mov_b64 s[14:15], exec
	v_readlane_b32 s0, v50, 6
	v_readlane_b32 s1, v50, 7
	s_and_b64 s[0:1], s[14:15], s[0:1]
	s_mov_b64 exec, s[0:1]
	s_cbranch_execz .LBB123_60
; %bb.59:                               ;   in Loop: Header=BB123_30 Depth=1
	s_waitcnt vmcnt(0)
	v_mov_b32_e32 v2, s56
	ds_write_b32 v9, v2 offset:4104
.LBB123_60:                             ;   in Loop: Header=BB123_30 Depth=1
	s_or_b64 exec, exec, s[14:15]
	s_mov_b64 s[14:15], -1
	s_waitcnt lgkmcnt(0)
	s_barrier
                                        ; implicit-def: $sgpr69
.LBB123_61:                             ;   in Loop: Header=BB123_30 Depth=1
	s_and_b64 vcc, exec, s[14:15]
	s_cbranch_vccz .LBB123_63
; %bb.62:                               ;   in Loop: Header=BB123_30 Depth=1
	s_waitcnt vmcnt(0)
	ds_read_b32 v2, v9 offset:4104
	s_waitcnt lgkmcnt(0)
	v_readfirstlane_b32 s69, v2
.LBB123_63:                             ;   in Loop: Header=BB123_30 Depth=1
	s_cmp_lt_i32 s69, 1
	s_cbranch_scc0 .LBB123_75
; %bb.64:                               ;   in Loop: Header=BB123_30 Depth=1
	s_waitcnt vmcnt(0)
	v_mov_b32_e32 v2, 0
	s_mov_b32 s48, 0
	v_mov_b32_e32 v3, 0
	v_mov_b32_e32 v4, v2
	;; [unrolled: 1-line block ×3, first 2 shown]
	s_mov_b64 s[44:45], exec
	v_readlane_b32 s0, v50, 31
	v_readlane_b32 s1, v50, 32
	s_and_b64 s[0:1], s[44:45], s[0:1]
	s_mov_b64 exec, s[0:1]
	s_cbranch_execz .LBB123_68
; %bb.65:                               ;   in Loop: Header=BB123_30 Depth=1
	s_mov_b32 s6, s36
	s_and_b32 s49, s3, 0xfe
	s_mov_b64 s[46:47], 0
	s_mov_b32 s50, 0
	s_mov_b32 s51, 0
	;; [unrolled: 1-line block ×4, first 2 shown]
	v_mov_b32_e32 v17, v20
.LBB123_66:                             ;   Parent Loop BB123_30 Depth=1
                                        ; =>  This Inner Loop Header: Depth=2
	v_add_u32_e32 v8, s48, v28
	v_lshlrev_b64 v[2:3], 2, v[8:9]
	v_mov_b32_e32 v18, s60
	v_add_u32_e32 v8, s48, v25
	v_add_co_u32_e64 v2, s[14:15], s62, v2
	v_lshlrev_b64 v[4:5], 2, v[8:9]
	v_addc_co_u32_e64 v3, s[14:15], v18, v3, s[14:15]
	v_add_u32_e32 v8, s48, v26
	global_load_dword v36, v[2:3], off
	v_add_co_u32_e64 v2, s[14:15], s62, v4
	v_lshlrev_b64 v[34:35], 2, v[8:9]
	v_add_u32_e32 v8, s48, v27
	v_addc_co_u32_e64 v3, s[14:15], v18, v5, s[14:15]
	v_lshlrev_b64 v[4:5], 2, v[8:9]
	global_load_dword v8, v[2:3], off
	v_add_co_u32_e64 v2, s[14:15], s62, v34
	v_addc_co_u32_e64 v3, s[14:15], v18, v35, s[14:15]
	global_load_dword v34, v[2:3], off
	v_add_co_u32_e64 v2, s[14:15], s62, v4
	v_addc_co_u32_e64 v3, s[14:15], v18, v5, s[14:15]
	global_load_dword v2, v[2:3], off
	v_add_u32_e32 v17, s77, v17
	v_cmp_le_u32_e32 vcc, s12, v17
	s_add_i32 s48, s48, s73
	s_waitcnt vmcnt(3)
	v_cmp_lt_i32_e64 s[14:15], -1, v36
	v_cndmask_b32_e64 v3, -1, v32, s[14:15]
	v_xor_b32_e32 v3, v3, v36
	s_waitcnt vmcnt(2)
	v_cmp_lt_i32_e64 s[14:15], -1, v8
	v_cndmask_b32_e64 v4, -1, v32, s[14:15]
	v_cmp_o_f32_e64 s[14:15], v36, v36
	v_cndmask_b32_e64 v3, -1, v3, s[14:15]
	v_xor_b32_e32 v4, v4, v8
	s_waitcnt vmcnt(1)
	v_cmp_lt_i32_e64 s[14:15], -1, v34
	v_cndmask_b32_e64 v5, -1, v32, s[14:15]
	v_cmp_o_f32_e64 s[14:15], v8, v8
	v_cndmask_b32_e64 v4, -1, v4, s[14:15]
	v_xor_b32_e32 v5, v5, v34
	s_waitcnt vmcnt(0)
	v_cmp_lt_i32_e64 s[14:15], -1, v2
	v_cndmask_b32_e64 v8, -1, v32, s[14:15]
	v_and_b32_e32 v18, s13, v3
	v_bfe_u32 v3, v3, s49, 2
	v_cmp_o_f32_e64 s[14:15], v34, v34
	v_cndmask_b32_e64 v5, -1, v5, s[14:15]
	v_cmp_eq_u32_e64 s[14:15], s74, v18
	v_cmp_eq_u32_e64 s[16:17], 0, v3
	v_and_b32_e32 v18, s13, v4
	v_bfe_u32 v4, v4, s49, 2
	v_cmp_eq_u32_e64 s[18:19], 1, v3
	s_and_b64 s[0:1], s[14:15], s[16:17]
	v_xor_b32_e32 v8, v8, v2
	v_cmp_eq_u32_e64 s[20:21], 2, v3
	v_cmp_o_f32_e64 s[24:25], v2, v2
	v_cmp_eq_u32_e64 s[26:27], 0, v4
	v_cmp_eq_u32_e64 s[28:29], 1, v4
	;; [unrolled: 1-line block ×4, first 2 shown]
	v_cndmask_b32_e64 v4, 0, 1, s[0:1]
	s_and_b64 s[0:1], s[14:15], s[18:19]
	v_cmp_eq_u32_e64 s[22:23], 3, v3
	v_cndmask_b32_e64 v2, -1, v8, s[24:25]
	v_cndmask_b32_e64 v8, 0, 1, s[0:1]
	s_and_b64 s[0:1], s[14:15], s[20:21]
	v_cmp_eq_u32_e64 s[24:25], s74, v18
	v_cndmask_b32_e64 v18, 0, 1, s[0:1]
	s_and_b64 s[0:1], s[14:15], s[22:23]
	v_cndmask_b32_e64 v34, 0, 1, s[0:1]
	s_and_b64 s[0:1], s[24:25], s[26:27]
	v_and_b32_e32 v3, s13, v5
	v_bfe_u32 v5, v5, s49, 2
	v_cmp_ne_u32_e64 s[36:37], 0, v4
	v_cndmask_b32_e64 v4, 0, 1, s[0:1]
	s_and_b64 s[0:1], s[24:25], s[28:29]
	v_cmp_eq_u32_e64 s[16:17], 0, v5
	v_cmp_eq_u32_e64 s[18:19], 1, v5
	;; [unrolled: 1-line block ×4, first 2 shown]
	v_cndmask_b32_e64 v5, 0, 1, s[0:1]
	s_and_b64 s[0:1], s[24:25], s[30:31]
	v_cmp_eq_u32_e64 s[14:15], s74, v3
	v_cmp_ne_u32_e64 s[26:27], 0, v8
	v_cndmask_b32_e64 v8, 0, 1, s[0:1]
	s_and_b64 s[0:1], s[24:25], s[34:35]
	v_and_b32_e32 v3, s13, v2
	v_bfe_u32 v2, v2, s49, 2
	v_cmp_ne_u32_e64 s[28:29], 0, v18
	v_cndmask_b32_e64 v18, 0, 1, s[0:1]
	s_and_b64 s[0:1], s[14:15], s[16:17]
	v_cmp_eq_u32_e64 s[34:35], 0, v2
	v_cmp_eq_u32_e64 s[38:39], 1, v2
	;; [unrolled: 1-line block ×4, first 2 shown]
	v_cndmask_b32_e64 v2, 0, 1, s[0:1]
	s_and_b64 s[0:1], s[14:15], s[18:19]
	v_cmp_eq_u32_e64 s[24:25], s74, v3
	v_cndmask_b32_e64 v3, 0, 1, s[0:1]
	s_and_b64 s[0:1], s[14:15], s[20:21]
	s_bcnt1_i32_b64 s8, s[36:37]
	v_cmp_ne_u32_e64 s[36:37], 0, v4
	v_cndmask_b32_e64 v4, 0, 1, s[0:1]
	s_and_b64 s[0:1], s[14:15], s[22:23]
	v_cmp_ne_u32_e64 s[16:17], 0, v5
	v_cndmask_b32_e64 v5, 0, 1, s[0:1]
	s_and_b64 s[0:1], s[24:25], s[34:35]
	;; [unrolled: 3-line block ×3, first 2 shown]
	v_cmp_ne_u32_e64 s[30:31], 0, v34
	v_cmp_ne_u32_e64 s[18:19], 0, v8
	s_bcnt1_i32_b64 s23, s[16:17]
	v_cmp_ne_u32_e64 s[16:17], 0, v3
	v_cndmask_b32_e64 v3, 0, 1, s[0:1]
	s_and_b64 s[0:1], s[24:25], s[40:41]
	s_bcnt1_i32_b64 s9, s[26:27]
	s_bcnt1_i32_b64 s26, s[28:29]
	;; [unrolled: 1-line block ×3, first 2 shown]
	v_cmp_ne_u32_e64 s[20:21], 0, v18
	s_bcnt1_i32_b64 s28, s[18:19]
	v_cmp_ne_u32_e64 s[18:19], 0, v4
	v_cndmask_b32_e64 v4, 0, 1, s[0:1]
	s_and_b64 s[0:1], s[24:25], s[42:43]
	s_bcnt1_i32_b64 s22, s[36:37]
	s_add_i32 s8, s53, s8
	s_add_i32 s9, s52, s9
	;; [unrolled: 1-line block ×3, first 2 shown]
	s_bcnt1_i32_b64 s29, s[20:21]
	v_cmp_ne_u32_e64 s[20:21], 0, v5
	v_cndmask_b32_e64 v5, 0, 1, s[0:1]
	s_add_i32 s0, s50, s27
	s_bcnt1_i32_b64 s1, s[14:15]
	v_cmp_ne_u32_e64 s[14:15], 0, v2
	s_add_i32 s8, s8, s22
	s_bcnt1_i32_b64 s22, s[16:17]
	v_cmp_ne_u32_e64 s[16:17], 0, v3
	;; [unrolled: 3-line block ×4, first 2 shown]
	s_add_i32 s0, s0, s29
	s_bcnt1_i32_b64 s14, s[14:15]
	s_add_i32 s1, s8, s1
	s_bcnt1_i32_b64 s8, s[16:17]
	;; [unrolled: 2-line block ×4, first 2 shown]
	s_add_i32 s0, s0, s25
	s_add_i32 s53, s1, s14
	;; [unrolled: 1-line block ×5, first 2 shown]
	s_or_b64 s[46:47], vcc, s[46:47]
	v_mov_b32_e32 v2, s53
	v_mov_b32_e32 v3, s52
	;; [unrolled: 1-line block ×4, first 2 shown]
	s_andn2_b64 exec, exec, s[46:47]
	s_cbranch_execnz .LBB123_66
; %bb.67:                               ;   in Loop: Header=BB123_30 Depth=1
	s_or_b64 exec, exec, s[46:47]
	s_mov_b32 s36, s6
.LBB123_68:                             ;   in Loop: Header=BB123_30 Depth=1
	s_or_b64 exec, exec, s[44:45]
	v_mov_b32_e32 v17, 0
	s_and_saveexec_b64 s[14:15], s[10:11]
	s_cbranch_execz .LBB123_70
; %bb.69:                               ;   in Loop: Header=BB123_30 Depth=1
	global_load_dword v17, v[14:15], off
.LBB123_70:                             ;   in Loop: Header=BB123_30 Depth=1
	s_or_b64 exec, exec, s[14:15]
	s_mov_b64 s[16:17], 0
	s_mov_b64 s[80:81], 0
	s_and_saveexec_b64 s[18:19], s[10:11]
	s_cbranch_execz .LBB123_77
; %bb.71:                               ;   in Loop: Header=BB123_30 Depth=1
	s_and_b32 s0, s3, 0xfe
	s_mov_b64 s[20:21], 0
	v_mov_b32_e32 v8, v29
	v_mov_b32_e32 v18, v24
	s_branch .LBB123_73
.LBB123_72:                             ;   in Loop: Header=BB123_73 Depth=2
	s_or_b64 exec, exec, s[22:23]
	s_and_b64 s[8:9], exec, vcc
	s_waitcnt vmcnt(0)
	v_cmp_lt_i32_e32 vcc, -1, v17
	v_cndmask_b32_e32 v35, -1, v32, vcc
	v_xor_b32_e32 v35, v35, v17
	v_cmp_o_f32_e32 vcc, v17, v17
	v_cndmask_b32_e32 v17, -1, v35, vcc
	v_and_b32_e32 v35, s13, v17
	v_bfe_u32 v17, v17, s0, 2
	s_or_b64 s[20:21], s[8:9], s[20:21]
	v_cmp_eq_u32_e32 vcc, s74, v35
	v_cmp_eq_u32_e64 s[14:15], 0, v17
	s_and_b64 s[8:9], vcc, s[14:15]
	v_cndmask_b32_e64 v35, 0, 1, s[8:9]
	v_cmp_ne_u32_e64 s[14:15], 0, v35
	s_bcnt1_i32_b64 s1, s[14:15]
	v_cmp_eq_u32_e64 s[14:15], 1, v17
	s_and_b64 s[8:9], vcc, s[14:15]
	v_cndmask_b32_e64 v35, 0, 1, s[8:9]
	v_cmp_ne_u32_e64 s[14:15], 0, v35
	v_add_u32_e32 v2, s1, v2
	s_bcnt1_i32_b64 s1, s[14:15]
	v_cmp_eq_u32_e64 s[14:15], 2, v17
	s_and_b64 s[8:9], vcc, s[14:15]
	v_cndmask_b32_e64 v35, 0, 1, s[8:9]
	v_cmp_ne_u32_e64 s[14:15], 0, v35
	v_add_u32_e32 v3, s1, v3
	s_bcnt1_i32_b64 s1, s[14:15]
	v_cmp_eq_u32_e64 s[14:15], 3, v17
	s_and_b64 s[8:9], vcc, s[14:15]
	v_cndmask_b32_e64 v17, 0, 1, s[8:9]
	v_cmp_ne_u32_e32 vcc, 0, v17
	v_add_u32_e32 v4, s1, v4
	s_bcnt1_i32_b64 s1, vcc
	v_add_u32_e32 v5, s1, v5
	v_add_u32_e32 v8, s76, v8
	v_mov_b32_e32 v17, v34
	s_andn2_b64 exec, exec, s[20:21]
	s_cbranch_execz .LBB123_76
.LBB123_73:                             ;   Parent Loop BB123_30 Depth=1
                                        ; =>  This Inner Loop Header: Depth=2
	v_add_u32_e32 v18, s59, v18
	v_cmp_gt_u32_e64 s[14:15], s56, v18
	v_cmp_le_u32_e32 vcc, s56, v18
	v_mov_b32_e32 v34, 0
	s_and_saveexec_b64 s[22:23], s[14:15]
	s_cbranch_execz .LBB123_72
; %bb.74:                               ;   in Loop: Header=BB123_73 Depth=2
	v_lshlrev_b64 v[34:35], 2, v[8:9]
	v_mov_b32_e32 v36, s60
	v_add_co_u32_e64 v34, s[14:15], s62, v34
	v_addc_co_u32_e64 v35, s[14:15], v36, v35, s[14:15]
	global_load_dword v34, v[34:35], off
	s_branch .LBB123_72
.LBB123_75:                             ;   in Loop: Header=BB123_30 Depth=1
	s_mov_b64 s[80:81], 0
                                        ; implicit-def: $vgpr5
	s_cbranch_execnz .LBB123_78
	s_branch .LBB123_87
.LBB123_76:                             ;   in Loop: Header=BB123_30 Depth=1
	s_or_b64 exec, exec, s[20:21]
	s_mov_b64 s[80:81], exec
.LBB123_77:                             ;   in Loop: Header=BB123_30 Depth=1
	s_or_b64 exec, exec, s[18:19]
	s_and_b64 vcc, exec, s[16:17]
	s_cbranch_vccz .LBB123_87
.LBB123_78:                             ;   in Loop: Header=BB123_30 Depth=1
	s_mul_hi_u32 s0, s69, s71
	s_mul_i32 s0, s0, s77
	s_sub_i32 s0, s69, s0
	s_sub_i32 s1, s0, s77
	s_cmp_ge_u32 s0, s77
	s_cselect_b32 s0, s1, s0
	s_sub_i32 s1, s0, s77
	s_cmp_ge_u32 s0, s77
	s_cselect_b32 s0, s1, s0
	s_sub_i32 s8, s69, s0
	v_cmp_gt_u32_e32 vcc, s8, v20
	s_mov_b32 s79, 0
	s_waitcnt vmcnt(0)
	v_mov_b32_e32 v2, 0
	v_mov_b32_e32 v3, 0
	;; [unrolled: 1-line block ×4, first 2 shown]
	s_and_saveexec_b64 s[82:83], vcc
	s_cbranch_execz .LBB123_82
; %bb.79:                               ;   in Loop: Header=BB123_30 Depth=1
	s_mov_b32 s70, s36
	s_mov_b64 s[6:7], s[54:55]
	s_and_b32 s9, s3, 0xfe
	s_mov_b64 s[84:85], 0
	v_mov_b32_e32 v8, v30
	s_mov_b32 s0, 0
	s_mov_b32 s1, 0
	;; [unrolled: 1-line block ×3, first 2 shown]
	v_mov_b32_e32 v17, v20
.LBB123_80:                             ;   Parent Loop BB123_30 Depth=1
                                        ; =>  This Inner Loop Header: Depth=2
	ds_read_b128 v[2:5], v8
	v_add_u32_e32 v17, s77, v17
	v_cmp_le_u32_e32 vcc, s8, v17
	v_add_u32_e32 v8, s2, v8
	s_waitcnt lgkmcnt(0)
	v_cmp_lt_i32_e64 s[14:15], -1, v2
	v_cndmask_b32_e64 v18, -1, v32, s[14:15]
	v_cmp_lt_i32_e64 s[14:15], -1, v3
	v_cndmask_b32_e64 v34, -1, v32, s[14:15]
	;; [unrolled: 2-line block ×4, first 2 shown]
	v_xor_b32_e32 v34, v34, v3
	v_cmp_o_f32_e64 s[14:15], v3, v3
	v_xor_b32_e32 v3, v35, v4
	v_cmp_o_f32_e64 s[16:17], v4, v4
	;; [unrolled: 2-line block ×4, first 2 shown]
	v_cndmask_b32_e64 v2, -1, v5, s[20:21]
	v_cndmask_b32_e64 v5, -1, v34, s[14:15]
	v_and_b32_e32 v18, s13, v2
	v_bfe_u32 v2, v2, s9, 2
	v_cndmask_b32_e64 v3, -1, v3, s[16:17]
	v_and_b32_e32 v34, s13, v5
	v_bfe_u32 v5, v5, s9, 2
	v_cmp_eq_u32_e64 s[14:15], s74, v18
	v_cmp_eq_u32_e64 s[22:23], 0, v2
	v_cndmask_b32_e64 v4, -1, v4, s[18:19]
	v_and_b32_e32 v35, s13, v3
	v_bfe_u32 v3, v3, s9, 2
	v_cmp_eq_u32_e64 s[16:17], s74, v34
	v_cmp_eq_u32_e64 s[24:25], 0, v5
	s_and_b64 s[22:23], s[14:15], s[22:23]
	v_and_b32_e32 v36, s13, v4
	v_bfe_u32 v4, v4, s9, 2
	v_cmp_eq_u32_e64 s[18:19], s74, v35
	v_cmp_eq_u32_e64 s[26:27], 0, v3
	;; [unrolled: 1-line block ×5, first 2 shown]
	v_cndmask_b32_e64 v2, 0, 1, s[22:23]
	s_and_b64 s[22:23], s[16:17], s[24:25]
	v_cmp_eq_u32_e64 s[20:21], s74, v36
	v_cmp_eq_u32_e64 s[28:29], 0, v4
	;; [unrolled: 1-line block ×5, first 2 shown]
	v_cndmask_b32_e64 v3, 0, 1, s[22:23]
	s_and_b64 s[22:23], s[18:19], s[26:27]
	v_cmp_eq_u32_e64 s[38:39], 1, v4
	v_cmp_eq_u32_e64 s[46:47], 2, v4
	;; [unrolled: 1-line block ×3, first 2 shown]
	v_cndmask_b32_e64 v4, 0, 1, s[22:23]
	s_and_b64 s[22:23], s[20:21], s[28:29]
	v_cmp_eq_u32_e64 s[34:35], 1, v5
	v_cmp_eq_u32_e64 s[42:43], 2, v5
	;; [unrolled: 1-line block ×3, first 2 shown]
	v_cndmask_b32_e64 v5, 0, 1, s[22:23]
	s_and_b64 s[22:23], s[14:15], s[30:31]
	v_cndmask_b32_e64 v18, 0, 1, s[22:23]
	s_and_b64 s[22:23], s[16:17], s[34:35]
	;; [unrolled: 2-line block ×5, first 2 shown]
	s_and_b64 s[14:15], s[14:15], s[48:49]
	v_cndmask_b32_e64 v37, 0, 1, s[22:23]
	s_and_b64 s[22:23], s[16:17], s[42:43]
	v_cndmask_b32_e64 v41, 0, 1, s[14:15]
	;; [unrolled: 2-line block ×7, first 2 shown]
	v_cndmask_b32_e64 v44, 0, 1, s[14:15]
	v_cmp_ne_u32_e64 s[14:15], 0, v2
	v_cmp_ne_u32_e64 s[16:17], 0, v3
	;; [unrolled: 1-line block ×11, first 2 shown]
	s_bcnt1_i32_b64 s14, s[14:15]
	s_bcnt1_i32_b64 s15, s[16:17]
	;; [unrolled: 1-line block ×8, first 2 shown]
	v_cmp_ne_u32_e64 s[28:29], 0, v36
	v_cmp_ne_u32_e64 s[36:37], 0, v39
	;; [unrolled: 1-line block ×3, first 2 shown]
	s_bcnt1_i32_b64 s19, s[24:25]
	s_bcnt1_i32_b64 s23, s[34:35]
	;; [unrolled: 1-line block ×3, first 2 shown]
	s_add_i32 s14, s68, s14
	s_add_i32 s1, s1, s18
	;; [unrolled: 1-line block ×4, first 2 shown]
	v_cmp_ne_u32_e64 s[38:39], 0, v40
	v_cmp_ne_u32_e64 s[46:47], 0, v44
	s_bcnt1_i32_b64 s21, s[28:29]
	s_bcnt1_i32_b64 s24, s[36:37]
	;; [unrolled: 1-line block ×3, first 2 shown]
	s_add_i32 s14, s14, s15
	s_add_i32 s1, s1, s19
	;; [unrolled: 1-line block ×4, first 2 shown]
	s_bcnt1_i32_b64 s25, s[38:39]
	s_bcnt1_i32_b64 s29, s[46:47]
	s_add_i32 s14, s14, s16
	s_add_i32 s1, s1, s20
	;; [unrolled: 1-line block ×8, first 2 shown]
	s_or_b64 s[84:85], vcc, s[84:85]
	v_mov_b32_e32 v2, s68
	v_mov_b32_e32 v3, s1
	;; [unrolled: 1-line block ×4, first 2 shown]
	s_andn2_b64 exec, exec, s[84:85]
	s_cbranch_execnz .LBB123_80
; %bb.81:                               ;   in Loop: Header=BB123_30 Depth=1
	s_or_b64 exec, exec, s[84:85]
	s_mov_b64 s[54:55], s[6:7]
	s_mov_b32 s36, s70
.LBB123_82:                             ;   in Loop: Header=BB123_30 Depth=1
	s_or_b64 exec, exec, s[82:83]
	v_add_u32_e32 v8, s8, v0
	v_cmp_gt_u32_e32 vcc, s69, v8
	s_and_saveexec_b64 s[24:25], vcc
	s_cbranch_execz .LBB123_86
; %bb.83:                               ;   in Loop: Header=BB123_30 Depth=1
	s_and_b32 s0, s3, 0xfe
	v_lshlrev_b32_e32 v17, 2, v8
	s_mov_b64 s[26:27], 0
.LBB123_84:                             ;   Parent Loop BB123_30 Depth=1
                                        ; =>  This Inner Loop Header: Depth=2
	ds_read_b32 v18, v17
	v_add_u32_e32 v8, s59, v8
	v_cmp_le_u32_e32 vcc, s69, v8
	v_add_u32_e32 v17, s77, v17
	s_waitcnt lgkmcnt(0)
	v_cmp_lt_i32_e64 s[14:15], -1, v18
	v_cndmask_b32_e64 v34, -1, v32, s[14:15]
	v_xor_b32_e32 v34, v34, v18
	v_cmp_o_f32_e64 s[14:15], v18, v18
	v_cndmask_b32_e64 v18, -1, v34, s[14:15]
	v_and_b32_e32 v34, s13, v18
	v_bfe_u32 v18, v18, s0, 2
	v_cmp_eq_u32_e64 s[14:15], s74, v34
	v_cmp_eq_u32_e64 s[16:17], 0, v18
	;; [unrolled: 1-line block ×3, first 2 shown]
	s_and_b64 s[8:9], s[14:15], s[16:17]
	v_cmp_eq_u32_e64 s[20:21], 2, v18
	v_cmp_eq_u32_e64 s[22:23], 3, v18
	v_cndmask_b32_e64 v18, 0, 1, s[8:9]
	s_and_b64 s[8:9], s[14:15], s[18:19]
	v_cndmask_b32_e64 v34, 0, 1, s[8:9]
	s_and_b64 s[8:9], s[14:15], s[20:21]
	;; [unrolled: 2-line block ×3, first 2 shown]
	v_cndmask_b32_e64 v36, 0, 1, s[8:9]
	v_cmp_ne_u32_e64 s[14:15], 0, v18
	v_cmp_ne_u32_e64 s[16:17], 0, v34
	v_cmp_ne_u32_e64 s[18:19], 0, v35
	v_cmp_ne_u32_e64 s[20:21], 0, v36
	s_bcnt1_i32_b64 s1, s[14:15]
	s_bcnt1_i32_b64 s8, s[16:17]
	;; [unrolled: 1-line block ×4, first 2 shown]
	v_add_u32_e32 v2, s1, v2
	v_add_u32_e32 v3, s8, v3
	;; [unrolled: 1-line block ×3, first 2 shown]
	s_or_b64 s[26:27], vcc, s[26:27]
	v_add_u32_e32 v5, s14, v5
	s_andn2_b64 exec, exec, s[26:27]
	s_cbranch_execnz .LBB123_84
; %bb.85:                               ;   in Loop: Header=BB123_30 Depth=1
	s_or_b64 exec, exec, s[26:27]
	s_or_b64 s[80:81], s[80:81], exec
.LBB123_86:                             ;   in Loop: Header=BB123_30 Depth=1
	s_or_b64 exec, exec, s[24:25]
.LBB123_87:                             ;   in Loop: Header=BB123_30 Depth=1
	s_and_saveexec_b64 s[14:15], s[80:81]
	s_or_b64 exec, exec, s[14:15]
	s_lshl_b32 s0, s78, 6
	s_and_saveexec_b64 s[14:15], s[4:5]
	s_cbranch_execz .LBB123_89
; %bb.88:                               ;   in Loop: Header=BB123_30 Depth=1
	v_or_b32_e32 v8, s0, v22
	v_lshlrev_b32_e32 v8, 2, v8
	s_waitcnt vmcnt(0)
	ds_write_b128 v8, v[2:5] offset:3072
.LBB123_89:                             ;   in Loop: Header=BB123_30 Depth=1
	s_or_b64 exec, exec, s[14:15]
	v_readlane_b32 s6, v50, 8
	v_readlane_b32 s7, v50, 9
	s_waitcnt lgkmcnt(0)
	s_barrier
	s_and_saveexec_b64 s[14:15], s[6:7]
	s_cbranch_execz .LBB123_103
; %bb.90:                               ;   in Loop: Header=BB123_30 Depth=1
	v_readlane_b32 s6, v50, 13
	v_readlane_b32 s7, v50, 14
	v_add_u32_e32 v4, s0, v13
	s_andn2_b64 vcc, exec, s[6:7]
	s_waitcnt vmcnt(0)
	v_mov_b32_e32 v2, 0
	s_cbranch_vccnz .LBB123_102
; %bb.91:                               ;   in Loop: Header=BB123_30 Depth=1
	v_readlane_b32 s6, v50, 17
	v_readlane_b32 s7, v50, 18
	s_mov_b32 s1, 0
	s_and_b64 vcc, exec, s[6:7]
	v_mov_b32_e32 v2, 0
	s_cbranch_vccz .LBB123_95
; %bb.92:                               ;   in Loop: Header=BB123_30 Depth=1
	v_readlane_b32 s6, v50, 21
	v_readlane_b32 s7, v50, 22
	v_lshl_add_u32 v5, v4, 2, v33
	s_andn2_b64 vcc, exec, s[6:7]
	s_cbranch_vccnz .LBB123_96
; %bb.93:                               ;   in Loop: Header=BB123_30 Depth=1
	s_mov_b32 s17, 1
	s_mov_b32 s16, 0
	v_mov_b32_e32 v2, 0
	v_readlane_b32 s1, v50, 23
	v_mov_b32_e32 v3, 0
.LBB123_94:                             ;   Parent Loop BB123_30 Depth=1
                                        ; =>  This Inner Loop Header: Depth=2
	v_lshl_add_u32 v8, s16, 4, v5
	v_lshl_add_u32 v17, s17, 4, v5
	ds_read2_b32 v[34:35], v8 offset1:8
	ds_read2_b32 v[36:37], v17 offset1:8
	ds_read2_b32 v[38:39], v8 offset0:16 offset1:24
	ds_read2_b32 v[40:41], v17 offset0:16 offset1:24
	ds_read2_b32 v[42:43], v8 offset0:32 offset1:40
	ds_read2_b32 v[44:45], v17 offset0:32 offset1:40
	ds_read2_b32 v[46:47], v8 offset0:48 offset1:56
	ds_read2_b32 v[48:49], v17 offset0:48 offset1:56
	s_waitcnt lgkmcnt(7)
	v_add3_u32 v2, v34, v2, v35
	s_waitcnt lgkmcnt(6)
	v_add3_u32 v3, v36, v3, v37
	;; [unrolled: 2-line block ×3, first 2 shown]
	v_add3_u32 v2, v38, v2, v39
	s_add_i32 s17, s17, 16
	s_add_i32 s16, s16, 16
	s_add_i32 s1, s1, -8
	s_waitcnt lgkmcnt(3)
	v_add3_u32 v2, v42, v2, v43
	s_waitcnt lgkmcnt(2)
	v_add3_u32 v3, v44, v3, v45
	s_cmp_lg_u32 s1, 0
	s_waitcnt lgkmcnt(0)
	v_add3_u32 v3, v48, v3, v49
	v_add3_u32 v2, v46, v2, v47
	s_cbranch_scc1 .LBB123_94
	s_branch .LBB123_97
.LBB123_95:                             ;   in Loop: Header=BB123_30 Depth=1
	s_cbranch_execnz .LBB123_100
	s_branch .LBB123_102
.LBB123_96:                             ;   in Loop: Header=BB123_30 Depth=1
	s_mov_b32 s37, s36
	v_pk_mov_b32 v[2:3], s[36:37], s[36:37] op_sel:[0,1]
	s_mov_b32 s37, 1
	s_mov_b64 s[16:17], s[36:37]
.LBB123_97:                             ;   in Loop: Header=BB123_30 Depth=1
	v_readlane_b32 s6, v50, 25
	v_readlane_b32 s7, v50, 26
	s_andn2_b64 vcc, exec, s[6:7]
	v_readlane_b32 s1, v50, 24
	s_cbranch_vccnz .LBB123_99
.LBB123_98:                             ;   Parent Loop BB123_30 Depth=1
                                        ; =>  This Inner Loop Header: Depth=2
	v_lshl_add_u32 v8, s16, 4, v5
	v_lshl_add_u32 v17, s17, 4, v5
	ds_read_b32 v17, v17
	ds_read_b32 v8, v8
	s_add_i32 s17, s17, 2
	s_add_i32 s16, s16, 2
	s_add_i32 s1, s1, -1
	s_cmp_lg_u32 s1, 0
	s_waitcnt lgkmcnt(1)
	v_add_u32_e32 v3, v17, v3
	s_waitcnt lgkmcnt(0)
	v_add_u32_e32 v2, v8, v2
	s_cbranch_scc1 .LBB123_98
.LBB123_99:                             ;   in Loop: Header=BB123_30 Depth=1
	v_readlane_b32 s16, v50, 29
	v_add_u32_e32 v2, v2, v3
	v_readlane_b32 s1, v50, 28
	v_readlane_b32 s17, v50, 30
	s_and_b64 vcc, exec, s[16:17]
	s_cbranch_vccz .LBB123_102
.LBB123_100:                            ;   in Loop: Header=BB123_30 Depth=1
	s_lshl_b32 s8, s78, 8
	s_lshl_b32 s9, s1, 4
	s_add_i32 s8, s8, s9
	v_readlane_b32 s6, v50, 27
	v_add_u32_e32 v3, s8, v31
	s_sub_i32 s1, s6, s1
.LBB123_101:                            ;   Parent Loop BB123_30 Depth=1
                                        ; =>  This Inner Loop Header: Depth=2
	ds_read_b32 v5, v3
	s_add_i32 s1, s1, -1
	v_add_u32_e32 v3, 16, v3
	s_cmp_eq_u32 s1, 0
	s_waitcnt lgkmcnt(0)
	v_add_u32_e32 v2, v5, v2
	s_cbranch_scc0 .LBB123_101
.LBB123_102:                            ;   in Loop: Header=BB123_30 Depth=1
	v_lshlrev_b32_e32 v3, 2, v4
	ds_write_b32 v3, v2 offset:3072
.LBB123_103:                            ;   in Loop: Header=BB123_30 Depth=1
	s_or_b64 exec, exec, s[14:15]
	s_lshl_b32 s0, s0, 2
	s_waitcnt vmcnt(0)
	v_mov_b32_e32 v2, s0
	s_waitcnt lgkmcnt(0)
	s_barrier
	ds_read_b128 v[2:5], v2 offset:3072
	s_and_b32 s43, s3, 0xfe
	s_lshl_b32 s51, 3, s43
	s_not_b32 s44, s51
	s_mov_b64 s[18:19], -1
	s_waitcnt lgkmcnt(0)
	v_readfirstlane_b32 s28, v2
	s_cmp_eq_u32 s28, 1
	s_cselect_b64 s[0:1], -1, 0
	s_cmp_eq_u32 s75, 1
	s_cselect_b64 s[8:9], -1, 0
	s_and_b64 s[20:21], s[0:1], s[8:9]
	v_readfirstlane_b32 s34, v3
	v_readfirstlane_b32 s42, v4
	;; [unrolled: 1-line block ×3, first 2 shown]
	s_and_b64 vcc, exec, s[20:21]
	s_cbranch_vccz .LBB123_115
; %bb.104:                              ;   in Loop: Header=BB123_30 Depth=1
	ds_read_b32 v2, v9 offset:4104
	v_readlane_b32 s6, v50, 19
	v_readlane_b32 s7, v50, 20
	s_waitcnt lgkmcnt(0)
	s_barrier
	v_readfirstlane_b32 s0, v2
	s_and_saveexec_b64 s[14:15], s[6:7]
	s_cbranch_execz .LBB123_106
; %bb.105:                              ;   in Loop: Header=BB123_30 Depth=1
	ds_write_b32 v21, v9
.LBB123_106:                            ;   in Loop: Header=BB123_30 Depth=1
	s_or_b64 exec, exec, s[14:15]
	s_and_b32 s74, s74, s44
	s_or_b32 s13, s13, s51
	s_cmp_eq_u32 s0, 0
	s_waitcnt lgkmcnt(0)
	s_barrier
	s_cbranch_scc1 .LBB123_116
; %bb.107:                              ;   in Loop: Header=BB123_30 Depth=1
	v_readlane_b32 s1, v50, 10
	s_add_i32 s1, s0, s1
	v_readlane_b32 s6, v50, 33
	s_mul_hi_u32 s8, s1, s6
	s_mul_i32 s8, s8, s59
	s_sub_i32 s8, s1, s8
	s_sub_i32 s9, s8, s59
	s_cmp_ge_u32 s8, s59
	s_cselect_b32 s8, s9, s8
	s_sub_i32 s9, s8, s59
	s_cmp_ge_u32 s8, s59
	s_cselect_b32 s8, s9, s8
	s_sub_i32 s1, s1, s8
	v_cmp_gt_u32_e32 vcc, s1, v0
	s_mov_b64 s[14:15], 0
                                        ; implicit-def: $vgpr19
	s_and_saveexec_b64 s[16:17], vcc
	s_cbranch_execz .LBB123_118
; %bb.108:                              ;   in Loop: Header=BB123_30 Depth=1
	s_mov_b64 s[22:23], 0
	v_mov_b32_e32 v2, v20
	v_mov_b32_e32 v3, v0
                                        ; implicit-def: $sgpr24_sgpr25
	s_branch .LBB123_110
.LBB123_109:                            ;   in Loop: Header=BB123_110 Depth=2
	s_or_b64 exec, exec, s[14:15]
	s_waitcnt lgkmcnt(0)
	s_barrier
	ds_read_b64 v[18:19], v9 offset:3072
	v_add_u32_e32 v3, s59, v3
	v_cmp_le_u32_e64 s[14:15], s1, v3
	v_add_u32_e32 v2, s77, v2
	s_waitcnt lgkmcnt(0)
	v_cmp_neq_f32_e32 vcc, 0, v18
	s_or_b64 s[8:9], s[14:15], vcc
	s_and_b64 s[8:9], exec, s[8:9]
	s_or_b64 s[22:23], s[8:9], s[22:23]
	s_andn2_b64 s[8:9], s[24:25], exec
	s_and_b64 s[14:15], vcc, exec
	s_or_b64 s[24:25], s[8:9], s[14:15]
	s_barrier
	s_andn2_b64 exec, exec, s[22:23]
	s_cbranch_execz .LBB123_117
.LBB123_110:                            ;   Parent Loop BB123_30 Depth=1
                                        ; =>  This Inner Loop Header: Depth=2
	v_cmp_gt_u32_e32 vcc, s0, v3
	v_mov_b32_e32 v17, 0
	s_and_saveexec_b64 s[14:15], vcc
	s_cbranch_execz .LBB123_112
; %bb.111:                              ;   in Loop: Header=BB123_110 Depth=2
	ds_read_b32 v17, v2
.LBB123_112:                            ;   in Loop: Header=BB123_110 Depth=2
	s_or_b64 exec, exec, s[14:15]
	s_and_saveexec_b64 s[14:15], vcc
	s_cbranch_execz .LBB123_109
; %bb.113:                              ;   in Loop: Header=BB123_110 Depth=2
	s_waitcnt lgkmcnt(0)
	v_cmp_lt_i32_e32 vcc, -1, v17
	v_cndmask_b32_e32 v4, -1, v32, vcc
	v_xor_b32_e32 v4, v4, v17
	v_cmp_o_f32_e32 vcc, v17, v17
	v_cndmask_b32_e32 v4, -1, v4, vcc
	v_and_b32_e32 v4, s13, v4
	v_cmp_eq_u32_e32 vcc, s74, v4
	s_and_b64 exec, exec, vcc
	s_cbranch_execz .LBB123_109
; %bb.114:                              ;   in Loop: Header=BB123_110 Depth=2
	ds_write_b64 v9, v[16:17] offset:3072
	s_branch .LBB123_109
.LBB123_115:                            ;   in Loop: Header=BB123_30 Depth=1
	s_mov_b64 s[14:15], -1
                                        ; implicit-def: $sgpr16_sgpr17
                                        ; implicit-def: $sgpr24_sgpr25
                                        ; implicit-def: $sgpr22_sgpr23
	s_branch .LBB123_129
.LBB123_116:                            ;   in Loop: Header=BB123_30 Depth=1
	s_mov_b64 s[16:17], -1
	s_mov_b64 s[14:15], 0
                                        ; implicit-def: $sgpr22_sgpr23
                                        ; implicit-def: $vgpr19
	s_mov_b64 s[24:25], s[16:17]
	s_cbranch_execnz .LBB123_119
	s_branch .LBB123_129
.LBB123_117:                            ;   in Loop: Header=BB123_30 Depth=1
	s_or_b64 exec, exec, s[22:23]
	s_and_b64 s[14:15], s[24:25], exec
.LBB123_118:                            ;   in Loop: Header=BB123_30 Depth=1
	s_or_b64 exec, exec, s[16:17]
	s_mov_b64 s[22:23], -1
	s_mov_b64 s[16:17], 0
	s_mov_b64 s[24:25], s[16:17]
	s_branch .LBB123_129
.LBB123_119:                            ;   in Loop: Header=BB123_30 Depth=1
	s_mov_b64 s[14:15], 0
                                        ; implicit-def: $vgpr19
	s_mov_b64 s[16:17], exec
	v_readlane_b32 s0, v50, 34
	v_readlane_b32 s1, v50, 35
	s_and_b64 s[0:1], s[16:17], s[0:1]
	s_mov_b64 exec, s[0:1]
	s_cbranch_execz .LBB123_128
; %bb.120:                              ;   in Loop: Header=BB123_30 Depth=1
	s_mov_b64 s[22:23], 0
	v_mov_b32_e32 v8, v6
	v_mov_b32_e32 v2, v0
                                        ; implicit-def: $sgpr24_sgpr25
	s_branch .LBB123_122
.LBB123_121:                            ;   in Loop: Header=BB123_122 Depth=2
	s_or_b64 exec, exec, s[14:15]
	s_waitcnt lgkmcnt(0)
	s_barrier
	ds_read_b64 v[18:19], v9 offset:3072
	v_add_u32_e32 v2, s59, v2
	v_cmp_le_u32_e64 s[14:15], s72, v2
	v_add_u32_e32 v8, s76, v8
	s_waitcnt lgkmcnt(0)
	v_cmp_neq_f32_e32 vcc, 0, v18
	s_or_b64 s[0:1], s[14:15], vcc
	s_and_b64 s[0:1], exec, s[0:1]
	s_or_b64 s[22:23], s[0:1], s[22:23]
	s_andn2_b64 s[0:1], s[24:25], exec
	s_and_b64 s[8:9], vcc, exec
	s_or_b64 s[24:25], s[0:1], s[8:9]
	s_barrier
	s_andn2_b64 exec, exec, s[22:23]
	s_cbranch_execz .LBB123_127
.LBB123_122:                            ;   Parent Loop BB123_30 Depth=1
                                        ; =>  This Inner Loop Header: Depth=2
	v_cmp_gt_u32_e32 vcc, s56, v2
	s_waitcnt vmcnt(0)
	v_mov_b32_e32 v17, 0
	s_and_saveexec_b64 s[26:27], vcc
	s_cbranch_execz .LBB123_124
; %bb.123:                              ;   in Loop: Header=BB123_122 Depth=2
	v_lshlrev_b64 v[4:5], 2, v[8:9]
	v_mov_b32_e32 v3, s60
	v_add_co_u32_e64 v4, s[14:15], s62, v4
	v_addc_co_u32_e64 v5, s[14:15], v3, v5, s[14:15]
	global_load_dword v17, v[4:5], off
.LBB123_124:                            ;   in Loop: Header=BB123_122 Depth=2
	s_or_b64 exec, exec, s[26:27]
	s_and_saveexec_b64 s[14:15], vcc
	s_cbranch_execz .LBB123_121
; %bb.125:                              ;   in Loop: Header=BB123_122 Depth=2
	s_waitcnt vmcnt(0)
	v_cmp_lt_i32_e32 vcc, -1, v17
	v_cndmask_b32_e32 v3, -1, v32, vcc
	v_xor_b32_e32 v3, v3, v17
	v_cmp_o_f32_e32 vcc, v17, v17
	v_cndmask_b32_e32 v3, -1, v3, vcc
	v_and_b32_e32 v3, s13, v3
	v_cmp_eq_u32_e32 vcc, s74, v3
	s_and_b64 exec, exec, vcc
	s_cbranch_execz .LBB123_121
; %bb.126:                              ;   in Loop: Header=BB123_122 Depth=2
	ds_write_b64 v9, v[16:17] offset:3072
	s_branch .LBB123_121
.LBB123_127:                            ;   in Loop: Header=BB123_30 Depth=1
	s_or_b64 exec, exec, s[22:23]
	s_and_b64 s[14:15], s[24:25], exec
.LBB123_128:                            ;   in Loop: Header=BB123_30 Depth=1
	s_or_b64 exec, exec, s[16:17]
	s_mov_b64 s[24:25], -1
	s_mov_b64 s[16:17], 0
	s_mov_b64 s[22:23], 0
.LBB123_129:                            ;   in Loop: Header=BB123_30 Depth=1
	s_andn2_b64 s[0:1], s[66:67], exec
	s_and_b64 s[8:9], s[16:17], exec
	s_or_b64 s[66:67], s[0:1], s[8:9]
	s_andn2_b64 s[0:1], s[64:65], exec
	s_and_b64 s[8:9], s[24:25], exec
	s_or_b64 s[64:65], s[0:1], s[8:9]
	;; [unrolled: 3-line block ×3, first 2 shown]
	s_and_saveexec_b64 s[16:17], s[14:15]
	s_cbranch_execz .LBB123_29
; %bb.130:                              ;   in Loop: Header=BB123_30 Depth=1
	s_xor_b64 s[0:1], s[20:21], -1
	s_mov_b64 s[14:15], 0
	s_andn2_b64 vcc, exec, s[0:1]
	s_mov_b32 s35, 1
	s_cbranch_vccnz .LBB123_141
; %bb.131:                              ;   in Loop: Header=BB123_30 Depth=1
	s_cmp_gt_u32 s75, s28
	s_mov_b64 s[14:15], -1
                                        ; implicit-def: $sgpr53
                                        ; implicit-def: $sgpr0
                                        ; implicit-def: $sgpr1
	s_cbranch_scc1 .LBB123_137
; %bb.132:                              ;   in Loop: Header=BB123_30 Depth=1
	ds_read_b32 v2, v9 offset:4104
	s_waitcnt lgkmcnt(0)
	v_cmp_ne_u32_e32 vcc, 0, v2
	s_cbranch_vccnz .LBB123_136
; %bb.133:                              ;   in Loop: Header=BB123_30 Depth=1
	s_mov_b64 s[14:15], exec
	v_readlane_b32 s0, v50, 6
	v_readlane_b32 s1, v50, 7
	s_and_b64 s[0:1], s[14:15], s[0:1]
	s_mov_b64 exec, s[0:1]
	s_cbranch_execz .LBB123_135
; %bb.134:                              ;   in Loop: Header=BB123_30 Depth=1
	v_mov_b32_e32 v2, s28
	ds_write_b32 v9, v2 offset:4108
.LBB123_135:                            ;   in Loop: Header=BB123_30 Depth=1
	s_or_b64 exec, exec, s[14:15]
	s_waitcnt lgkmcnt(0)
	s_barrier
.LBB123_136:                            ;   in Loop: Header=BB123_30 Depth=1
	s_and_b32 s0, s74, s44
	s_or_b32 s1, s13, s51
	s_mov_b64 s[14:15], 0
	s_mov_b32 s53, 8
.LBB123_137:                            ;   in Loop: Header=BB123_30 Depth=1
	s_andn2_b64 vcc, exec, s[14:15]
	s_cbranch_vccnz .LBB123_139
; %bb.138:                              ;   in Loop: Header=BB123_30 Depth=1
	s_sub_i32 s75, s75, s28
	s_mov_b64 s[14:15], -1
	s_mov_b32 s53, 0
	s_mov_b32 s0, s74
	;; [unrolled: 1-line block ×3, first 2 shown]
.LBB123_139:                            ;   in Loop: Header=BB123_30 Depth=1
	s_mov_b32 s13, s1
	s_mov_b32 s74, s0
	;; [unrolled: 1-line block ×3, first 2 shown]
	s_mov_b64 s[18:19], -1
	s_and_b64 vcc, exec, s[14:15]
	s_cbranch_vccnz .LBB123_142
.LBB123_140:                            ;   in Loop: Header=BB123_30 Depth=1
	s_mov_b64 s[30:31], -1
                                        ; implicit-def: $sgpr20_sgpr21
                                        ; implicit-def: $sgpr24_sgpr25
                                        ; implicit-def: $sgpr22_sgpr23
                                        ; implicit-def: $sgpr75
	s_and_saveexec_b64 s[0:1], s[30:31]
	s_xor_b64 s[14:15], exec, s[0:1]
	s_cbranch_execz .LBB123_28
	s_branch .LBB123_265
.LBB123_141:                            ;   in Loop: Header=BB123_30 Depth=1
	s_mov_b32 s53, 1
	s_mov_b64 s[18:19], -1
	s_and_b64 vcc, exec, s[14:15]
	s_cbranch_vccz .LBB123_140
.LBB123_142:                            ;   in Loop: Header=BB123_30 Depth=1
	s_cmp_eq_u32 s34, 1
	s_cselect_b64 s[0:1], -1, 0
	s_cmp_eq_u32 s35, 1
	s_cselect_b64 s[8:9], -1, 0
	s_and_b64 s[28:29], s[0:1], s[8:9]
	s_mov_b64 s[14:15], -1
	s_and_b64 vcc, exec, s[28:29]
	s_cbranch_vccz .LBB123_154
; %bb.143:                              ;   in Loop: Header=BB123_30 Depth=1
	ds_read_b32 v2, v9 offset:4104
	v_readlane_b32 s6, v50, 19
	v_readlane_b32 s7, v50, 20
	s_waitcnt lgkmcnt(0)
	s_barrier
	v_readfirstlane_b32 s0, v2
	s_and_saveexec_b64 s[14:15], s[6:7]
	s_cbranch_execz .LBB123_145
; %bb.144:                              ;   in Loop: Header=BB123_30 Depth=1
	ds_write_b32 v21, v9
.LBB123_145:                            ;   in Loop: Header=BB123_30 Depth=1
	s_or_b64 exec, exec, s[14:15]
	s_lshl_b32 s1, 1, s43
	s_and_b32 s8, s74, s44
	s_or_b32 s74, s8, s1
	s_or_b32 s13, s13, s51
	s_cmp_eq_u32 s0, 0
	s_waitcnt lgkmcnt(0)
	s_barrier
	s_cbranch_scc1 .LBB123_155
; %bb.146:                              ;   in Loop: Header=BB123_30 Depth=1
	v_readlane_b32 s1, v50, 10
	s_add_i32 s1, s0, s1
	v_readlane_b32 s6, v50, 33
	s_mul_hi_u32 s8, s1, s6
	s_mul_i32 s8, s8, s59
	s_sub_i32 s8, s1, s8
	s_sub_i32 s9, s8, s59
	s_cmp_ge_u32 s8, s59
	s_cselect_b32 s8, s9, s8
	s_sub_i32 s9, s8, s59
	s_cmp_ge_u32 s8, s59
	s_cselect_b32 s8, s9, s8
	s_sub_i32 s1, s1, s8
	v_cmp_gt_u32_e32 vcc, s1, v0
	s_mov_b64 s[14:15], 0
                                        ; implicit-def: $vgpr19
	s_and_saveexec_b64 s[20:21], vcc
	s_cbranch_execz .LBB123_157
; %bb.147:                              ;   in Loop: Header=BB123_30 Depth=1
	s_mov_b64 s[22:23], 0
	v_mov_b32_e32 v2, v20
	v_mov_b32_e32 v3, v0
                                        ; implicit-def: $sgpr24_sgpr25
	s_branch .LBB123_149
.LBB123_148:                            ;   in Loop: Header=BB123_149 Depth=2
	s_or_b64 exec, exec, s[14:15]
	s_waitcnt lgkmcnt(0)
	s_barrier
	ds_read_b64 v[18:19], v9 offset:3072
	v_add_u32_e32 v3, s59, v3
	v_cmp_le_u32_e64 s[14:15], s1, v3
	v_add_u32_e32 v2, s77, v2
	s_waitcnt lgkmcnt(0)
	v_cmp_neq_f32_e32 vcc, 0, v18
	s_or_b64 s[8:9], s[14:15], vcc
	s_and_b64 s[8:9], exec, s[8:9]
	s_or_b64 s[22:23], s[8:9], s[22:23]
	s_andn2_b64 s[8:9], s[24:25], exec
	s_and_b64 s[14:15], vcc, exec
	s_or_b64 s[24:25], s[8:9], s[14:15]
	s_barrier
	s_andn2_b64 exec, exec, s[22:23]
	s_cbranch_execz .LBB123_156
.LBB123_149:                            ;   Parent Loop BB123_30 Depth=1
                                        ; =>  This Inner Loop Header: Depth=2
	v_cmp_gt_u32_e32 vcc, s0, v3
	s_waitcnt vmcnt(0)
	v_mov_b32_e32 v17, 0
	s_and_saveexec_b64 s[14:15], vcc
	s_cbranch_execz .LBB123_151
; %bb.150:                              ;   in Loop: Header=BB123_149 Depth=2
	ds_read_b32 v17, v2
.LBB123_151:                            ;   in Loop: Header=BB123_149 Depth=2
	s_or_b64 exec, exec, s[14:15]
	s_and_saveexec_b64 s[14:15], vcc
	s_cbranch_execz .LBB123_148
; %bb.152:                              ;   in Loop: Header=BB123_149 Depth=2
	s_waitcnt lgkmcnt(0)
	v_cmp_lt_i32_e32 vcc, -1, v17
	v_cndmask_b32_e32 v4, -1, v32, vcc
	v_xor_b32_e32 v4, v4, v17
	v_cmp_o_f32_e32 vcc, v17, v17
	v_cndmask_b32_e32 v4, -1, v4, vcc
	v_and_b32_e32 v4, s13, v4
	v_cmp_eq_u32_e32 vcc, s74, v4
	s_and_b64 exec, exec, vcc
	s_cbranch_execz .LBB123_148
; %bb.153:                              ;   in Loop: Header=BB123_149 Depth=2
	ds_write_b64 v9, v[16:17] offset:3072
	s_branch .LBB123_148
.LBB123_154:                            ;   in Loop: Header=BB123_30 Depth=1
                                        ; implicit-def: $sgpr22_sgpr23
                                        ; implicit-def: $sgpr24_sgpr25
                                        ; implicit-def: $sgpr20_sgpr21
	s_branch .LBB123_168
.LBB123_155:                            ;   in Loop: Header=BB123_30 Depth=1
	s_mov_b64 s[22:23], -1
	s_mov_b64 s[14:15], 0
                                        ; implicit-def: $sgpr20_sgpr21
                                        ; implicit-def: $vgpr19
	s_mov_b64 s[24:25], s[22:23]
	s_cbranch_execnz .LBB123_158
	s_branch .LBB123_168
.LBB123_156:                            ;   in Loop: Header=BB123_30 Depth=1
	s_or_b64 exec, exec, s[22:23]
	s_and_b64 s[14:15], s[24:25], exec
.LBB123_157:                            ;   in Loop: Header=BB123_30 Depth=1
	s_or_b64 exec, exec, s[20:21]
	s_mov_b64 s[20:21], -1
	s_mov_b64 s[22:23], 0
	s_mov_b64 s[24:25], s[22:23]
	s_branch .LBB123_168
.LBB123_158:                            ;   in Loop: Header=BB123_30 Depth=1
	s_mov_b64 s[14:15], 0
                                        ; implicit-def: $vgpr19
	s_mov_b64 s[20:21], exec
	v_readlane_b32 s0, v50, 34
	v_readlane_b32 s1, v50, 35
	s_and_b64 s[0:1], s[20:21], s[0:1]
	s_mov_b64 exec, s[0:1]
	s_cbranch_execz .LBB123_167
; %bb.159:                              ;   in Loop: Header=BB123_30 Depth=1
	s_mov_b64 s[22:23], 0
	v_mov_b32_e32 v8, v6
	v_mov_b32_e32 v2, v0
                                        ; implicit-def: $sgpr24_sgpr25
	s_branch .LBB123_161
.LBB123_160:                            ;   in Loop: Header=BB123_161 Depth=2
	s_or_b64 exec, exec, s[14:15]
	s_waitcnt lgkmcnt(0)
	s_barrier
	ds_read_b64 v[18:19], v9 offset:3072
	v_add_u32_e32 v2, s59, v2
	v_cmp_le_u32_e64 s[14:15], s72, v2
	v_add_u32_e32 v8, s76, v8
	s_waitcnt lgkmcnt(0)
	v_cmp_neq_f32_e32 vcc, 0, v18
	s_or_b64 s[0:1], s[14:15], vcc
	s_and_b64 s[0:1], exec, s[0:1]
	s_or_b64 s[22:23], s[0:1], s[22:23]
	s_andn2_b64 s[0:1], s[24:25], exec
	s_and_b64 s[8:9], vcc, exec
	s_or_b64 s[24:25], s[0:1], s[8:9]
	s_barrier
	s_andn2_b64 exec, exec, s[22:23]
	s_cbranch_execz .LBB123_166
.LBB123_161:                            ;   Parent Loop BB123_30 Depth=1
                                        ; =>  This Inner Loop Header: Depth=2
	v_cmp_gt_u32_e32 vcc, s56, v2
	s_waitcnt vmcnt(0)
	v_mov_b32_e32 v17, 0
	s_and_saveexec_b64 s[26:27], vcc
	s_cbranch_execz .LBB123_163
; %bb.162:                              ;   in Loop: Header=BB123_161 Depth=2
	v_lshlrev_b64 v[4:5], 2, v[8:9]
	v_mov_b32_e32 v3, s60
	v_add_co_u32_e64 v4, s[14:15], s62, v4
	v_addc_co_u32_e64 v5, s[14:15], v3, v5, s[14:15]
	global_load_dword v17, v[4:5], off
.LBB123_163:                            ;   in Loop: Header=BB123_161 Depth=2
	s_or_b64 exec, exec, s[26:27]
	s_and_saveexec_b64 s[14:15], vcc
	s_cbranch_execz .LBB123_160
; %bb.164:                              ;   in Loop: Header=BB123_161 Depth=2
	s_waitcnt vmcnt(0)
	v_cmp_lt_i32_e32 vcc, -1, v17
	v_cndmask_b32_e32 v3, -1, v32, vcc
	v_xor_b32_e32 v3, v3, v17
	v_cmp_o_f32_e32 vcc, v17, v17
	v_cndmask_b32_e32 v3, -1, v3, vcc
	v_and_b32_e32 v3, s13, v3
	v_cmp_eq_u32_e32 vcc, s74, v3
	s_and_b64 exec, exec, vcc
	s_cbranch_execz .LBB123_160
; %bb.165:                              ;   in Loop: Header=BB123_161 Depth=2
	ds_write_b64 v9, v[16:17] offset:3072
	s_branch .LBB123_160
.LBB123_166:                            ;   in Loop: Header=BB123_30 Depth=1
	s_or_b64 exec, exec, s[22:23]
	s_and_b64 s[14:15], s[24:25], exec
.LBB123_167:                            ;   in Loop: Header=BB123_30 Depth=1
	s_or_b64 exec, exec, s[20:21]
	s_mov_b64 s[24:25], -1
	s_mov_b64 s[22:23], 0
	s_mov_b64 s[20:21], 0
.LBB123_168:                            ;   in Loop: Header=BB123_30 Depth=1
	s_mov_b64 s[30:31], 0
                                        ; implicit-def: $sgpr53
	s_and_saveexec_b64 s[26:27], s[14:15]
	s_cbranch_execz .LBB123_264
; %bb.169:                              ;   in Loop: Header=BB123_30 Depth=1
	s_xor_b64 s[0:1], s[28:29], -1
	s_mov_b64 s[14:15], 0
	s_andn2_b64 vcc, exec, s[0:1]
	s_mov_b32 s45, 1
	s_cbranch_vccnz .LBB123_180
; %bb.170:                              ;   in Loop: Header=BB123_30 Depth=1
	s_cmp_gt_u32 s35, s34
	s_mov_b64 s[14:15], -1
                                        ; implicit-def: $sgpr53
                                        ; implicit-def: $sgpr0
                                        ; implicit-def: $sgpr1
	s_cbranch_scc1 .LBB123_176
; %bb.171:                              ;   in Loop: Header=BB123_30 Depth=1
	ds_read_b32 v2, v9 offset:4104
	s_waitcnt lgkmcnt(0)
	v_cmp_ne_u32_e32 vcc, 0, v2
	s_cbranch_vccnz .LBB123_175
; %bb.172:                              ;   in Loop: Header=BB123_30 Depth=1
	s_mov_b64 s[14:15], exec
	v_readlane_b32 s0, v50, 6
	v_readlane_b32 s1, v50, 7
	s_and_b64 s[0:1], s[14:15], s[0:1]
	s_mov_b64 exec, s[0:1]
	s_cbranch_execz .LBB123_174
; %bb.173:                              ;   in Loop: Header=BB123_30 Depth=1
	v_mov_b32_e32 v2, s34
	ds_write_b32 v9, v2 offset:4108
.LBB123_174:                            ;   in Loop: Header=BB123_30 Depth=1
	s_or_b64 exec, exec, s[14:15]
	s_waitcnt lgkmcnt(0)
	s_barrier
.LBB123_175:                            ;   in Loop: Header=BB123_30 Depth=1
	s_lshl_b32 s0, 1, s43
	s_and_b32 s1, s74, s44
	s_or_b32 s0, s1, s0
	s_or_b32 s1, s13, s51
	s_mov_b64 s[14:15], 0
	s_mov_b32 s53, 8
.LBB123_176:                            ;   in Loop: Header=BB123_30 Depth=1
	s_andn2_b64 vcc, exec, s[14:15]
	s_cbranch_vccnz .LBB123_178
; %bb.177:                              ;   in Loop: Header=BB123_30 Depth=1
	s_sub_i32 s35, s35, s34
	s_mov_b64 s[14:15], -1
	s_mov_b32 s53, 0
	s_mov_b32 s0, s74
	;; [unrolled: 1-line block ×3, first 2 shown]
.LBB123_178:                            ;   in Loop: Header=BB123_30 Depth=1
	s_mov_b32 s13, s1
	s_mov_b32 s74, s0
	;; [unrolled: 1-line block ×3, first 2 shown]
	s_andn2_b64 vcc, exec, s[14:15]
	s_mov_b64 s[40:41], -1
	s_cbranch_vccz .LBB123_181
.LBB123_179:                            ;   in Loop: Header=BB123_30 Depth=1
                                        ; implicit-def: $sgpr30_sgpr31
                                        ; implicit-def: $sgpr34_sgpr35
                                        ; implicit-def: $sgpr28_sgpr29
	s_branch .LBB123_263
.LBB123_180:                            ;   in Loop: Header=BB123_30 Depth=1
	s_mov_b32 s53, 1
	s_andn2_b64 vcc, exec, s[14:15]
	s_mov_b64 s[40:41], -1
	s_cbranch_vccnz .LBB123_179
.LBB123_181:                            ;   in Loop: Header=BB123_30 Depth=1
	s_cmp_eq_u32 s42, 1
	s_cselect_b64 s[0:1], -1, 0
	s_cmp_eq_u32 s45, 1
	s_cselect_b64 s[8:9], -1, 0
	s_and_b64 s[38:39], s[0:1], s[8:9]
	s_mov_b32 s6, s36
	s_mov_b64 s[14:15], -1
	s_and_b64 vcc, exec, s[38:39]
	s_cbranch_vccz .LBB123_193
; %bb.182:                              ;   in Loop: Header=BB123_30 Depth=1
	ds_read_b32 v2, v9 offset:4104
	s_waitcnt lgkmcnt(0)
	s_barrier
	v_readfirstlane_b32 s0, v2
	s_mov_b64 s[14:15], exec
	v_readlane_b32 s8, v50, 19
	v_readlane_b32 s9, v50, 20
	s_and_b64 s[8:9], s[14:15], s[8:9]
	s_mov_b64 exec, s[8:9]
	s_cbranch_execz .LBB123_184
; %bb.183:                              ;   in Loop: Header=BB123_30 Depth=1
	ds_write_b32 v21, v9
.LBB123_184:                            ;   in Loop: Header=BB123_30 Depth=1
	s_or_b64 exec, exec, s[14:15]
	s_lshl_b32 s1, 2, s43
	s_and_b32 s8, s74, s44
	s_or_b32 s74, s8, s1
	s_or_b32 s13, s13, s51
	s_cmp_eq_u32 s0, 0
	s_waitcnt lgkmcnt(0)
	s_barrier
	s_cbranch_scc1 .LBB123_194
; %bb.185:                              ;   in Loop: Header=BB123_30 Depth=1
	v_readlane_b32 s1, v50, 10
	s_add_i32 s1, s0, s1
	v_readlane_b32 s7, v50, 33
	s_mul_hi_u32 s8, s1, s7
	s_mul_i32 s8, s8, s59
	s_sub_i32 s8, s1, s8
	s_sub_i32 s9, s8, s59
	s_cmp_ge_u32 s8, s59
	s_cselect_b32 s8, s9, s8
	s_sub_i32 s9, s8, s59
	s_cmp_ge_u32 s8, s59
	s_cselect_b32 s8, s9, s8
	s_sub_i32 s1, s1, s8
	v_cmp_gt_u32_e32 vcc, s1, v0
	s_mov_b64 s[14:15], 0
                                        ; implicit-def: $vgpr19
	s_and_saveexec_b64 s[28:29], vcc
	s_cbranch_execz .LBB123_196
; %bb.186:                              ;   in Loop: Header=BB123_30 Depth=1
	v_mov_b32_e32 v2, v20
	v_mov_b32_e32 v3, v0
                                        ; implicit-def: $sgpr34_sgpr35
	s_branch .LBB123_188
.LBB123_187:                            ;   in Loop: Header=BB123_188 Depth=2
	s_or_b64 exec, exec, s[14:15]
	s_waitcnt lgkmcnt(0)
	s_barrier
	ds_read_b64 v[18:19], v9 offset:3072
	v_add_u32_e32 v3, s59, v3
	v_cmp_le_u32_e64 s[14:15], s1, v3
	v_add_u32_e32 v2, s77, v2
	s_waitcnt lgkmcnt(0)
	v_cmp_neq_f32_e32 vcc, 0, v18
	s_or_b64 s[8:9], s[14:15], vcc
	s_and_b64 s[8:9], exec, s[8:9]
	s_or_b64 s[30:31], s[8:9], s[30:31]
	s_andn2_b64 s[8:9], s[34:35], exec
	s_and_b64 s[14:15], vcc, exec
	s_or_b64 s[34:35], s[8:9], s[14:15]
	s_barrier
	s_andn2_b64 exec, exec, s[30:31]
	s_cbranch_execz .LBB123_195
.LBB123_188:                            ;   Parent Loop BB123_30 Depth=1
                                        ; =>  This Inner Loop Header: Depth=2
	v_cmp_gt_u32_e32 vcc, s0, v3
	s_waitcnt vmcnt(0)
	v_mov_b32_e32 v17, 0
	s_and_saveexec_b64 s[14:15], vcc
	s_cbranch_execz .LBB123_190
; %bb.189:                              ;   in Loop: Header=BB123_188 Depth=2
	ds_read_b32 v17, v2
.LBB123_190:                            ;   in Loop: Header=BB123_188 Depth=2
	s_or_b64 exec, exec, s[14:15]
	s_and_saveexec_b64 s[14:15], vcc
	s_cbranch_execz .LBB123_187
; %bb.191:                              ;   in Loop: Header=BB123_188 Depth=2
	s_waitcnt lgkmcnt(0)
	v_cmp_lt_i32_e32 vcc, -1, v17
	v_cndmask_b32_e32 v4, -1, v32, vcc
	v_xor_b32_e32 v4, v4, v17
	v_cmp_o_f32_e32 vcc, v17, v17
	v_cndmask_b32_e32 v4, -1, v4, vcc
	v_and_b32_e32 v4, s13, v4
	v_cmp_eq_u32_e32 vcc, s74, v4
	s_and_b64 exec, exec, vcc
	s_cbranch_execz .LBB123_187
; %bb.192:                              ;   in Loop: Header=BB123_188 Depth=2
	ds_write_b64 v9, v[16:17] offset:3072
	s_branch .LBB123_187
.LBB123_193:                            ;   in Loop: Header=BB123_30 Depth=1
                                        ; implicit-def: $sgpr28_sgpr29
                                        ; implicit-def: $sgpr34_sgpr35
                                        ; implicit-def: $sgpr30_sgpr31
	s_branch .LBB123_207
.LBB123_194:                            ;   in Loop: Header=BB123_30 Depth=1
	s_mov_b64 s[28:29], -1
	s_mov_b64 s[14:15], 0
                                        ; implicit-def: $sgpr30_sgpr31
                                        ; implicit-def: $vgpr19
	s_mov_b64 s[34:35], s[28:29]
	s_cbranch_execnz .LBB123_197
	s_branch .LBB123_207
.LBB123_195:                            ;   in Loop: Header=BB123_30 Depth=1
	s_or_b64 exec, exec, s[30:31]
	s_and_b64 s[14:15], s[34:35], exec
.LBB123_196:                            ;   in Loop: Header=BB123_30 Depth=1
	s_or_b64 exec, exec, s[28:29]
	s_mov_b64 s[30:31], -1
	s_mov_b64 s[28:29], 0
	s_mov_b64 s[34:35], s[28:29]
	s_branch .LBB123_207
.LBB123_197:                            ;   in Loop: Header=BB123_30 Depth=1
	s_mov_b64 s[14:15], 0
                                        ; implicit-def: $vgpr19
	s_mov_b64 s[28:29], exec
	v_readlane_b32 s0, v50, 34
	v_readlane_b32 s1, v50, 35
	s_and_b64 s[0:1], s[28:29], s[0:1]
	s_mov_b64 exec, s[0:1]
	s_cbranch_execz .LBB123_206
; %bb.198:                              ;   in Loop: Header=BB123_30 Depth=1
	s_mov_b64 s[30:31], 0
	v_mov_b32_e32 v8, v6
	v_mov_b32_e32 v2, v0
                                        ; implicit-def: $sgpr34_sgpr35
	s_branch .LBB123_200
.LBB123_199:                            ;   in Loop: Header=BB123_200 Depth=2
	s_or_b64 exec, exec, s[14:15]
	s_waitcnt lgkmcnt(0)
	s_barrier
	ds_read_b64 v[18:19], v9 offset:3072
	v_add_u32_e32 v2, s59, v2
	v_cmp_le_u32_e64 s[14:15], s72, v2
	v_add_u32_e32 v8, s76, v8
	s_waitcnt lgkmcnt(0)
	v_cmp_neq_f32_e32 vcc, 0, v18
	s_or_b64 s[0:1], s[14:15], vcc
	s_and_b64 s[0:1], exec, s[0:1]
	s_or_b64 s[30:31], s[0:1], s[30:31]
	s_andn2_b64 s[0:1], s[34:35], exec
	s_and_b64 s[8:9], vcc, exec
	s_or_b64 s[34:35], s[0:1], s[8:9]
	s_barrier
	s_andn2_b64 exec, exec, s[30:31]
	s_cbranch_execz .LBB123_205
.LBB123_200:                            ;   Parent Loop BB123_30 Depth=1
                                        ; =>  This Inner Loop Header: Depth=2
	v_cmp_gt_u32_e32 vcc, s56, v2
	s_waitcnt vmcnt(0)
	v_mov_b32_e32 v17, 0
	s_and_saveexec_b64 s[36:37], vcc
	s_cbranch_execz .LBB123_202
; %bb.201:                              ;   in Loop: Header=BB123_200 Depth=2
	v_lshlrev_b64 v[4:5], 2, v[8:9]
	v_mov_b32_e32 v3, s60
	v_add_co_u32_e64 v4, s[14:15], s62, v4
	v_addc_co_u32_e64 v5, s[14:15], v3, v5, s[14:15]
	global_load_dword v17, v[4:5], off
.LBB123_202:                            ;   in Loop: Header=BB123_200 Depth=2
	s_or_b64 exec, exec, s[36:37]
	s_and_saveexec_b64 s[14:15], vcc
	s_cbranch_execz .LBB123_199
; %bb.203:                              ;   in Loop: Header=BB123_200 Depth=2
	s_waitcnt vmcnt(0)
	v_cmp_lt_i32_e32 vcc, -1, v17
	v_cndmask_b32_e32 v3, -1, v32, vcc
	v_xor_b32_e32 v3, v3, v17
	v_cmp_o_f32_e32 vcc, v17, v17
	v_cndmask_b32_e32 v3, -1, v3, vcc
	v_and_b32_e32 v3, s13, v3
	v_cmp_eq_u32_e32 vcc, s74, v3
	s_and_b64 exec, exec, vcc
	s_cbranch_execz .LBB123_199
; %bb.204:                              ;   in Loop: Header=BB123_200 Depth=2
	ds_write_b64 v9, v[16:17] offset:3072
	s_branch .LBB123_199
.LBB123_205:                            ;   in Loop: Header=BB123_30 Depth=1
	s_or_b64 exec, exec, s[30:31]
	s_and_b64 s[14:15], s[34:35], exec
.LBB123_206:                            ;   in Loop: Header=BB123_30 Depth=1
	s_or_b64 exec, exec, s[28:29]
	s_mov_b64 s[34:35], -1
	s_mov_b64 s[28:29], 0
	s_mov_b64 s[30:31], 0
.LBB123_207:                            ;   in Loop: Header=BB123_30 Depth=1
	s_mov_b64 s[40:41], 0
                                        ; implicit-def: $sgpr53
	s_and_saveexec_b64 s[36:37], s[14:15]
	s_cbranch_execz .LBB123_262
; %bb.208:                              ;   in Loop: Header=BB123_30 Depth=1
	s_xor_b64 s[0:1], s[38:39], -1
	s_mov_b64 s[14:15], 0
	s_andn2_b64 vcc, exec, s[0:1]
	s_mov_b32 s52, 1
	s_cbranch_vccnz .LBB123_219
; %bb.209:                              ;   in Loop: Header=BB123_30 Depth=1
	s_cmp_gt_u32 s45, s42
	s_mov_b64 s[14:15], -1
                                        ; implicit-def: $sgpr53
                                        ; implicit-def: $sgpr0
                                        ; implicit-def: $sgpr1
	s_cbranch_scc1 .LBB123_215
; %bb.210:                              ;   in Loop: Header=BB123_30 Depth=1
	ds_read_b32 v2, v9 offset:4104
	s_waitcnt lgkmcnt(0)
	v_cmp_ne_u32_e32 vcc, 0, v2
	s_cbranch_vccnz .LBB123_214
; %bb.211:                              ;   in Loop: Header=BB123_30 Depth=1
	s_mov_b64 s[14:15], exec
	v_readlane_b32 s0, v50, 6
	v_readlane_b32 s1, v50, 7
	s_and_b64 s[0:1], s[14:15], s[0:1]
	s_mov_b64 exec, s[0:1]
	s_cbranch_execz .LBB123_213
; %bb.212:                              ;   in Loop: Header=BB123_30 Depth=1
	v_mov_b32_e32 v2, s42
	ds_write_b32 v9, v2 offset:4108
.LBB123_213:                            ;   in Loop: Header=BB123_30 Depth=1
	s_or_b64 exec, exec, s[14:15]
	s_waitcnt lgkmcnt(0)
	s_barrier
.LBB123_214:                            ;   in Loop: Header=BB123_30 Depth=1
	s_lshl_b32 s0, 2, s43
	s_and_b32 s1, s74, s44
	s_or_b32 s0, s1, s0
	s_or_b32 s1, s13, s51
	s_mov_b64 s[14:15], 0
	s_mov_b32 s53, 8
.LBB123_215:                            ;   in Loop: Header=BB123_30 Depth=1
	s_andn2_b64 vcc, exec, s[14:15]
	s_cbranch_vccnz .LBB123_217
; %bb.216:                              ;   in Loop: Header=BB123_30 Depth=1
	s_sub_i32 s45, s45, s42
	s_mov_b64 s[14:15], -1
	s_mov_b32 s53, 0
	s_mov_b32 s0, s74
	s_mov_b32 s1, s13
.LBB123_217:                            ;   in Loop: Header=BB123_30 Depth=1
	s_mov_b32 s13, s1
	s_mov_b32 s74, s0
	s_mov_b32 s52, s45
	s_andn2_b64 vcc, exec, s[14:15]
	s_mov_b64 s[48:49], -1
	s_cbranch_vccz .LBB123_220
.LBB123_218:                            ;   in Loop: Header=BB123_30 Depth=1
                                        ; implicit-def: $sgpr14_sgpr15
                                        ; implicit-def: $sgpr42_sgpr43
                                        ; implicit-def: $sgpr40_sgpr41
	s_branch .LBB123_261
.LBB123_219:                            ;   in Loop: Header=BB123_30 Depth=1
	s_mov_b32 s53, 1
	s_andn2_b64 vcc, exec, s[14:15]
	s_mov_b64 s[48:49], -1
	s_cbranch_vccnz .LBB123_218
.LBB123_220:                            ;   in Loop: Header=BB123_30 Depth=1
	s_cmp_eq_u32 s50, 1
	s_cselect_b64 s[0:1], -1, 0
	s_cmp_eq_u32 s52, 1
	s_cselect_b64 s[8:9], -1, 0
	s_and_b64 s[38:39], s[0:1], s[8:9]
	s_mov_b64 s[44:45], -1
	s_and_b64 vcc, exec, s[38:39]
	s_cbranch_vccz .LBB123_232
; %bb.221:                              ;   in Loop: Header=BB123_30 Depth=1
	ds_read_b32 v2, v9 offset:4104
	s_waitcnt lgkmcnt(0)
	s_barrier
	v_readfirstlane_b32 s0, v2
	s_mov_b64 s[14:15], exec
	v_readlane_b32 s8, v50, 19
	v_readlane_b32 s9, v50, 20
	s_and_b64 s[8:9], s[14:15], s[8:9]
	s_mov_b64 exec, s[8:9]
	s_cbranch_execz .LBB123_223
; %bb.222:                              ;   in Loop: Header=BB123_30 Depth=1
	ds_write_b32 v21, v9
.LBB123_223:                            ;   in Loop: Header=BB123_30 Depth=1
	s_or_b64 exec, exec, s[14:15]
	s_or_b32 s74, s74, s51
	s_or_b32 s13, s13, s51
	s_cmp_eq_u32 s0, 0
	s_waitcnt lgkmcnt(0)
	s_barrier
	s_cbranch_scc1 .LBB123_233
; %bb.224:                              ;   in Loop: Header=BB123_30 Depth=1
	v_readlane_b32 s1, v50, 10
	s_add_i32 s1, s0, s1
	v_readlane_b32 s7, v50, 33
	s_mul_hi_u32 s8, s1, s7
	s_mul_i32 s8, s8, s59
	s_sub_i32 s8, s1, s8
	s_sub_i32 s9, s8, s59
	s_cmp_ge_u32 s8, s59
	s_cselect_b32 s8, s9, s8
	s_sub_i32 s9, s8, s59
	s_cmp_ge_u32 s8, s59
	s_cselect_b32 s8, s9, s8
	s_sub_i32 s1, s1, s8
	v_cmp_gt_u32_e32 vcc, s1, v0
	s_mov_b64 s[44:45], 0
                                        ; implicit-def: $vgpr19
	s_and_saveexec_b64 s[40:41], vcc
	s_cbranch_execz .LBB123_235
; %bb.225:                              ;   in Loop: Header=BB123_30 Depth=1
	s_mov_b64 s[42:43], 0
	v_mov_b32_e32 v2, v20
	v_mov_b32_e32 v3, v0
                                        ; implicit-def: $sgpr44_sgpr45
	s_branch .LBB123_227
.LBB123_226:                            ;   in Loop: Header=BB123_227 Depth=2
	s_or_b64 exec, exec, s[14:15]
	s_waitcnt lgkmcnt(0)
	s_barrier
	ds_read_b64 v[18:19], v9 offset:3072
	v_add_u32_e32 v3, s59, v3
	v_cmp_le_u32_e64 s[14:15], s1, v3
	v_add_u32_e32 v2, s77, v2
	s_waitcnt lgkmcnt(0)
	v_cmp_neq_f32_e32 vcc, 0, v18
	s_or_b64 s[8:9], s[14:15], vcc
	s_and_b64 s[8:9], exec, s[8:9]
	s_or_b64 s[42:43], s[8:9], s[42:43]
	s_andn2_b64 s[8:9], s[44:45], exec
	s_and_b64 s[14:15], vcc, exec
	s_or_b64 s[44:45], s[8:9], s[14:15]
	s_barrier
	s_andn2_b64 exec, exec, s[42:43]
	s_cbranch_execz .LBB123_234
.LBB123_227:                            ;   Parent Loop BB123_30 Depth=1
                                        ; =>  This Inner Loop Header: Depth=2
	v_cmp_gt_u32_e32 vcc, s0, v3
	s_waitcnt vmcnt(0)
	v_mov_b32_e32 v17, 0
	s_and_saveexec_b64 s[14:15], vcc
	s_cbranch_execz .LBB123_229
; %bb.228:                              ;   in Loop: Header=BB123_227 Depth=2
	ds_read_b32 v17, v2
.LBB123_229:                            ;   in Loop: Header=BB123_227 Depth=2
	s_or_b64 exec, exec, s[14:15]
	s_and_saveexec_b64 s[14:15], vcc
	s_cbranch_execz .LBB123_226
; %bb.230:                              ;   in Loop: Header=BB123_227 Depth=2
	s_waitcnt lgkmcnt(0)
	v_cmp_lt_i32_e32 vcc, -1, v17
	v_cndmask_b32_e32 v4, -1, v32, vcc
	v_xor_b32_e32 v4, v4, v17
	v_cmp_o_f32_e32 vcc, v17, v17
	v_cndmask_b32_e32 v4, -1, v4, vcc
	v_and_b32_e32 v4, s13, v4
	v_cmp_eq_u32_e32 vcc, s74, v4
	s_and_b64 exec, exec, vcc
	s_cbranch_execz .LBB123_226
; %bb.231:                              ;   in Loop: Header=BB123_227 Depth=2
	ds_write_b64 v9, v[16:17] offset:3072
	s_branch .LBB123_226
.LBB123_232:                            ;   in Loop: Header=BB123_30 Depth=1
                                        ; implicit-def: $sgpr14_sgpr15
                                        ; implicit-def: $sgpr42_sgpr43
                                        ; implicit-def: $sgpr40_sgpr41
	s_branch .LBB123_246
.LBB123_233:                            ;   in Loop: Header=BB123_30 Depth=1
	s_mov_b64 s[14:15], -1
	s_mov_b64 s[44:45], 0
                                        ; implicit-def: $sgpr40_sgpr41
                                        ; implicit-def: $vgpr19
	s_mov_b64 s[42:43], s[14:15]
	s_cbranch_execnz .LBB123_236
	s_branch .LBB123_246
.LBB123_234:                            ;   in Loop: Header=BB123_30 Depth=1
	s_or_b64 exec, exec, s[42:43]
	s_and_b64 s[44:45], s[44:45], exec
.LBB123_235:                            ;   in Loop: Header=BB123_30 Depth=1
	s_or_b64 exec, exec, s[40:41]
	s_mov_b64 s[40:41], -1
	s_mov_b64 s[14:15], 0
	s_mov_b64 s[42:43], s[14:15]
	s_branch .LBB123_246
.LBB123_236:                            ;   in Loop: Header=BB123_30 Depth=1
	s_mov_b64 s[44:45], 0
                                        ; implicit-def: $vgpr19
	s_mov_b64 s[40:41], exec
	v_readlane_b32 s0, v50, 34
	v_readlane_b32 s1, v50, 35
	s_and_b64 s[0:1], s[40:41], s[0:1]
	s_mov_b64 exec, s[0:1]
	s_cbranch_execz .LBB123_245
; %bb.237:                              ;   in Loop: Header=BB123_30 Depth=1
	s_mov_b64 s[42:43], 0
	v_mov_b32_e32 v8, v6
	v_mov_b32_e32 v2, v0
                                        ; implicit-def: $sgpr44_sgpr45
	s_branch .LBB123_239
.LBB123_238:                            ;   in Loop: Header=BB123_239 Depth=2
	s_or_b64 exec, exec, s[14:15]
	s_waitcnt lgkmcnt(0)
	s_barrier
	ds_read_b64 v[18:19], v9 offset:3072
	v_add_u32_e32 v2, s59, v2
	v_cmp_le_u32_e64 s[14:15], s72, v2
	v_add_u32_e32 v8, s76, v8
	s_waitcnt lgkmcnt(0)
	v_cmp_neq_f32_e32 vcc, 0, v18
	s_or_b64 s[0:1], s[14:15], vcc
	s_and_b64 s[0:1], exec, s[0:1]
	s_or_b64 s[42:43], s[0:1], s[42:43]
	s_andn2_b64 s[0:1], s[44:45], exec
	s_and_b64 s[8:9], vcc, exec
	s_or_b64 s[44:45], s[0:1], s[8:9]
	s_barrier
	s_andn2_b64 exec, exec, s[42:43]
	s_cbranch_execz .LBB123_244
.LBB123_239:                            ;   Parent Loop BB123_30 Depth=1
                                        ; =>  This Inner Loop Header: Depth=2
	v_cmp_gt_u32_e32 vcc, s56, v2
	s_waitcnt vmcnt(0)
	v_mov_b32_e32 v17, 0
	s_and_saveexec_b64 s[46:47], vcc
	s_cbranch_execz .LBB123_241
; %bb.240:                              ;   in Loop: Header=BB123_239 Depth=2
	v_lshlrev_b64 v[4:5], 2, v[8:9]
	v_mov_b32_e32 v3, s60
	v_add_co_u32_e64 v4, s[14:15], s62, v4
	v_addc_co_u32_e64 v5, s[14:15], v3, v5, s[14:15]
	global_load_dword v17, v[4:5], off
.LBB123_241:                            ;   in Loop: Header=BB123_239 Depth=2
	s_or_b64 exec, exec, s[46:47]
	s_and_saveexec_b64 s[14:15], vcc
	s_cbranch_execz .LBB123_238
; %bb.242:                              ;   in Loop: Header=BB123_239 Depth=2
	s_waitcnt vmcnt(0)
	v_cmp_lt_i32_e32 vcc, -1, v17
	v_cndmask_b32_e32 v3, -1, v32, vcc
	v_xor_b32_e32 v3, v3, v17
	v_cmp_o_f32_e32 vcc, v17, v17
	v_cndmask_b32_e32 v3, -1, v3, vcc
	v_and_b32_e32 v3, s13, v3
	v_cmp_eq_u32_e32 vcc, s74, v3
	s_and_b64 exec, exec, vcc
	s_cbranch_execz .LBB123_238
; %bb.243:                              ;   in Loop: Header=BB123_239 Depth=2
	ds_write_b64 v9, v[16:17] offset:3072
	s_branch .LBB123_238
.LBB123_244:                            ;   in Loop: Header=BB123_30 Depth=1
	s_or_b64 exec, exec, s[42:43]
	s_and_b64 s[44:45], s[44:45], exec
.LBB123_245:                            ;   in Loop: Header=BB123_30 Depth=1
	s_or_b64 exec, exec, s[40:41]
	s_mov_b64 s[42:43], -1
	s_mov_b64 s[14:15], 0
	s_mov_b64 s[40:41], 0
.LBB123_246:                            ;   in Loop: Header=BB123_30 Depth=1
	s_mov_b64 s[48:49], 0
                                        ; implicit-def: $sgpr53
	s_and_saveexec_b64 s[46:47], s[44:45]
	s_cbranch_execz .LBB123_260
; %bb.247:                              ;   in Loop: Header=BB123_30 Depth=1
	s_xor_b64 s[0:1], s[38:39], -1
	s_andn2_b64 vcc, exec, s[0:1]
	s_mov_b32 s53, 1
	s_cbranch_vccnz .LBB123_254
; %bb.248:                              ;   in Loop: Header=BB123_30 Depth=1
	s_cmp_gt_u32 s52, s50
	s_cbranch_scc1 .LBB123_255
; %bb.249:                              ;   in Loop: Header=BB123_30 Depth=1
	ds_read_b32 v2, v9 offset:4104
	s_waitcnt lgkmcnt(0)
	v_cmp_ne_u32_e32 vcc, 0, v2
	s_cbranch_vccnz .LBB123_253
; %bb.250:                              ;   in Loop: Header=BB123_30 Depth=1
	s_mov_b64 s[38:39], exec
	v_readlane_b32 s0, v50, 6
	v_readlane_b32 s1, v50, 7
	s_and_b64 s[0:1], s[38:39], s[0:1]
	s_mov_b64 exec, s[0:1]
	s_cbranch_execz .LBB123_252
; %bb.251:                              ;   in Loop: Header=BB123_30 Depth=1
	v_mov_b32_e32 v2, s50
	ds_write_b32 v9, v2 offset:4108
.LBB123_252:                            ;   in Loop: Header=BB123_30 Depth=1
	s_or_b64 exec, exec, s[38:39]
	s_waitcnt lgkmcnt(0)
	s_barrier
.LBB123_253:                            ;   in Loop: Header=BB123_30 Depth=1
	s_or_b32 s0, s74, s51
	s_or_b32 s1, s13, s51
	s_mov_b64 s[38:39], 0
	s_mov_b32 s53, 8
	s_branch .LBB123_256
.LBB123_254:                            ;   in Loop: Header=BB123_30 Depth=1
	s_mov_b32 s52, 1
	s_branch .LBB123_259
.LBB123_255:                            ;   in Loop: Header=BB123_30 Depth=1
	s_mov_b64 s[38:39], -1
                                        ; implicit-def: $sgpr53
                                        ; implicit-def: $sgpr0
                                        ; implicit-def: $sgpr1
.LBB123_256:                            ;   in Loop: Header=BB123_30 Depth=1
	s_andn2_b64 vcc, exec, s[38:39]
	s_cbranch_vccnz .LBB123_258
; %bb.257:                              ;   in Loop: Header=BB123_30 Depth=1
	s_sub_i32 s52, s52, s50
	s_mov_b32 s53, 8
	s_mov_b32 s0, s74
	;; [unrolled: 1-line block ×3, first 2 shown]
.LBB123_258:                            ;   in Loop: Header=BB123_30 Depth=1
	s_mov_b32 s74, s0
	s_mov_b32 s13, s1
.LBB123_259:                            ;   in Loop: Header=BB123_30 Depth=1
	s_mov_b64 s[48:49], exec
.LBB123_260:                            ;   in Loop: Header=BB123_30 Depth=1
	s_or_b64 exec, exec, s[46:47]
.LBB123_261:                            ;   in Loop: Header=BB123_30 Depth=1
	s_andn2_b64 s[0:1], s[28:29], exec
	s_and_b64 s[8:9], s[14:15], exec
	s_or_b64 s[28:29], s[0:1], s[8:9]
	s_andn2_b64 s[0:1], s[34:35], exec
	s_and_b64 s[8:9], s[42:43], exec
	s_or_b64 s[34:35], s[0:1], s[8:9]
	s_andn2_b64 s[0:1], s[30:31], exec
	s_and_b64 s[8:9], s[40:41], exec
	s_or_b64 s[30:31], s[0:1], s[8:9]
	s_and_b64 s[40:41], s[48:49], exec
	s_mov_b32 s45, s52
.LBB123_262:                            ;   in Loop: Header=BB123_30 Depth=1
	s_or_b64 exec, exec, s[36:37]
	s_mov_b32 s36, s6
.LBB123_263:                            ;   in Loop: Header=BB123_30 Depth=1
	s_andn2_b64 s[0:1], s[22:23], exec
	s_and_b64 s[8:9], s[28:29], exec
	s_or_b64 s[22:23], s[0:1], s[8:9]
	s_andn2_b64 s[0:1], s[24:25], exec
	s_and_b64 s[8:9], s[34:35], exec
	s_or_b64 s[24:25], s[0:1], s[8:9]
	;; [unrolled: 3-line block ×3, first 2 shown]
	s_and_b64 s[30:31], s[40:41], exec
	s_mov_b32 s35, s45
.LBB123_264:                            ;   in Loop: Header=BB123_30 Depth=1
	s_or_b64 exec, exec, s[26:27]
                                        ; implicit-def: $sgpr75
	s_and_saveexec_b64 s[0:1], s[30:31]
	s_xor_b64 s[14:15], exec, s[0:1]
	s_cbranch_execz .LBB123_28
.LBB123_265:                            ;   in Loop: Header=BB123_30 Depth=1
	s_and_b32 s0, s53, -9
	s_cmp_eq_u32 s0, 0
	s_cbranch_scc1 .LBB123_26
; %bb.266:                              ;   in Loop: Header=BB123_30 Depth=1
	s_mov_b64 s[18:19], -1
                                        ; implicit-def: $sgpr13
                                        ; implicit-def: $sgpr35
                                        ; implicit-def: $sgpr3
                                        ; implicit-def: $sgpr78
	s_mov_b64 s[26:27], -1
	s_branch .LBB123_27
.LBB123_267:
	s_or_b64 exec, exec, s[86:87]
	s_xor_b64 s[8:9], s[92:93], -1
	s_xor_b64 s[0:1], s[88:89], -1
	;; [unrolled: 1-line block ×3, first 2 shown]
	s_mov_b64 s[4:5], 0
	s_and_saveexec_b64 s[2:3], s[0:1]
	s_xor_b64 s[2:3], exec, s[2:3]
	s_cbranch_execnz .LBB123_272
; %bb.268:
	s_andn2_saveexec_b64 s[0:1], s[2:3]
	s_cbranch_execnz .LBB123_285
.LBB123_269:
	s_or_b64 exec, exec, s[0:1]
	s_and_saveexec_b64 s[0:1], s[4:5]
.LBB123_270:
	; divergent unreachable
.LBB123_271:
	s_endpgm
.LBB123_272:
	s_and_saveexec_b64 s[0:1], s[8:9]
	s_xor_b64 s[4:5], exec, s[0:1]
	s_cbranch_execz .LBB123_283
; %bb.273:
	s_and_saveexec_b64 s[0:1], s[6:7]
	s_xor_b64 s[6:7], exec, s[0:1]
; %bb.274:
	v_bfrev_b32_e32 v1, 1
	v_cmp_lt_i32_e32 vcc, -1, v2
	v_cndmask_b32_e64 v1, v1, -1, vcc
	v_xor_b32_e32 v19, v1, v2
; %bb.275:
	s_or_b64 exec, exec, s[6:7]
	v_readlane_b32 s0, v50, 0
	s_mul_i32 s0, s0, s33
	s_add_i32 s0, s0, s61
	s_mov_b32 s1, 0
	s_lshl_b64 s[0:1], s[0:1], 2
	v_readlane_b32 s6, v50, 2
	v_readlane_b32 s7, v50, 3
	s_add_u32 s0, s6, s0
	s_addc_u32 s1, s7, s1
	v_mov_b32_e32 v7, 0
	global_store_dword v7, v19, s[0:1]
	s_and_saveexec_b64 s[6:7], s[54:55]
	s_cbranch_execz .LBB123_282
; %bb.276:
	v_cmp_u_f32_e32 vcc, v19, v19
	s_mov_b64 s[8:9], 0
	v_mov_b32_e32 v1, s60
	s_xor_b64 s[12:13], vcc, -1
                                        ; implicit-def: $sgpr10_sgpr11
                                        ; implicit-def: $sgpr16_sgpr17
                                        ; implicit-def: $sgpr14_sgpr15
	s_branch .LBB123_278
.LBB123_277:                            ;   in Loop: Header=BB123_278 Depth=1
	s_or_b64 exec, exec, s[0:1]
	s_and_b64 s[0:1], exec, s[16:17]
	s_or_b64 s[8:9], s[0:1], s[8:9]
	s_andn2_b64 s[0:1], s[10:11], exec
	s_and_b64 s[10:11], s[14:15], exec
	s_or_b64 s[10:11], s[0:1], s[10:11]
	s_andn2_b64 exec, exec, s[8:9]
	s_cbranch_execz .LBB123_280
.LBB123_278:                            ; =>This Inner Loop Header: Depth=1
	v_lshlrev_b64 v[2:3], 2, v[6:7]
	v_add_co_u32_e32 v2, vcc, s62, v2
	v_addc_co_u32_e32 v3, vcc, v1, v3, vcc
	global_load_dword v3, v[2:3], off
	v_mov_b32_e32 v2, v0
	s_or_b64 s[14:15], s[14:15], exec
	s_or_b64 s[16:17], s[16:17], exec
                                        ; implicit-def: $vgpr0
	s_waitcnt vmcnt(0)
	v_cmp_o_f32_e64 s[0:1], v3, v3
	v_cmp_neq_f32_e32 vcc, v3, v19
	s_or_b64 s[0:1], s[0:1], s[12:13]
	s_and_b64 s[18:19], vcc, s[0:1]
	s_and_saveexec_b64 s[0:1], s[18:19]
	s_cbranch_execz .LBB123_277
; %bb.279:                              ;   in Loop: Header=BB123_278 Depth=1
	v_add_u32_e32 v0, s59, v2
	v_cmp_le_u32_e32 vcc, s56, v0
	s_andn2_b64 s[16:17], s[16:17], exec
	s_and_b64 s[18:19], vcc, exec
	v_add_u32_e32 v6, s76, v6
	s_andn2_b64 s[14:15], s[14:15], exec
	s_or_b64 s[16:17], s[16:17], s[18:19]
	s_branch .LBB123_277
.LBB123_280:
	s_or_b64 exec, exec, s[8:9]
	s_and_saveexec_b64 s[0:1], s[10:11]
	s_xor_b64 s[0:1], exec, s[0:1]
	s_cbranch_execz .LBB123_282
; %bb.281:
	v_readlane_b32 s0, v50, 1
	s_mul_i32 s0, s0, s57
	s_add_i32 s0, s0, s63
	s_mov_b32 s1, 0
	s_lshl_b64 s[0:1], s[0:1], 3
	v_readlane_b32 s8, v50, 4
	v_readlane_b32 s9, v50, 5
	s_add_u32 s0, s8, s0
	s_addc_u32 s1, s9, s1
	v_mov_b32_e32 v3, 0
	global_store_dwordx2 v3, v[2:3], s[0:1]
.LBB123_282:
	s_or_b64 exec, exec, s[6:7]
.LBB123_283:
	s_or_saveexec_b64 s[0:1], s[4:5]
	s_mov_b64 s[4:5], 0
	s_xor_b64 exec, exec, s[0:1]
	s_cbranch_execnz .LBB123_286
.LBB123_284:
	s_or_b64 exec, exec, s[0:1]
	s_and_b64 s[4:5], s[4:5], exec
	s_andn2_saveexec_b64 s[0:1], s[2:3]
	s_cbranch_execz .LBB123_269
.LBB123_285:
	s_or_b64 s[4:5], s[4:5], exec
	s_trap 2
	s_or_b64 exec, exec, s[0:1]
	s_and_saveexec_b64 s[0:1], s[4:5]
	s_cbranch_execnz .LBB123_270
	s_branch .LBB123_271
.LBB123_286:
	s_mov_b64 s[4:5], exec
	s_trap 2
	s_branch .LBB123_284
	.section	.rodata,"a",@progbits
	.p2align	6, 0x0
	.amdhsa_kernel _ZN2at6native12_GLOBAL__N_112gatherMedianIfjLin1EEEvNS_4cuda6detail10TensorInfoIT_T0_EENS5_IlS7_EENS5_IKS6_S7_EES7_S7_S7_b
		.amdhsa_group_segment_fixed_size 4120
		.amdhsa_private_segment_fixed_size 0
		.amdhsa_kernarg_size 920
		.amdhsa_user_sgpr_count 6
		.amdhsa_user_sgpr_private_segment_buffer 1
		.amdhsa_user_sgpr_dispatch_ptr 0
		.amdhsa_user_sgpr_queue_ptr 0
		.amdhsa_user_sgpr_kernarg_segment_ptr 1
		.amdhsa_user_sgpr_dispatch_id 0
		.amdhsa_user_sgpr_flat_scratch_init 0
		.amdhsa_user_sgpr_kernarg_preload_length 0
		.amdhsa_user_sgpr_kernarg_preload_offset 0
		.amdhsa_user_sgpr_private_segment_size 0
		.amdhsa_uses_dynamic_stack 0
		.amdhsa_system_sgpr_private_segment_wavefront_offset 0
		.amdhsa_system_sgpr_workgroup_id_x 1
		.amdhsa_system_sgpr_workgroup_id_y 1
		.amdhsa_system_sgpr_workgroup_id_z 1
		.amdhsa_system_sgpr_workgroup_info 0
		.amdhsa_system_vgpr_workitem_id 0
		.amdhsa_next_free_vgpr 51
		.amdhsa_next_free_sgpr 96
		.amdhsa_accum_offset 52
		.amdhsa_reserve_vcc 1
		.amdhsa_reserve_flat_scratch 0
		.amdhsa_float_round_mode_32 0
		.amdhsa_float_round_mode_16_64 0
		.amdhsa_float_denorm_mode_32 3
		.amdhsa_float_denorm_mode_16_64 3
		.amdhsa_dx10_clamp 1
		.amdhsa_ieee_mode 1
		.amdhsa_fp16_overflow 0
		.amdhsa_tg_split 0
		.amdhsa_exception_fp_ieee_invalid_op 0
		.amdhsa_exception_fp_denorm_src 0
		.amdhsa_exception_fp_ieee_div_zero 0
		.amdhsa_exception_fp_ieee_overflow 0
		.amdhsa_exception_fp_ieee_underflow 0
		.amdhsa_exception_fp_ieee_inexact 0
		.amdhsa_exception_int_div_zero 0
	.end_amdhsa_kernel
	.section	.text._ZN2at6native12_GLOBAL__N_112gatherMedianIfjLin1EEEvNS_4cuda6detail10TensorInfoIT_T0_EENS5_IlS7_EENS5_IKS6_S7_EES7_S7_S7_b,"axG",@progbits,_ZN2at6native12_GLOBAL__N_112gatherMedianIfjLin1EEEvNS_4cuda6detail10TensorInfoIT_T0_EENS5_IlS7_EENS5_IKS6_S7_EES7_S7_S7_b,comdat
.Lfunc_end123:
	.size	_ZN2at6native12_GLOBAL__N_112gatherMedianIfjLin1EEEvNS_4cuda6detail10TensorInfoIT_T0_EENS5_IlS7_EENS5_IKS6_S7_EES7_S7_S7_b, .Lfunc_end123-_ZN2at6native12_GLOBAL__N_112gatherMedianIfjLin1EEEvNS_4cuda6detail10TensorInfoIT_T0_EENS5_IlS7_EENS5_IKS6_S7_EES7_S7_S7_b
                                        ; -- End function
	.section	.AMDGPU.csdata,"",@progbits
; Kernel info:
; codeLenInByte = 11020
; NumSgprs: 100
; NumVgprs: 51
; NumAgprs: 0
; TotalNumVgprs: 51
; ScratchSize: 0
; MemoryBound: 0
; FloatMode: 240
; IeeeMode: 1
; LDSByteSize: 4120 bytes/workgroup (compile time only)
; SGPRBlocks: 12
; VGPRBlocks: 6
; NumSGPRsForWavesPerEU: 100
; NumVGPRsForWavesPerEU: 51
; AccumOffset: 52
; Occupancy: 8
; WaveLimiterHint : 1
; COMPUTE_PGM_RSRC2:SCRATCH_EN: 0
; COMPUTE_PGM_RSRC2:USER_SGPR: 6
; COMPUTE_PGM_RSRC2:TRAP_HANDLER: 0
; COMPUTE_PGM_RSRC2:TGID_X_EN: 1
; COMPUTE_PGM_RSRC2:TGID_Y_EN: 1
; COMPUTE_PGM_RSRC2:TGID_Z_EN: 1
; COMPUTE_PGM_RSRC2:TIDIG_COMP_CNT: 0
; COMPUTE_PGM_RSRC3_GFX90A:ACCUM_OFFSET: 12
; COMPUTE_PGM_RSRC3_GFX90A:TG_SPLIT: 0
	.section	.text._ZN2at6native12_GLOBAL__N_112gatherMedianIfmLi1EEEvNS_4cuda6detail10TensorInfoIT_T0_EENS5_IlS7_EENS5_IKS6_S7_EES7_S7_S7_b,"axG",@progbits,_ZN2at6native12_GLOBAL__N_112gatherMedianIfmLi1EEEvNS_4cuda6detail10TensorInfoIT_T0_EENS5_IlS7_EENS5_IKS6_S7_EES7_S7_S7_b,comdat
	.globl	_ZN2at6native12_GLOBAL__N_112gatherMedianIfmLi1EEEvNS_4cuda6detail10TensorInfoIT_T0_EENS5_IlS7_EENS5_IKS6_S7_EES7_S7_S7_b ; -- Begin function _ZN2at6native12_GLOBAL__N_112gatherMedianIfmLi1EEEvNS_4cuda6detail10TensorInfoIT_T0_EENS5_IlS7_EENS5_IKS6_S7_EES7_S7_S7_b
	.p2align	8
	.type	_ZN2at6native12_GLOBAL__N_112gatherMedianIfmLi1EEEvNS_4cuda6detail10TensorInfoIT_T0_EENS5_IlS7_EENS5_IKS6_S7_EES7_S7_S7_b,@function
_ZN2at6native12_GLOBAL__N_112gatherMedianIfmLi1EEEvNS_4cuda6detail10TensorInfoIT_T0_EENS5_IlS7_EENS5_IKS6_S7_EES7_S7_S7_b: ; @_ZN2at6native12_GLOBAL__N_112gatherMedianIfmLi1EEEvNS_4cuda6detail10TensorInfoIT_T0_EENS5_IlS7_EENS5_IKS6_S7_EES7_S7_S7_b
; %bb.0:
	s_load_dwordx4 s[52:55], s[4:5], 0x4e0
	s_load_dwordx2 s[0:1], s[4:5], 0x500
	s_add_u32 s10, s4, 0x500
	s_addc_u32 s11, s5, 0
	s_mov_b32 s3, 0
	s_waitcnt lgkmcnt(0)
	v_mov_b32_e32 v2, s54
	s_mul_i32 s1, s1, s8
	s_add_i32 s1, s1, s7
	s_mul_i32 s1, s1, s0
	v_mov_b32_e32 v3, s55
	s_add_i32 s2, s1, s6
	v_cmp_ge_u64_e32 vcc, s[2:3], v[2:3]
	s_cbranch_vccnz .LBB124_292
; %bb.1:
	s_load_dwordx2 s[64:65], s[4:5], 0x4f0
	s_load_dwordx2 s[8:9], s[4:5], 0x410
	s_mov_b32 s14, s2
	s_load_dwordx2 s[2:3], s[4:5], 0x340
	s_load_dwordx2 s[12:13], s[4:5], 0x270
                                        ; implicit-def: $vgpr50 : SGPR spill to VGPR lane
	v_mov_b32_e32 v1, 0
	v_pk_mov_b32 v[2:3], 0, 0
	s_waitcnt lgkmcnt(0)
	s_mul_i32 s1, s9, s14
	s_mul_hi_u32 s7, s8, s14
	v_writelane_b32 v50, s12, 0
	v_writelane_b32 v50, s13, 1
	s_load_dwordx2 s[12:13], s[4:5], 0x1a0
	s_add_i32 s9, s7, s1
	s_mul_i32 s8, s8, s14
	s_waitcnt lgkmcnt(0)
	v_writelane_b32 v50, s12, 2
	v_writelane_b32 v50, s13, 3
	s_load_dwordx2 s[12:13], s[4:5], 0xd0
	s_waitcnt lgkmcnt(0)
	v_writelane_b32 v50, s12, 4
	v_writelane_b32 v50, s13, 5
	s_load_dwordx2 s[12:13], s[4:5], 0x0
	s_waitcnt lgkmcnt(0)
	v_writelane_b32 v50, s12, 6
	v_writelane_b32 v50, s13, 7
	s_mov_b32 s12, s14
	v_writelane_b32 v50, s12, 8
	v_writelane_b32 v50, s13, 9
	v_cmp_gt_u64_e64 s[14:15], s[52:53], v[0:1]
	s_mov_b64 s[12:13], exec
	v_writelane_b32 v50, s14, 10
	v_writelane_b32 v50, s15, 11
	s_and_b64 s[14:15], s[12:13], s[14:15]
	s_mov_b64 exec, s[14:15]
	s_cbranch_execz .LBB124_5
; %bb.2:
	s_load_dword s1, s[10:11], 0xc
	v_mad_u64_u32 v[2:3], s[14:15], s64, v0, 0
	v_mov_b32_e32 v4, v3
	v_mad_u64_u32 v[4:5], s[14:15], s65, v0, v[4:5]
	s_waitcnt lgkmcnt(0)
	s_and_b32 s1, s1, 0xffff
	s_lshl_b64 s[14:15], s[8:9], 2
	v_mov_b32_e32 v3, v4
	s_add_u32 s14, s2, s14
	v_lshlrev_b64 v[2:3], 2, v[2:3]
	s_addc_u32 s15, s3, s15
	v_mov_b32_e32 v5, s15
	v_add_co_u32_e32 v4, vcc, s14, v2
	s_mul_i32 s14, s65, s1
	s_mul_hi_u32 s15, s64, s1
	s_add_i32 s15, s15, s14
	s_mul_i32 s14, s64, s1
	s_mov_b32 s7, 0
	s_lshl_b64 s[16:17], s[14:15], 2
	v_addc_co_u32_e32 v5, vcc, v5, v3, vcc
	s_mov_b64 s[14:15], 0
	v_pk_mov_b32 v[2:3], 0, 0
	v_mov_b32_e32 v8, s7
	v_mov_b32_e32 v9, s17
	v_pk_mov_b32 v[6:7], v[0:1], v[0:1] op_sel:[0,1]
.LBB124_3:                              ; =>This Inner Loop Header: Depth=1
	global_load_dword v10, v[4:5], off
	v_add_co_u32_e32 v6, vcc, s1, v6
	v_addc_co_u32_e32 v7, vcc, v7, v8, vcc
	v_add_co_u32_e32 v4, vcc, s16, v4
	v_addc_co_u32_e32 v5, vcc, v5, v9, vcc
	v_cmp_le_u64_e32 vcc, s[52:53], v[6:7]
	s_or_b64 s[14:15], vcc, s[14:15]
	s_waitcnt vmcnt(0)
	v_cmp_u_f32_e32 vcc, v10, v10
	v_cndmask_b32_e64 v10, 0, 1, vcc
	v_add_co_u32_e32 v2, vcc, v2, v10
	v_addc_co_u32_e32 v3, vcc, 0, v3, vcc
	s_andn2_b64 exec, exec, s[14:15]
	s_cbranch_execnz .LBB124_3
; %bb.4:
	s_or_b64 exec, exec, s[14:15]
.LBB124_5:
	s_or_b64 exec, exec, s[12:13]
	v_cmp_eq_u32_e64 s[14:15], 0, v0
	s_mov_b64 s[12:13], exec
	v_writelane_b32 v50, s14, 12
	v_writelane_b32 v50, s15, 13
	s_and_b64 s[14:15], s[12:13], s[14:15]
	s_mov_b64 exec, s[14:15]
	s_cbranch_execz .LBB124_7
; %bb.6:
	v_mov_b32_e32 v4, 0
	v_mov_b32_e32 v5, v4
	ds_write_b64 v4, v[4:5] offset:5136
.LBB124_7:
	s_or_b64 exec, exec, s[12:13]
	s_mov_b64 s[14:15], 0
	v_cmp_ne_u64_e32 vcc, 0, v[2:3]
	s_waitcnt lgkmcnt(0)
	s_barrier
	s_and_saveexec_b64 s[12:13], vcc
	s_cbranch_execz .LBB124_12
; %bb.8:
	s_mov_b64 s[16:17], exec
.LBB124_9:                              ; =>This Inner Loop Header: Depth=1
	s_ff1_i32_b64 s1, s[16:17]
	v_readlane_b32 s18, v2, s1
	v_readlane_b32 s7, v3, s1
	s_add_u32 s14, s14, s18
	s_addc_u32 s15, s15, s7
	s_lshl_b64 s[18:19], 1, s1
	s_andn2_b64 s[16:17], s[16:17], s[18:19]
	s_cmp_lg_u64 s[16:17], 0
	s_cbranch_scc1 .LBB124_9
; %bb.10:
	v_mbcnt_lo_u32_b32 v2, exec_lo, 0
	v_mbcnt_hi_u32_b32 v2, exec_hi, v2
	v_cmp_eq_u32_e32 vcc, 0, v2
	s_and_saveexec_b64 s[16:17], vcc
	s_xor_b64 s[16:17], exec, s[16:17]
	s_cbranch_execz .LBB124_12
; %bb.11:
	v_mov_b32_e32 v4, 0
	v_pk_mov_b32 v[2:3], s[14:15], s[14:15] op_sel:[0,1]
	ds_add_u64 v4, v[2:3] offset:5136
.LBB124_12:
	s_or_b64 exec, exec, s[12:13]
	v_mov_b32_e32 v13, 0
	s_waitcnt lgkmcnt(0)
	s_barrier
	ds_read_b64 v[2:3], v13 offset:5136
	s_waitcnt lgkmcnt(0)
	v_readfirstlane_b32 s12, v2
	v_readfirstlane_b32 s13, v3
	s_mov_b64 s[14:15], exec
	v_readlane_b32 s16, v50, 12
	v_readlane_b32 s17, v50, 13
	s_and_b64 s[16:17], s[14:15], s[16:17]
	s_mov_b64 exec, s[16:17]
	s_cbranch_execz .LBB124_14
; %bb.13:
	v_mov_b32_e32 v2, 0
	v_mov_b32_e32 v4, s52
	;; [unrolled: 1-line block ×4, first 2 shown]
	ds_write_b32 v2, v2 offset:5144
	ds_write_b128 v2, v[2:5] offset:5120
.LBB124_14:
	s_or_b64 exec, exec, s[14:15]
	s_load_dword s1, s[4:5], 0x4f8
	v_cmp_lt_i64_e64 s[4:5], s[12:13], 1
	v_mbcnt_lo_u32_b32 v2, -1, 0
	v_mbcnt_hi_u32_b32 v34, -1, v2
	v_cmp_gt_u32_e32 vcc, 64, v0
	s_waitcnt lgkmcnt(0)
	s_bitcmp1_b32 s1, 0
	s_cselect_b64 s[14:15], -1, 0
	s_not_b64 s[12:13], s[12:13]
	s_or_b64 s[4:5], s[14:15], s[4:5]
	s_add_u32 s12, s12, s52
	s_addc_u32 s13, s13, s53
	s_lshr_b64 s[12:13], s[12:13], 1
	s_add_u32 s1, s12, 1
	s_addc_u32 s7, s13, 0
	s_and_b64 s[4:5], s[4:5], exec
	s_cselect_b32 s73, s7, s53
	s_cselect_b32 s72, s1, s52
	s_lshl_b64 s[4:5], s[8:9], 2
	s_add_u32 s2, s2, s4
	v_cmp_gt_i32_e64 s[8:9], 4, v34
	s_addc_u32 s3, s3, s5
	s_and_b64 s[46:47], vcc, s[8:9]
	v_cmp_gt_u32_e64 s[8:9], 2, v0
	v_mov_b32_e32 v2, 0x300
	v_writelane_b32 v50, s8, 14
	v_mov_b32_e32 v3, 0
	s_barrier
	v_writelane_b32 v50, s9, 15
	v_cmp_gt_u64_e64 s[8:9], s[52:53], v[2:3]
	s_load_dword s1, s[10:11], 0xc
	v_writelane_b32 v50, s8, 16
	v_writelane_b32 v50, s9, 17
	v_mad_u64_u32 v[2:3], s[8:9], v0, s64, 0
	v_mov_b32_e32 v4, v3
	v_mad_u64_u32 v[4:5], s[8:9], v0, s65, v[4:5]
	s_waitcnt lgkmcnt(0)
	s_and_b32 s33, s1, 0xffff
	s_bfe_u32 s7, s1, 0xa0006
	v_cmp_gt_u16_e64 s[8:9], s1, 63
	v_writelane_b32 v50, s8, 18
	s_add_u32 s1, s33, -1
	v_writelane_b32 v50, s9, 19
	s_addc_u32 s8, 0, -1
	s_add_u32 s87, s1, s52
	s_addc_u32 s69, s8, s53
	s_cmp_lt_u32 s6, s0
	s_cselect_b32 s0, 12, 18
	s_add_u32 s48, s10, s0
	v_writelane_b32 v50, s1, 20
	s_addc_u32 s49, s11, 0
	s_add_i32 s0, s7, -1
	s_bfe_u32 s1, s33, 0x30006
	s_cmp_gt_u32 s0, 6
	v_writelane_b32 v50, s8, 21
	s_cselect_b64 s[8:9], -1, 0
	v_mov_b32_e32 v3, v4
	v_writelane_b32 v50, s8, 22
	s_and_b32 s88, s7, 0x3f8
	v_lshlrev_b64 v[4:5], 2, v[2:3]
	v_writelane_b32 v50, s9, 23
	s_cmp_lg_u32 s1, 0
	v_add_co_u32_e32 v10, vcc, s2, v4
	v_lshrrev_b32_e32 v4, 4, v0
	v_writelane_b32 v50, s1, 24
	s_cselect_b64 s[0:1], -1, 0
	v_mov_b32_e32 v6, s3
	v_and_b32_e32 v36, 60, v4
	v_lshlrev_b32_e32 v4, 2, v34
	v_writelane_b32 v50, s0, 25
	v_addc_co_u32_e32 v11, vcc, v6, v5, vcc
	v_and_b32_e32 v37, 0x100, v4
	v_lshlrev_b64 v[4:5], v34, -1
	v_writelane_b32 v50, s1, 26
	s_lshl_b64 s[0:1], s[64:65], 2
	v_lshlrev_b32_e32 v38, 4, v0
	v_not_b32_e32 v17, v5
	v_writelane_b32 v50, s0, 27
	v_or_b32_e32 v5, 12, v38
	v_writelane_b32 v50, s1, 28
	v_mad_u64_u32 v[18:19], s[0:1], s64, v5, 0
	v_not_b32_e32 v16, v4
	v_mov_b32_e32 v4, v19
	v_mad_u64_u32 v[4:5], s[0:1], s65, v5, v[4:5]
	s_lshl_b64 s[0:1], s[64:65], 4
	v_writelane_b32 v50, s0, 29
	v_or_b32_e32 v5, 8, v38
	v_writelane_b32 v50, s1, 30
	v_mad_u64_u32 v[20:21], s[0:1], s64, v5, 0
	v_mov_b32_e32 v19, v4
	v_mov_b32_e32 v4, v21
	v_mad_u64_u32 v[4:5], s[0:1], s65, v5, v[4:5]
	v_or_b32_e32 v5, 4, v38
	v_mad_u64_u32 v[22:23], s[0:1], s64, v5, 0
	v_mov_b32_e32 v21, v4
	v_mov_b32_e32 v4, v23
	v_writelane_b32 v50, s46, 31
	v_mad_u64_u32 v[4:5], s[0:1], s65, v5, v[4:5]
	v_writelane_b32 v50, s47, 32
	s_mul_i32 s0, s65, s33
	s_mul_hi_u32 s1, s64, s33
	v_writelane_b32 v50, s48, 33
	s_mov_b32 s71, 0
	v_cmp_eq_u32_e64 s[4:5], 0, v34
	v_lshlrev_b32_e32 v14, 2, v0
	v_lshlrev_b64 v[24:25], 4, v[2:3]
	v_mov_b32_e32 v2, 0xc00
	s_add_i32 s1, s1, s0
	s_mul_i32 s0, s64, s33
	v_writelane_b32 v50, s49, 34
	v_mov_b32_e32 v15, 0
	v_add_u32_e32 v35, 0xc00, v14
	s_mov_b32 s86, s71
	v_mov_b32_e32 v23, v4
	v_lshl_or_b32 v39, v34, 3, v2
	s_lshl_b32 s89, s33, 2
	s_lshl_b64 s[66:67], s[0:1], 2
	s_mov_b32 s50, 30
	s_mov_b64 s[90:91], 0
	v_mov_b32_e32 v26, 1.0
	v_bfrev_b32_e32 v40, 1
	v_mov_b32_e32 v41, 0x4f800000
	v_mov_b32_e32 v29, 0
	s_mov_b32 s51, 0
	s_mov_b32 s81, 0
	;; [unrolled: 1-line block ×3, first 2 shown]
	v_writelane_b32 v50, s4, 35
                                        ; implicit-def: $sgpr76_sgpr77
                                        ; implicit-def: $sgpr38_sgpr39
                                        ; implicit-def: $sgpr58_sgpr59
                                        ; implicit-def: $sgpr60_sgpr61
                                        ; implicit-def: $sgpr62_sgpr63
                                        ; implicit-def: $sgpr74_sgpr75
	v_writelane_b32 v50, s5, 36
	s_branch .LBB124_19
.LBB124_15:                             ;   in Loop: Header=BB124_19 Depth=1
	s_xor_b32 s51, s51, 1
	s_add_i32 s10, s50, -2
	s_cmp_eq_u32 s50, 0
	s_mov_b64 s[6:7], 0
	s_cselect_b64 s[8:9], -1, 0
	s_mov_b32 s50, s10
.LBB124_16:                             ;   in Loop: Header=BB124_19 Depth=1
	s_andn2_b64 s[10:11], s[20:21], exec
	s_and_b64 s[6:7], s[6:7], exec
	s_or_b64 s[20:21], s[10:11], s[6:7]
	s_andn2_b64 s[22:23], s[22:23], exec
	s_andn2_b64 s[18:19], s[18:19], exec
	s_orn2_b64 s[14:15], s[8:9], exec
.LBB124_17:                             ;   in Loop: Header=BB124_19 Depth=1
	s_or_b64 exec, exec, s[0:1]
	s_andn2_b64 s[0:1], s[74:75], exec
	s_and_b64 s[6:7], s[20:21], exec
	s_or_b64 s[74:75], s[0:1], s[6:7]
	s_andn2_b64 s[0:1], s[62:63], exec
	s_and_b64 s[6:7], s[22:23], exec
	s_or_b64 s[62:63], s[0:1], s[6:7]
	;; [unrolled: 3-line block ×3, first 2 shown]
	s_orn2_b64 s[18:19], s[14:15], exec
.LBB124_18:                             ;   in Loop: Header=BB124_19 Depth=1
	s_or_b64 exec, exec, s[12:13]
	s_and_b64 s[0:1], exec, s[18:19]
	s_or_b64 s[90:91], s[0:1], s[90:91]
	s_andn2_b64 s[0:1], s[58:59], exec
	s_and_b64 s[6:7], s[74:75], exec
	s_or_b64 s[58:59], s[0:1], s[6:7]
	s_andn2_b64 s[0:1], s[38:39], exec
	s_and_b64 s[6:7], s[62:63], exec
	;; [unrolled: 3-line block ×3, first 2 shown]
	v_mov_b32_e32 v2, s81
	s_or_b64 s[76:77], s[0:1], s[6:7]
	s_andn2_b64 exec, exec, s[90:91]
	s_cbranch_execz .LBB124_288
.LBB124_19:                             ; =>This Loop Header: Depth=1
                                        ;     Child Loop BB124_27 Depth 2
                                        ;     Child Loop BB124_42 Depth 2
	;; [unrolled: 1-line block ×16, first 2 shown]
	ds_read_b128 v[2:5], v13 offset:5120
	s_waitcnt lgkmcnt(0)
	v_readfirstlane_b32 s83, v3
	v_readfirstlane_b32 s82, v2
	s_cmp_lg_u64 s[82:83], 0
	s_cbranch_scc1 .LBB124_49
; %bb.20:                               ;   in Loop: Header=BB124_19 Depth=1
	v_readlane_b32 s0, v50, 16
	v_readlane_b32 s1, v50, 17
	s_and_b64 vcc, exec, s[0:1]
	s_cbranch_vccz .LBB124_35
; %bb.21:                               ;   in Loop: Header=BB124_19 Depth=1
	s_mov_b64 s[0:1], 0x301
	v_cmp_gt_u64_e32 vcc, s[0:1], v[4:5]
	s_mov_b64 s[82:83], 0
	s_mov_b64 s[0:1], 0
	s_cbranch_vccz .LBB124_36
; %bb.22:                               ;   in Loop: Header=BB124_19 Depth=1
	v_mov_b32_e32 v6, 0
	s_mov_b64 s[0:1], exec
	v_readlane_b32 s6, v50, 10
	v_readlane_b32 s7, v50, 11
	s_and_b64 s[6:7], s[0:1], s[6:7]
	s_mov_b64 exec, s[6:7]
	s_cbranch_execz .LBB124_24
; %bb.23:                               ;   in Loop: Header=BB124_19 Depth=1
	global_load_dword v6, v[10:11], off
.LBB124_24:                             ;   in Loop: Header=BB124_19 Depth=1
	s_or_b64 exec, exec, s[0:1]
	s_mov_b64 s[0:1], exec
	v_readlane_b32 s6, v50, 10
	v_readlane_b32 s7, v50, 11
	s_and_b64 s[6:7], s[0:1], s[6:7]
	s_mov_b64 exec, s[6:7]
	s_cbranch_execz .LBB124_152
; %bb.25:                               ;   in Loop: Header=BB124_19 Depth=1
	global_load_ushort v7, v13, s[48:49]
	v_readlane_b32 s12, v50, 27
	v_pk_mov_b32 v[2:3], s[2:3], s[2:3] op_sel:[0,1]
	v_readlane_b32 s13, v50, 28
	s_mov_b64 s[8:9], 0
	s_waitcnt vmcnt(0)
	v_readfirstlane_b32 s6, v7
	s_and_b32 s6, 0xffff, s6
	v_add_u32_e32 v5, s6, v0
	s_mul_i32 s10, s13, s6
	s_mul_hi_u32 s11, s12, s6
	s_mul_i32 s18, s12, s6
	v_mad_u64_u32 v[2:3], s[6:7], s12, v5, v[2:3]
	v_mov_b32_e32 v4, v3
	v_mad_u64_u32 v[4:5], s[6:7], s13, v5, v[4:5]
	s_add_i32 s19, s11, s10
	v_mov_b32_e32 v3, v4
	v_pk_mov_b32 v[4:5], v[0:1], v[0:1] op_sel:[0,1]
	s_branch .LBB124_27
.LBB124_26:                             ;   in Loop: Header=BB124_27 Depth=2
	s_or_b64 exec, exec, s[6:7]
	v_mov_b32_e32 v6, s19
	v_add_co_u32_e32 v2, vcc, s18, v2
	v_addc_co_u32_e32 v3, vcc, v3, v6, vcc
	s_waitcnt vmcnt(0)
	v_mov_b32_e32 v6, v8
	s_andn2_b64 exec, exec, s[8:9]
	s_cbranch_execz .LBB124_152
.LBB124_27:                             ;   Parent Loop BB124_19 Depth=1
                                        ; =>  This Inner Loop Header: Depth=2
	v_add_co_u32_sdwa v4, vcc, v4, v7 dst_sel:DWORD dst_unused:UNUSED_PAD src0_sel:DWORD src1_sel:WORD_0
	v_addc_co_u32_e32 v5, vcc, 0, v5, vcc
	v_cmp_gt_u64_e64 s[6:7], s[52:53], v[4:5]
	v_cmp_le_u64_e32 vcc, s[52:53], v[4:5]
	s_waitcnt lgkmcnt(0)
	v_mov_b32_e32 v9, 0
	v_mov_b32_e32 v8, 0
	s_and_saveexec_b64 s[10:11], s[6:7]
	s_cbranch_execz .LBB124_29
; %bb.28:                               ;   in Loop: Header=BB124_27 Depth=2
	global_load_dword v8, v[2:3], off
.LBB124_29:                             ;   in Loop: Header=BB124_27 Depth=2
	s_or_b64 exec, exec, s[10:11]
	v_cmp_lt_i32_e64 s[6:7], -1, v6
	v_cndmask_b32_e64 v12, -1, v40, s[6:7]
	v_xor_b32_e32 v12, v12, v6
	v_cmp_o_f32_e64 s[6:7], v6, v6
	v_cndmask_b32_e64 v12, -1, v12, s[6:7]
	v_and_b32_e32 v12, s80, v12
	v_cmp_eq_u32_e64 s[10:11], s81, v12
	s_cmp_lg_u64 s[10:11], 0
	s_cselect_b64 s[6:7], -1, 0
	s_and_b64 s[6:7], s[4:5], s[6:7]
	s_and_saveexec_b64 s[12:13], s[6:7]
	s_cbranch_execz .LBB124_33
; %bb.30:                               ;   in Loop: Header=BB124_27 Depth=2
	s_mov_b64 s[16:17], exec
	v_mbcnt_lo_u32_b32 v9, s16, 0
	v_mbcnt_hi_u32_b32 v9, s17, v9
	s_bcnt1_i32_b64 s20, s[10:11]
	v_cmp_eq_u32_e64 s[6:7], 0, v9
                                        ; implicit-def: $vgpr12
	s_and_saveexec_b64 s[14:15], s[6:7]
	s_cbranch_execz .LBB124_32
; %bb.31:                               ;   in Loop: Header=BB124_27 Depth=2
	s_bcnt1_i32_b64 s6, s[16:17]
	s_mul_i32 s6, s20, s6
	v_mov_b32_e32 v12, s6
	ds_add_rtn_u32 v12, v13, v12 offset:5144
.LBB124_32:                             ;   in Loop: Header=BB124_27 Depth=2
	s_or_b64 exec, exec, s[14:15]
	s_waitcnt lgkmcnt(0)
	v_readfirstlane_b32 s6, v12
	v_mov_b32_e32 v12, s6
	v_mad_u32_u24 v9, s20, v9, v12
.LBB124_33:                             ;   in Loop: Header=BB124_27 Depth=2
	s_or_b64 exec, exec, s[12:13]
	ds_bpermute_b32 v9, v37, v9
	s_and_b64 s[6:7], exec, vcc
	s_or_b64 s[8:9], s[6:7], s[8:9]
	s_and_saveexec_b64 s[6:7], s[10:11]
	s_cbranch_execz .LBB124_26
; %bb.34:                               ;   in Loop: Header=BB124_27 Depth=2
	v_and_b32_e32 v27, s10, v16
	v_and_b32_e32 v12, s11, v17
	v_bcnt_u32_b32 v27, v27, 0
	v_bcnt_u32_b32 v12, v12, v27
	v_lshlrev_b32_e32 v12, 2, v12
	s_waitcnt lgkmcnt(0)
	v_lshl_add_u32 v9, v9, 2, v12
	ds_write_b32 v9, v6
	s_branch .LBB124_26
.LBB124_35:                             ;   in Loop: Header=BB124_19 Depth=1
	s_mov_b64 s[82:83], -1
	s_mov_b64 s[0:1], 0
.LBB124_36:                             ;   in Loop: Header=BB124_19 Depth=1
	s_and_b64 vcc, exec, s[82:83]
	s_cbranch_vccz .LBB124_47
.LBB124_37:                             ;   in Loop: Header=BB124_19 Depth=1
	s_waitcnt vmcnt(0)
	v_mov_b32_e32 v6, 0
	s_mov_b64 s[0:1], exec
	v_readlane_b32 s6, v50, 10
	v_readlane_b32 s7, v50, 11
	s_and_b64 s[6:7], s[0:1], s[6:7]
	s_mov_b64 exec, s[6:7]
	s_cbranch_execz .LBB124_39
; %bb.38:                               ;   in Loop: Header=BB124_19 Depth=1
	global_load_dword v6, v[10:11], off
.LBB124_39:                             ;   in Loop: Header=BB124_19 Depth=1
	s_or_b64 exec, exec, s[0:1]
	s_mov_b64 s[0:1], exec
	v_readlane_b32 s6, v50, 10
	v_readlane_b32 s7, v50, 11
	s_and_b64 s[6:7], s[0:1], s[6:7]
	s_mov_b64 exec, s[6:7]
	s_cbranch_execz .LBB124_44
; %bb.40:                               ;   in Loop: Header=BB124_19 Depth=1
	global_load_ushort v7, v13, s[48:49]
	v_readlane_b32 s14, v50, 27
	v_pk_mov_b32 v[2:3], s[2:3], s[2:3] op_sel:[0,1]
	v_readlane_b32 s15, v50, 28
	s_mov_b64 s[8:9], 0
	v_mov_b32_e32 v8, v14
	s_waitcnt vmcnt(0)
	v_readfirstlane_b32 s6, v7
	s_and_b32 s6, 0xffff, s6
	v_add_u32_e32 v5, s6, v0
	s_lshl_b32 s12, s6, 2
	s_mul_i32 s10, s15, s6
	s_mul_hi_u32 s11, s14, s6
	s_mul_i32 s13, s14, s6
	v_mad_u64_u32 v[2:3], s[6:7], s14, v5, v[2:3]
	v_mov_b32_e32 v4, v3
	v_mad_u64_u32 v[4:5], s[6:7], s15, v5, v[4:5]
	s_add_i32 s14, s11, s10
	v_mov_b32_e32 v3, v4
	v_pk_mov_b32 v[4:5], v[0:1], v[0:1] op_sel:[0,1]
	s_branch .LBB124_42
.LBB124_41:                             ;   in Loop: Header=BB124_42 Depth=2
	s_or_b64 exec, exec, s[10:11]
	s_and_b64 s[6:7], exec, vcc
	ds_write_b32 v8, v6
	v_mov_b32_e32 v6, s14
	v_add_co_u32_e32 v2, vcc, s13, v2
	s_or_b64 s[8:9], s[6:7], s[8:9]
	v_add_u32_e32 v8, s12, v8
	v_addc_co_u32_e32 v3, vcc, v3, v6, vcc
	s_waitcnt vmcnt(0)
	v_mov_b32_e32 v6, v9
	s_andn2_b64 exec, exec, s[8:9]
	s_cbranch_execz .LBB124_44
.LBB124_42:                             ;   Parent Loop BB124_19 Depth=1
                                        ; =>  This Inner Loop Header: Depth=2
	v_add_co_u32_sdwa v4, vcc, v4, v7 dst_sel:DWORD dst_unused:UNUSED_PAD src0_sel:DWORD src1_sel:WORD_0
	v_addc_co_u32_e32 v5, vcc, 0, v5, vcc
	v_cmp_gt_u64_e64 s[6:7], s[52:53], v[4:5]
	v_cmp_le_u64_e32 vcc, s[52:53], v[4:5]
	v_mov_b32_e32 v9, 0
	s_and_saveexec_b64 s[10:11], s[6:7]
	s_cbranch_execz .LBB124_41
; %bb.43:                               ;   in Loop: Header=BB124_42 Depth=2
	global_load_dword v9, v[2:3], off
	s_branch .LBB124_41
.LBB124_44:                             ;   in Loop: Header=BB124_19 Depth=1
	s_or_b64 exec, exec, s[0:1]
	s_waitcnt lgkmcnt(0)
	s_barrier
	s_mov_b64 s[0:1], exec
	v_readlane_b32 s6, v50, 12
	v_readlane_b32 s7, v50, 13
	s_and_b64 s[6:7], s[0:1], s[6:7]
	s_mov_b64 exec, s[6:7]
	s_cbranch_execz .LBB124_46
; %bb.45:                               ;   in Loop: Header=BB124_19 Depth=1
	v_pk_mov_b32 v[2:3], s[52:53], s[52:53] op_sel:[0,1]
	ds_write_b64 v13, v[2:3] offset:5120
.LBB124_46:                             ;   in Loop: Header=BB124_19 Depth=1
	s_or_b64 exec, exec, s[0:1]
	s_mov_b64 s[0:1], -1
	s_waitcnt lgkmcnt(0)
	s_barrier
                                        ; implicit-def: $sgpr82_sgpr83
.LBB124_47:                             ;   in Loop: Header=BB124_19 Depth=1
	s_and_b64 vcc, exec, s[0:1]
	s_cbranch_vccz .LBB124_49
; %bb.48:                               ;   in Loop: Header=BB124_19 Depth=1
	ds_read_b64 v[2:3], v13 offset:5120
	s_waitcnt lgkmcnt(0)
	v_readfirstlane_b32 s82, v2
.LBB124_49:                             ;   in Loop: Header=BB124_19 Depth=1
	s_cmp_lt_i32 s82, 1
	s_cbranch_scc0 .LBB124_64
; %bb.50:                               ;   in Loop: Header=BB124_19 Depth=1
	global_load_ushort v2, v13, s[48:49]
	s_mov_b32 s0, s71
	s_waitcnt vmcnt(0)
	v_readfirstlane_b32 s1, v2
	s_and_b32 s70, s1, 0xffff
	s_lshl_b32 s78, s70, 2
	s_mov_b32 s1, s53
	s_cmp_lg_u64 s[0:1], 0
	s_cbranch_scc0 .LBB124_84
; %bb.51:                               ;   in Loop: Header=BB124_19 Depth=1
	v_cvt_f32_u32_e32 v2, s78
	s_sub_u32 s0, 0, s78
	s_subb_u32 s1, 0, 0
	v_mac_f32_e32 v2, 0, v41
	v_rcp_f32_e32 v2, v2
	v_mul_f32_e32 v2, 0x5f7ffffc, v2
	v_mul_f32_e32 v3, 0x2f800000, v2
	v_trunc_f32_e32 v3, v3
	v_mac_f32_e32 v2, 0xcf800000, v3
	v_cvt_u32_f32_e32 v3, v3
	v_cvt_u32_f32_e32 v2, v2
	v_readfirstlane_b32 s6, v3
	v_readfirstlane_b32 s7, v2
	s_mul_i32 s8, s0, s6
	s_mul_hi_u32 s10, s0, s7
	s_mul_i32 s9, s1, s7
	s_add_i32 s8, s10, s8
	s_mul_i32 s11, s0, s7
	s_add_i32 s8, s8, s9
	s_mul_hi_u32 s10, s7, s11
	s_mul_hi_u32 s9, s7, s8
	s_mul_i32 s7, s7, s8
	s_add_u32 s7, s10, s7
	s_addc_u32 s9, 0, s9
	s_mul_hi_u32 s12, s6, s11
	s_mul_i32 s11, s6, s11
	s_add_u32 s7, s7, s11
	s_mul_hi_u32 s10, s6, s8
	s_addc_u32 s7, s9, s12
	s_addc_u32 s9, s10, 0
	s_mul_i32 s8, s6, s8
	s_add_u32 s7, s7, s8
	s_addc_u32 s8, 0, s9
	v_add_co_u32_e32 v2, vcc, s7, v2
	s_cmp_lg_u64 vcc, 0
	s_addc_u32 s6, s6, s8
	v_readfirstlane_b32 s8, v2
	s_mul_i32 s7, s0, s6
	s_mul_hi_u32 s9, s0, s8
	s_add_i32 s7, s9, s7
	s_mul_i32 s1, s1, s8
	s_add_i32 s7, s7, s1
	s_mul_i32 s0, s0, s8
	s_mul_hi_u32 s9, s6, s0
	s_mul_i32 s10, s6, s0
	s_mul_i32 s12, s8, s7
	s_mul_hi_u32 s0, s8, s0
	s_mul_hi_u32 s11, s8, s7
	s_add_u32 s0, s0, s12
	s_addc_u32 s8, 0, s11
	s_add_u32 s0, s0, s10
	s_mul_hi_u32 s1, s6, s7
	s_addc_u32 s0, s8, s9
	s_addc_u32 s1, s1, 0
	s_mul_i32 s7, s6, s7
	s_add_u32 s0, s0, s7
	s_addc_u32 s1, 0, s1
	v_add_co_u32_e32 v2, vcc, s0, v2
	s_cmp_lg_u64 vcc, 0
	s_addc_u32 s0, s6, s1
	v_readfirstlane_b32 s7, v2
	s_mul_i32 s6, s52, s0
	s_mul_hi_u32 s8, s52, s7
	s_mul_hi_u32 s1, s52, s0
	s_add_u32 s6, s8, s6
	s_addc_u32 s1, 0, s1
	s_mul_hi_u32 s9, s53, s7
	s_mul_i32 s7, s53, s7
	s_add_u32 s6, s6, s7
	s_mul_hi_u32 s8, s53, s0
	s_addc_u32 s1, s1, s9
	s_addc_u32 s6, s8, 0
	s_mul_i32 s0, s53, s0
	s_add_u32 s0, s1, s0
	s_addc_u32 s1, 0, s6
	s_mul_hi_u32 s6, s78, s0
	s_mul_i32 s0, s78, s0
	s_mul_i32 s1, s78, s1
	v_mov_b32_e32 v2, s0
	s_add_i32 s6, s6, s1
	v_sub_co_u32_e32 v2, vcc, s52, v2
	s_cmp_lg_u64 vcc, 0
	s_subb_u32 s0, s53, s6
	v_subrev_co_u32_e32 v3, vcc, s78, v2
	s_cmp_lg_u64 vcc, 0
	s_subb_u32 s1, s0, 0
	v_subrev_co_u32_e32 v4, vcc, s78, v3
	s_cmp_lg_u64 vcc, 0
	s_subb_u32 s6, s1, 0
	v_cmp_le_u32_e32 vcc, s78, v3
	s_cmp_eq_u32 s1, 0
	v_cndmask_b32_e64 v5, 0, -1, vcc
	s_cselect_b64 vcc, -1, 0
	v_cndmask_b32_e32 v5, -1, v5, vcc
	v_mov_b32_e32 v6, s1
	v_mov_b32_e32 v7, s6
	v_cmp_ne_u32_e32 vcc, 0, v5
	v_cndmask_b32_e32 v5, v6, v7, vcc
	v_cndmask_b32_e32 v4, v3, v4, vcc
	v_cmp_le_u32_e32 vcc, s78, v2
	s_cmp_eq_u32 s0, 0
	v_cndmask_b32_e64 v3, 0, -1, vcc
	s_cselect_b64 vcc, -1, 0
	v_cndmask_b32_e32 v3, -1, v3, vcc
	v_mov_b32_e32 v6, s0
	v_cmp_ne_u32_e32 vcc, 0, v3
	v_cndmask_b32_e32 v3, v6, v5, vcc
	v_cndmask_b32_e32 v2, v2, v4, vcc
	s_cbranch_execnz .LBB124_53
.LBB124_52:                             ;   in Loop: Header=BB124_19 Depth=1
	v_cvt_f32_u32_e32 v2, s78
	s_sub_i32 s0, 0, s78
	v_rcp_iflag_f32_e32 v2, v2
	v_mul_f32_e32 v2, 0x4f7ffffe, v2
	v_cvt_u32_f32_e32 v2, v2
	v_mul_lo_u32 v3, s0, v2
	v_mul_hi_u32 v3, v2, v3
	v_add_u32_e32 v2, v2, v3
	v_mul_hi_u32 v2, s52, v2
	v_mul_lo_u32 v2, v2, s78
	v_sub_u32_e32 v2, s52, v2
	v_subrev_u32_e32 v3, s78, v2
	v_cmp_le_u32_e32 vcc, s78, v2
	v_cndmask_b32_e32 v2, v2, v3, vcc
	v_subrev_u32_e32 v3, s78, v2
	v_cmp_le_u32_e32 vcc, s78, v2
	v_cndmask_b32_e32 v12, v2, v3, vcc
	v_pk_mov_b32 v[2:3], v[12:13], v[12:13] op_sel:[0,1]
.LBB124_53:                             ;   in Loop: Header=BB124_19 Depth=1
	v_mov_b32_e32 v4, s53
	v_sub_co_u32_e32 v30, vcc, s52, v2
	v_subb_co_u32_e32 v31, vcc, v4, v3, vcc
	v_pk_mov_b32 v[2:3], 0, 0
	v_cmp_gt_u64_e32 vcc, v[30:31], v[14:15]
	s_mov_b64 s[54:55], 0
	v_pk_mov_b32 v[4:5], v[2:3], v[2:3] op_sel:[0,1]
	v_pk_mov_b32 v[6:7], v[2:3], v[2:3] op_sel:[0,1]
	;; [unrolled: 1-line block ×3, first 2 shown]
	s_and_saveexec_b64 s[84:85], vcc
	s_cbranch_execz .LBB124_57
; %bb.54:                               ;   in Loop: Header=BB124_19 Depth=1
	v_writelane_b32 v50, s38, 37
	v_writelane_b32 v50, s39, 38
	v_readlane_b32 s6, v50, 29
	v_readlane_b32 s7, v50, 30
	s_mul_i32 s0, s7, s70
	s_mul_hi_u32 s1, s6, s70
	s_mov_b64 s[56:57], s[76:77]
	s_mov_b64 s[94:95], s[74:75]
	;; [unrolled: 1-line block ×5, first 2 shown]
	s_mov_b32 s74, s51
	s_mov_b32 s5, s69
	;; [unrolled: 1-line block ×4, first 2 shown]
	s_and_b32 s83, s50, 0xfe
	s_add_i32 s73, s1, s0
	s_mul_i32 s87, s6, s70
	s_mov_b64 s[68:69], s[2:3]
	s_mov_b64 s[8:9], 0
	;; [unrolled: 1-line block ×5, first 2 shown]
	v_pk_mov_b32 v[32:33], v[14:15], v[14:15] op_sel:[0,1]
.LBB124_55:                             ;   Parent Loop BB124_19 Depth=1
                                        ; =>  This Inner Loop Header: Depth=2
	v_add_co_u32_e64 v32, s[6:7], s78, v32
	v_addc_co_u32_e64 v33, s[6:7], 0, v33, s[6:7]
	v_mov_b32_e32 v7, s69
	v_add_co_u32_e32 v2, vcc, s68, v22
	v_add_co_u32_e64 v8, s[6:7], s68, v24
	v_add_co_u32_e64 v4, s[10:11], s68, v20
	;; [unrolled: 1-line block ×3, first 2 shown]
	v_addc_co_u32_e64 v9, s[6:7], v7, v25, s[6:7]
	v_addc_co_u32_e32 v3, vcc, v7, v23, vcc
	v_addc_co_u32_e64 v5, vcc, v7, v21, s[10:11]
	v_addc_co_u32_e64 v7, vcc, v7, v19, s[12:13]
	global_load_dword v8, v[8:9], off
	s_nop 0
	global_load_dword v2, v[2:3], off
	s_nop 0
	;; [unrolled: 2-line block ×3, first 2 shown]
	global_load_dword v4, v[6:7], off
	v_cmp_ge_u64_e32 vcc, v[32:33], v[30:31]
	s_waitcnt vmcnt(3)
	v_cmp_lt_i32_e64 s[6:7], -1, v8
	v_cndmask_b32_e64 v5, -1, v40, s[6:7]
	s_waitcnt vmcnt(2)
	v_cmp_lt_i32_e64 s[6:7], -1, v2
	v_cndmask_b32_e64 v6, -1, v40, s[6:7]
	;; [unrolled: 3-line block ×4, first 2 shown]
	v_xor_b32_e32 v6, v6, v2
	v_cmp_o_f32_e64 s[6:7], v2, v2
	v_xor_b32_e32 v2, v7, v3
	v_cmp_o_f32_e64 s[10:11], v3, v3
	v_xor_b32_e32 v3, v9, v4
	v_cmp_o_f32_e64 s[12:13], v4, v4
	v_xor_b32_e32 v4, v5, v8
	v_cmp_o_f32_e64 s[14:15], v8, v8
	v_cndmask_b32_e64 v4, -1, v4, s[14:15]
	v_cndmask_b32_e64 v5, -1, v6, s[6:7]
	v_and_b32_e32 v6, s80, v4
	v_bfe_u32 v4, v4, s83, 2
	v_cndmask_b32_e64 v2, -1, v2, s[10:11]
	v_and_b32_e32 v7, s80, v5
	v_bfe_u32 v5, v5, s83, 2
	v_cmp_eq_u32_e64 s[16:17], s81, v6
	v_cmp_eq_u32_e64 s[6:7], 0, v4
	v_cndmask_b32_e64 v3, -1, v3, s[12:13]
	v_and_b32_e32 v8, s80, v2
	v_bfe_u32 v2, v2, s83, 2
	v_cmp_eq_u32_e64 s[14:15], s81, v7
	v_cmp_eq_u32_e64 s[28:29], 0, v5
	s_and_b64 s[6:7], s[16:17], s[6:7]
	v_and_b32_e32 v9, s80, v3
	v_bfe_u32 v3, v3, s83, 2
	v_cmp_eq_u32_e64 s[12:13], s81, v8
	v_cmp_eq_u32_e64 s[30:31], 0, v2
	;; [unrolled: 1-line block ×5, first 2 shown]
	v_cndmask_b32_e64 v2, 0, 1, s[6:7]
	s_and_b64 s[6:7], s[14:15], s[28:29]
	v_cmp_eq_u32_e64 s[10:11], s81, v9
	v_cmp_eq_u32_e64 s[34:35], 0, v3
	;; [unrolled: 1-line block ×5, first 2 shown]
	v_cndmask_b32_e64 v3, 0, 1, s[6:7]
	s_and_b64 s[6:7], s[12:13], s[30:31]
	v_cmp_eq_u32_e64 s[36:37], 1, v4
	v_cmp_eq_u32_e64 s[44:45], 2, v4
	;; [unrolled: 1-line block ×3, first 2 shown]
	v_cndmask_b32_e64 v4, 0, 1, s[6:7]
	s_and_b64 s[6:7], s[10:11], s[34:35]
	v_cmp_eq_u32_e64 s[38:39], 1, v5
	v_cmp_eq_u32_e64 s[46:47], 2, v5
	;; [unrolled: 1-line block ×3, first 2 shown]
	v_cndmask_b32_e64 v5, 0, 1, s[6:7]
	v_cmp_ne_u32_e64 s[6:7], 0, v2
	v_cmp_ne_u32_e64 s[28:29], 0, v3
	v_cmp_ne_u32_e64 s[30:31], 0, v4
	v_cmp_ne_u32_e64 s[34:35], 0, v5
	s_bcnt1_i32_b64 s6, s[6:7]
	s_bcnt1_i32_b64 s7, s[28:29]
	s_bcnt1_i32_b64 s28, s[30:31]
	s_bcnt1_i32_b64 s29, s[34:35]
	s_add_u32 s6, s6, s26
	s_addc_u32 s26, 0, s27
	s_add_u32 s6, s6, s7
	s_addc_u32 s7, s26, 0
	s_add_u32 s6, s6, s28
	s_addc_u32 s7, s7, 0
	s_add_u32 s26, s6, s29
	s_addc_u32 s27, s7, 0
	s_and_b64 s[6:7], s[16:17], s[36:37]
	v_cndmask_b32_e64 v4, 0, 1, s[6:7]
	s_and_b64 s[6:7], s[14:15], s[38:39]
	v_cndmask_b32_e64 v5, 0, 1, s[6:7]
	s_and_b64 s[6:7], s[12:13], s[40:41]
	v_cndmask_b32_e64 v6, 0, 1, s[6:7]
	s_and_b64 s[6:7], s[10:11], s[42:43]
	v_cndmask_b32_e64 v7, 0, 1, s[6:7]
	v_cmp_ne_u32_e64 s[6:7], 0, v4
	v_cmp_ne_u32_e64 s[28:29], 0, v5
	v_cmp_ne_u32_e64 s[30:31], 0, v6
	v_cmp_ne_u32_e64 s[34:35], 0, v7
	s_bcnt1_i32_b64 s6, s[6:7]
	s_bcnt1_i32_b64 s7, s[28:29]
	s_bcnt1_i32_b64 s28, s[30:31]
	s_bcnt1_i32_b64 s29, s[34:35]
	s_add_u32 s0, s6, s0
	s_addc_u32 s1, 0, s1
	s_add_u32 s0, s0, s7
	s_addc_u32 s1, s1, 0
	s_add_u32 s0, s0, s28
	s_addc_u32 s1, s1, 0
	s_add_u32 s0, s0, s29
	s_addc_u32 s1, s1, 0
	s_and_b64 s[6:7], s[16:17], s[44:45]
	v_cndmask_b32_e64 v6, 0, 1, s[6:7]
	s_and_b64 s[6:7], s[14:15], s[46:47]
	v_cndmask_b32_e64 v7, 0, 1, s[6:7]
	s_and_b64 s[6:7], s[12:13], s[48:49]
	v_cndmask_b32_e64 v8, 0, 1, s[6:7]
	s_and_b64 s[6:7], s[10:11], s[50:51]
	;; [unrolled: 24-line block ×3, first 2 shown]
	v_cndmask_b32_e64 v27, 0, 1, s[6:7]
	v_cmp_ne_u32_e64 s[6:7], 0, v8
	v_cmp_ne_u32_e64 s[10:11], 0, v9
	;; [unrolled: 1-line block ×4, first 2 shown]
	s_bcnt1_i32_b64 s6, s[6:7]
	s_bcnt1_i32_b64 s7, s[10:11]
	;; [unrolled: 1-line block ×4, first 2 shown]
	s_add_u32 s6, s6, s8
	s_addc_u32 s8, 0, s9
	s_add_u32 s6, s6, s7
	s_addc_u32 s7, s8, 0
	;; [unrolled: 2-line block ×5, first 2 shown]
	v_pk_mov_b32 v[2:3], s[26:27], s[26:27] op_sel:[0,1]
	v_pk_mov_b32 v[4:5], s[0:1], s[0:1] op_sel:[0,1]
	;; [unrolled: 1-line block ×3, first 2 shown]
	s_or_b64 s[54:55], vcc, s[54:55]
	v_pk_mov_b32 v[8:9], s[8:9], s[8:9] op_sel:[0,1]
	s_andn2_b64 exec, exec, s[54:55]
	s_cbranch_execnz .LBB124_55
; %bb.56:                               ;   in Loop: Header=BB124_19 Depth=1
	s_or_b64 exec, exec, s[54:55]
	v_readlane_b32 s46, v50, 31
	v_readlane_b32 s48, v50, 33
	s_mov_b32 s69, s5
	v_readlane_b32 s4, v50, 35
	v_readlane_b32 s38, v50, 37
	v_readlane_b32 s47, v50, 32
	s_mov_b32 s87, s72
	v_readlane_b32 s49, v50, 34
	s_mov_b32 s50, s79
	v_readlane_b32 s5, v50, 36
	s_mov_b32 s51, s74
	s_mov_b64 s[72:73], s[60:61]
	s_mov_b64 s[60:61], s[62:63]
	;; [unrolled: 1-line block ×5, first 2 shown]
	v_readlane_b32 s39, v50, 38
.LBB124_57:                             ;   in Loop: Header=BB124_19 Depth=1
	s_or_b64 exec, exec, s[84:85]
	v_add_co_u32_e32 v30, vcc, v30, v0
	v_addc_co_u32_e32 v31, vcc, 0, v31, vcc
	v_cmp_gt_u64_e32 vcc, s[52:53], v[30:31]
	v_mov_b32_e32 v12, 0
	s_and_saveexec_b64 s[0:1], vcc
	s_cbranch_execz .LBB124_59
; %bb.58:                               ;   in Loop: Header=BB124_19 Depth=1
	v_mul_lo_u32 v12, v31, s64
	v_mul_lo_u32 v27, v30, s65
	v_mad_u64_u32 v[32:33], s[6:7], v30, s64, 0
	v_add3_u32 v33, v33, v27, v12
	v_lshlrev_b64 v[32:33], 2, v[32:33]
	v_mov_b32_e32 v12, s3
	v_add_co_u32_e64 v32, s[6:7], s2, v32
	v_addc_co_u32_e64 v33, s[6:7], v12, v33, s[6:7]
	global_load_dword v12, v[32:33], off
.LBB124_59:                             ;   in Loop: Header=BB124_19 Depth=1
	s_or_b64 exec, exec, s[0:1]
	s_and_saveexec_b64 s[0:1], vcc
	s_cbranch_execz .LBB124_66
; %bb.60:                               ;   in Loop: Header=BB124_19 Depth=1
	s_and_b32 s12, s50, 0xfe
	s_mov_b64 s[8:9], 0
	s_branch .LBB124_62
.LBB124_61:                             ;   in Loop: Header=BB124_62 Depth=2
	s_or_b64 exec, exec, s[10:11]
	s_and_b64 s[6:7], exec, vcc
	s_waitcnt vmcnt(0)
	v_cmp_lt_i32_e32 vcc, -1, v12
	v_cndmask_b32_e32 v28, -1, v40, vcc
	v_xor_b32_e32 v28, v28, v12
	v_cmp_o_f32_e32 vcc, v12, v12
	v_cndmask_b32_e32 v12, -1, v28, vcc
	v_and_b32_e32 v28, s80, v12
	v_bfe_u32 v12, v12, s12, 2
	s_or_b64 s[8:9], s[6:7], s[8:9]
	v_cmp_eq_u32_e32 vcc, s81, v28
	v_cmp_eq_u32_e64 s[6:7], 0, v12
	s_and_b64 s[6:7], vcc, s[6:7]
	v_cndmask_b32_e64 v28, 0, 1, s[6:7]
	v_cmp_ne_u32_e64 s[6:7], 0, v28
	s_bcnt1_i32_b64 s6, s[6:7]
	v_add_co_u32_e64 v2, s[6:7], s6, v2
	v_addc_co_u32_e64 v3, s[6:7], 0, v3, s[6:7]
	v_cmp_eq_u32_e64 s[6:7], 1, v12
	s_and_b64 s[6:7], vcc, s[6:7]
	v_cndmask_b32_e64 v28, 0, 1, s[6:7]
	v_cmp_ne_u32_e64 s[6:7], 0, v28
	s_bcnt1_i32_b64 s6, s[6:7]
	v_add_co_u32_e64 v4, s[6:7], s6, v4
	v_addc_co_u32_e64 v5, s[6:7], 0, v5, s[6:7]
	;; [unrolled: 7-line block ×3, first 2 shown]
	v_cmp_eq_u32_e64 s[6:7], 3, v12
	s_and_b64 s[6:7], vcc, s[6:7]
	v_cndmask_b32_e64 v12, 0, 1, s[6:7]
	v_cmp_ne_u32_e32 vcc, 0, v12
	s_bcnt1_i32_b64 s6, vcc
	v_add_co_u32_e32 v8, vcc, s6, v8
	v_addc_co_u32_e32 v9, vcc, 0, v9, vcc
	v_mov_b32_e32 v12, v27
	s_andn2_b64 exec, exec, s[8:9]
	s_cbranch_execz .LBB124_65
.LBB124_62:                             ;   Parent Loop BB124_19 Depth=1
                                        ; =>  This Inner Loop Header: Depth=2
	v_mov_b32_e32 v27, s71
	v_add_co_u32_e32 v30, vcc, s70, v30
	v_addc_co_u32_e32 v31, vcc, v31, v27, vcc
	v_cmp_gt_u64_e64 s[6:7], s[52:53], v[30:31]
	v_cmp_le_u64_e32 vcc, s[52:53], v[30:31]
	v_mov_b32_e32 v27, 0
	s_and_saveexec_b64 s[10:11], s[6:7]
	s_cbranch_execz .LBB124_61
; %bb.63:                               ;   in Loop: Header=BB124_62 Depth=2
	v_mul_lo_u32 v27, v31, s64
	v_mul_lo_u32 v28, v30, s65
	v_mad_u64_u32 v[32:33], s[6:7], v30, s64, 0
	v_add3_u32 v33, v33, v28, v27
	v_lshlrev_b64 v[32:33], 2, v[32:33]
	v_mov_b32_e32 v27, s3
	v_add_co_u32_e64 v32, s[6:7], s2, v32
	v_addc_co_u32_e64 v33, s[6:7], v27, v33, s[6:7]
	global_load_dword v27, v[32:33], off
	s_branch .LBB124_61
.LBB124_64:                             ;   in Loop: Header=BB124_19 Depth=1
                                        ; implicit-def: $vgpr8_vgpr9
                                        ; implicit-def: $vgpr4_vgpr5
	s_cbranch_execnz .LBB124_67
	s_branch .LBB124_76
.LBB124_65:                             ;   in Loop: Header=BB124_19 Depth=1
	s_or_b64 exec, exec, s[8:9]
.LBB124_66:                             ;   in Loop: Header=BB124_19 Depth=1
	s_or_b64 exec, exec, s[0:1]
	s_branch .LBB124_76
.LBB124_67:                             ;   in Loop: Header=BB124_19 Depth=1
	global_load_ushort v8, v13, s[48:49]
	s_mov_b64 s[54:55], 0
	s_waitcnt vmcnt(0)
	v_readfirstlane_b32 s0, v8
	s_and_b32 s0, 0xffff, s0
	s_lshl_b32 s78, s0, 2
	v_cvt_f32_u32_e32 v2, s78
	s_sub_i32 s0, 0, s78
	v_and_b32_e32 v27, 0xffff, v8
	v_rcp_iflag_f32_e32 v6, v2
	v_pk_mov_b32 v[2:3], 0, 0
	v_pk_mov_b32 v[4:5], v[2:3], v[2:3] op_sel:[0,1]
	v_mul_f32_e32 v6, 0x4f7ffffe, v6
	v_cvt_u32_f32_e32 v9, v6
	v_pk_mov_b32 v[6:7], v[2:3], v[2:3] op_sel:[0,1]
	v_readfirstlane_b32 s1, v9
	s_mul_i32 s0, s0, s1
	s_mul_hi_u32 s0, s1, s0
	s_add_i32 s1, s1, s0
	s_mul_hi_u32 s0, s82, s1
	s_mul_i32 s0, s0, s78
	s_sub_i32 s0, s82, s0
	s_sub_i32 s1, s0, s78
	s_cmp_ge_u32 s0, s78
	s_cselect_b32 s0, s1, s0
	s_sub_i32 s1, s0, s78
	s_cmp_ge_u32 s0, s78
	s_cselect_b32 s0, s1, s0
	s_sub_i32 s70, s82, s0
	v_cmp_gt_u32_e32 vcc, s70, v14
	v_pk_mov_b32 v[8:9], v[2:3], v[2:3] op_sel:[0,1]
	s_and_saveexec_b64 s[0:1], vcc
	s_cbranch_execz .LBB124_71
; %bb.68:                               ;   in Loop: Header=BB124_19 Depth=1
	s_mov_b64 s[94:95], s[38:39]
	s_mov_b64 s[56:57], s[76:77]
	;; [unrolled: 1-line block ×6, first 2 shown]
	s_mov_b32 s74, s51
	s_mov_b32 s5, s69
	;; [unrolled: 1-line block ×3, first 2 shown]
	s_and_b32 s73, s50, 0xfe
	v_lshlrev_b32_e32 v12, 4, v27
	v_mov_b32_e32 v28, v38
	s_mov_b64 s[8:9], 0
	s_mov_b64 s[26:27], 0
	;; [unrolled: 1-line block ×4, first 2 shown]
	v_pk_mov_b32 v[30:31], v[14:15], v[14:15] op_sel:[0,1]
.LBB124_69:                             ;   Parent Loop BB124_19 Depth=1
                                        ; =>  This Inner Loop Header: Depth=2
	ds_read_b128 v[2:5], v28
	v_add_co_u32_e32 v30, vcc, s78, v30
	v_addc_co_u32_e32 v31, vcc, 0, v31, vcc
	s_waitcnt lgkmcnt(0)
	v_cmp_lt_i32_e64 s[6:7], -1, v2
	v_cndmask_b32_e64 v6, -1, v40, s[6:7]
	v_cmp_lt_i32_e64 s[6:7], -1, v3
	v_cndmask_b32_e64 v7, -1, v40, s[6:7]
	;; [unrolled: 2-line block ×4, first 2 shown]
	v_xor_b32_e32 v7, v7, v3
	v_cmp_o_f32_e64 s[6:7], v3, v3
	v_xor_b32_e32 v3, v8, v4
	v_cmp_o_f32_e64 s[10:11], v4, v4
	;; [unrolled: 2-line block ×4, first 2 shown]
	v_cndmask_b32_e64 v2, -1, v5, s[14:15]
	v_cndmask_b32_e64 v5, -1, v7, s[6:7]
	v_and_b32_e32 v6, s80, v2
	v_bfe_u32 v2, v2, s73, 2
	v_cndmask_b32_e64 v3, -1, v3, s[10:11]
	v_and_b32_e32 v7, s80, v5
	v_bfe_u32 v5, v5, s73, 2
	v_cmp_eq_u32_e64 s[16:17], s81, v6
	v_cmp_eq_u32_e64 s[6:7], 0, v2
	v_cndmask_b32_e64 v4, -1, v4, s[12:13]
	v_and_b32_e32 v8, s80, v3
	v_bfe_u32 v3, v3, s73, 2
	v_cmp_eq_u32_e64 s[14:15], s81, v7
	v_cmp_eq_u32_e64 s[28:29], 0, v5
	s_and_b64 s[6:7], s[16:17], s[6:7]
	v_and_b32_e32 v9, s80, v4
	v_bfe_u32 v4, v4, s73, 2
	v_cmp_eq_u32_e64 s[12:13], s81, v8
	v_cmp_eq_u32_e64 s[30:31], 0, v3
	;; [unrolled: 1-line block ×5, first 2 shown]
	v_cndmask_b32_e64 v2, 0, 1, s[6:7]
	s_and_b64 s[6:7], s[14:15], s[28:29]
	v_cmp_eq_u32_e64 s[10:11], s81, v9
	v_cmp_eq_u32_e64 s[34:35], 0, v4
	v_cmp_eq_u32_e64 s[40:41], 1, v3
	v_cmp_eq_u32_e64 s[48:49], 2, v3
	v_cmp_eq_u32_e64 s[20:21], 3, v3
	v_cndmask_b32_e64 v3, 0, 1, s[6:7]
	s_and_b64 s[6:7], s[12:13], s[30:31]
	v_cmp_eq_u32_e64 s[42:43], 1, v4
	v_cmp_eq_u32_e64 s[50:51], 2, v4
	;; [unrolled: 1-line block ×3, first 2 shown]
	v_cndmask_b32_e64 v4, 0, 1, s[6:7]
	s_and_b64 s[6:7], s[10:11], s[34:35]
	v_cmp_eq_u32_e64 s[38:39], 1, v5
	v_cmp_eq_u32_e64 s[46:47], 2, v5
	;; [unrolled: 1-line block ×3, first 2 shown]
	v_cndmask_b32_e64 v5, 0, 1, s[6:7]
	v_cmp_ne_u32_e64 s[6:7], 0, v2
	v_cmp_ne_u32_e64 s[28:29], 0, v3
	v_cmp_ne_u32_e64 s[30:31], 0, v4
	v_cmp_ne_u32_e64 s[34:35], 0, v5
	s_bcnt1_i32_b64 s6, s[6:7]
	s_bcnt1_i32_b64 s7, s[28:29]
	s_bcnt1_i32_b64 s28, s[30:31]
	s_bcnt1_i32_b64 s29, s[34:35]
	s_add_u32 s6, s6, s76
	s_addc_u32 s30, 0, s77
	s_add_u32 s6, s6, s7
	s_addc_u32 s7, s30, 0
	s_add_u32 s6, s6, s28
	s_addc_u32 s7, s7, 0
	s_add_u32 s76, s6, s29
	s_addc_u32 s77, s7, 0
	s_and_b64 s[6:7], s[16:17], s[36:37]
	v_cndmask_b32_e64 v4, 0, 1, s[6:7]
	s_and_b64 s[6:7], s[14:15], s[38:39]
	v_cndmask_b32_e64 v5, 0, 1, s[6:7]
	s_and_b64 s[6:7], s[12:13], s[40:41]
	v_cndmask_b32_e64 v6, 0, 1, s[6:7]
	s_and_b64 s[6:7], s[10:11], s[42:43]
	v_cndmask_b32_e64 v7, 0, 1, s[6:7]
	v_cmp_ne_u32_e64 s[6:7], 0, v4
	v_cmp_ne_u32_e64 s[28:29], 0, v5
	v_cmp_ne_u32_e64 s[30:31], 0, v6
	v_cmp_ne_u32_e64 s[34:35], 0, v7
	s_bcnt1_i32_b64 s6, s[6:7]
	s_bcnt1_i32_b64 s7, s[28:29]
	s_bcnt1_i32_b64 s28, s[30:31]
	s_bcnt1_i32_b64 s29, s[34:35]
	s_add_u32 s6, s6, s68
	s_addc_u32 s30, 0, s69
	s_add_u32 s6, s6, s7
	s_addc_u32 s7, s30, 0
	s_add_u32 s6, s6, s28
	s_addc_u32 s7, s7, 0
	s_add_u32 s68, s6, s29
	s_addc_u32 s69, s7, 0
	s_and_b64 s[6:7], s[16:17], s[44:45]
	v_cndmask_b32_e64 v6, 0, 1, s[6:7]
	s_and_b64 s[6:7], s[14:15], s[46:47]
	v_cndmask_b32_e64 v7, 0, 1, s[6:7]
	s_and_b64 s[6:7], s[12:13], s[48:49]
	v_cndmask_b32_e64 v8, 0, 1, s[6:7]
	s_and_b64 s[6:7], s[10:11], s[50:51]
	;; [unrolled: 24-line block ×3, first 2 shown]
	v_cndmask_b32_e64 v33, 0, 1, s[6:7]
	v_cmp_ne_u32_e64 s[6:7], 0, v8
	v_cmp_ne_u32_e64 s[10:11], 0, v9
	v_cmp_ne_u32_e64 s[12:13], 0, v32
	v_cmp_ne_u32_e64 s[14:15], 0, v33
	s_bcnt1_i32_b64 s6, s[6:7]
	s_bcnt1_i32_b64 s7, s[10:11]
	;; [unrolled: 1-line block ×4, first 2 shown]
	s_add_u32 s6, s6, s8
	s_addc_u32 s8, 0, s9
	s_add_u32 s6, s6, s7
	s_addc_u32 s7, s8, 0
	;; [unrolled: 2-line block ×3, first 2 shown]
	s_add_u32 s8, s6, s11
	v_cmp_le_u64_e32 vcc, s[70:71], v[30:31]
	s_addc_u32 s9, s7, 0
	v_add_u32_e32 v28, v28, v12
	v_pk_mov_b32 v[2:3], s[76:77], s[76:77] op_sel:[0,1]
	v_pk_mov_b32 v[4:5], s[68:69], s[68:69] op_sel:[0,1]
	;; [unrolled: 1-line block ×3, first 2 shown]
	s_or_b64 s[54:55], vcc, s[54:55]
	v_pk_mov_b32 v[8:9], s[8:9], s[8:9] op_sel:[0,1]
	s_andn2_b64 exec, exec, s[54:55]
	s_cbranch_execnz .LBB124_69
; %bb.70:                               ;   in Loop: Header=BB124_19 Depth=1
	s_or_b64 exec, exec, s[54:55]
	v_readlane_b32 s46, v50, 31
	v_readlane_b32 s48, v50, 33
	s_mov_b32 s69, s5
	v_readlane_b32 s4, v50, 35
	v_readlane_b32 s47, v50, 32
	;; [unrolled: 1-line block ×3, first 2 shown]
	s_mov_b32 s50, s72
	v_readlane_b32 s5, v50, 36
	s_mov_b32 s51, s74
	s_mov_b64 s[72:73], s[60:61]
	s_mov_b64 s[60:61], s[62:63]
	;; [unrolled: 1-line block ×6, first 2 shown]
.LBB124_71:                             ;   in Loop: Header=BB124_19 Depth=1
	s_or_b64 exec, exec, s[0:1]
	v_add_u32_e32 v12, s70, v0
	v_cmp_gt_u32_e32 vcc, s82, v12
	s_and_saveexec_b64 s[0:1], vcc
	s_cbranch_execz .LBB124_75
; %bb.72:                               ;   in Loop: Header=BB124_19 Depth=1
	s_and_b32 s70, s82, 0x7fffffff
	s_and_b32 s18, s50, 0xfe
	v_lshlrev_b32_e32 v28, 2, v12
	s_mov_b64 s[8:9], 0
	v_pk_mov_b32 v[30:31], v[12:13], v[12:13] op_sel:[0,1]
.LBB124_73:                             ;   Parent Loop BB124_19 Depth=1
                                        ; =>  This Inner Loop Header: Depth=2
	ds_read_b32 v12, v28
	v_add_co_u32_e32 v30, vcc, v30, v27
	v_addc_co_u32_e32 v31, vcc, 0, v31, vcc
	s_waitcnt lgkmcnt(0)
	v_cmp_lt_i32_e64 s[6:7], -1, v12
	v_cndmask_b32_e64 v32, -1, v40, s[6:7]
	v_xor_b32_e32 v32, v32, v12
	v_cmp_o_f32_e64 s[6:7], v12, v12
	v_cndmask_b32_e64 v12, -1, v32, s[6:7]
	v_and_b32_e32 v32, s80, v12
	v_bfe_u32 v12, v12, s18, 2
	v_cmp_eq_u32_e64 s[6:7], s81, v32
	v_cmp_eq_u32_e64 s[10:11], 0, v12
	;; [unrolled: 1-line block ×3, first 2 shown]
	s_and_b64 s[10:11], s[6:7], s[10:11]
	v_cmp_eq_u32_e64 s[14:15], 2, v12
	v_cmp_eq_u32_e64 s[16:17], 3, v12
	v_cndmask_b32_e64 v12, 0, 1, s[10:11]
	s_and_b64 s[10:11], s[6:7], s[12:13]
	v_cndmask_b32_e64 v32, 0, 1, s[10:11]
	s_and_b64 s[10:11], s[6:7], s[14:15]
	s_and_b64 s[6:7], s[6:7], s[16:17]
	v_cndmask_b32_e64 v42, 0, 1, s[6:7]
	v_cmp_ne_u32_e64 s[6:7], 0, v12
	s_bcnt1_i32_b64 s6, s[6:7]
	v_cndmask_b32_e64 v33, 0, 1, s[10:11]
	v_cmp_ne_u32_e64 s[10:11], 0, v32
	v_add_co_u32_e64 v2, s[6:7], s6, v2
	s_bcnt1_i32_b64 s10, s[10:11]
	v_addc_co_u32_e64 v3, s[6:7], 0, v3, s[6:7]
	v_cmp_ne_u32_e64 s[12:13], 0, v33
	v_cmp_ne_u32_e64 s[14:15], 0, v42
	v_add_co_u32_e64 v4, s[6:7], s10, v4
	v_cmp_le_u64_e32 vcc, s[70:71], v[30:31]
	s_bcnt1_i32_b64 s11, s[12:13]
	s_bcnt1_i32_b64 s12, s[14:15]
	v_addc_co_u32_e64 v5, s[6:7], 0, v5, s[6:7]
	v_add_co_u32_e64 v6, s[6:7], s11, v6
	s_or_b64 s[8:9], vcc, s[8:9]
	v_add_co_u32_e32 v8, vcc, s12, v8
	v_add_u32_e32 v28, s78, v28
	v_addc_co_u32_e64 v7, s[6:7], 0, v7, s[6:7]
	v_addc_co_u32_e32 v9, vcc, 0, v9, vcc
	s_andn2_b64 exec, exec, s[8:9]
	s_cbranch_execnz .LBB124_73
; %bb.74:                               ;   in Loop: Header=BB124_19 Depth=1
	s_or_b64 exec, exec, s[8:9]
.LBB124_75:                             ;   in Loop: Header=BB124_19 Depth=1
	s_or_b64 exec, exec, s[0:1]
.LBB124_76:                             ;   in Loop: Header=BB124_19 Depth=1
	s_lshl_b32 s6, s51, 6
	s_and_saveexec_b64 s[0:1], s[4:5]
	s_cbranch_execz .LBB124_78
; %bb.77:                               ;   in Loop: Header=BB124_19 Depth=1
	s_waitcnt vmcnt(0)
	v_or_b32_e32 v12, s6, v36
	v_lshlrev_b32_e32 v12, 3, v12
	ds_write_b128 v12, v[2:5] offset:3072
	ds_write_b128 v12, v[6:9] offset:3088
.LBB124_78:                             ;   in Loop: Header=BB124_19 Depth=1
	s_or_b64 exec, exec, s[0:1]
	s_waitcnt lgkmcnt(0)
	s_barrier
	s_and_saveexec_b64 s[0:1], s[46:47]
	s_cbranch_execz .LBB124_90
; %bb.79:                               ;   in Loop: Header=BB124_19 Depth=1
	v_readlane_b32 s8, v50, 18
	v_readlane_b32 s9, v50, 19
	s_andn2_b64 vcc, exec, s[8:9]
	v_pk_mov_b32 v[2:3], 0, 0
	s_cbranch_vccnz .LBB124_89
; %bb.80:                               ;   in Loop: Header=BB124_19 Depth=1
	v_readlane_b32 s8, v50, 22
	v_readlane_b32 s9, v50, 23
	s_andn2_b64 vcc, exec, s[8:9]
	s_cbranch_vccnz .LBB124_85
; %bb.81:                               ;   in Loop: Header=BB124_19 Depth=1
	v_lshl_add_u32 v4, s51, 9, v39
	s_mov_b32 s7, 0
	v_pk_mov_b32 v[2:3], 0, 0
.LBB124_82:                             ;   Parent Loop BB124_19 Depth=1
                                        ; =>  This Inner Loop Header: Depth=2
	s_waitcnt vmcnt(0)
	ds_read2_b64 v[6:9], v4 offset1:4
	ds_read2_b64 v[30:33], v4 offset0:8 offset1:12
	ds_read2_b64 v[42:45], v4 offset0:16 offset1:20
	;; [unrolled: 1-line block ×3, first 2 shown]
	s_add_i32 s7, s7, 8
	s_waitcnt lgkmcnt(3)
	v_add_co_u32_e32 v2, vcc, v6, v2
	v_addc_co_u32_e32 v3, vcc, v7, v3, vcc
	v_add_co_u32_e32 v2, vcc, v8, v2
	v_addc_co_u32_e32 v3, vcc, v9, v3, vcc
	s_waitcnt lgkmcnt(2)
	v_add_co_u32_e32 v2, vcc, v30, v2
	v_addc_co_u32_e32 v3, vcc, v31, v3, vcc
	v_add_co_u32_e32 v2, vcc, v32, v2
	v_addc_co_u32_e32 v3, vcc, v33, v3, vcc
	;; [unrolled: 5-line block ×3, first 2 shown]
	s_waitcnt lgkmcnt(0)
	v_add_co_u32_e32 v2, vcc, v46, v2
	v_addc_co_u32_e32 v3, vcc, v47, v3, vcc
	v_add_co_u32_e32 v2, vcc, v48, v2
	v_add_u32_e32 v4, 0x100, v4
	s_cmp_eq_u32 s88, s7
	v_addc_co_u32_e32 v3, vcc, v49, v3, vcc
	s_cbranch_scc0 .LBB124_82
; %bb.83:                               ;   in Loop: Header=BB124_19 Depth=1
	s_mov_b32 s7, s88
	s_branch .LBB124_86
.LBB124_84:                             ;   in Loop: Header=BB124_19 Depth=1
                                        ; implicit-def: $vgpr2_vgpr3
	s_branch .LBB124_52
.LBB124_85:                             ;   in Loop: Header=BB124_19 Depth=1
	s_mov_b32 s7, 0
	v_pk_mov_b32 v[2:3], 0, 0
.LBB124_86:                             ;   in Loop: Header=BB124_19 Depth=1
	v_readlane_b32 s8, v50, 25
	v_readlane_b32 s9, v50, 26
	s_andn2_b64 vcc, exec, s[8:9]
	s_cbranch_vccnz .LBB124_89
; %bb.87:                               ;   in Loop: Header=BB124_19 Depth=1
	s_lshl_b32 s8, s51, 9
	s_lshl_b32 s7, s7, 5
	s_add_i32 s8, s8, s7
	v_add_u32_e32 v4, s8, v39
	v_readlane_b32 s7, v50, 24
.LBB124_88:                             ;   Parent Loop BB124_19 Depth=1
                                        ; =>  This Inner Loop Header: Depth=2
	s_waitcnt vmcnt(0)
	ds_read_b64 v[6:7], v4
	s_add_i32 s7, s7, -1
	v_add_u32_e32 v4, 32, v4
	s_cmp_lg_u32 s7, 0
	s_waitcnt lgkmcnt(0)
	v_add_co_u32_e32 v2, vcc, v6, v2
	v_addc_co_u32_e32 v3, vcc, v7, v3, vcc
	s_cbranch_scc1 .LBB124_88
.LBB124_89:                             ;   in Loop: Header=BB124_19 Depth=1
	v_add_lshl_u32 v4, s6, v34, 3
	ds_write_b64 v4, v[2:3] offset:3072
.LBB124_90:                             ;   in Loop: Header=BB124_19 Depth=1
	s_or_b64 exec, exec, s[0:1]
	s_lshl_b32 s0, s6, 3
	s_waitcnt vmcnt(0)
	v_mov_b32_e32 v6, s0
	s_waitcnt lgkmcnt(0)
	s_barrier
	ds_read_b128 v[2:5], v6 offset:3072
	ds_read_b128 v[6:9], v6 offset:3088
	s_and_b32 s40, s50, 0xfe
	s_lshl_b32 s44, 3, s40
	s_not_b32 s41, s44
	s_waitcnt lgkmcnt(1)
	v_readfirstlane_b32 s15, v3
	v_readfirstlane_b32 s14, v2
	s_cmp_eq_u64 s[14:15], 1
	s_cselect_b64 s[0:1], -1, 0
	s_cmp_eq_u64 s[72:73], 1
	s_cselect_b64 s[6:7], -1, 0
	s_and_b64 s[20:21], s[0:1], s[6:7]
	v_readfirstlane_b32 s28, v4
	v_readfirstlane_b32 s29, v5
	s_waitcnt lgkmcnt(0)
	v_readfirstlane_b32 s16, v6
	v_readfirstlane_b32 s17, v7
	v_readfirstlane_b32 s10, v8
	v_readfirstlane_b32 s11, v9
	s_mov_b64 s[18:19], -1
	s_and_b64 vcc, exec, s[20:21]
	s_cbranch_vccz .LBB124_105
; %bb.91:                               ;   in Loop: Header=BB124_19 Depth=1
	ds_read_b64 v[2:3], v13 offset:5120
	s_waitcnt lgkmcnt(0)
	s_barrier
	v_readfirstlane_b32 s0, v2
	v_readfirstlane_b32 s1, v3
	s_mov_b64 s[6:7], exec
	v_readlane_b32 s8, v50, 14
	v_readlane_b32 s9, v50, 15
	s_and_b64 s[8:9], s[6:7], s[8:9]
	s_mov_b64 exec, s[8:9]
	s_cbranch_execz .LBB124_93
; %bb.92:                               ;   in Loop: Header=BB124_19 Depth=1
	ds_write_b32 v35, v13
.LBB124_93:                             ;   in Loop: Header=BB124_19 Depth=1
	s_or_b64 exec, exec, s[6:7]
	s_and_b32 s81, s81, s41
	s_or_b32 s80, s80, s44
	s_cmp_eq_u64 s[0:1], 0
	s_waitcnt lgkmcnt(0)
	s_barrier
	s_cbranch_scc1 .LBB124_106
; %bb.94:                               ;   in Loop: Header=BB124_19 Depth=1
	v_readlane_b32 s6, v50, 20
	s_add_u32 s12, s6, s0
	v_readlane_b32 s6, v50, 21
	s_addc_u32 s7, s6, s1
	s_mov_b32 s6, s71
	s_cmp_lg_u64 s[6:7], 0
	s_cbranch_scc0 .LBB124_151
; %bb.95:                               ;   in Loop: Header=BB124_19 Depth=1
	v_cvt_f32_u32_e32 v2, s33
	s_sub_u32 s6, 0, s33
	s_subb_u32 s8, 0, 0
	v_mac_f32_e32 v2, 0, v41
	v_rcp_f32_e32 v2, v2
	v_mul_f32_e32 v2, 0x5f7ffffc, v2
	v_mul_f32_e32 v3, 0x2f800000, v2
	v_trunc_f32_e32 v3, v3
	v_mac_f32_e32 v2, 0xcf800000, v3
	v_cvt_u32_f32_e32 v3, v3
	v_cvt_u32_f32_e32 v2, v2
	v_readfirstlane_b32 s9, v3
	v_readfirstlane_b32 s13, v2
	s_mul_i32 s22, s6, s9
	s_mul_hi_u32 s24, s6, s13
	s_mul_i32 s23, s8, s13
	s_add_i32 s22, s24, s22
	s_mul_i32 s25, s6, s13
	s_add_i32 s22, s22, s23
	s_mul_hi_u32 s24, s13, s25
	s_mul_hi_u32 s23, s13, s22
	s_mul_i32 s13, s13, s22
	s_add_u32 s13, s24, s13
	s_addc_u32 s23, 0, s23
	s_mul_hi_u32 s26, s9, s25
	s_mul_i32 s25, s9, s25
	s_add_u32 s13, s13, s25
	s_mul_hi_u32 s24, s9, s22
	s_addc_u32 s13, s23, s26
	s_addc_u32 s23, s24, 0
	s_mul_i32 s22, s9, s22
	s_add_u32 s13, s13, s22
	s_addc_u32 s22, 0, s23
	v_add_co_u32_e32 v2, vcc, s13, v2
	s_cmp_lg_u64 vcc, 0
	s_addc_u32 s9, s9, s22
	v_readfirstlane_b32 s22, v2
	s_mul_i32 s13, s6, s9
	s_mul_hi_u32 s23, s6, s22
	s_add_i32 s13, s23, s13
	s_mul_i32 s8, s8, s22
	s_add_i32 s13, s13, s8
	s_mul_i32 s6, s6, s22
	s_mul_hi_u32 s23, s9, s6
	s_mul_i32 s24, s9, s6
	s_mul_i32 s26, s22, s13
	s_mul_hi_u32 s6, s22, s6
	s_mul_hi_u32 s25, s22, s13
	s_add_u32 s6, s6, s26
	s_addc_u32 s22, 0, s25
	s_add_u32 s6, s6, s24
	s_mul_hi_u32 s8, s9, s13
	s_addc_u32 s6, s22, s23
	s_addc_u32 s8, s8, 0
	s_mul_i32 s13, s9, s13
	s_add_u32 s6, s6, s13
	s_addc_u32 s8, 0, s8
	v_add_co_u32_e32 v2, vcc, s6, v2
	s_cmp_lg_u64 vcc, 0
	s_addc_u32 s6, s9, s8
	v_readfirstlane_b32 s13, v2
	s_mul_i32 s9, s12, s6
	s_mul_hi_u32 s22, s12, s13
	s_mul_hi_u32 s8, s12, s6
	s_add_u32 s9, s22, s9
	s_addc_u32 s8, 0, s8
	s_mul_hi_u32 s23, s7, s13
	s_mul_i32 s13, s7, s13
	s_add_u32 s9, s9, s13
	s_mul_hi_u32 s22, s7, s6
	s_addc_u32 s8, s8, s23
	s_addc_u32 s9, s22, 0
	s_mul_i32 s6, s7, s6
	s_add_u32 s6, s8, s6
	s_addc_u32 s8, 0, s9
	s_mul_hi_u32 s9, s33, s6
	s_mul_i32 s6, s33, s6
	s_mul_i32 s8, s33, s8
	v_mov_b32_e32 v2, s6
	s_add_i32 s9, s9, s8
	v_sub_co_u32_e32 v2, vcc, s12, v2
	s_cmp_lg_u64 vcc, 0
	s_subb_u32 s6, s7, s9
	v_subrev_co_u32_e32 v3, vcc, s33, v2
	s_cmp_lg_u64 vcc, 0
	s_subb_u32 s8, s6, 0
	v_subrev_co_u32_e32 v4, vcc, s33, v3
	s_cmp_lg_u64 vcc, 0
	s_subb_u32 s9, s8, 0
	v_cmp_le_u32_e32 vcc, s33, v3
	s_cmp_eq_u32 s8, 0
	v_cndmask_b32_e64 v5, 0, -1, vcc
	s_cselect_b64 vcc, -1, 0
	v_cndmask_b32_e32 v5, -1, v5, vcc
	v_mov_b32_e32 v6, s8
	v_mov_b32_e32 v7, s9
	v_cmp_ne_u32_e32 vcc, 0, v5
	v_cndmask_b32_e32 v5, v6, v7, vcc
	v_cndmask_b32_e32 v4, v3, v4, vcc
	v_cmp_le_u32_e32 vcc, s33, v2
	s_cmp_eq_u32 s6, 0
	v_cndmask_b32_e64 v3, 0, -1, vcc
	s_cselect_b64 vcc, -1, 0
	v_cndmask_b32_e32 v3, -1, v3, vcc
	v_mov_b32_e32 v6, s6
	v_cmp_ne_u32_e32 vcc, 0, v3
	v_cndmask_b32_e32 v3, v6, v5, vcc
	v_cndmask_b32_e32 v2, v2, v4, vcc
	s_cbranch_execnz .LBB124_97
.LBB124_96:                             ;   in Loop: Header=BB124_19 Depth=1
	v_cvt_f32_u32_e32 v2, s33
	s_sub_i32 s6, 0, s33
	v_rcp_iflag_f32_e32 v2, v2
	v_mul_f32_e32 v2, 0x4f7ffffe, v2
	v_cvt_u32_f32_e32 v2, v2
	v_mul_lo_u32 v3, s6, v2
	v_mul_hi_u32 v3, v2, v3
	v_add_u32_e32 v2, v2, v3
	v_mul_hi_u32 v2, s12, v2
	v_mul_lo_u32 v2, v2, s33
	v_sub_u32_e32 v2, s12, v2
	v_subrev_u32_e32 v3, s33, v2
	v_cmp_le_u32_e32 vcc, s33, v2
	v_cndmask_b32_e32 v2, v2, v3, vcc
	v_subrev_u32_e32 v3, s33, v2
	v_cmp_le_u32_e32 vcc, s33, v2
	v_cndmask_b32_e32 v12, v2, v3, vcc
	v_pk_mov_b32 v[2:3], v[12:13], v[12:13] op_sel:[0,1]
.LBB124_97:                             ;   in Loop: Header=BB124_19 Depth=1
	v_mov_b32_e32 v4, s7
	v_sub_co_u32_e32 v2, vcc, s12, v2
	v_subb_co_u32_e32 v3, vcc, v4, v3, vcc
	v_cmp_gt_u64_e32 vcc, v[2:3], v[0:1]
	s_mov_b64 s[6:7], 0
                                        ; implicit-def: $vgpr29
	s_and_saveexec_b64 s[8:9], vcc
	s_cbranch_execz .LBB124_108
; %bb.98:                               ;   in Loop: Header=BB124_19 Depth=1
	s_mov_b64 s[12:13], 0
	v_mov_b32_e32 v6, v14
	v_pk_mov_b32 v[4:5], v[0:1], v[0:1] op_sel:[0,1]
                                        ; implicit-def: $sgpr22_sgpr23
	s_branch .LBB124_100
.LBB124_99:                             ;   in Loop: Header=BB124_100 Depth=2
	s_or_b64 exec, exec, s[6:7]
	s_waitcnt lgkmcnt(0)
	s_barrier
	ds_read_b64 v[28:29], v13 offset:3072
	v_mov_b32_e32 v7, s86
	v_add_co_u32_e64 v4, s[6:7], s33, v4
	v_addc_co_u32_e64 v5, s[6:7], v5, v7, s[6:7]
	s_waitcnt lgkmcnt(0)
	v_cmp_neq_f32_e32 vcc, 0, v28
	v_cmp_ge_u64_e64 s[6:7], v[4:5], v[2:3]
	s_or_b64 s[6:7], s[6:7], vcc
	s_and_b64 s[6:7], exec, s[6:7]
	s_or_b64 s[12:13], s[6:7], s[12:13]
	s_andn2_b64 s[6:7], s[22:23], exec
	s_and_b64 s[22:23], vcc, exec
	v_add_u32_e32 v6, s89, v6
	s_or_b64 s[22:23], s[6:7], s[22:23]
	s_barrier
	s_andn2_b64 exec, exec, s[12:13]
	s_cbranch_execz .LBB124_107
.LBB124_100:                            ;   Parent Loop BB124_19 Depth=1
                                        ; =>  This Inner Loop Header: Depth=2
	v_cmp_gt_u64_e32 vcc, s[0:1], v[4:5]
	v_mov_b32_e32 v27, 0
	s_and_saveexec_b64 s[6:7], vcc
	s_cbranch_execz .LBB124_102
; %bb.101:                              ;   in Loop: Header=BB124_100 Depth=2
	ds_read_b32 v27, v6
.LBB124_102:                            ;   in Loop: Header=BB124_100 Depth=2
	s_or_b64 exec, exec, s[6:7]
	s_and_saveexec_b64 s[6:7], vcc
	s_cbranch_execz .LBB124_99
; %bb.103:                              ;   in Loop: Header=BB124_100 Depth=2
	s_waitcnt lgkmcnt(0)
	v_cmp_lt_i32_e32 vcc, -1, v27
	v_cndmask_b32_e32 v7, -1, v40, vcc
	v_xor_b32_e32 v7, v7, v27
	v_cmp_o_f32_e32 vcc, v27, v27
	v_cndmask_b32_e32 v7, -1, v7, vcc
	v_and_b32_e32 v7, s80, v7
	v_cmp_eq_u32_e32 vcc, s81, v7
	s_and_b64 exec, exec, vcc
	s_cbranch_execz .LBB124_99
; %bb.104:                              ;   in Loop: Header=BB124_100 Depth=2
	ds_write_b64 v13, v[26:27] offset:3072
	s_branch .LBB124_99
.LBB124_105:                            ;   in Loop: Header=BB124_19 Depth=1
	s_mov_b64 s[6:7], -1
                                        ; implicit-def: $sgpr0_sgpr1
                                        ; implicit-def: $sgpr12_sgpr13
                                        ; implicit-def: $sgpr8_sgpr9
	s_branch .LBB124_122
.LBB124_106:                            ;   in Loop: Header=BB124_19 Depth=1
	s_mov_b64 s[0:1], -1
	s_mov_b64 s[6:7], 0
                                        ; implicit-def: $sgpr8_sgpr9
                                        ; implicit-def: $vgpr29
	s_mov_b64 s[12:13], s[0:1]
	s_cbranch_execnz .LBB124_109
	s_branch .LBB124_122
.LBB124_107:                            ;   in Loop: Header=BB124_19 Depth=1
	s_or_b64 exec, exec, s[12:13]
	s_and_b64 s[6:7], s[22:23], exec
.LBB124_108:                            ;   in Loop: Header=BB124_19 Depth=1
	s_or_b64 exec, exec, s[8:9]
	s_mov_b64 s[8:9], -1
	s_mov_b64 s[0:1], 0
	s_mov_b64 s[12:13], s[0:1]
	s_branch .LBB124_122
.LBB124_109:                            ;   in Loop: Header=BB124_19 Depth=1
	s_mov_b32 s68, s71
	s_cmp_lg_u64 s[68:69], 0
	s_cbranch_scc0 .LBB124_155
; %bb.110:                              ;   in Loop: Header=BB124_19 Depth=1
	v_cvt_f32_u32_e32 v2, s33
	s_sub_u32 s0, 0, s33
	s_subb_u32 s1, 0, 0
	v_mac_f32_e32 v2, 0, v41
	v_rcp_f32_e32 v2, v2
	v_mul_f32_e32 v2, 0x5f7ffffc, v2
	v_mul_f32_e32 v3, 0x2f800000, v2
	v_trunc_f32_e32 v3, v3
	v_mac_f32_e32 v2, 0xcf800000, v3
	v_cvt_u32_f32_e32 v3, v3
	v_cvt_u32_f32_e32 v2, v2
	v_readfirstlane_b32 s6, v3
	v_readfirstlane_b32 s7, v2
	s_mul_i32 s8, s0, s6
	s_mul_hi_u32 s12, s0, s7
	s_mul_i32 s9, s1, s7
	s_add_i32 s8, s12, s8
	s_mul_i32 s13, s0, s7
	s_add_i32 s8, s8, s9
	s_mul_hi_u32 s12, s7, s13
	s_mul_hi_u32 s9, s7, s8
	s_mul_i32 s7, s7, s8
	s_add_u32 s7, s12, s7
	s_addc_u32 s9, 0, s9
	s_mul_hi_u32 s22, s6, s13
	s_mul_i32 s13, s6, s13
	s_add_u32 s7, s7, s13
	s_mul_hi_u32 s12, s6, s8
	s_addc_u32 s7, s9, s22
	s_addc_u32 s9, s12, 0
	s_mul_i32 s8, s6, s8
	s_add_u32 s7, s7, s8
	s_addc_u32 s8, 0, s9
	v_add_co_u32_e32 v2, vcc, s7, v2
	s_cmp_lg_u64 vcc, 0
	s_addc_u32 s6, s6, s8
	v_readfirstlane_b32 s8, v2
	s_mul_i32 s7, s0, s6
	s_mul_hi_u32 s9, s0, s8
	s_add_i32 s7, s9, s7
	s_mul_i32 s1, s1, s8
	s_add_i32 s7, s7, s1
	s_mul_i32 s0, s0, s8
	s_mul_hi_u32 s9, s6, s0
	s_mul_i32 s12, s6, s0
	s_mul_i32 s22, s8, s7
	s_mul_hi_u32 s0, s8, s0
	s_mul_hi_u32 s13, s8, s7
	s_add_u32 s0, s0, s22
	s_addc_u32 s8, 0, s13
	s_add_u32 s0, s0, s12
	s_mul_hi_u32 s1, s6, s7
	s_addc_u32 s0, s8, s9
	s_addc_u32 s1, s1, 0
	s_mul_i32 s7, s6, s7
	s_add_u32 s0, s0, s7
	s_addc_u32 s1, 0, s1
	v_add_co_u32_e32 v2, vcc, s0, v2
	s_cmp_lg_u64 vcc, 0
	s_addc_u32 s0, s6, s1
	v_readfirstlane_b32 s7, v2
	s_mul_i32 s6, s87, s0
	s_mul_hi_u32 s8, s87, s7
	s_mul_hi_u32 s1, s87, s0
	s_add_u32 s6, s8, s6
	s_addc_u32 s1, 0, s1
	s_mul_hi_u32 s9, s69, s7
	s_mul_i32 s7, s69, s7
	s_add_u32 s6, s6, s7
	s_mul_hi_u32 s8, s69, s0
	s_addc_u32 s1, s1, s9
	s_addc_u32 s6, s8, 0
	s_mul_i32 s0, s69, s0
	s_add_u32 s0, s1, s0
	s_addc_u32 s1, 0, s6
	s_mul_hi_u32 s6, s33, s0
	s_mul_i32 s0, s33, s0
	s_mul_i32 s1, s33, s1
	v_mov_b32_e32 v2, s0
	s_add_i32 s6, s6, s1
	v_sub_co_u32_e32 v2, vcc, s87, v2
	s_cmp_lg_u64 vcc, 0
	s_subb_u32 s0, s69, s6
	v_subrev_co_u32_e32 v3, vcc, s33, v2
	s_cmp_lg_u64 vcc, 0
	s_subb_u32 s1, s0, 0
	v_subrev_co_u32_e32 v4, vcc, s33, v3
	s_cmp_lg_u64 vcc, 0
	s_subb_u32 s6, s1, 0
	v_cmp_le_u32_e32 vcc, s33, v3
	s_cmp_eq_u32 s1, 0
	v_cndmask_b32_e64 v5, 0, -1, vcc
	s_cselect_b64 vcc, -1, 0
	v_cndmask_b32_e32 v5, -1, v5, vcc
	v_mov_b32_e32 v6, s1
	v_mov_b32_e32 v7, s6
	v_cmp_ne_u32_e32 vcc, 0, v5
	v_cndmask_b32_e32 v5, v6, v7, vcc
	v_cndmask_b32_e32 v4, v3, v4, vcc
	v_cmp_le_u32_e32 vcc, s33, v2
	s_cmp_eq_u32 s0, 0
	v_cndmask_b32_e64 v3, 0, -1, vcc
	s_cselect_b64 vcc, -1, 0
	v_cndmask_b32_e32 v3, -1, v3, vcc
	v_mov_b32_e32 v6, s0
	v_cmp_ne_u32_e32 vcc, 0, v3
	v_cndmask_b32_e32 v3, v6, v5, vcc
	v_cndmask_b32_e32 v2, v2, v4, vcc
	s_cbranch_execnz .LBB124_112
.LBB124_111:                            ;   in Loop: Header=BB124_19 Depth=1
	v_cvt_f32_u32_e32 v2, s33
	s_sub_i32 s0, 0, s33
	v_rcp_iflag_f32_e32 v2, v2
	v_mul_f32_e32 v2, 0x4f7ffffe, v2
	v_cvt_u32_f32_e32 v2, v2
	v_mul_lo_u32 v3, s0, v2
	v_mul_hi_u32 v3, v2, v3
	v_add_u32_e32 v2, v2, v3
	v_mul_hi_u32 v2, s87, v2
	v_mul_lo_u32 v2, v2, s33
	v_sub_u32_e32 v2, s87, v2
	v_subrev_u32_e32 v3, s33, v2
	v_cmp_le_u32_e32 vcc, s33, v2
	v_cndmask_b32_e32 v2, v2, v3, vcc
	v_subrev_u32_e32 v3, s33, v2
	v_cmp_le_u32_e32 vcc, s33, v2
	v_cndmask_b32_e32 v12, v2, v3, vcc
	v_pk_mov_b32 v[2:3], v[12:13], v[12:13] op_sel:[0,1]
.LBB124_112:                            ;   in Loop: Header=BB124_19 Depth=1
	v_mov_b32_e32 v4, s69
	v_sub_co_u32_e32 v2, vcc, s87, v2
	v_subb_co_u32_e32 v3, vcc, v4, v3, vcc
	v_cmp_gt_u64_e32 vcc, v[2:3], v[0:1]
	s_mov_b64 s[6:7], 0
                                        ; implicit-def: $vgpr29
	s_and_saveexec_b64 s[0:1], vcc
	s_cbranch_execz .LBB124_121
; %bb.113:                              ;   in Loop: Header=BB124_19 Depth=1
	s_mov_b64 s[8:9], 0
	v_pk_mov_b32 v[4:5], v[10:11], v[10:11] op_sel:[0,1]
	v_pk_mov_b32 v[6:7], v[0:1], v[0:1] op_sel:[0,1]
                                        ; implicit-def: $sgpr12_sgpr13
	s_branch .LBB124_115
.LBB124_114:                            ;   in Loop: Header=BB124_115 Depth=2
	s_or_b64 exec, exec, s[6:7]
	s_waitcnt lgkmcnt(0)
	s_barrier
	ds_read_b64 v[28:29], v13 offset:3072
	v_mov_b32_e32 v8, s86
	v_add_co_u32_e64 v6, s[6:7], s33, v6
	v_addc_co_u32_e64 v7, s[6:7], v7, v8, s[6:7]
	s_waitcnt lgkmcnt(0)
	v_cmp_neq_f32_e32 vcc, 0, v28
	v_cmp_ge_u64_e64 s[6:7], v[6:7], v[2:3]
	s_or_b64 s[22:23], s[6:7], vcc
	v_mov_b32_e32 v8, s67
	v_add_co_u32_e64 v4, s[6:7], s66, v4
	v_addc_co_u32_e64 v5, s[6:7], v5, v8, s[6:7]
	s_and_b64 s[6:7], exec, s[22:23]
	s_or_b64 s[8:9], s[6:7], s[8:9]
	s_andn2_b64 s[6:7], s[12:13], exec
	s_and_b64 s[12:13], vcc, exec
	s_or_b64 s[12:13], s[6:7], s[12:13]
	s_barrier
	s_andn2_b64 exec, exec, s[8:9]
	s_cbranch_execz .LBB124_120
.LBB124_115:                            ;   Parent Loop BB124_19 Depth=1
                                        ; =>  This Inner Loop Header: Depth=2
	v_cmp_gt_u64_e32 vcc, s[52:53], v[6:7]
	s_waitcnt vmcnt(0)
	v_mov_b32_e32 v27, 0
	s_and_saveexec_b64 s[6:7], vcc
	s_cbranch_execz .LBB124_117
; %bb.116:                              ;   in Loop: Header=BB124_115 Depth=2
	global_load_dword v27, v[4:5], off
.LBB124_117:                            ;   in Loop: Header=BB124_115 Depth=2
	s_or_b64 exec, exec, s[6:7]
	s_and_saveexec_b64 s[6:7], vcc
	s_cbranch_execz .LBB124_114
; %bb.118:                              ;   in Loop: Header=BB124_115 Depth=2
	s_waitcnt vmcnt(0)
	v_cmp_lt_i32_e32 vcc, -1, v27
	v_cndmask_b32_e32 v8, -1, v40, vcc
	v_xor_b32_e32 v8, v8, v27
	v_cmp_o_f32_e32 vcc, v27, v27
	v_cndmask_b32_e32 v8, -1, v8, vcc
	v_and_b32_e32 v8, s80, v8
	v_cmp_eq_u32_e32 vcc, s81, v8
	s_and_b64 exec, exec, vcc
	s_cbranch_execz .LBB124_114
; %bb.119:                              ;   in Loop: Header=BB124_115 Depth=2
	ds_write_b64 v13, v[26:27] offset:3072
	s_branch .LBB124_114
.LBB124_120:                            ;   in Loop: Header=BB124_19 Depth=1
	s_or_b64 exec, exec, s[8:9]
	s_and_b64 s[6:7], s[12:13], exec
.LBB124_121:                            ;   in Loop: Header=BB124_19 Depth=1
	s_or_b64 exec, exec, s[0:1]
	s_mov_b64 s[12:13], -1
	s_mov_b64 s[0:1], 0
	s_mov_b64 s[8:9], 0
.LBB124_122:                            ;   in Loop: Header=BB124_19 Depth=1
	s_andn2_b64 s[22:23], s[74:75], exec
	s_and_b64 s[0:1], s[0:1], exec
	s_or_b64 s[74:75], s[22:23], s[0:1]
	s_andn2_b64 s[0:1], s[62:63], exec
	s_and_b64 s[12:13], s[12:13], exec
	s_or_b64 s[62:63], s[0:1], s[12:13]
	;; [unrolled: 3-line block ×3, first 2 shown]
	s_and_saveexec_b64 s[12:13], s[6:7]
	s_cbranch_execz .LBB124_18
; %bb.123:                              ;   in Loop: Header=BB124_19 Depth=1
	s_xor_b64 s[0:1], s[20:21], -1
	s_andn2_b64 vcc, exec, s[0:1]
	s_mov_b32 s45, 1
	s_cbranch_vccnz .LBB124_134
; %bb.124:                              ;   in Loop: Header=BB124_19 Depth=1
	v_pk_mov_b32 v[2:3], s[14:15], s[14:15] op_sel:[0,1]
	v_cmp_gt_u64_e32 vcc, s[72:73], v[2:3]
	s_mov_b64 s[0:1], -1
                                        ; implicit-def: $sgpr45
                                        ; implicit-def: $sgpr6
                                        ; implicit-def: $sgpr7
	s_cbranch_vccnz .LBB124_130
; %bb.125:                              ;   in Loop: Header=BB124_19 Depth=1
	ds_read_b64 v[2:3], v13 offset:5120
	s_waitcnt lgkmcnt(0)
	v_cmp_ne_u64_e32 vcc, 0, v[2:3]
	s_cbranch_vccnz .LBB124_129
; %bb.126:                              ;   in Loop: Header=BB124_19 Depth=1
	s_mov_b64 s[0:1], exec
	v_readlane_b32 s6, v50, 12
	v_readlane_b32 s7, v50, 13
	s_and_b64 s[6:7], s[0:1], s[6:7]
	s_mov_b64 exec, s[6:7]
	s_cbranch_execz .LBB124_128
; %bb.127:                              ;   in Loop: Header=BB124_19 Depth=1
	v_pk_mov_b32 v[2:3], s[14:15], s[14:15] op_sel:[0,1]
	ds_write_b64 v13, v[2:3] offset:5128
.LBB124_128:                            ;   in Loop: Header=BB124_19 Depth=1
	s_or_b64 exec, exec, s[0:1]
	s_waitcnt lgkmcnt(0)
	s_barrier
.LBB124_129:                            ;   in Loop: Header=BB124_19 Depth=1
	s_and_b32 s6, s81, s41
	s_or_b32 s7, s80, s44
	s_mov_b64 s[0:1], 0
	s_mov_b32 s45, 8
.LBB124_130:                            ;   in Loop: Header=BB124_19 Depth=1
	s_andn2_b64 vcc, exec, s[0:1]
	s_cbranch_vccnz .LBB124_132
; %bb.131:                              ;   in Loop: Header=BB124_19 Depth=1
	s_sub_u32 s72, s72, s14
	s_subb_u32 s73, s73, s15
	s_mov_b64 s[0:1], -1
	s_mov_b32 s45, 0
	s_mov_b32 s6, s81
	;; [unrolled: 1-line block ×3, first 2 shown]
.LBB124_132:                            ;   in Loop: Header=BB124_19 Depth=1
	s_mov_b32 s80, s7
	s_mov_b32 s81, s6
	s_mov_b64 s[14:15], -1
	s_and_b64 vcc, exec, s[0:1]
	s_cbranch_vccnz .LBB124_135
.LBB124_133:                            ;   in Loop: Header=BB124_19 Depth=1
	s_mov_b64 s[0:1], -1
                                        ; implicit-def: $sgpr18_sgpr19
                                        ; implicit-def: $sgpr22_sgpr23
                                        ; implicit-def: $sgpr20_sgpr21
	s_and_saveexec_b64 s[6:7], s[0:1]
	s_xor_b64 s[0:1], exec, s[6:7]
	s_cbranch_execz .LBB124_17
	s_branch .LBB124_284
.LBB124_134:                            ;   in Loop: Header=BB124_19 Depth=1
	s_mov_b64 s[72:73], 1
	s_mov_b64 s[14:15], -1
	s_branch .LBB124_133
.LBB124_135:                            ;   in Loop: Header=BB124_19 Depth=1
	s_cmp_eq_u64 s[28:29], 1
	s_cselect_b64 s[0:1], -1, 0
	s_cmp_eq_u64 s[72:73], 1
	s_cselect_b64 s[6:7], -1, 0
	s_and_b64 s[30:31], s[0:1], s[6:7]
	s_mov_b64 s[6:7], -1
	s_and_b64 vcc, exec, s[30:31]
	s_cbranch_vccz .LBB124_150
; %bb.136:                              ;   in Loop: Header=BB124_19 Depth=1
	ds_read_b64 v[2:3], v13 offset:5120
	s_waitcnt lgkmcnt(0)
	s_barrier
	v_readfirstlane_b32 s0, v2
	v_readfirstlane_b32 s1, v3
	s_mov_b64 s[6:7], exec
	v_readlane_b32 s8, v50, 14
	v_readlane_b32 s9, v50, 15
	s_and_b64 s[8:9], s[6:7], s[8:9]
	s_mov_b64 exec, s[8:9]
	s_cbranch_execz .LBB124_138
; %bb.137:                              ;   in Loop: Header=BB124_19 Depth=1
	ds_write_b32 v35, v13
.LBB124_138:                            ;   in Loop: Header=BB124_19 Depth=1
	s_or_b64 exec, exec, s[6:7]
	s_lshl_b32 s6, 1, s40
	s_and_b32 s7, s81, s41
	s_or_b32 s81, s7, s6
	s_or_b32 s80, s80, s44
	s_cmp_eq_u64 s[0:1], 0
	s_waitcnt lgkmcnt(0)
	s_barrier
	s_cbranch_scc1 .LBB124_156
; %bb.139:                              ;   in Loop: Header=BB124_19 Depth=1
	v_readlane_b32 s6, v50, 20
	s_add_u32 s18, s6, s0
	v_readlane_b32 s6, v50, 21
	s_addc_u32 s7, s6, s1
	s_mov_b32 s6, s71
	s_cmp_lg_u64 s[6:7], 0
	s_cbranch_scc0 .LBB124_201
; %bb.140:                              ;   in Loop: Header=BB124_19 Depth=1
	v_cvt_f32_u32_e32 v2, s33
	s_sub_u32 s6, 0, s33
	s_subb_u32 s8, 0, 0
	v_mac_f32_e32 v2, 0, v41
	v_rcp_f32_e32 v2, v2
	v_mul_f32_e32 v2, 0x5f7ffffc, v2
	v_mul_f32_e32 v3, 0x2f800000, v2
	v_trunc_f32_e32 v3, v3
	v_mac_f32_e32 v2, 0xcf800000, v3
	v_cvt_u32_f32_e32 v3, v3
	v_cvt_u32_f32_e32 v2, v2
	v_readfirstlane_b32 s9, v3
	v_readfirstlane_b32 s19, v2
	s_mul_i32 s20, s6, s9
	s_mul_hi_u32 s22, s6, s19
	s_mul_i32 s21, s8, s19
	s_add_i32 s20, s22, s20
	s_mul_i32 s23, s6, s19
	s_add_i32 s20, s20, s21
	s_mul_hi_u32 s22, s19, s23
	s_mul_hi_u32 s21, s19, s20
	s_mul_i32 s19, s19, s20
	s_add_u32 s19, s22, s19
	s_addc_u32 s21, 0, s21
	s_mul_hi_u32 s24, s9, s23
	s_mul_i32 s23, s9, s23
	s_add_u32 s19, s19, s23
	s_mul_hi_u32 s22, s9, s20
	s_addc_u32 s19, s21, s24
	s_addc_u32 s21, s22, 0
	s_mul_i32 s20, s9, s20
	s_add_u32 s19, s19, s20
	s_addc_u32 s20, 0, s21
	v_add_co_u32_e32 v2, vcc, s19, v2
	s_cmp_lg_u64 vcc, 0
	s_addc_u32 s9, s9, s20
	v_readfirstlane_b32 s20, v2
	s_mul_i32 s19, s6, s9
	s_mul_hi_u32 s21, s6, s20
	s_add_i32 s19, s21, s19
	s_mul_i32 s8, s8, s20
	s_add_i32 s19, s19, s8
	s_mul_i32 s6, s6, s20
	s_mul_hi_u32 s21, s9, s6
	s_mul_i32 s22, s9, s6
	s_mul_i32 s24, s20, s19
	s_mul_hi_u32 s6, s20, s6
	s_mul_hi_u32 s23, s20, s19
	s_add_u32 s6, s6, s24
	s_addc_u32 s20, 0, s23
	s_add_u32 s6, s6, s22
	s_mul_hi_u32 s8, s9, s19
	s_addc_u32 s6, s20, s21
	s_addc_u32 s8, s8, 0
	s_mul_i32 s19, s9, s19
	s_add_u32 s6, s6, s19
	s_addc_u32 s8, 0, s8
	v_add_co_u32_e32 v2, vcc, s6, v2
	s_cmp_lg_u64 vcc, 0
	s_addc_u32 s6, s9, s8
	v_readfirstlane_b32 s19, v2
	s_mul_i32 s9, s18, s6
	s_mul_hi_u32 s20, s18, s19
	s_mul_hi_u32 s8, s18, s6
	s_add_u32 s9, s20, s9
	s_addc_u32 s8, 0, s8
	s_mul_hi_u32 s21, s7, s19
	s_mul_i32 s19, s7, s19
	s_add_u32 s9, s9, s19
	s_mul_hi_u32 s20, s7, s6
	s_addc_u32 s8, s8, s21
	s_addc_u32 s9, s20, 0
	s_mul_i32 s6, s7, s6
	s_add_u32 s6, s8, s6
	s_addc_u32 s8, 0, s9
	s_mul_hi_u32 s9, s33, s6
	s_mul_i32 s6, s33, s6
	s_mul_i32 s8, s33, s8
	v_mov_b32_e32 v2, s6
	s_add_i32 s9, s9, s8
	v_sub_co_u32_e32 v2, vcc, s18, v2
	s_cmp_lg_u64 vcc, 0
	s_subb_u32 s6, s7, s9
	v_subrev_co_u32_e32 v3, vcc, s33, v2
	s_cmp_lg_u64 vcc, 0
	s_subb_u32 s8, s6, 0
	v_subrev_co_u32_e32 v4, vcc, s33, v3
	s_cmp_lg_u64 vcc, 0
	s_subb_u32 s9, s8, 0
	v_cmp_le_u32_e32 vcc, s33, v3
	s_cmp_eq_u32 s8, 0
	v_cndmask_b32_e64 v5, 0, -1, vcc
	s_cselect_b64 vcc, -1, 0
	v_cndmask_b32_e32 v5, -1, v5, vcc
	v_mov_b32_e32 v6, s8
	v_mov_b32_e32 v7, s9
	v_cmp_ne_u32_e32 vcc, 0, v5
	v_cndmask_b32_e32 v5, v6, v7, vcc
	v_cndmask_b32_e32 v4, v3, v4, vcc
	v_cmp_le_u32_e32 vcc, s33, v2
	s_cmp_eq_u32 s6, 0
	v_cndmask_b32_e64 v3, 0, -1, vcc
	s_cselect_b64 vcc, -1, 0
	v_cndmask_b32_e32 v3, -1, v3, vcc
	v_mov_b32_e32 v6, s6
	v_cmp_ne_u32_e32 vcc, 0, v3
	v_cndmask_b32_e32 v3, v6, v5, vcc
	v_cndmask_b32_e32 v2, v2, v4, vcc
	s_cbranch_execnz .LBB124_142
.LBB124_141:                            ;   in Loop: Header=BB124_19 Depth=1
	v_cvt_f32_u32_e32 v2, s33
	s_sub_i32 s6, 0, s33
	v_rcp_iflag_f32_e32 v2, v2
	v_mul_f32_e32 v2, 0x4f7ffffe, v2
	v_cvt_u32_f32_e32 v2, v2
	v_mul_lo_u32 v3, s6, v2
	v_mul_hi_u32 v3, v2, v3
	v_add_u32_e32 v2, v2, v3
	v_mul_hi_u32 v2, s18, v2
	v_mul_lo_u32 v2, v2, s33
	v_sub_u32_e32 v2, s18, v2
	v_subrev_u32_e32 v3, s33, v2
	v_cmp_le_u32_e32 vcc, s33, v2
	v_cndmask_b32_e32 v2, v2, v3, vcc
	v_subrev_u32_e32 v3, s33, v2
	v_cmp_le_u32_e32 vcc, s33, v2
	v_cndmask_b32_e32 v12, v2, v3, vcc
	v_pk_mov_b32 v[2:3], v[12:13], v[12:13] op_sel:[0,1]
.LBB124_142:                            ;   in Loop: Header=BB124_19 Depth=1
	v_mov_b32_e32 v4, s7
	v_sub_co_u32_e32 v2, vcc, s18, v2
	v_subb_co_u32_e32 v3, vcc, v4, v3, vcc
	v_cmp_gt_u64_e32 vcc, v[2:3], v[0:1]
	s_mov_b64 s[6:7], 0
                                        ; implicit-def: $vgpr29
	s_and_saveexec_b64 s[8:9], vcc
	s_cbranch_execz .LBB124_158
; %bb.143:                              ;   in Loop: Header=BB124_19 Depth=1
	s_mov_b64 s[18:19], 0
	v_mov_b32_e32 v6, v14
	v_pk_mov_b32 v[4:5], v[0:1], v[0:1] op_sel:[0,1]
                                        ; implicit-def: $sgpr20_sgpr21
	s_branch .LBB124_145
.LBB124_144:                            ;   in Loop: Header=BB124_145 Depth=2
	s_or_b64 exec, exec, s[6:7]
	s_waitcnt lgkmcnt(0)
	s_barrier
	ds_read_b64 v[28:29], v13 offset:3072
	v_mov_b32_e32 v7, s86
	v_add_co_u32_e64 v4, s[6:7], s33, v4
	v_addc_co_u32_e64 v5, s[6:7], v5, v7, s[6:7]
	s_waitcnt lgkmcnt(0)
	v_cmp_neq_f32_e32 vcc, 0, v28
	v_cmp_ge_u64_e64 s[6:7], v[4:5], v[2:3]
	s_or_b64 s[6:7], s[6:7], vcc
	s_and_b64 s[6:7], exec, s[6:7]
	s_or_b64 s[18:19], s[6:7], s[18:19]
	s_andn2_b64 s[6:7], s[20:21], exec
	s_and_b64 s[20:21], vcc, exec
	v_add_u32_e32 v6, s89, v6
	s_or_b64 s[20:21], s[6:7], s[20:21]
	s_barrier
	s_andn2_b64 exec, exec, s[18:19]
	s_cbranch_execz .LBB124_157
.LBB124_145:                            ;   Parent Loop BB124_19 Depth=1
                                        ; =>  This Inner Loop Header: Depth=2
	v_cmp_gt_u64_e32 vcc, s[0:1], v[4:5]
	s_waitcnt vmcnt(0)
	v_mov_b32_e32 v27, 0
	s_and_saveexec_b64 s[6:7], vcc
	s_cbranch_execz .LBB124_147
; %bb.146:                              ;   in Loop: Header=BB124_145 Depth=2
	ds_read_b32 v27, v6
.LBB124_147:                            ;   in Loop: Header=BB124_145 Depth=2
	s_or_b64 exec, exec, s[6:7]
	s_and_saveexec_b64 s[6:7], vcc
	s_cbranch_execz .LBB124_144
; %bb.148:                              ;   in Loop: Header=BB124_145 Depth=2
	s_waitcnt lgkmcnt(0)
	v_cmp_lt_i32_e32 vcc, -1, v27
	v_cndmask_b32_e32 v7, -1, v40, vcc
	v_xor_b32_e32 v7, v7, v27
	v_cmp_o_f32_e32 vcc, v27, v27
	v_cndmask_b32_e32 v7, -1, v7, vcc
	v_and_b32_e32 v7, s80, v7
	v_cmp_eq_u32_e32 vcc, s81, v7
	s_and_b64 exec, exec, vcc
	s_cbranch_execz .LBB124_144
; %bb.149:                              ;   in Loop: Header=BB124_145 Depth=2
	ds_write_b64 v13, v[26:27] offset:3072
	s_branch .LBB124_144
.LBB124_150:                            ;   in Loop: Header=BB124_19 Depth=1
                                        ; implicit-def: $sgpr20_sgpr21
                                        ; implicit-def: $sgpr22_sgpr23
                                        ; implicit-def: $sgpr18_sgpr19
	s_branch .LBB124_172
.LBB124_151:                            ;   in Loop: Header=BB124_19 Depth=1
                                        ; implicit-def: $vgpr2_vgpr3
	s_branch .LBB124_96
.LBB124_152:                            ;   in Loop: Header=BB124_19 Depth=1
	s_or_b64 exec, exec, s[0:1]
	s_waitcnt lgkmcnt(0)
	s_barrier
	s_mov_b64 s[0:1], exec
	v_readlane_b32 s6, v50, 12
	v_readlane_b32 s7, v50, 13
	s_and_b64 s[6:7], s[0:1], s[6:7]
	s_mov_b64 exec, s[6:7]
	s_cbranch_execz .LBB124_154
; %bb.153:                              ;   in Loop: Header=BB124_19 Depth=1
	ds_read_b32 v2, v13 offset:5144
	s_waitcnt lgkmcnt(0)
	v_ashrrev_i32_e32 v3, 31, v2
	ds_write_b64 v13, v[2:3] offset:5120
.LBB124_154:                            ;   in Loop: Header=BB124_19 Depth=1
	s_or_b64 exec, exec, s[0:1]
	s_waitcnt lgkmcnt(0)
	s_barrier
	s_mov_b64 s[0:1], -1
	s_and_b64 vcc, exec, s[82:83]
	s_cbranch_vccnz .LBB124_37
	s_branch .LBB124_47
.LBB124_155:                            ;   in Loop: Header=BB124_19 Depth=1
                                        ; implicit-def: $vgpr2_vgpr3
	s_branch .LBB124_111
.LBB124_156:                            ;   in Loop: Header=BB124_19 Depth=1
	s_mov_b64 s[20:21], -1
	s_mov_b64 s[6:7], 0
                                        ; implicit-def: $sgpr18_sgpr19
                                        ; implicit-def: $vgpr29
	s_mov_b64 s[22:23], s[20:21]
	s_cbranch_execnz .LBB124_159
	s_branch .LBB124_172
.LBB124_157:                            ;   in Loop: Header=BB124_19 Depth=1
	s_or_b64 exec, exec, s[18:19]
	s_and_b64 s[6:7], s[20:21], exec
.LBB124_158:                            ;   in Loop: Header=BB124_19 Depth=1
	s_or_b64 exec, exec, s[8:9]
	s_mov_b64 s[18:19], -1
	s_mov_b64 s[20:21], 0
	s_mov_b64 s[22:23], s[20:21]
	s_branch .LBB124_172
.LBB124_159:                            ;   in Loop: Header=BB124_19 Depth=1
	s_mov_b32 s68, s71
	s_cmp_lg_u64 s[68:69], 0
	s_cbranch_scc0 .LBB124_202
; %bb.160:                              ;   in Loop: Header=BB124_19 Depth=1
	v_cvt_f32_u32_e32 v2, s33
	s_sub_u32 s0, 0, s33
	s_subb_u32 s1, 0, 0
	v_mac_f32_e32 v2, 0, v41
	v_rcp_f32_e32 v2, v2
	v_mul_f32_e32 v2, 0x5f7ffffc, v2
	v_mul_f32_e32 v3, 0x2f800000, v2
	v_trunc_f32_e32 v3, v3
	v_mac_f32_e32 v2, 0xcf800000, v3
	v_cvt_u32_f32_e32 v3, v3
	v_cvt_u32_f32_e32 v2, v2
	v_readfirstlane_b32 s6, v3
	v_readfirstlane_b32 s7, v2
	s_mul_i32 s8, s0, s6
	s_mul_hi_u32 s18, s0, s7
	s_mul_i32 s9, s1, s7
	s_add_i32 s8, s18, s8
	s_mul_i32 s19, s0, s7
	s_add_i32 s8, s8, s9
	s_mul_hi_u32 s18, s7, s19
	s_mul_hi_u32 s9, s7, s8
	s_mul_i32 s7, s7, s8
	s_add_u32 s7, s18, s7
	s_addc_u32 s9, 0, s9
	s_mul_hi_u32 s20, s6, s19
	s_mul_i32 s19, s6, s19
	s_add_u32 s7, s7, s19
	s_mul_hi_u32 s18, s6, s8
	s_addc_u32 s7, s9, s20
	s_addc_u32 s9, s18, 0
	s_mul_i32 s8, s6, s8
	s_add_u32 s7, s7, s8
	s_addc_u32 s8, 0, s9
	v_add_co_u32_e32 v2, vcc, s7, v2
	s_cmp_lg_u64 vcc, 0
	s_addc_u32 s6, s6, s8
	v_readfirstlane_b32 s8, v2
	s_mul_i32 s7, s0, s6
	s_mul_hi_u32 s9, s0, s8
	s_add_i32 s7, s9, s7
	s_mul_i32 s1, s1, s8
	s_add_i32 s7, s7, s1
	s_mul_i32 s0, s0, s8
	s_mul_hi_u32 s9, s6, s0
	s_mul_i32 s18, s6, s0
	s_mul_i32 s20, s8, s7
	s_mul_hi_u32 s0, s8, s0
	s_mul_hi_u32 s19, s8, s7
	s_add_u32 s0, s0, s20
	s_addc_u32 s8, 0, s19
	s_add_u32 s0, s0, s18
	s_mul_hi_u32 s1, s6, s7
	s_addc_u32 s0, s8, s9
	s_addc_u32 s1, s1, 0
	s_mul_i32 s7, s6, s7
	s_add_u32 s0, s0, s7
	s_addc_u32 s1, 0, s1
	v_add_co_u32_e32 v2, vcc, s0, v2
	s_cmp_lg_u64 vcc, 0
	s_addc_u32 s0, s6, s1
	v_readfirstlane_b32 s7, v2
	s_mul_i32 s6, s87, s0
	s_mul_hi_u32 s8, s87, s7
	s_mul_hi_u32 s1, s87, s0
	s_add_u32 s6, s8, s6
	s_addc_u32 s1, 0, s1
	s_mul_hi_u32 s9, s69, s7
	s_mul_i32 s7, s69, s7
	s_add_u32 s6, s6, s7
	s_mul_hi_u32 s8, s69, s0
	s_addc_u32 s1, s1, s9
	s_addc_u32 s6, s8, 0
	s_mul_i32 s0, s69, s0
	s_add_u32 s0, s1, s0
	s_addc_u32 s1, 0, s6
	s_mul_hi_u32 s6, s33, s0
	s_mul_i32 s0, s33, s0
	s_mul_i32 s1, s33, s1
	v_mov_b32_e32 v2, s0
	s_add_i32 s6, s6, s1
	v_sub_co_u32_e32 v2, vcc, s87, v2
	s_cmp_lg_u64 vcc, 0
	s_subb_u32 s0, s69, s6
	v_subrev_co_u32_e32 v3, vcc, s33, v2
	s_cmp_lg_u64 vcc, 0
	s_subb_u32 s1, s0, 0
	v_subrev_co_u32_e32 v4, vcc, s33, v3
	s_cmp_lg_u64 vcc, 0
	s_subb_u32 s6, s1, 0
	v_cmp_le_u32_e32 vcc, s33, v3
	s_cmp_eq_u32 s1, 0
	v_cndmask_b32_e64 v5, 0, -1, vcc
	s_cselect_b64 vcc, -1, 0
	v_cndmask_b32_e32 v5, -1, v5, vcc
	v_mov_b32_e32 v6, s1
	v_mov_b32_e32 v7, s6
	v_cmp_ne_u32_e32 vcc, 0, v5
	v_cndmask_b32_e32 v5, v6, v7, vcc
	v_cndmask_b32_e32 v4, v3, v4, vcc
	v_cmp_le_u32_e32 vcc, s33, v2
	s_cmp_eq_u32 s0, 0
	v_cndmask_b32_e64 v3, 0, -1, vcc
	s_cselect_b64 vcc, -1, 0
	v_cndmask_b32_e32 v3, -1, v3, vcc
	v_mov_b32_e32 v6, s0
	v_cmp_ne_u32_e32 vcc, 0, v3
	v_cndmask_b32_e32 v3, v6, v5, vcc
	v_cndmask_b32_e32 v2, v2, v4, vcc
	s_cbranch_execnz .LBB124_162
.LBB124_161:                            ;   in Loop: Header=BB124_19 Depth=1
	v_cvt_f32_u32_e32 v2, s33
	s_sub_i32 s0, 0, s33
	v_rcp_iflag_f32_e32 v2, v2
	v_mul_f32_e32 v2, 0x4f7ffffe, v2
	v_cvt_u32_f32_e32 v2, v2
	v_mul_lo_u32 v3, s0, v2
	v_mul_hi_u32 v3, v2, v3
	v_add_u32_e32 v2, v2, v3
	v_mul_hi_u32 v2, s87, v2
	v_mul_lo_u32 v2, v2, s33
	v_sub_u32_e32 v2, s87, v2
	v_subrev_u32_e32 v3, s33, v2
	v_cmp_le_u32_e32 vcc, s33, v2
	v_cndmask_b32_e32 v2, v2, v3, vcc
	v_subrev_u32_e32 v3, s33, v2
	v_cmp_le_u32_e32 vcc, s33, v2
	v_cndmask_b32_e32 v12, v2, v3, vcc
	v_pk_mov_b32 v[2:3], v[12:13], v[12:13] op_sel:[0,1]
.LBB124_162:                            ;   in Loop: Header=BB124_19 Depth=1
	v_mov_b32_e32 v4, s69
	v_sub_co_u32_e32 v2, vcc, s87, v2
	v_subb_co_u32_e32 v3, vcc, v4, v3, vcc
	v_cmp_gt_u64_e32 vcc, v[2:3], v[0:1]
	s_mov_b64 s[6:7], 0
                                        ; implicit-def: $vgpr29
	s_and_saveexec_b64 s[0:1], vcc
	s_cbranch_execz .LBB124_171
; %bb.163:                              ;   in Loop: Header=BB124_19 Depth=1
	s_mov_b64 s[8:9], 0
	v_pk_mov_b32 v[4:5], v[10:11], v[10:11] op_sel:[0,1]
	v_pk_mov_b32 v[6:7], v[0:1], v[0:1] op_sel:[0,1]
                                        ; implicit-def: $sgpr18_sgpr19
	s_branch .LBB124_165
.LBB124_164:                            ;   in Loop: Header=BB124_165 Depth=2
	s_or_b64 exec, exec, s[6:7]
	s_waitcnt lgkmcnt(0)
	s_barrier
	ds_read_b64 v[28:29], v13 offset:3072
	v_mov_b32_e32 v8, s86
	v_add_co_u32_e64 v6, s[6:7], s33, v6
	v_addc_co_u32_e64 v7, s[6:7], v7, v8, s[6:7]
	s_waitcnt lgkmcnt(0)
	v_cmp_neq_f32_e32 vcc, 0, v28
	v_cmp_ge_u64_e64 s[6:7], v[6:7], v[2:3]
	s_or_b64 s[20:21], s[6:7], vcc
	v_mov_b32_e32 v8, s67
	v_add_co_u32_e64 v4, s[6:7], s66, v4
	v_addc_co_u32_e64 v5, s[6:7], v5, v8, s[6:7]
	s_and_b64 s[6:7], exec, s[20:21]
	s_or_b64 s[8:9], s[6:7], s[8:9]
	s_andn2_b64 s[6:7], s[18:19], exec
	s_and_b64 s[18:19], vcc, exec
	s_or_b64 s[18:19], s[6:7], s[18:19]
	s_barrier
	s_andn2_b64 exec, exec, s[8:9]
	s_cbranch_execz .LBB124_170
.LBB124_165:                            ;   Parent Loop BB124_19 Depth=1
                                        ; =>  This Inner Loop Header: Depth=2
	v_cmp_gt_u64_e32 vcc, s[52:53], v[6:7]
	s_waitcnt vmcnt(0)
	v_mov_b32_e32 v27, 0
	s_and_saveexec_b64 s[6:7], vcc
	s_cbranch_execz .LBB124_167
; %bb.166:                              ;   in Loop: Header=BB124_165 Depth=2
	global_load_dword v27, v[4:5], off
.LBB124_167:                            ;   in Loop: Header=BB124_165 Depth=2
	s_or_b64 exec, exec, s[6:7]
	s_and_saveexec_b64 s[6:7], vcc
	s_cbranch_execz .LBB124_164
; %bb.168:                              ;   in Loop: Header=BB124_165 Depth=2
	s_waitcnt vmcnt(0)
	v_cmp_lt_i32_e32 vcc, -1, v27
	v_cndmask_b32_e32 v8, -1, v40, vcc
	v_xor_b32_e32 v8, v8, v27
	v_cmp_o_f32_e32 vcc, v27, v27
	v_cndmask_b32_e32 v8, -1, v8, vcc
	v_and_b32_e32 v8, s80, v8
	v_cmp_eq_u32_e32 vcc, s81, v8
	s_and_b64 exec, exec, vcc
	s_cbranch_execz .LBB124_164
; %bb.169:                              ;   in Loop: Header=BB124_165 Depth=2
	ds_write_b64 v13, v[26:27] offset:3072
	s_branch .LBB124_164
.LBB124_170:                            ;   in Loop: Header=BB124_19 Depth=1
	s_or_b64 exec, exec, s[8:9]
	s_and_b64 s[6:7], s[18:19], exec
.LBB124_171:                            ;   in Loop: Header=BB124_19 Depth=1
	s_or_b64 exec, exec, s[0:1]
	s_mov_b64 s[22:23], -1
	s_mov_b64 s[20:21], 0
	s_mov_b64 s[18:19], 0
.LBB124_172:                            ;   in Loop: Header=BB124_19 Depth=1
	s_mov_b64 s[0:1], 0
                                        ; implicit-def: $sgpr45
	s_and_saveexec_b64 s[24:25], s[6:7]
	s_cbranch_execz .LBB124_283
; %bb.173:                              ;   in Loop: Header=BB124_19 Depth=1
	s_xor_b64 s[0:1], s[30:31], -1
	s_andn2_b64 vcc, exec, s[0:1]
	s_mov_b32 s45, 1
	s_cbranch_vccnz .LBB124_184
; %bb.174:                              ;   in Loop: Header=BB124_19 Depth=1
	v_pk_mov_b32 v[2:3], s[28:29], s[28:29] op_sel:[0,1]
	v_cmp_gt_u64_e32 vcc, s[72:73], v[2:3]
	s_mov_b64 s[0:1], -1
                                        ; implicit-def: $sgpr45
                                        ; implicit-def: $sgpr6
                                        ; implicit-def: $sgpr7
	s_cbranch_vccnz .LBB124_180
; %bb.175:                              ;   in Loop: Header=BB124_19 Depth=1
	ds_read_b64 v[2:3], v13 offset:5120
	s_waitcnt lgkmcnt(0)
	v_cmp_ne_u64_e32 vcc, 0, v[2:3]
	s_cbranch_vccnz .LBB124_179
; %bb.176:                              ;   in Loop: Header=BB124_19 Depth=1
	s_mov_b64 s[0:1], exec
	v_readlane_b32 s6, v50, 12
	v_readlane_b32 s7, v50, 13
	s_and_b64 s[6:7], s[0:1], s[6:7]
	s_mov_b64 exec, s[6:7]
	s_cbranch_execz .LBB124_178
; %bb.177:                              ;   in Loop: Header=BB124_19 Depth=1
	v_pk_mov_b32 v[2:3], s[28:29], s[28:29] op_sel:[0,1]
	ds_write_b64 v13, v[2:3] offset:5128
.LBB124_178:                            ;   in Loop: Header=BB124_19 Depth=1
	s_or_b64 exec, exec, s[0:1]
	s_waitcnt lgkmcnt(0)
	s_barrier
.LBB124_179:                            ;   in Loop: Header=BB124_19 Depth=1
	s_lshl_b32 s0, 1, s40
	s_and_b32 s1, s81, s41
	s_or_b32 s6, s1, s0
	s_or_b32 s7, s80, s44
	s_mov_b64 s[0:1], 0
	s_mov_b32 s45, 8
.LBB124_180:                            ;   in Loop: Header=BB124_19 Depth=1
	s_andn2_b64 vcc, exec, s[0:1]
	s_cbranch_vccnz .LBB124_182
; %bb.181:                              ;   in Loop: Header=BB124_19 Depth=1
	s_sub_u32 s72, s72, s28
	s_subb_u32 s73, s73, s29
	s_mov_b64 s[0:1], -1
	s_mov_b32 s45, 0
	s_mov_b32 s6, s81
	;; [unrolled: 1-line block ×3, first 2 shown]
.LBB124_182:                            ;   in Loop: Header=BB124_19 Depth=1
	s_mov_b32 s80, s7
	s_mov_b32 s81, s6
	s_andn2_b64 vcc, exec, s[0:1]
	s_mov_b64 s[0:1], -1
	s_cbranch_vccz .LBB124_185
.LBB124_183:                            ;   in Loop: Header=BB124_19 Depth=1
                                        ; implicit-def: $sgpr30_sgpr31
                                        ; implicit-def: $sgpr34_sgpr35
                                        ; implicit-def: $sgpr28_sgpr29
	s_branch .LBB124_282
.LBB124_184:                            ;   in Loop: Header=BB124_19 Depth=1
	s_mov_b64 s[72:73], 1
	s_mov_b64 s[0:1], -1
	s_cbranch_execnz .LBB124_183
.LBB124_185:                            ;   in Loop: Header=BB124_19 Depth=1
	s_cmp_eq_u64 s[16:17], 1
	s_cselect_b64 s[0:1], -1, 0
	s_cmp_eq_u64 s[72:73], 1
	s_cselect_b64 s[6:7], -1, 0
	s_mov_b64 s[56:57], s[38:39]
	s_and_b64 s[38:39], s[0:1], s[6:7]
	s_mov_b64 s[6:7], -1
	s_and_b64 vcc, exec, s[38:39]
	s_cbranch_vccz .LBB124_200
; %bb.186:                              ;   in Loop: Header=BB124_19 Depth=1
	ds_read_b64 v[2:3], v13 offset:5120
	s_waitcnt lgkmcnt(0)
	s_barrier
	v_readfirstlane_b32 s0, v2
	v_readfirstlane_b32 s1, v3
	s_mov_b64 s[6:7], exec
	v_readlane_b32 s8, v50, 14
	v_readlane_b32 s9, v50, 15
	s_and_b64 s[8:9], s[6:7], s[8:9]
	s_mov_b64 exec, s[8:9]
	s_cbranch_execz .LBB124_188
; %bb.187:                              ;   in Loop: Header=BB124_19 Depth=1
	ds_write_b32 v35, v13
.LBB124_188:                            ;   in Loop: Header=BB124_19 Depth=1
	s_or_b64 exec, exec, s[6:7]
	s_lshl_b32 s6, 2, s40
	s_and_b32 s7, s81, s41
	s_or_b32 s81, s7, s6
	s_or_b32 s80, s80, s44
	s_cmp_eq_u64 s[0:1], 0
	s_waitcnt lgkmcnt(0)
	s_barrier
	s_cbranch_scc1 .LBB124_203
; %bb.189:                              ;   in Loop: Header=BB124_19 Depth=1
	v_readlane_b32 s6, v50, 20
	s_add_u32 s26, s6, s0
	v_readlane_b32 s6, v50, 21
	s_addc_u32 s7, s6, s1
	s_mov_b32 s6, s71
	s_cmp_lg_u64 s[6:7], 0
	s_cbranch_scc0 .LBB124_248
; %bb.190:                              ;   in Loop: Header=BB124_19 Depth=1
	v_cvt_f32_u32_e32 v2, s33
	s_sub_u32 s6, 0, s33
	s_subb_u32 s8, 0, 0
	v_mac_f32_e32 v2, 0, v41
	v_rcp_f32_e32 v2, v2
	v_mul_f32_e32 v2, 0x5f7ffffc, v2
	v_mul_f32_e32 v3, 0x2f800000, v2
	v_trunc_f32_e32 v3, v3
	v_mac_f32_e32 v2, 0xcf800000, v3
	v_cvt_u32_f32_e32 v3, v3
	v_cvt_u32_f32_e32 v2, v2
	v_readfirstlane_b32 s9, v3
	v_readfirstlane_b32 s27, v2
	s_mul_i32 s28, s6, s9
	s_mul_hi_u32 s30, s6, s27
	s_mul_i32 s29, s8, s27
	s_add_i32 s28, s30, s28
	s_mul_i32 s31, s6, s27
	s_add_i32 s28, s28, s29
	s_mul_hi_u32 s30, s27, s31
	s_mul_hi_u32 s29, s27, s28
	s_mul_i32 s27, s27, s28
	s_add_u32 s27, s30, s27
	s_addc_u32 s29, 0, s29
	s_mul_hi_u32 s34, s9, s31
	s_mul_i32 s31, s9, s31
	s_add_u32 s27, s27, s31
	s_mul_hi_u32 s30, s9, s28
	s_addc_u32 s27, s29, s34
	s_addc_u32 s29, s30, 0
	s_mul_i32 s28, s9, s28
	s_add_u32 s27, s27, s28
	s_addc_u32 s28, 0, s29
	v_add_co_u32_e32 v2, vcc, s27, v2
	s_cmp_lg_u64 vcc, 0
	s_addc_u32 s9, s9, s28
	v_readfirstlane_b32 s28, v2
	s_mul_i32 s27, s6, s9
	s_mul_hi_u32 s29, s6, s28
	s_add_i32 s27, s29, s27
	s_mul_i32 s8, s8, s28
	s_add_i32 s27, s27, s8
	s_mul_i32 s6, s6, s28
	s_mul_hi_u32 s29, s9, s6
	s_mul_i32 s30, s9, s6
	s_mul_i32 s34, s28, s27
	s_mul_hi_u32 s6, s28, s6
	s_mul_hi_u32 s31, s28, s27
	s_add_u32 s6, s6, s34
	s_addc_u32 s28, 0, s31
	s_add_u32 s6, s6, s30
	s_mul_hi_u32 s8, s9, s27
	s_addc_u32 s6, s28, s29
	s_addc_u32 s8, s8, 0
	s_mul_i32 s27, s9, s27
	s_add_u32 s6, s6, s27
	s_addc_u32 s8, 0, s8
	v_add_co_u32_e32 v2, vcc, s6, v2
	s_cmp_lg_u64 vcc, 0
	s_addc_u32 s6, s9, s8
	v_readfirstlane_b32 s27, v2
	s_mul_i32 s9, s26, s6
	s_mul_hi_u32 s28, s26, s27
	s_mul_hi_u32 s8, s26, s6
	s_add_u32 s9, s28, s9
	s_addc_u32 s8, 0, s8
	s_mul_hi_u32 s29, s7, s27
	s_mul_i32 s27, s7, s27
	s_add_u32 s9, s9, s27
	s_mul_hi_u32 s28, s7, s6
	s_addc_u32 s8, s8, s29
	s_addc_u32 s9, s28, 0
	s_mul_i32 s6, s7, s6
	s_add_u32 s6, s8, s6
	s_addc_u32 s8, 0, s9
	s_mul_hi_u32 s9, s33, s6
	s_mul_i32 s6, s33, s6
	s_mul_i32 s8, s33, s8
	v_mov_b32_e32 v2, s6
	s_add_i32 s9, s9, s8
	v_sub_co_u32_e32 v2, vcc, s26, v2
	s_cmp_lg_u64 vcc, 0
	s_subb_u32 s6, s7, s9
	v_subrev_co_u32_e32 v3, vcc, s33, v2
	s_cmp_lg_u64 vcc, 0
	s_subb_u32 s8, s6, 0
	v_subrev_co_u32_e32 v4, vcc, s33, v3
	s_cmp_lg_u64 vcc, 0
	s_subb_u32 s9, s8, 0
	v_cmp_le_u32_e32 vcc, s33, v3
	s_cmp_eq_u32 s8, 0
	v_cndmask_b32_e64 v5, 0, -1, vcc
	s_cselect_b64 vcc, -1, 0
	v_cndmask_b32_e32 v5, -1, v5, vcc
	v_mov_b32_e32 v6, s8
	v_mov_b32_e32 v7, s9
	v_cmp_ne_u32_e32 vcc, 0, v5
	v_cndmask_b32_e32 v5, v6, v7, vcc
	v_cndmask_b32_e32 v4, v3, v4, vcc
	v_cmp_le_u32_e32 vcc, s33, v2
	s_cmp_eq_u32 s6, 0
	v_cndmask_b32_e64 v3, 0, -1, vcc
	s_cselect_b64 vcc, -1, 0
	v_cndmask_b32_e32 v3, -1, v3, vcc
	v_mov_b32_e32 v6, s6
	v_cmp_ne_u32_e32 vcc, 0, v3
	v_cndmask_b32_e32 v3, v6, v5, vcc
	v_cndmask_b32_e32 v2, v2, v4, vcc
	s_cbranch_execnz .LBB124_192
.LBB124_191:                            ;   in Loop: Header=BB124_19 Depth=1
	v_cvt_f32_u32_e32 v2, s33
	s_sub_i32 s6, 0, s33
	v_rcp_iflag_f32_e32 v2, v2
	v_mul_f32_e32 v2, 0x4f7ffffe, v2
	v_cvt_u32_f32_e32 v2, v2
	v_mul_lo_u32 v3, s6, v2
	v_mul_hi_u32 v3, v2, v3
	v_add_u32_e32 v2, v2, v3
	v_mul_hi_u32 v2, s26, v2
	v_mul_lo_u32 v2, v2, s33
	v_sub_u32_e32 v2, s26, v2
	v_subrev_u32_e32 v3, s33, v2
	v_cmp_le_u32_e32 vcc, s33, v2
	v_cndmask_b32_e32 v2, v2, v3, vcc
	v_subrev_u32_e32 v3, s33, v2
	v_cmp_le_u32_e32 vcc, s33, v2
	v_cndmask_b32_e32 v12, v2, v3, vcc
	v_pk_mov_b32 v[2:3], v[12:13], v[12:13] op_sel:[0,1]
.LBB124_192:                            ;   in Loop: Header=BB124_19 Depth=1
	v_mov_b32_e32 v4, s7
	v_sub_co_u32_e32 v2, vcc, s26, v2
	v_subb_co_u32_e32 v3, vcc, v4, v3, vcc
	v_cmp_gt_u64_e32 vcc, v[2:3], v[0:1]
	s_mov_b64 s[6:7], 0
                                        ; implicit-def: $vgpr29
	s_and_saveexec_b64 s[8:9], vcc
	s_cbranch_execz .LBB124_205
; %bb.193:                              ;   in Loop: Header=BB124_19 Depth=1
	s_mov_b64 s[26:27], 0
	v_mov_b32_e32 v6, v14
	v_pk_mov_b32 v[4:5], v[0:1], v[0:1] op_sel:[0,1]
                                        ; implicit-def: $sgpr28_sgpr29
	s_branch .LBB124_195
.LBB124_194:                            ;   in Loop: Header=BB124_195 Depth=2
	s_or_b64 exec, exec, s[6:7]
	s_waitcnt lgkmcnt(0)
	s_barrier
	ds_read_b64 v[28:29], v13 offset:3072
	v_mov_b32_e32 v7, s86
	v_add_co_u32_e64 v4, s[6:7], s33, v4
	v_addc_co_u32_e64 v5, s[6:7], v5, v7, s[6:7]
	s_waitcnt lgkmcnt(0)
	v_cmp_neq_f32_e32 vcc, 0, v28
	v_cmp_ge_u64_e64 s[6:7], v[4:5], v[2:3]
	s_or_b64 s[6:7], s[6:7], vcc
	s_and_b64 s[6:7], exec, s[6:7]
	s_or_b64 s[26:27], s[6:7], s[26:27]
	s_andn2_b64 s[6:7], s[28:29], exec
	s_and_b64 s[28:29], vcc, exec
	v_add_u32_e32 v6, s89, v6
	s_or_b64 s[28:29], s[6:7], s[28:29]
	s_barrier
	s_andn2_b64 exec, exec, s[26:27]
	s_cbranch_execz .LBB124_204
.LBB124_195:                            ;   Parent Loop BB124_19 Depth=1
                                        ; =>  This Inner Loop Header: Depth=2
	v_cmp_gt_u64_e32 vcc, s[0:1], v[4:5]
	s_waitcnt vmcnt(0)
	v_mov_b32_e32 v27, 0
	s_and_saveexec_b64 s[6:7], vcc
	s_cbranch_execz .LBB124_197
; %bb.196:                              ;   in Loop: Header=BB124_195 Depth=2
	ds_read_b32 v27, v6
.LBB124_197:                            ;   in Loop: Header=BB124_195 Depth=2
	s_or_b64 exec, exec, s[6:7]
	s_and_saveexec_b64 s[6:7], vcc
	s_cbranch_execz .LBB124_194
; %bb.198:                              ;   in Loop: Header=BB124_195 Depth=2
	s_waitcnt lgkmcnt(0)
	v_cmp_lt_i32_e32 vcc, -1, v27
	v_cndmask_b32_e32 v7, -1, v40, vcc
	v_xor_b32_e32 v7, v7, v27
	v_cmp_o_f32_e32 vcc, v27, v27
	v_cndmask_b32_e32 v7, -1, v7, vcc
	v_and_b32_e32 v7, s80, v7
	v_cmp_eq_u32_e32 vcc, s81, v7
	s_and_b64 exec, exec, vcc
	s_cbranch_execz .LBB124_194
; %bb.199:                              ;   in Loop: Header=BB124_195 Depth=2
	ds_write_b64 v13, v[26:27] offset:3072
	s_branch .LBB124_194
.LBB124_200:                            ;   in Loop: Header=BB124_19 Depth=1
                                        ; implicit-def: $sgpr28_sgpr29
                                        ; implicit-def: $sgpr34_sgpr35
                                        ; implicit-def: $sgpr30_sgpr31
	s_branch .LBB124_219
.LBB124_201:                            ;   in Loop: Header=BB124_19 Depth=1
                                        ; implicit-def: $vgpr2_vgpr3
	s_branch .LBB124_141
.LBB124_202:                            ;   in Loop: Header=BB124_19 Depth=1
                                        ; implicit-def: $vgpr2_vgpr3
	s_branch .LBB124_161
.LBB124_203:                            ;   in Loop: Header=BB124_19 Depth=1
	s_mov_b64 s[28:29], -1
	s_mov_b64 s[6:7], 0
                                        ; implicit-def: $sgpr30_sgpr31
                                        ; implicit-def: $vgpr29
	s_mov_b64 s[34:35], s[28:29]
	s_cbranch_execnz .LBB124_206
	s_branch .LBB124_219
.LBB124_204:                            ;   in Loop: Header=BB124_19 Depth=1
	s_or_b64 exec, exec, s[26:27]
	s_and_b64 s[6:7], s[28:29], exec
.LBB124_205:                            ;   in Loop: Header=BB124_19 Depth=1
	s_or_b64 exec, exec, s[8:9]
	s_mov_b64 s[30:31], -1
	s_mov_b64 s[28:29], 0
	s_mov_b64 s[34:35], s[28:29]
	s_branch .LBB124_219
.LBB124_206:                            ;   in Loop: Header=BB124_19 Depth=1
	s_mov_b32 s68, s71
	s_cmp_lg_u64 s[68:69], 0
	s_cbranch_scc0 .LBB124_249
; %bb.207:                              ;   in Loop: Header=BB124_19 Depth=1
	v_cvt_f32_u32_e32 v2, s33
	s_sub_u32 s0, 0, s33
	s_subb_u32 s1, 0, 0
	v_mac_f32_e32 v2, 0, v41
	v_rcp_f32_e32 v2, v2
	v_mul_f32_e32 v2, 0x5f7ffffc, v2
	v_mul_f32_e32 v3, 0x2f800000, v2
	v_trunc_f32_e32 v3, v3
	v_mac_f32_e32 v2, 0xcf800000, v3
	v_cvt_u32_f32_e32 v3, v3
	v_cvt_u32_f32_e32 v2, v2
	v_readfirstlane_b32 s6, v3
	v_readfirstlane_b32 s7, v2
	s_mul_i32 s8, s0, s6
	s_mul_hi_u32 s26, s0, s7
	s_mul_i32 s9, s1, s7
	s_add_i32 s8, s26, s8
	s_mul_i32 s27, s0, s7
	s_add_i32 s8, s8, s9
	s_mul_hi_u32 s26, s7, s27
	s_mul_hi_u32 s9, s7, s8
	s_mul_i32 s7, s7, s8
	s_add_u32 s7, s26, s7
	s_addc_u32 s9, 0, s9
	s_mul_hi_u32 s28, s6, s27
	s_mul_i32 s27, s6, s27
	s_add_u32 s7, s7, s27
	s_mul_hi_u32 s26, s6, s8
	s_addc_u32 s7, s9, s28
	s_addc_u32 s9, s26, 0
	s_mul_i32 s8, s6, s8
	s_add_u32 s7, s7, s8
	s_addc_u32 s8, 0, s9
	v_add_co_u32_e32 v2, vcc, s7, v2
	s_cmp_lg_u64 vcc, 0
	s_addc_u32 s6, s6, s8
	v_readfirstlane_b32 s8, v2
	s_mul_i32 s7, s0, s6
	s_mul_hi_u32 s9, s0, s8
	s_add_i32 s7, s9, s7
	s_mul_i32 s1, s1, s8
	s_add_i32 s7, s7, s1
	s_mul_i32 s0, s0, s8
	s_mul_hi_u32 s9, s6, s0
	s_mul_i32 s26, s6, s0
	s_mul_i32 s28, s8, s7
	s_mul_hi_u32 s0, s8, s0
	s_mul_hi_u32 s27, s8, s7
	s_add_u32 s0, s0, s28
	s_addc_u32 s8, 0, s27
	s_add_u32 s0, s0, s26
	s_mul_hi_u32 s1, s6, s7
	s_addc_u32 s0, s8, s9
	s_addc_u32 s1, s1, 0
	s_mul_i32 s7, s6, s7
	s_add_u32 s0, s0, s7
	s_addc_u32 s1, 0, s1
	v_add_co_u32_e32 v2, vcc, s0, v2
	s_cmp_lg_u64 vcc, 0
	s_addc_u32 s0, s6, s1
	v_readfirstlane_b32 s7, v2
	s_mul_i32 s6, s87, s0
	s_mul_hi_u32 s8, s87, s7
	s_mul_hi_u32 s1, s87, s0
	s_add_u32 s6, s8, s6
	s_addc_u32 s1, 0, s1
	s_mul_hi_u32 s9, s69, s7
	s_mul_i32 s7, s69, s7
	s_add_u32 s6, s6, s7
	s_mul_hi_u32 s8, s69, s0
	s_addc_u32 s1, s1, s9
	s_addc_u32 s6, s8, 0
	s_mul_i32 s0, s69, s0
	s_add_u32 s0, s1, s0
	s_addc_u32 s1, 0, s6
	s_mul_hi_u32 s6, s33, s0
	s_mul_i32 s0, s33, s0
	s_mul_i32 s1, s33, s1
	v_mov_b32_e32 v2, s0
	s_add_i32 s6, s6, s1
	v_sub_co_u32_e32 v2, vcc, s87, v2
	s_cmp_lg_u64 vcc, 0
	s_subb_u32 s0, s69, s6
	v_subrev_co_u32_e32 v3, vcc, s33, v2
	s_cmp_lg_u64 vcc, 0
	s_subb_u32 s1, s0, 0
	v_subrev_co_u32_e32 v4, vcc, s33, v3
	s_cmp_lg_u64 vcc, 0
	s_subb_u32 s6, s1, 0
	v_cmp_le_u32_e32 vcc, s33, v3
	s_cmp_eq_u32 s1, 0
	v_cndmask_b32_e64 v5, 0, -1, vcc
	s_cselect_b64 vcc, -1, 0
	v_cndmask_b32_e32 v5, -1, v5, vcc
	v_mov_b32_e32 v6, s1
	v_mov_b32_e32 v7, s6
	v_cmp_ne_u32_e32 vcc, 0, v5
	v_cndmask_b32_e32 v5, v6, v7, vcc
	v_cndmask_b32_e32 v4, v3, v4, vcc
	v_cmp_le_u32_e32 vcc, s33, v2
	s_cmp_eq_u32 s0, 0
	v_cndmask_b32_e64 v3, 0, -1, vcc
	s_cselect_b64 vcc, -1, 0
	v_cndmask_b32_e32 v3, -1, v3, vcc
	v_mov_b32_e32 v6, s0
	v_cmp_ne_u32_e32 vcc, 0, v3
	v_cndmask_b32_e32 v3, v6, v5, vcc
	v_cndmask_b32_e32 v2, v2, v4, vcc
	s_cbranch_execnz .LBB124_209
.LBB124_208:                            ;   in Loop: Header=BB124_19 Depth=1
	v_cvt_f32_u32_e32 v2, s33
	s_sub_i32 s0, 0, s33
	v_rcp_iflag_f32_e32 v2, v2
	v_mul_f32_e32 v2, 0x4f7ffffe, v2
	v_cvt_u32_f32_e32 v2, v2
	v_mul_lo_u32 v3, s0, v2
	v_mul_hi_u32 v3, v2, v3
	v_add_u32_e32 v2, v2, v3
	v_mul_hi_u32 v2, s87, v2
	v_mul_lo_u32 v2, v2, s33
	v_sub_u32_e32 v2, s87, v2
	v_subrev_u32_e32 v3, s33, v2
	v_cmp_le_u32_e32 vcc, s33, v2
	v_cndmask_b32_e32 v2, v2, v3, vcc
	v_subrev_u32_e32 v3, s33, v2
	v_cmp_le_u32_e32 vcc, s33, v2
	v_cndmask_b32_e32 v12, v2, v3, vcc
	v_pk_mov_b32 v[2:3], v[12:13], v[12:13] op_sel:[0,1]
.LBB124_209:                            ;   in Loop: Header=BB124_19 Depth=1
	v_mov_b32_e32 v4, s69
	v_sub_co_u32_e32 v2, vcc, s87, v2
	v_subb_co_u32_e32 v3, vcc, v4, v3, vcc
	v_cmp_gt_u64_e32 vcc, v[2:3], v[0:1]
	s_mov_b64 s[6:7], 0
                                        ; implicit-def: $vgpr29
	s_and_saveexec_b64 s[0:1], vcc
	s_cbranch_execz .LBB124_218
; %bb.210:                              ;   in Loop: Header=BB124_19 Depth=1
	s_mov_b64 s[8:9], 0
	v_pk_mov_b32 v[4:5], v[10:11], v[10:11] op_sel:[0,1]
	v_pk_mov_b32 v[6:7], v[0:1], v[0:1] op_sel:[0,1]
                                        ; implicit-def: $sgpr26_sgpr27
	s_branch .LBB124_212
.LBB124_211:                            ;   in Loop: Header=BB124_212 Depth=2
	s_or_b64 exec, exec, s[6:7]
	s_waitcnt lgkmcnt(0)
	s_barrier
	ds_read_b64 v[28:29], v13 offset:3072
	v_mov_b32_e32 v8, s86
	v_add_co_u32_e64 v6, s[6:7], s33, v6
	v_addc_co_u32_e64 v7, s[6:7], v7, v8, s[6:7]
	s_waitcnt lgkmcnt(0)
	v_cmp_neq_f32_e32 vcc, 0, v28
	v_cmp_ge_u64_e64 s[6:7], v[6:7], v[2:3]
	s_or_b64 s[28:29], s[6:7], vcc
	v_mov_b32_e32 v8, s67
	v_add_co_u32_e64 v4, s[6:7], s66, v4
	v_addc_co_u32_e64 v5, s[6:7], v5, v8, s[6:7]
	s_and_b64 s[6:7], exec, s[28:29]
	s_or_b64 s[8:9], s[6:7], s[8:9]
	s_andn2_b64 s[6:7], s[26:27], exec
	s_and_b64 s[26:27], vcc, exec
	s_or_b64 s[26:27], s[6:7], s[26:27]
	s_barrier
	s_andn2_b64 exec, exec, s[8:9]
	s_cbranch_execz .LBB124_217
.LBB124_212:                            ;   Parent Loop BB124_19 Depth=1
                                        ; =>  This Inner Loop Header: Depth=2
	v_cmp_gt_u64_e32 vcc, s[52:53], v[6:7]
	s_waitcnt vmcnt(0)
	v_mov_b32_e32 v27, 0
	s_and_saveexec_b64 s[6:7], vcc
	s_cbranch_execz .LBB124_214
; %bb.213:                              ;   in Loop: Header=BB124_212 Depth=2
	global_load_dword v27, v[4:5], off
.LBB124_214:                            ;   in Loop: Header=BB124_212 Depth=2
	s_or_b64 exec, exec, s[6:7]
	s_and_saveexec_b64 s[6:7], vcc
	s_cbranch_execz .LBB124_211
; %bb.215:                              ;   in Loop: Header=BB124_212 Depth=2
	s_waitcnt vmcnt(0)
	v_cmp_lt_i32_e32 vcc, -1, v27
	v_cndmask_b32_e32 v8, -1, v40, vcc
	v_xor_b32_e32 v8, v8, v27
	v_cmp_o_f32_e32 vcc, v27, v27
	v_cndmask_b32_e32 v8, -1, v8, vcc
	v_and_b32_e32 v8, s80, v8
	v_cmp_eq_u32_e32 vcc, s81, v8
	s_and_b64 exec, exec, vcc
	s_cbranch_execz .LBB124_211
; %bb.216:                              ;   in Loop: Header=BB124_212 Depth=2
	ds_write_b64 v13, v[26:27] offset:3072
	s_branch .LBB124_211
.LBB124_217:                            ;   in Loop: Header=BB124_19 Depth=1
	s_or_b64 exec, exec, s[8:9]
	s_and_b64 s[6:7], s[26:27], exec
.LBB124_218:                            ;   in Loop: Header=BB124_19 Depth=1
	s_or_b64 exec, exec, s[0:1]
	s_mov_b64 s[34:35], -1
	s_mov_b64 s[28:29], 0
	s_mov_b64 s[30:31], 0
.LBB124_219:                            ;   in Loop: Header=BB124_19 Depth=1
	s_mov_b64 s[0:1], 0
                                        ; implicit-def: $sgpr45
	s_and_saveexec_b64 s[36:37], s[6:7]
	s_cbranch_execz .LBB124_281
; %bb.220:                              ;   in Loop: Header=BB124_19 Depth=1
	s_xor_b64 s[0:1], s[38:39], -1
	s_andn2_b64 vcc, exec, s[0:1]
	s_mov_b32 s45, 1
	s_cbranch_vccnz .LBB124_231
; %bb.221:                              ;   in Loop: Header=BB124_19 Depth=1
	v_pk_mov_b32 v[2:3], s[16:17], s[16:17] op_sel:[0,1]
	v_cmp_gt_u64_e32 vcc, s[72:73], v[2:3]
	s_mov_b64 s[0:1], -1
                                        ; implicit-def: $sgpr45
                                        ; implicit-def: $sgpr6
                                        ; implicit-def: $sgpr7
	s_cbranch_vccnz .LBB124_227
; %bb.222:                              ;   in Loop: Header=BB124_19 Depth=1
	ds_read_b64 v[2:3], v13 offset:5120
	s_waitcnt lgkmcnt(0)
	v_cmp_ne_u64_e32 vcc, 0, v[2:3]
	s_cbranch_vccnz .LBB124_226
; %bb.223:                              ;   in Loop: Header=BB124_19 Depth=1
	s_mov_b64 s[0:1], exec
	v_readlane_b32 s6, v50, 12
	v_readlane_b32 s7, v50, 13
	s_and_b64 s[6:7], s[0:1], s[6:7]
	s_mov_b64 exec, s[6:7]
	s_cbranch_execz .LBB124_225
; %bb.224:                              ;   in Loop: Header=BB124_19 Depth=1
	v_pk_mov_b32 v[2:3], s[16:17], s[16:17] op_sel:[0,1]
	ds_write_b64 v13, v[2:3] offset:5128
.LBB124_225:                            ;   in Loop: Header=BB124_19 Depth=1
	s_or_b64 exec, exec, s[0:1]
	s_waitcnt lgkmcnt(0)
	s_barrier
.LBB124_226:                            ;   in Loop: Header=BB124_19 Depth=1
	s_lshl_b32 s0, 2, s40
	s_and_b32 s1, s81, s41
	s_or_b32 s6, s1, s0
	s_or_b32 s7, s80, s44
	s_mov_b64 s[0:1], 0
	s_mov_b32 s45, 8
.LBB124_227:                            ;   in Loop: Header=BB124_19 Depth=1
	s_andn2_b64 vcc, exec, s[0:1]
	s_cbranch_vccnz .LBB124_229
; %bb.228:                              ;   in Loop: Header=BB124_19 Depth=1
	s_sub_u32 s72, s72, s16
	s_subb_u32 s73, s73, s17
	s_mov_b64 s[0:1], -1
	s_mov_b32 s45, 0
	s_mov_b32 s6, s81
	;; [unrolled: 1-line block ×3, first 2 shown]
.LBB124_229:                            ;   in Loop: Header=BB124_19 Depth=1
	s_mov_b32 s80, s7
	s_mov_b32 s81, s6
	s_andn2_b64 vcc, exec, s[0:1]
	s_mov_b64 s[40:41], -1
	s_cbranch_vccz .LBB124_232
.LBB124_230:                            ;   in Loop: Header=BB124_19 Depth=1
                                        ; implicit-def: $sgpr0_sgpr1
                                        ; implicit-def: $sgpr8_sgpr9
                                        ; implicit-def: $sgpr6_sgpr7
	s_branch .LBB124_280
.LBB124_231:                            ;   in Loop: Header=BB124_19 Depth=1
	s_mov_b64 s[72:73], 1
	s_mov_b64 s[40:41], -1
	s_cbranch_execnz .LBB124_230
.LBB124_232:                            ;   in Loop: Header=BB124_19 Depth=1
	s_cmp_eq_u64 s[10:11], 1
	s_cselect_b64 s[0:1], -1, 0
	s_cmp_eq_u64 s[72:73], 1
	s_cselect_b64 s[6:7], -1, 0
	s_and_b64 s[16:17], s[0:1], s[6:7]
	s_mov_b64 s[26:27], -1
	s_and_b64 vcc, exec, s[16:17]
	s_cbranch_vccz .LBB124_247
; %bb.233:                              ;   in Loop: Header=BB124_19 Depth=1
	ds_read_b64 v[2:3], v13 offset:5120
	s_waitcnt lgkmcnt(0)
	s_barrier
	v_readfirstlane_b32 s0, v2
	v_readfirstlane_b32 s1, v3
	s_mov_b64 s[6:7], exec
	v_readlane_b32 s8, v50, 14
	v_readlane_b32 s9, v50, 15
	s_and_b64 s[8:9], s[6:7], s[8:9]
	s_mov_b64 exec, s[8:9]
	s_cbranch_execz .LBB124_235
; %bb.234:                              ;   in Loop: Header=BB124_19 Depth=1
	ds_write_b32 v35, v13
.LBB124_235:                            ;   in Loop: Header=BB124_19 Depth=1
	s_or_b64 exec, exec, s[6:7]
	s_or_b32 s81, s81, s44
	s_or_b32 s80, s80, s44
	s_cmp_eq_u64 s[0:1], 0
	s_waitcnt lgkmcnt(0)
	s_barrier
	s_cbranch_scc1 .LBB124_250
; %bb.236:                              ;   in Loop: Header=BB124_19 Depth=1
	v_readlane_b32 s6, v50, 20
	s_add_u32 s26, s6, s0
	v_readlane_b32 s6, v50, 21
	s_addc_u32 s7, s6, s1
	s_mov_b32 s6, s71
	s_cmp_lg_u64 s[6:7], 0
	s_cbranch_scc0 .LBB124_286
; %bb.237:                              ;   in Loop: Header=BB124_19 Depth=1
	v_cvt_f32_u32_e32 v2, s33
	s_sub_u32 s6, 0, s33
	s_subb_u32 s8, 0, 0
	v_mac_f32_e32 v2, 0, v41
	v_rcp_f32_e32 v2, v2
	v_mul_f32_e32 v2, 0x5f7ffffc, v2
	v_mul_f32_e32 v3, 0x2f800000, v2
	v_trunc_f32_e32 v3, v3
	v_mac_f32_e32 v2, 0xcf800000, v3
	v_cvt_u32_f32_e32 v3, v3
	v_cvt_u32_f32_e32 v2, v2
	v_readfirstlane_b32 s9, v3
	v_readfirstlane_b32 s27, v2
	s_mul_i32 s38, s6, s9
	s_mul_hi_u32 s40, s6, s27
	s_mul_i32 s39, s8, s27
	s_add_i32 s38, s40, s38
	s_mul_i32 s41, s6, s27
	s_add_i32 s38, s38, s39
	s_mul_hi_u32 s40, s27, s41
	s_mul_hi_u32 s39, s27, s38
	s_mul_i32 s27, s27, s38
	s_add_u32 s27, s40, s27
	s_addc_u32 s39, 0, s39
	s_mul_hi_u32 s42, s9, s41
	s_mul_i32 s41, s9, s41
	s_add_u32 s27, s27, s41
	s_mul_hi_u32 s40, s9, s38
	s_addc_u32 s27, s39, s42
	s_addc_u32 s39, s40, 0
	s_mul_i32 s38, s9, s38
	s_add_u32 s27, s27, s38
	s_addc_u32 s38, 0, s39
	v_add_co_u32_e32 v2, vcc, s27, v2
	s_cmp_lg_u64 vcc, 0
	s_addc_u32 s9, s9, s38
	v_readfirstlane_b32 s38, v2
	s_mul_i32 s27, s6, s9
	s_mul_hi_u32 s39, s6, s38
	s_add_i32 s27, s39, s27
	s_mul_i32 s8, s8, s38
	s_add_i32 s27, s27, s8
	s_mul_i32 s6, s6, s38
	s_mul_hi_u32 s39, s9, s6
	s_mul_i32 s40, s9, s6
	s_mul_i32 s42, s38, s27
	s_mul_hi_u32 s6, s38, s6
	s_mul_hi_u32 s41, s38, s27
	s_add_u32 s6, s6, s42
	s_addc_u32 s38, 0, s41
	s_add_u32 s6, s6, s40
	s_mul_hi_u32 s8, s9, s27
	s_addc_u32 s6, s38, s39
	s_addc_u32 s8, s8, 0
	s_mul_i32 s27, s9, s27
	s_add_u32 s6, s6, s27
	s_addc_u32 s8, 0, s8
	v_add_co_u32_e32 v2, vcc, s6, v2
	s_cmp_lg_u64 vcc, 0
	s_addc_u32 s6, s9, s8
	v_readfirstlane_b32 s27, v2
	s_mul_i32 s9, s26, s6
	s_mul_hi_u32 s38, s26, s27
	s_mul_hi_u32 s8, s26, s6
	s_add_u32 s9, s38, s9
	s_addc_u32 s8, 0, s8
	s_mul_hi_u32 s39, s7, s27
	s_mul_i32 s27, s7, s27
	s_add_u32 s9, s9, s27
	s_mul_hi_u32 s38, s7, s6
	s_addc_u32 s8, s8, s39
	s_addc_u32 s9, s38, 0
	s_mul_i32 s6, s7, s6
	s_add_u32 s6, s8, s6
	s_addc_u32 s8, 0, s9
	s_mul_hi_u32 s9, s33, s6
	s_mul_i32 s6, s33, s6
	s_mul_i32 s8, s33, s8
	v_mov_b32_e32 v2, s6
	s_add_i32 s9, s9, s8
	v_sub_co_u32_e32 v2, vcc, s26, v2
	s_cmp_lg_u64 vcc, 0
	s_subb_u32 s6, s7, s9
	v_subrev_co_u32_e32 v3, vcc, s33, v2
	s_cmp_lg_u64 vcc, 0
	s_subb_u32 s8, s6, 0
	v_subrev_co_u32_e32 v4, vcc, s33, v3
	s_cmp_lg_u64 vcc, 0
	s_subb_u32 s9, s8, 0
	v_cmp_le_u32_e32 vcc, s33, v3
	s_cmp_eq_u32 s8, 0
	v_cndmask_b32_e64 v5, 0, -1, vcc
	s_cselect_b64 vcc, -1, 0
	v_cndmask_b32_e32 v5, -1, v5, vcc
	v_mov_b32_e32 v6, s8
	v_mov_b32_e32 v7, s9
	v_cmp_ne_u32_e32 vcc, 0, v5
	v_cndmask_b32_e32 v5, v6, v7, vcc
	v_cndmask_b32_e32 v4, v3, v4, vcc
	v_cmp_le_u32_e32 vcc, s33, v2
	s_cmp_eq_u32 s6, 0
	v_cndmask_b32_e64 v3, 0, -1, vcc
	s_cselect_b64 vcc, -1, 0
	v_cndmask_b32_e32 v3, -1, v3, vcc
	v_mov_b32_e32 v6, s6
	v_cmp_ne_u32_e32 vcc, 0, v3
	v_cndmask_b32_e32 v3, v6, v5, vcc
	v_cndmask_b32_e32 v2, v2, v4, vcc
	s_cbranch_execnz .LBB124_239
.LBB124_238:                            ;   in Loop: Header=BB124_19 Depth=1
	v_cvt_f32_u32_e32 v2, s33
	s_sub_i32 s6, 0, s33
	v_rcp_iflag_f32_e32 v2, v2
	v_mul_f32_e32 v2, 0x4f7ffffe, v2
	v_cvt_u32_f32_e32 v2, v2
	v_mul_lo_u32 v3, s6, v2
	v_mul_hi_u32 v3, v2, v3
	v_add_u32_e32 v2, v2, v3
	v_mul_hi_u32 v2, s26, v2
	v_mul_lo_u32 v2, v2, s33
	v_sub_u32_e32 v2, s26, v2
	v_subrev_u32_e32 v3, s33, v2
	v_cmp_le_u32_e32 vcc, s33, v2
	v_cndmask_b32_e32 v2, v2, v3, vcc
	v_subrev_u32_e32 v3, s33, v2
	v_cmp_le_u32_e32 vcc, s33, v2
	v_cndmask_b32_e32 v12, v2, v3, vcc
	v_pk_mov_b32 v[2:3], v[12:13], v[12:13] op_sel:[0,1]
.LBB124_239:                            ;   in Loop: Header=BB124_19 Depth=1
	v_mov_b32_e32 v4, s7
	v_sub_co_u32_e32 v2, vcc, s26, v2
	v_subb_co_u32_e32 v3, vcc, v4, v3, vcc
	v_cmp_gt_u64_e32 vcc, v[2:3], v[0:1]
	s_mov_b64 s[26:27], 0
                                        ; implicit-def: $vgpr29
	s_and_saveexec_b64 s[8:9], vcc
	s_cbranch_execz .LBB124_252
; %bb.240:                              ;   in Loop: Header=BB124_19 Depth=1
	v_mov_b32_e32 v6, v14
	v_pk_mov_b32 v[4:5], v[0:1], v[0:1] op_sel:[0,1]
                                        ; implicit-def: $sgpr38_sgpr39
	s_branch .LBB124_242
.LBB124_241:                            ;   in Loop: Header=BB124_242 Depth=2
	s_or_b64 exec, exec, s[6:7]
	s_waitcnt lgkmcnt(0)
	s_barrier
	ds_read_b64 v[28:29], v13 offset:3072
	v_mov_b32_e32 v7, s86
	v_add_co_u32_e64 v4, s[6:7], s33, v4
	v_addc_co_u32_e64 v5, s[6:7], v5, v7, s[6:7]
	s_waitcnt lgkmcnt(0)
	v_cmp_neq_f32_e32 vcc, 0, v28
	v_cmp_ge_u64_e64 s[6:7], v[4:5], v[2:3]
	s_or_b64 s[6:7], s[6:7], vcc
	s_and_b64 s[6:7], exec, s[6:7]
	s_or_b64 s[26:27], s[6:7], s[26:27]
	s_andn2_b64 s[6:7], s[38:39], exec
	s_and_b64 s[38:39], vcc, exec
	v_add_u32_e32 v6, s89, v6
	s_or_b64 s[38:39], s[6:7], s[38:39]
	s_barrier
	s_andn2_b64 exec, exec, s[26:27]
	s_cbranch_execz .LBB124_251
.LBB124_242:                            ;   Parent Loop BB124_19 Depth=1
                                        ; =>  This Inner Loop Header: Depth=2
	v_cmp_gt_u64_e32 vcc, s[0:1], v[4:5]
	s_waitcnt vmcnt(0)
	v_mov_b32_e32 v27, 0
	s_and_saveexec_b64 s[6:7], vcc
	s_cbranch_execz .LBB124_244
; %bb.243:                              ;   in Loop: Header=BB124_242 Depth=2
	ds_read_b32 v27, v6
.LBB124_244:                            ;   in Loop: Header=BB124_242 Depth=2
	s_or_b64 exec, exec, s[6:7]
	s_and_saveexec_b64 s[6:7], vcc
	s_cbranch_execz .LBB124_241
; %bb.245:                              ;   in Loop: Header=BB124_242 Depth=2
	s_waitcnt lgkmcnt(0)
	v_cmp_lt_i32_e32 vcc, -1, v27
	v_cndmask_b32_e32 v7, -1, v40, vcc
	v_xor_b32_e32 v7, v7, v27
	v_cmp_o_f32_e32 vcc, v27, v27
	v_cndmask_b32_e32 v7, -1, v7, vcc
	v_and_b32_e32 v7, s80, v7
	v_cmp_eq_u32_e32 vcc, s81, v7
	s_and_b64 exec, exec, vcc
	s_cbranch_execz .LBB124_241
; %bb.246:                              ;   in Loop: Header=BB124_242 Depth=2
	ds_write_b64 v13, v[26:27] offset:3072
	s_branch .LBB124_241
.LBB124_247:                            ;   in Loop: Header=BB124_19 Depth=1
                                        ; implicit-def: $sgpr0_sgpr1
                                        ; implicit-def: $sgpr8_sgpr9
                                        ; implicit-def: $sgpr6_sgpr7
	s_branch .LBB124_266
.LBB124_248:                            ;   in Loop: Header=BB124_19 Depth=1
                                        ; implicit-def: $vgpr2_vgpr3
	s_branch .LBB124_191
.LBB124_249:                            ;   in Loop: Header=BB124_19 Depth=1
                                        ; implicit-def: $vgpr2_vgpr3
	s_branch .LBB124_208
.LBB124_250:                            ;   in Loop: Header=BB124_19 Depth=1
	s_mov_b64 s[0:1], -1
	s_mov_b64 s[26:27], 0
                                        ; implicit-def: $sgpr6_sgpr7
                                        ; implicit-def: $vgpr29
	s_mov_b64 s[8:9], s[0:1]
	s_cbranch_execnz .LBB124_253
	s_branch .LBB124_266
.LBB124_251:                            ;   in Loop: Header=BB124_19 Depth=1
	s_or_b64 exec, exec, s[26:27]
	s_and_b64 s[26:27], s[38:39], exec
.LBB124_252:                            ;   in Loop: Header=BB124_19 Depth=1
	s_or_b64 exec, exec, s[8:9]
	s_mov_b64 s[6:7], -1
	s_mov_b64 s[0:1], 0
	s_mov_b64 s[8:9], s[0:1]
	s_branch .LBB124_266
.LBB124_253:                            ;   in Loop: Header=BB124_19 Depth=1
	s_mov_b32 s68, s71
	s_cmp_lg_u64 s[68:69], 0
	s_cbranch_scc0 .LBB124_287
; %bb.254:                              ;   in Loop: Header=BB124_19 Depth=1
	v_cvt_f32_u32_e32 v2, s33
	s_sub_u32 s0, 0, s33
	s_subb_u32 s1, 0, 0
	v_mac_f32_e32 v2, 0, v41
	v_rcp_f32_e32 v2, v2
	v_mul_f32_e32 v2, 0x5f7ffffc, v2
	v_mul_f32_e32 v3, 0x2f800000, v2
	v_trunc_f32_e32 v3, v3
	v_mac_f32_e32 v2, 0xcf800000, v3
	v_cvt_u32_f32_e32 v3, v3
	v_cvt_u32_f32_e32 v2, v2
	v_readfirstlane_b32 s6, v3
	v_readfirstlane_b32 s7, v2
	s_mul_i32 s8, s0, s6
	s_mul_hi_u32 s26, s0, s7
	s_mul_i32 s9, s1, s7
	s_add_i32 s8, s26, s8
	s_mul_i32 s27, s0, s7
	s_add_i32 s8, s8, s9
	s_mul_hi_u32 s26, s7, s27
	s_mul_hi_u32 s9, s7, s8
	s_mul_i32 s7, s7, s8
	s_add_u32 s7, s26, s7
	s_addc_u32 s9, 0, s9
	s_mul_hi_u32 s38, s6, s27
	s_mul_i32 s27, s6, s27
	s_add_u32 s7, s7, s27
	s_mul_hi_u32 s26, s6, s8
	s_addc_u32 s7, s9, s38
	s_addc_u32 s9, s26, 0
	s_mul_i32 s8, s6, s8
	s_add_u32 s7, s7, s8
	s_addc_u32 s8, 0, s9
	v_add_co_u32_e32 v2, vcc, s7, v2
	s_cmp_lg_u64 vcc, 0
	s_addc_u32 s6, s6, s8
	v_readfirstlane_b32 s8, v2
	s_mul_i32 s7, s0, s6
	s_mul_hi_u32 s9, s0, s8
	s_add_i32 s7, s9, s7
	s_mul_i32 s1, s1, s8
	s_add_i32 s7, s7, s1
	s_mul_i32 s0, s0, s8
	s_mul_hi_u32 s9, s6, s0
	s_mul_i32 s26, s6, s0
	s_mul_i32 s38, s8, s7
	s_mul_hi_u32 s0, s8, s0
	s_mul_hi_u32 s27, s8, s7
	s_add_u32 s0, s0, s38
	s_addc_u32 s8, 0, s27
	s_add_u32 s0, s0, s26
	s_mul_hi_u32 s1, s6, s7
	s_addc_u32 s0, s8, s9
	s_addc_u32 s1, s1, 0
	s_mul_i32 s7, s6, s7
	s_add_u32 s0, s0, s7
	s_addc_u32 s1, 0, s1
	v_add_co_u32_e32 v2, vcc, s0, v2
	s_cmp_lg_u64 vcc, 0
	s_addc_u32 s0, s6, s1
	v_readfirstlane_b32 s7, v2
	s_mul_i32 s6, s87, s0
	s_mul_hi_u32 s8, s87, s7
	s_mul_hi_u32 s1, s87, s0
	s_add_u32 s6, s8, s6
	s_addc_u32 s1, 0, s1
	s_mul_hi_u32 s9, s69, s7
	s_mul_i32 s7, s69, s7
	s_add_u32 s6, s6, s7
	s_mul_hi_u32 s8, s69, s0
	s_addc_u32 s1, s1, s9
	s_addc_u32 s6, s8, 0
	s_mul_i32 s0, s69, s0
	s_add_u32 s0, s1, s0
	s_addc_u32 s1, 0, s6
	s_mul_hi_u32 s6, s33, s0
	s_mul_i32 s0, s33, s0
	s_mul_i32 s1, s33, s1
	v_mov_b32_e32 v2, s0
	s_add_i32 s6, s6, s1
	v_sub_co_u32_e32 v2, vcc, s87, v2
	s_cmp_lg_u64 vcc, 0
	s_subb_u32 s0, s69, s6
	v_subrev_co_u32_e32 v3, vcc, s33, v2
	s_cmp_lg_u64 vcc, 0
	s_subb_u32 s1, s0, 0
	v_subrev_co_u32_e32 v4, vcc, s33, v3
	s_cmp_lg_u64 vcc, 0
	s_subb_u32 s6, s1, 0
	v_cmp_le_u32_e32 vcc, s33, v3
	s_cmp_eq_u32 s1, 0
	v_cndmask_b32_e64 v5, 0, -1, vcc
	s_cselect_b64 vcc, -1, 0
	v_cndmask_b32_e32 v5, -1, v5, vcc
	v_mov_b32_e32 v6, s1
	v_mov_b32_e32 v7, s6
	v_cmp_ne_u32_e32 vcc, 0, v5
	v_cndmask_b32_e32 v5, v6, v7, vcc
	v_cndmask_b32_e32 v4, v3, v4, vcc
	v_cmp_le_u32_e32 vcc, s33, v2
	s_cmp_eq_u32 s0, 0
	v_cndmask_b32_e64 v3, 0, -1, vcc
	s_cselect_b64 vcc, -1, 0
	v_cndmask_b32_e32 v3, -1, v3, vcc
	v_mov_b32_e32 v6, s0
	v_cmp_ne_u32_e32 vcc, 0, v3
	v_cndmask_b32_e32 v3, v6, v5, vcc
	v_cndmask_b32_e32 v2, v2, v4, vcc
	s_cbranch_execnz .LBB124_256
.LBB124_255:                            ;   in Loop: Header=BB124_19 Depth=1
	v_cvt_f32_u32_e32 v2, s33
	s_sub_i32 s0, 0, s33
	v_rcp_iflag_f32_e32 v2, v2
	v_mul_f32_e32 v2, 0x4f7ffffe, v2
	v_cvt_u32_f32_e32 v2, v2
	v_mul_lo_u32 v3, s0, v2
	v_mul_hi_u32 v3, v2, v3
	v_add_u32_e32 v2, v2, v3
	v_mul_hi_u32 v2, s87, v2
	v_mul_lo_u32 v2, v2, s33
	v_sub_u32_e32 v2, s87, v2
	v_subrev_u32_e32 v3, s33, v2
	v_cmp_le_u32_e32 vcc, s33, v2
	v_cndmask_b32_e32 v2, v2, v3, vcc
	v_subrev_u32_e32 v3, s33, v2
	v_cmp_le_u32_e32 vcc, s33, v2
	v_cndmask_b32_e32 v12, v2, v3, vcc
	v_pk_mov_b32 v[2:3], v[12:13], v[12:13] op_sel:[0,1]
.LBB124_256:                            ;   in Loop: Header=BB124_19 Depth=1
	v_mov_b32_e32 v4, s69
	v_sub_co_u32_e32 v2, vcc, s87, v2
	v_subb_co_u32_e32 v3, vcc, v4, v3, vcc
	v_cmp_gt_u64_e32 vcc, v[2:3], v[0:1]
	s_mov_b64 s[26:27], 0
                                        ; implicit-def: $vgpr29
	s_and_saveexec_b64 s[0:1], vcc
	s_cbranch_execz .LBB124_265
; %bb.257:                              ;   in Loop: Header=BB124_19 Depth=1
	s_mov_b64 s[8:9], 0
	v_pk_mov_b32 v[4:5], v[10:11], v[10:11] op_sel:[0,1]
	v_pk_mov_b32 v[6:7], v[0:1], v[0:1] op_sel:[0,1]
                                        ; implicit-def: $sgpr26_sgpr27
	s_branch .LBB124_259
.LBB124_258:                            ;   in Loop: Header=BB124_259 Depth=2
	s_or_b64 exec, exec, s[6:7]
	s_waitcnt lgkmcnt(0)
	s_barrier
	ds_read_b64 v[28:29], v13 offset:3072
	v_mov_b32_e32 v8, s86
	v_add_co_u32_e64 v6, s[6:7], s33, v6
	v_addc_co_u32_e64 v7, s[6:7], v7, v8, s[6:7]
	s_waitcnt lgkmcnt(0)
	v_cmp_neq_f32_e32 vcc, 0, v28
	v_cmp_ge_u64_e64 s[6:7], v[6:7], v[2:3]
	s_or_b64 s[38:39], s[6:7], vcc
	v_mov_b32_e32 v8, s67
	v_add_co_u32_e64 v4, s[6:7], s66, v4
	v_addc_co_u32_e64 v5, s[6:7], v5, v8, s[6:7]
	s_and_b64 s[6:7], exec, s[38:39]
	s_or_b64 s[8:9], s[6:7], s[8:9]
	s_andn2_b64 s[6:7], s[26:27], exec
	s_and_b64 s[26:27], vcc, exec
	s_or_b64 s[26:27], s[6:7], s[26:27]
	s_barrier
	s_andn2_b64 exec, exec, s[8:9]
	s_cbranch_execz .LBB124_264
.LBB124_259:                            ;   Parent Loop BB124_19 Depth=1
                                        ; =>  This Inner Loop Header: Depth=2
	v_cmp_gt_u64_e32 vcc, s[52:53], v[6:7]
	s_waitcnt vmcnt(0)
	v_mov_b32_e32 v27, 0
	s_and_saveexec_b64 s[6:7], vcc
	s_cbranch_execz .LBB124_261
; %bb.260:                              ;   in Loop: Header=BB124_259 Depth=2
	global_load_dword v27, v[4:5], off
.LBB124_261:                            ;   in Loop: Header=BB124_259 Depth=2
	s_or_b64 exec, exec, s[6:7]
	s_and_saveexec_b64 s[6:7], vcc
	s_cbranch_execz .LBB124_258
; %bb.262:                              ;   in Loop: Header=BB124_259 Depth=2
	s_waitcnt vmcnt(0)
	v_cmp_lt_i32_e32 vcc, -1, v27
	v_cndmask_b32_e32 v8, -1, v40, vcc
	v_xor_b32_e32 v8, v8, v27
	v_cmp_o_f32_e32 vcc, v27, v27
	v_cndmask_b32_e32 v8, -1, v8, vcc
	v_and_b32_e32 v8, s80, v8
	v_cmp_eq_u32_e32 vcc, s81, v8
	s_and_b64 exec, exec, vcc
	s_cbranch_execz .LBB124_258
; %bb.263:                              ;   in Loop: Header=BB124_259 Depth=2
	ds_write_b64 v13, v[26:27] offset:3072
	s_branch .LBB124_258
.LBB124_264:                            ;   in Loop: Header=BB124_19 Depth=1
	s_or_b64 exec, exec, s[8:9]
	s_and_b64 s[26:27], s[26:27], exec
.LBB124_265:                            ;   in Loop: Header=BB124_19 Depth=1
	s_or_b64 exec, exec, s[0:1]
	s_mov_b64 s[8:9], -1
	s_mov_b64 s[0:1], 0
	s_mov_b64 s[6:7], 0
.LBB124_266:                            ;   in Loop: Header=BB124_19 Depth=1
	s_mov_b64 s[40:41], 0
                                        ; implicit-def: $sgpr45
                                        ; implicit-def: $sgpr42_sgpr43
	s_and_saveexec_b64 s[38:39], s[26:27]
	s_cbranch_execz .LBB124_279
; %bb.267:                              ;   in Loop: Header=BB124_19 Depth=1
	s_xor_b64 s[16:17], s[16:17], -1
	s_mov_b64 s[42:43], 1
	s_andn2_b64 vcc, exec, s[16:17]
	s_mov_b32 s45, 1
	s_cbranch_vccnz .LBB124_278
; %bb.268:                              ;   in Loop: Header=BB124_19 Depth=1
	v_pk_mov_b32 v[2:3], s[10:11], s[10:11] op_sel:[0,1]
	v_cmp_gt_u64_e32 vcc, s[72:73], v[2:3]
	s_cbranch_vccnz .LBB124_274
; %bb.269:                              ;   in Loop: Header=BB124_19 Depth=1
	ds_read_b64 v[2:3], v13 offset:5120
	s_waitcnt lgkmcnt(0)
	v_cmp_ne_u64_e32 vcc, 0, v[2:3]
	s_cbranch_vccnz .LBB124_273
; %bb.270:                              ;   in Loop: Header=BB124_19 Depth=1
	s_mov_b64 s[16:17], exec
	v_readlane_b32 s26, v50, 12
	v_readlane_b32 s27, v50, 13
	s_and_b64 s[26:27], s[16:17], s[26:27]
	s_mov_b64 exec, s[26:27]
	s_cbranch_execz .LBB124_272
; %bb.271:                              ;   in Loop: Header=BB124_19 Depth=1
	v_pk_mov_b32 v[2:3], s[10:11], s[10:11] op_sel:[0,1]
	ds_write_b64 v13, v[2:3] offset:5128
.LBB124_272:                            ;   in Loop: Header=BB124_19 Depth=1
	s_or_b64 exec, exec, s[16:17]
	s_waitcnt lgkmcnt(0)
	s_barrier
.LBB124_273:                            ;   in Loop: Header=BB124_19 Depth=1
	s_or_b32 s26, s81, s44
	s_or_b32 s27, s80, s44
	s_mov_b64 s[16:17], 0
	s_mov_b32 s45, 8
	s_branch .LBB124_275
.LBB124_274:                            ;   in Loop: Header=BB124_19 Depth=1
	s_mov_b64 s[16:17], -1
                                        ; implicit-def: $sgpr45
                                        ; implicit-def: $sgpr26
                                        ; implicit-def: $sgpr27
.LBB124_275:                            ;   in Loop: Header=BB124_19 Depth=1
	s_andn2_b64 vcc, exec, s[16:17]
	s_cbranch_vccnz .LBB124_277
; %bb.276:                              ;   in Loop: Header=BB124_19 Depth=1
	s_sub_u32 s72, s72, s10
	s_subb_u32 s73, s73, s11
	s_mov_b32 s45, 8
	s_mov_b32 s26, s81
	;; [unrolled: 1-line block ×3, first 2 shown]
.LBB124_277:                            ;   in Loop: Header=BB124_19 Depth=1
	s_mov_b64 s[42:43], s[72:73]
	s_mov_b32 s81, s26
	s_mov_b32 s80, s27
.LBB124_278:                            ;   in Loop: Header=BB124_19 Depth=1
	s_mov_b64 s[40:41], exec
.LBB124_279:                            ;   in Loop: Header=BB124_19 Depth=1
	s_or_b64 exec, exec, s[38:39]
	s_mov_b64 s[72:73], s[42:43]
.LBB124_280:                            ;   in Loop: Header=BB124_19 Depth=1
	s_andn2_b64 s[10:11], s[28:29], exec
	s_and_b64 s[0:1], s[0:1], exec
	s_or_b64 s[28:29], s[10:11], s[0:1]
	s_andn2_b64 s[0:1], s[34:35], exec
	s_and_b64 s[8:9], s[8:9], exec
	s_or_b64 s[34:35], s[0:1], s[8:9]
	s_andn2_b64 s[0:1], s[30:31], exec
	s_and_b64 s[6:7], s[6:7], exec
	s_or_b64 s[30:31], s[0:1], s[6:7]
	s_and_b64 s[0:1], s[40:41], exec
.LBB124_281:                            ;   in Loop: Header=BB124_19 Depth=1
	s_or_b64 exec, exec, s[36:37]
	s_mov_b64 s[38:39], s[56:57]
.LBB124_282:                            ;   in Loop: Header=BB124_19 Depth=1
	s_andn2_b64 s[6:7], s[20:21], exec
	s_and_b64 s[8:9], s[28:29], exec
	s_or_b64 s[20:21], s[6:7], s[8:9]
	s_andn2_b64 s[6:7], s[22:23], exec
	s_and_b64 s[8:9], s[34:35], exec
	s_or_b64 s[22:23], s[6:7], s[8:9]
	;; [unrolled: 3-line block ×3, first 2 shown]
	s_and_b64 s[0:1], s[0:1], exec
.LBB124_283:                            ;   in Loop: Header=BB124_19 Depth=1
	s_or_b64 exec, exec, s[24:25]
	s_and_saveexec_b64 s[6:7], s[0:1]
	s_xor_b64 s[0:1], exec, s[6:7]
	s_cbranch_execz .LBB124_17
.LBB124_284:                            ;   in Loop: Header=BB124_19 Depth=1
	s_and_b32 s6, s45, -9
	s_cmp_eq_u32 s6, 0
	s_cbranch_scc1 .LBB124_15
; %bb.285:                              ;   in Loop: Header=BB124_19 Depth=1
	s_mov_b64 s[6:7], -1
                                        ; implicit-def: $sgpr80
                                        ; implicit-def: $sgpr72_sgpr73
                                        ; implicit-def: $sgpr50
                                        ; implicit-def: $sgpr51
	s_mov_b64 s[8:9], -1
	s_branch .LBB124_16
.LBB124_286:                            ;   in Loop: Header=BB124_19 Depth=1
                                        ; implicit-def: $vgpr2_vgpr3
	s_branch .LBB124_238
.LBB124_287:                            ;   in Loop: Header=BB124_19 Depth=1
                                        ; implicit-def: $vgpr2_vgpr3
	s_branch .LBB124_255
.LBB124_288:
	s_or_b64 exec, exec, s[90:91]
	s_xor_b64 s[4:5], s[38:39], -1
	s_xor_b64 s[2:3], s[76:77], -1
	;; [unrolled: 1-line block ×3, first 2 shown]
	s_mov_b64 s[0:1], 0
	s_and_saveexec_b64 s[8:9], s[2:3]
	s_xor_b64 s[2:3], exec, s[8:9]
	s_cbranch_execnz .LBB124_293
; %bb.289:
	s_andn2_saveexec_b64 s[2:3], s[2:3]
	s_cbranch_execnz .LBB124_306
.LBB124_290:
	s_or_b64 exec, exec, s[2:3]
	s_and_saveexec_b64 s[2:3], s[0:1]
.LBB124_291:
	; divergent unreachable
.LBB124_292:
	s_endpgm
.LBB124_293:
	s_and_saveexec_b64 s[0:1], s[4:5]
	s_xor_b64 s[4:5], exec, s[0:1]
	s_cbranch_execz .LBB124_304
; %bb.294:
	s_and_saveexec_b64 s[0:1], s[6:7]
	s_xor_b64 s[0:1], exec, s[0:1]
; %bb.295:
	v_bfrev_b32_e32 v3, 1
	v_cmp_lt_i32_e32 vcc, -1, v2
	v_cndmask_b32_e64 v3, v3, -1, vcc
	v_xor_b32_e32 v29, v3, v2
; %bb.296:
	s_or_b64 exec, exec, s[0:1]
	v_readlane_b32 s0, v50, 8
	v_readlane_b32 s8, v50, 4
	;; [unrolled: 1-line block ×3, first 2 shown]
	s_mov_b32 s6, s0
	v_readlane_b32 s9, v50, 5
	s_mul_i32 s0, s9, s0
	s_mul_hi_u32 s1, s8, s6
	s_add_i32 s1, s1, s0
	s_mul_i32 s0, s8, s6
	s_lshl_b64 s[0:1], s[0:1], 2
	v_readlane_b32 s6, v50, 6
	v_readlane_b32 s7, v50, 7
	s_add_u32 s0, s6, s0
	s_addc_u32 s1, s7, s1
	v_mov_b32_e32 v2, 0
	global_store_dword v2, v29, s[0:1]
	s_mov_b64 s[6:7], exec
	v_readlane_b32 s0, v50, 10
	v_readlane_b32 s1, v50, 11
	s_and_b64 s[0:1], s[6:7], s[0:1]
	s_mov_b64 exec, s[0:1]
	s_cbranch_execz .LBB124_303
; %bb.297:
	v_cmp_u_f32_e32 vcc, v29, v29
	s_mov_b64 s[8:9], 0
	s_xor_b64 s[12:13], vcc, -1
                                        ; implicit-def: $sgpr10_sgpr11
                                        ; implicit-def: $sgpr16_sgpr17
                                        ; implicit-def: $sgpr14_sgpr15
	s_branch .LBB124_299
.LBB124_298:                            ;   in Loop: Header=BB124_299 Depth=1
	s_or_b64 exec, exec, s[0:1]
	s_and_b64 s[0:1], exec, s[16:17]
	s_or_b64 s[8:9], s[0:1], s[8:9]
	s_andn2_b64 s[0:1], s[10:11], exec
	s_and_b64 s[10:11], s[14:15], exec
	s_or_b64 s[10:11], s[0:1], s[10:11]
	s_andn2_b64 exec, exec, s[8:9]
	s_cbranch_execz .LBB124_301
.LBB124_299:                            ; =>This Inner Loop Header: Depth=1
	global_load_dword v4, v[10:11], off
	v_pk_mov_b32 v[2:3], v[0:1], v[0:1] op_sel:[0,1]
	s_or_b64 s[14:15], s[14:15], exec
	s_or_b64 s[16:17], s[16:17], exec
                                        ; implicit-def: $vgpr0_vgpr1
	s_waitcnt vmcnt(0)
	v_cmp_o_f32_e64 s[0:1], v4, v4
	v_cmp_neq_f32_e32 vcc, v4, v29
	s_or_b64 s[0:1], s[0:1], s[12:13]
	s_and_b64 s[18:19], vcc, s[0:1]
	s_and_saveexec_b64 s[0:1], s[18:19]
	s_cbranch_execz .LBB124_298
; %bb.300:                              ;   in Loop: Header=BB124_299 Depth=1
	v_mov_b32_e32 v1, s86
	v_add_co_u32_e32 v0, vcc, s33, v2
	v_addc_co_u32_e32 v1, vcc, v3, v1, vcc
	v_mov_b32_e32 v4, s67
	v_add_co_u32_e32 v10, vcc, s66, v10
	v_addc_co_u32_e32 v11, vcc, v11, v4, vcc
	v_cmp_le_u64_e32 vcc, s[52:53], v[0:1]
	s_andn2_b64 s[16:17], s[16:17], exec
	s_and_b64 s[18:19], vcc, exec
	s_andn2_b64 s[14:15], s[14:15], exec
	s_or_b64 s[16:17], s[16:17], s[18:19]
	s_branch .LBB124_298
.LBB124_301:
	s_or_b64 exec, exec, s[8:9]
	s_and_saveexec_b64 s[0:1], s[10:11]
	s_xor_b64 s[0:1], exec, s[0:1]
	s_cbranch_execz .LBB124_303
; %bb.302:
	v_readlane_b32 s0, v50, 8
	v_readlane_b32 s10, v50, 0
	;; [unrolled: 1-line block ×3, first 2 shown]
	s_mov_b32 s8, s0
	v_readlane_b32 s11, v50, 1
	s_mul_i32 s0, s11, s0
	s_mul_hi_u32 s1, s10, s8
	s_add_i32 s1, s1, s0
	s_mul_i32 s0, s10, s8
	s_lshl_b64 s[0:1], s[0:1], 3
	v_readlane_b32 s8, v50, 2
	v_readlane_b32 s9, v50, 3
	s_add_u32 s0, s8, s0
	s_addc_u32 s1, s9, s1
	v_mov_b32_e32 v0, 0
	global_store_dwordx2 v0, v[2:3], s[0:1]
.LBB124_303:
	s_or_b64 exec, exec, s[6:7]
.LBB124_304:
	s_or_saveexec_b64 s[0:1], s[4:5]
	s_mov_b64 s[4:5], 0
	s_xor_b64 exec, exec, s[0:1]
	s_cbranch_execnz .LBB124_307
.LBB124_305:
	s_or_b64 exec, exec, s[0:1]
	s_and_b64 s[0:1], s[4:5], exec
	s_andn2_saveexec_b64 s[2:3], s[2:3]
	s_cbranch_execz .LBB124_290
.LBB124_306:
	s_or_b64 s[0:1], s[0:1], exec
	s_trap 2
	s_or_b64 exec, exec, s[2:3]
	s_and_saveexec_b64 s[2:3], s[0:1]
	s_cbranch_execnz .LBB124_291
	s_branch .LBB124_292
.LBB124_307:
	s_mov_b64 s[4:5], exec
	s_trap 2
	s_branch .LBB124_305
	.section	.rodata,"a",@progbits
	.p2align	6, 0x0
	.amdhsa_kernel _ZN2at6native12_GLOBAL__N_112gatherMedianIfmLi1EEEvNS_4cuda6detail10TensorInfoIT_T0_EENS5_IlS7_EENS5_IKS6_S7_EES7_S7_S7_b
		.amdhsa_group_segment_fixed_size 5152
		.amdhsa_private_segment_fixed_size 0
		.amdhsa_kernarg_size 1536
		.amdhsa_user_sgpr_count 6
		.amdhsa_user_sgpr_private_segment_buffer 1
		.amdhsa_user_sgpr_dispatch_ptr 0
		.amdhsa_user_sgpr_queue_ptr 0
		.amdhsa_user_sgpr_kernarg_segment_ptr 1
		.amdhsa_user_sgpr_dispatch_id 0
		.amdhsa_user_sgpr_flat_scratch_init 0
		.amdhsa_user_sgpr_kernarg_preload_length 0
		.amdhsa_user_sgpr_kernarg_preload_offset 0
		.amdhsa_user_sgpr_private_segment_size 0
		.amdhsa_uses_dynamic_stack 0
		.amdhsa_system_sgpr_private_segment_wavefront_offset 0
		.amdhsa_system_sgpr_workgroup_id_x 1
		.amdhsa_system_sgpr_workgroup_id_y 1
		.amdhsa_system_sgpr_workgroup_id_z 1
		.amdhsa_system_sgpr_workgroup_info 0
		.amdhsa_system_vgpr_workitem_id 0
		.amdhsa_next_free_vgpr 51
		.amdhsa_next_free_sgpr 96
		.amdhsa_accum_offset 52
		.amdhsa_reserve_vcc 1
		.amdhsa_reserve_flat_scratch 0
		.amdhsa_float_round_mode_32 0
		.amdhsa_float_round_mode_16_64 0
		.amdhsa_float_denorm_mode_32 3
		.amdhsa_float_denorm_mode_16_64 3
		.amdhsa_dx10_clamp 1
		.amdhsa_ieee_mode 1
		.amdhsa_fp16_overflow 0
		.amdhsa_tg_split 0
		.amdhsa_exception_fp_ieee_invalid_op 0
		.amdhsa_exception_fp_denorm_src 0
		.amdhsa_exception_fp_ieee_div_zero 0
		.amdhsa_exception_fp_ieee_overflow 0
		.amdhsa_exception_fp_ieee_underflow 0
		.amdhsa_exception_fp_ieee_inexact 0
		.amdhsa_exception_int_div_zero 0
	.end_amdhsa_kernel
	.section	.text._ZN2at6native12_GLOBAL__N_112gatherMedianIfmLi1EEEvNS_4cuda6detail10TensorInfoIT_T0_EENS5_IlS7_EENS5_IKS6_S7_EES7_S7_S7_b,"axG",@progbits,_ZN2at6native12_GLOBAL__N_112gatherMedianIfmLi1EEEvNS_4cuda6detail10TensorInfoIT_T0_EENS5_IlS7_EENS5_IKS6_S7_EES7_S7_S7_b,comdat
.Lfunc_end124:
	.size	_ZN2at6native12_GLOBAL__N_112gatherMedianIfmLi1EEEvNS_4cuda6detail10TensorInfoIT_T0_EENS5_IlS7_EENS5_IKS6_S7_EES7_S7_S7_b, .Lfunc_end124-_ZN2at6native12_GLOBAL__N_112gatherMedianIfmLi1EEEvNS_4cuda6detail10TensorInfoIT_T0_EENS5_IlS7_EENS5_IKS6_S7_EES7_S7_S7_b
                                        ; -- End function
	.section	.AMDGPU.csdata,"",@progbits
; Kernel info:
; codeLenInByte = 16312
; NumSgprs: 100
; NumVgprs: 51
; NumAgprs: 0
; TotalNumVgprs: 51
; ScratchSize: 0
; MemoryBound: 0
; FloatMode: 240
; IeeeMode: 1
; LDSByteSize: 5152 bytes/workgroup (compile time only)
; SGPRBlocks: 12
; VGPRBlocks: 6
; NumSGPRsForWavesPerEU: 100
; NumVGPRsForWavesPerEU: 51
; AccumOffset: 52
; Occupancy: 8
; WaveLimiterHint : 1
; COMPUTE_PGM_RSRC2:SCRATCH_EN: 0
; COMPUTE_PGM_RSRC2:USER_SGPR: 6
; COMPUTE_PGM_RSRC2:TRAP_HANDLER: 0
; COMPUTE_PGM_RSRC2:TGID_X_EN: 1
; COMPUTE_PGM_RSRC2:TGID_Y_EN: 1
; COMPUTE_PGM_RSRC2:TGID_Z_EN: 1
; COMPUTE_PGM_RSRC2:TIDIG_COMP_CNT: 0
; COMPUTE_PGM_RSRC3_GFX90A:ACCUM_OFFSET: 12
; COMPUTE_PGM_RSRC3_GFX90A:TG_SPLIT: 0
	.section	.text._ZN2at6native12_GLOBAL__N_112gatherMedianIfmLi2EEEvNS_4cuda6detail10TensorInfoIT_T0_EENS5_IlS7_EENS5_IKS6_S7_EES7_S7_S7_b,"axG",@progbits,_ZN2at6native12_GLOBAL__N_112gatherMedianIfmLi2EEEvNS_4cuda6detail10TensorInfoIT_T0_EENS5_IlS7_EENS5_IKS6_S7_EES7_S7_S7_b,comdat
	.globl	_ZN2at6native12_GLOBAL__N_112gatherMedianIfmLi2EEEvNS_4cuda6detail10TensorInfoIT_T0_EENS5_IlS7_EENS5_IKS6_S7_EES7_S7_S7_b ; -- Begin function _ZN2at6native12_GLOBAL__N_112gatherMedianIfmLi2EEEvNS_4cuda6detail10TensorInfoIT_T0_EENS5_IlS7_EENS5_IKS6_S7_EES7_S7_S7_b
	.p2align	8
	.type	_ZN2at6native12_GLOBAL__N_112gatherMedianIfmLi2EEEvNS_4cuda6detail10TensorInfoIT_T0_EENS5_IlS7_EENS5_IKS6_S7_EES7_S7_S7_b,@function
_ZN2at6native12_GLOBAL__N_112gatherMedianIfmLi2EEEvNS_4cuda6detail10TensorInfoIT_T0_EENS5_IlS7_EENS5_IKS6_S7_EES7_S7_S7_b: ; @_ZN2at6native12_GLOBAL__N_112gatherMedianIfmLi2EEEvNS_4cuda6detail10TensorInfoIT_T0_EENS5_IlS7_EENS5_IKS6_S7_EES7_S7_S7_b
; %bb.0:
	s_load_dwordx4 s[52:55], s[4:5], 0x4e0
	s_load_dwordx2 s[10:11], s[4:5], 0x500
	s_add_u32 s12, s4, 0x500
	s_addc_u32 s13, s5, 0
	s_mov_b32 s19, 0
	s_waitcnt lgkmcnt(0)
	v_mov_b32_e32 v2, s54
	s_mul_i32 s0, s11, s8
	s_add_i32 s0, s0, s7
	s_mul_i32 s0, s0, s10
	v_mov_b32_e32 v3, s55
	s_add_i32 s18, s0, s6
	v_cmp_ge_u64_e32 vcc, s[18:19], v[2:3]
	s_cbranch_vccnz .LBB125_298
; %bb.1:
	s_load_dwordx2 s[20:21], s[4:5], 0x10
	s_load_dwordx2 s[68:69], s[4:5], 0x4f0
	;; [unrolled: 1-line block ×4, first 2 shown]
                                        ; implicit-def: $vgpr44 : SGPR spill to VGPR lane
	s_mov_b64 s[22:23], 0
	s_waitcnt lgkmcnt(0)
	v_pk_mov_b32 v[2:3], s[20:21], s[20:21] op_sel:[0,1]
	v_cmp_lt_u64_e32 vcc, s[18:19], v[2:3]
	s_and_b64 vcc, exec, vcc
	v_writelane_b32 v44, s0, 0
	v_writelane_b32 v44, s1, 1
	s_mov_b64 s[0:1], 0
	v_writelane_b32 v44, s0, 2
	v_writelane_b32 v44, s1, 3
	s_cbranch_vccnz .LBB125_3
; %bb.2:
	v_cvt_f32_u32_e32 v1, s20
	s_sub_i32 s0, 0, s20
	v_rcp_iflag_f32_e32 v1, v1
	v_mul_f32_e32 v1, 0x4f7ffffe, v1
	v_cvt_u32_f32_e32 v1, v1
	v_readfirstlane_b32 s1, v1
	s_mul_i32 s0, s0, s1
	s_mul_hi_u32 s0, s1, s0
	s_add_i32 s1, s1, s0
	s_mul_hi_u32 s0, s18, s1
	s_mul_i32 s2, s0, s20
	s_sub_i32 s2, s18, s2
	s_add_i32 s1, s0, 1
	s_sub_i32 s3, s2, s20
	s_cmp_ge_u32 s2, s20
	s_cselect_b32 s0, s1, s0
	s_cselect_b32 s2, s3, s2
	s_add_i32 s1, s0, 1
	s_cmp_ge_u32 s2, s20
	s_cselect_b32 s22, s1, s0
.LBB125_3:
	s_load_dwordx2 s[14:15], s[4:5], 0x340
	s_load_dwordx2 s[0:1], s[4:5], 0x1b0
	s_waitcnt lgkmcnt(0)
	v_pk_mov_b32 v[2:3], s[0:1], s[0:1] op_sel:[0,1]
	v_cmp_lt_u64_e32 vcc, s[18:19], v[2:3]
	s_cbranch_vccnz .LBB125_5
; %bb.4:
	s_load_dwordx2 s[16:17], s[4:5], 0x1b0
	s_waitcnt lgkmcnt(0)
	v_cvt_f32_u32_e32 v1, s16
	s_sub_i32 s0, 0, s16
	v_rcp_iflag_f32_e32 v1, v1
	v_mul_f32_e32 v1, 0x4f7ffffe, v1
	v_cvt_u32_f32_e32 v1, v1
	v_readfirstlane_b32 s1, v1
	s_mul_i32 s0, s0, s1
	s_mul_hi_u32 s0, s1, s0
	s_add_i32 s1, s1, s0
	s_mul_hi_u32 s0, s18, s1
	s_mul_i32 s2, s0, s16
	s_sub_i32 s2, s18, s2
	s_add_i32 s1, s0, 1
	s_sub_i32 s3, s2, s16
	s_cmp_ge_u32 s2, s16
	s_cselect_b32 s0, s1, s0
	s_cselect_b32 s2, s3, s2
	s_add_i32 s1, s0, 1
	s_cmp_ge_u32 s2, s16
	s_cselect_b32 s0, s1, s0
	v_writelane_b32 v44, s0, 2
	v_writelane_b32 v44, s1, 3
.LBB125_5:
	s_load_dwordx4 s[0:3], s[4:5], 0x410
	v_writelane_b32 v44, s22, 4
	v_pk_mov_b32 v[2:3], s[8:9], s[8:9] op_sel:[0,1]
	v_writelane_b32 v44, s23, 5
	v_cmp_lt_u64_e32 vcc, s[18:19], v[2:3]
	v_writelane_b32 v44, s20, 6
	s_mov_b64 s[16:17], 0
	v_writelane_b32 v44, s21, 7
	s_cbranch_vccnz .LBB125_7
; %bb.6:
	v_cvt_f32_u32_e32 v1, s8
	s_sub_i32 s7, 0, s8
	v_rcp_iflag_f32_e32 v1, v1
	v_mul_f32_e32 v1, 0x4f7ffffe, v1
	v_cvt_u32_f32_e32 v1, v1
	v_readfirstlane_b32 s11, v1
	s_mul_i32 s7, s7, s11
	s_mul_hi_u32 s7, s11, s7
	s_add_i32 s11, s11, s7
	s_mul_hi_u32 s7, s18, s11
	s_mul_i32 s16, s7, s8
	s_sub_i32 s16, s18, s16
	s_add_i32 s11, s7, 1
	s_sub_i32 s17, s16, s8
	s_cmp_ge_u32 s16, s8
	s_cselect_b32 s7, s11, s7
	s_cselect_b32 s16, s17, s16
	s_add_i32 s11, s7, 1
	s_cmp_ge_u32 s16, s8
	s_cselect_b32 s16, s11, s7
.LBB125_7:
	s_load_dwordx2 s[20:21], s[4:5], 0x1a0
	s_mul_i32 s7, s16, s9
	s_mul_hi_u32 s9, s16, s8
	s_add_i32 s9, s9, s7
	s_mul_i32 s7, s16, s8
	s_waitcnt lgkmcnt(0)
	v_writelane_b32 v44, s20, 8
	v_writelane_b32 v44, s21, 9
	s_load_dwordx2 s[20:21], s[4:5], 0x0
	s_mov_b32 s8, s18
	s_sub_u32 s7, s18, s7
	s_mul_i32 s3, s7, s3
	s_mul_i32 s1, s16, s1
	s_waitcnt lgkmcnt(0)
	v_writelane_b32 v44, s20, 10
	v_writelane_b32 v44, s21, 11
	;; [unrolled: 1-line block ×4, first 2 shown]
	s_subb_u32 s8, 0, s9
	s_mul_hi_u32 s9, s7, s2
	s_mul_i32 s8, s8, s2
	s_mul_i32 s2, s7, s2
	s_mul_hi_u32 s7, s16, s0
	s_add_i32 s3, s9, s3
	s_add_i32 s1, s7, s1
	s_mul_i32 s0, s16, s0
	s_add_i32 s3, s3, s8
	s_lshl_b64 s[0:1], s[0:1], 2
	s_add_u32 s7, s14, s0
	s_addc_u32 s8, s15, s1
	s_lshl_b64 s[0:1], s[2:3], 2
	s_add_u32 s33, s7, s0
	s_addc_u32 s55, s8, s1
	v_mov_b32_e32 v1, 0
	v_pk_mov_b32 v[2:3], 0, 0
	v_cmp_gt_u64_e64 s[0:1], s[52:53], v[0:1]
	s_mov_b64 s[2:3], exec
	v_writelane_b32 v44, s0, 14
	v_writelane_b32 v44, s1, 15
	s_and_b64 s[0:1], s[2:3], s[0:1]
	s_mov_b64 exec, s[0:1]
	s_cbranch_execz .LBB125_11
; %bb.8:
	s_load_dword s0, s[12:13], 0xc
	s_mov_b32 s1, 0
	s_mov_b64 s[8:9], 0
	v_pk_mov_b32 v[2:3], 0, 0
	v_mov_b32_e32 v6, s55
	s_waitcnt lgkmcnt(0)
	s_and_b32 s0, s0, 0xffff
	v_mov_b32_e32 v7, s1
	v_pk_mov_b32 v[4:5], v[0:1], v[0:1] op_sel:[0,1]
.LBB125_9:                              ; =>This Inner Loop Header: Depth=1
	v_mul_lo_u32 v10, v5, s68
	v_mul_lo_u32 v11, v4, s69
	v_mad_u64_u32 v[8:9], s[14:15], v4, s68, 0
	v_add3_u32 v9, v9, v11, v10
	v_lshlrev_b64 v[8:9], 2, v[8:9]
	v_add_co_u32_e32 v8, vcc, s33, v8
	v_addc_co_u32_e32 v9, vcc, v6, v9, vcc
	global_load_dword v8, v[8:9], off
	v_add_co_u32_e32 v4, vcc, s0, v4
	v_addc_co_u32_e32 v5, vcc, v5, v7, vcc
	v_cmp_le_u64_e32 vcc, s[52:53], v[4:5]
	s_or_b64 s[8:9], vcc, s[8:9]
	s_waitcnt vmcnt(0)
	v_cmp_u_f32_e32 vcc, v8, v8
	v_cndmask_b32_e64 v8, 0, 1, vcc
	v_add_co_u32_e32 v2, vcc, v2, v8
	v_addc_co_u32_e32 v3, vcc, 0, v3, vcc
	s_andn2_b64 exec, exec, s[8:9]
	s_cbranch_execnz .LBB125_9
; %bb.10:
	s_or_b64 exec, exec, s[8:9]
.LBB125_11:
	s_or_b64 exec, exec, s[2:3]
	s_load_dwordx4 s[0:3], s[4:5], 0x270
	s_waitcnt lgkmcnt(0)
	v_writelane_b32 v44, s0, 18
	v_writelane_b32 v44, s1, 19
	;; [unrolled: 1-line block ×4, first 2 shown]
	s_load_dwordx4 s[0:3], s[4:5], 0xd0
	s_waitcnt lgkmcnt(0)
	v_writelane_b32 v44, s0, 22
	v_writelane_b32 v44, s1, 23
	;; [unrolled: 1-line block ×4, first 2 shown]
	v_cmp_eq_u32_e64 s[0:1], 0, v0
	s_mov_b64 s[8:9], exec
	v_writelane_b32 v44, s0, 16
	v_writelane_b32 v44, s1, 17
	s_and_b64 s[0:1], s[8:9], s[0:1]
	s_mov_b64 exec, s[0:1]
	s_cbranch_execz .LBB125_13
; %bb.12:
	v_mov_b32_e32 v4, 0
	v_mov_b32_e32 v5, v4
	ds_write_b64 v4, v[4:5] offset:5136
.LBB125_13:
	s_or_b64 exec, exec, s[8:9]
	s_mov_b64 s[14:15], 0
	v_cmp_ne_u64_e32 vcc, 0, v[2:3]
	s_waitcnt lgkmcnt(0)
	s_barrier
	s_and_saveexec_b64 s[8:9], vcc
	s_cbranch_execz .LBB125_18
; %bb.14:
	s_mov_b64 s[16:17], exec
.LBB125_15:                             ; =>This Inner Loop Header: Depth=1
	s_ff1_i32_b64 s0, s[16:17]
	v_readlane_b32 s2, v2, s0
	v_readlane_b32 s1, v3, s0
	s_add_u32 s14, s14, s2
	s_addc_u32 s15, s15, s1
	s_lshl_b64 s[0:1], 1, s0
	s_andn2_b64 s[16:17], s[16:17], s[0:1]
	s_cmp_lg_u64 s[16:17], 0
	s_cbranch_scc1 .LBB125_15
; %bb.16:
	v_mbcnt_lo_u32_b32 v2, exec_lo, 0
	v_mbcnt_hi_u32_b32 v2, exec_hi, v2
	v_cmp_eq_u32_e32 vcc, 0, v2
	s_and_saveexec_b64 s[0:1], vcc
	s_xor_b64 s[0:1], exec, s[0:1]
	s_cbranch_execz .LBB125_18
; %bb.17:
	v_mov_b32_e32 v4, 0
	v_pk_mov_b32 v[2:3], s[14:15], s[14:15] op_sel:[0,1]
	ds_add_u64 v4, v[2:3] offset:5136
.LBB125_18:
	s_or_b64 exec, exec, s[8:9]
	v_mov_b32_e32 v11, 0
	s_waitcnt lgkmcnt(0)
	s_barrier
	ds_read_b64 v[2:3], v11 offset:5136
	s_waitcnt lgkmcnt(0)
	v_readfirstlane_b32 s8, v2
	v_readfirstlane_b32 s9, v3
	s_mov_b64 s[14:15], exec
	v_readlane_b32 s0, v44, 16
	v_readlane_b32 s1, v44, 17
	s_and_b64 s[0:1], s[14:15], s[0:1]
	s_mov_b64 exec, s[0:1]
	s_cbranch_execz .LBB125_20
; %bb.19:
	v_mov_b32_e32 v2, 0
	v_mov_b32_e32 v4, s52
	;; [unrolled: 1-line block ×4, first 2 shown]
	ds_write_b32 v2, v2 offset:5144
	ds_write_b128 v2, v[2:5] offset:5120
.LBB125_20:
	s_or_b64 exec, exec, s[14:15]
	s_load_dword s2, s[4:5], 0x4f8
	v_cmp_lt_i64_e64 s[0:1], s[8:9], 1
	v_mbcnt_lo_u32_b32 v2, -1, 0
	v_mbcnt_hi_u32_b32 v26, -1, v2
	v_mov_b32_e32 v2, 0x300
	s_waitcnt lgkmcnt(0)
	s_bitcmp1_b32 s2, 0
	s_cselect_b64 s[2:3], -1, 0
	s_not_b64 s[4:5], s[8:9]
	s_or_b64 s[0:1], s[2:3], s[0:1]
	s_add_u32 s2, s4, s52
	s_addc_u32 s3, s5, s53
	s_lshr_b64 s[2:3], s[2:3], 1
	s_add_u32 s2, s2, 1
	s_addc_u32 s3, s3, 0
	s_and_b64 s[0:1], s[0:1], exec
	v_cmp_gt_u32_e64 s[0:1], 2, v0
	v_writelane_b32 v44, s0, 26
	v_mov_b32_e32 v3, 0
	v_writelane_b32 v44, s1, 27
	v_cmp_gt_u64_e64 s[0:1], s[52:53], v[2:3]
	v_writelane_b32 v44, s0, 28
	v_writelane_b32 v44, s1, 29
	v_mad_u64_u32 v[2:3], s[0:1], v0, s68, 0
	v_mov_b32_e32 v4, v3
	v_mad_u64_u32 v[4:5], s[0:1], v0, s69, v[4:5]
	s_barrier
	s_load_dword s0, s[12:13], 0xc
	v_cmp_gt_u32_e32 vcc, 64, v0
	v_cmp_gt_i32_e64 s[8:9], 4, v26
	s_cselect_b32 s83, s3, s53
	s_cselect_b32 s82, s2, s52
	s_and_b64 s[80:81], vcc, s[8:9]
	s_waitcnt lgkmcnt(0)
	s_and_b32 s54, s0, 0xffff
	s_bfe_u32 s1, s0, 0xa0006
	v_cmp_gt_u16_e64 s[2:3], s0, 63
	v_writelane_b32 v44, s2, 30
	s_add_u32 s0, s54, -1
	v_writelane_b32 v44, s3, 31
	s_addc_u32 s2, 0, -1
	s_add_u32 s85, s0, s52
	s_addc_u32 s87, s2, s53
	s_cmp_lt_u32 s6, s10
	v_writelane_b32 v44, s0, 32
	s_cselect_b32 s0, 12, 18
	s_add_u32 s88, s12, s0
	s_addc_u32 s89, s13, 0
	s_add_i32 s0, s1, -1
	s_bfe_u32 s3, s54, 0x30006
	v_mov_b32_e32 v3, v4
	s_cmp_gt_u32 s0, 6
	v_lshlrev_b64 v[2:3], 2, v[2:3]
	v_writelane_b32 v44, s2, 33
	s_cselect_b64 s[6:7], -1, 0
	v_add_co_u32_e32 v14, vcc, s33, v2
	v_lshrrev_b32_e32 v2, 4, v0
	v_writelane_b32 v44, s6, 34
	s_and_b32 s2, s1, 0x3f8
	v_mov_b32_e32 v28, s55
	v_and_b32_e32 v29, 60, v2
	v_lshlrev_b32_e32 v2, 2, v26
	v_writelane_b32 v44, s7, 35
	s_cmp_lg_u32 s3, 0
	v_addc_co_u32_e32 v15, vcc, v28, v3, vcc
	v_and_b32_e32 v30, 0x100, v2
	v_lshlrev_b64 v[2:3], v26, -1
	v_writelane_b32 v44, s3, 36
	s_cselect_b64 s[0:1], -1, 0
	s_mov_b32 s79, 0
	v_lshlrev_b32_e32 v12, 2, v0
	v_not_b32_e32 v16, v2
	v_writelane_b32 v44, s0, 37
	v_mov_b32_e32 v2, 0xc00
	v_mov_b32_e32 v13, 0
	v_cmp_eq_u32_e64 s[4:5], 0, v26
	v_add_u32_e32 v27, 0xc00, v12
	v_not_b32_e32 v17, v3
	s_mov_b32 s84, s79
	v_writelane_b32 v44, s1, 38
	v_lshlrev_b32_e32 v31, 4, v0
	v_lshl_or_b32 v32, v26, 3, v2
	s_lshl_b32 s3, s54, 2
	s_mov_b32 s0, 30
	s_mov_b64 s[94:95], 0
	v_mov_b32_e32 v18, 1.0
	v_bfrev_b32_e32 v33, 1
	v_mov_b32_e32 v34, 0x4f800000
	v_mov_b32_e32 v21, 0
	s_mov_b32 s1, 0
	s_mov_b32 s27, 0
	;; [unrolled: 1-line block ×3, first 2 shown]
                                        ; implicit-def: $sgpr56_sgpr57
                                        ; implicit-def: $sgpr76_sgpr77
                                        ; implicit-def: $sgpr58_sgpr59
                                        ; implicit-def: $sgpr60_sgpr61
                                        ; implicit-def: $sgpr62_sgpr63
                                        ; implicit-def: $sgpr66_sgpr67
	s_branch .LBB125_25
.LBB125_21:                             ;   in Loop: Header=BB125_25 Depth=1
	s_xor_b32 s1, s1, 1
	s_add_i32 s14, s0, -2
	s_cmp_eq_u32 s0, 0
	s_mov_b64 s[8:9], 0
	s_cselect_b64 s[10:11], -1, 0
	s_mov_b32 s0, s14
.LBB125_22:                             ;   in Loop: Header=BB125_25 Depth=1
	s_andn2_b64 s[14:15], s[20:21], exec
	s_and_b64 s[8:9], s[8:9], exec
	s_or_b64 s[20:21], s[14:15], s[8:9]
	s_andn2_b64 s[22:23], s[22:23], exec
	s_andn2_b64 s[18:19], s[18:19], exec
	s_orn2_b64 s[14:15], s[10:11], exec
.LBB125_23:                             ;   in Loop: Header=BB125_25 Depth=1
	s_or_b64 exec, exec, s[6:7]
	s_andn2_b64 s[6:7], s[66:67], exec
	s_and_b64 s[8:9], s[20:21], exec
	s_or_b64 s[66:67], s[6:7], s[8:9]
	s_andn2_b64 s[6:7], s[62:63], exec
	s_and_b64 s[8:9], s[22:23], exec
	s_or_b64 s[62:63], s[6:7], s[8:9]
	;; [unrolled: 3-line block ×3, first 2 shown]
	s_orn2_b64 s[18:19], s[14:15], exec
.LBB125_24:                             ;   in Loop: Header=BB125_25 Depth=1
	s_or_b64 exec, exec, s[12:13]
	s_and_b64 s[6:7], exec, s[18:19]
	s_or_b64 s[94:95], s[6:7], s[94:95]
	s_andn2_b64 s[6:7], s[58:59], exec
	s_and_b64 s[8:9], s[66:67], exec
	s_or_b64 s[58:59], s[6:7], s[8:9]
	s_andn2_b64 s[6:7], s[76:77], exec
	s_and_b64 s[8:9], s[62:63], exec
	;; [unrolled: 3-line block ×3, first 2 shown]
	v_mov_b32_e32 v2, s27
	s_or_b64 s[56:57], s[6:7], s[8:9]
	s_andn2_b64 exec, exec, s[94:95]
	s_cbranch_execz .LBB125_294
.LBB125_25:                             ; =>This Loop Header: Depth=1
                                        ;     Child Loop BB125_33 Depth 2
                                        ;     Child Loop BB125_48 Depth 2
	;; [unrolled: 1-line block ×16, first 2 shown]
	ds_read_b128 v[2:5], v11 offset:5120
	s_waitcnt lgkmcnt(0)
	v_readfirstlane_b32 s65, v3
	v_readfirstlane_b32 s64, v2
	s_cmp_lg_u64 s[64:65], 0
	s_cbranch_scc1 .LBB125_55
; %bb.26:                               ;   in Loop: Header=BB125_25 Depth=1
	v_readlane_b32 s6, v44, 28
	v_readlane_b32 s7, v44, 29
	s_and_b64 vcc, exec, s[6:7]
	s_cbranch_vccz .LBB125_41
; %bb.27:                               ;   in Loop: Header=BB125_25 Depth=1
	s_mov_b64 s[6:7], 0x301
	v_cmp_gt_u64_e32 vcc, s[6:7], v[4:5]
	s_mov_b64 s[64:65], 0
	s_mov_b64 s[6:7], 0
	s_cbranch_vccz .LBB125_42
; %bb.28:                               ;   in Loop: Header=BB125_25 Depth=1
	v_mov_b32_e32 v4, 0
	s_mov_b64 s[6:7], exec
	v_readlane_b32 s8, v44, 14
	v_readlane_b32 s9, v44, 15
	s_and_b64 s[8:9], s[6:7], s[8:9]
	s_mov_b64 exec, s[8:9]
	s_cbranch_execz .LBB125_30
; %bb.29:                               ;   in Loop: Header=BB125_25 Depth=1
	global_load_dword v4, v[14:15], off
.LBB125_30:                             ;   in Loop: Header=BB125_25 Depth=1
	s_or_b64 exec, exec, s[6:7]
	s_mov_b64 s[8:9], exec
	v_readlane_b32 s6, v44, 14
	v_readlane_b32 s7, v44, 15
	s_and_b64 s[6:7], s[8:9], s[6:7]
	s_mov_b64 exec, s[6:7]
	s_cbranch_execz .LBB125_158
; %bb.31:                               ;   in Loop: Header=BB125_25 Depth=1
	global_load_ushort v5, v11, s[88:89]
	s_mov_b64 s[12:13], 0
	v_pk_mov_b32 v[2:3], v[0:1], v[0:1] op_sel:[0,1]
	s_branch .LBB125_33
.LBB125_32:                             ;   in Loop: Header=BB125_33 Depth=2
	s_or_b64 exec, exec, s[6:7]
	s_waitcnt vmcnt(0)
	v_mov_b32_e32 v4, v6
	s_andn2_b64 exec, exec, s[12:13]
	s_cbranch_execz .LBB125_158
.LBB125_33:                             ;   Parent Loop BB125_25 Depth=1
                                        ; =>  This Inner Loop Header: Depth=2
	s_waitcnt vmcnt(0)
	v_add_co_u32_sdwa v2, vcc, v2, v5 dst_sel:DWORD dst_unused:UNUSED_PAD src0_sel:DWORD src1_sel:WORD_0
	v_addc_co_u32_e32 v3, vcc, 0, v3, vcc
	v_cmp_gt_u64_e64 s[6:7], s[52:53], v[2:3]
	v_cmp_le_u64_e32 vcc, s[52:53], v[2:3]
	s_waitcnt lgkmcnt(0)
	v_mov_b32_e32 v7, 0
	v_mov_b32_e32 v6, 0
	s_and_saveexec_b64 s[10:11], s[6:7]
	s_cbranch_execz .LBB125_35
; %bb.34:                               ;   in Loop: Header=BB125_33 Depth=2
	v_mul_lo_u32 v6, v3, s68
	v_mul_lo_u32 v10, v2, s69
	v_mad_u64_u32 v[8:9], s[6:7], v2, s68, 0
	v_add3_u32 v9, v9, v10, v6
	v_lshlrev_b64 v[8:9], 2, v[8:9]
	v_add_co_u32_e64 v8, s[6:7], s33, v8
	v_addc_co_u32_e64 v9, s[6:7], v28, v9, s[6:7]
	global_load_dword v6, v[8:9], off
.LBB125_35:                             ;   in Loop: Header=BB125_33 Depth=2
	s_or_b64 exec, exec, s[10:11]
	v_cmp_lt_i32_e64 s[6:7], -1, v4
	v_cndmask_b32_e64 v8, -1, v33, s[6:7]
	v_xor_b32_e32 v8, v8, v4
	v_cmp_o_f32_e64 s[6:7], v4, v4
	v_cndmask_b32_e64 v8, -1, v8, s[6:7]
	v_and_b32_e32 v8, s26, v8
	v_cmp_eq_u32_e64 s[10:11], s27, v8
	s_cmp_lg_u64 s[10:11], 0
	s_cselect_b64 s[6:7], -1, 0
	s_and_b64 s[6:7], s[4:5], s[6:7]
	s_and_saveexec_b64 s[14:15], s[6:7]
	s_cbranch_execz .LBB125_39
; %bb.36:                               ;   in Loop: Header=BB125_33 Depth=2
	s_mov_b64 s[18:19], exec
	v_mbcnt_lo_u32_b32 v7, s18, 0
	v_mbcnt_hi_u32_b32 v7, s19, v7
	s_bcnt1_i32_b64 s20, s[10:11]
	v_cmp_eq_u32_e64 s[6:7], 0, v7
                                        ; implicit-def: $vgpr8
	s_and_saveexec_b64 s[16:17], s[6:7]
	s_cbranch_execz .LBB125_38
; %bb.37:                               ;   in Loop: Header=BB125_33 Depth=2
	s_bcnt1_i32_b64 s6, s[18:19]
	s_mul_i32 s6, s20, s6
	v_mov_b32_e32 v8, s6
	ds_add_rtn_u32 v8, v11, v8 offset:5144
.LBB125_38:                             ;   in Loop: Header=BB125_33 Depth=2
	s_or_b64 exec, exec, s[16:17]
	s_waitcnt lgkmcnt(0)
	v_readfirstlane_b32 s6, v8
	v_mov_b32_e32 v8, s6
	v_mad_u32_u24 v7, s20, v7, v8
.LBB125_39:                             ;   in Loop: Header=BB125_33 Depth=2
	s_or_b64 exec, exec, s[14:15]
	ds_bpermute_b32 v7, v30, v7
	s_and_b64 s[6:7], exec, vcc
	s_or_b64 s[12:13], s[6:7], s[12:13]
	s_and_saveexec_b64 s[6:7], s[10:11]
	s_cbranch_execz .LBB125_32
; %bb.40:                               ;   in Loop: Header=BB125_33 Depth=2
	v_and_b32_e32 v9, s10, v16
	v_and_b32_e32 v8, s11, v17
	v_bcnt_u32_b32 v9, v9, 0
	v_bcnt_u32_b32 v8, v8, v9
	v_lshlrev_b32_e32 v8, 2, v8
	s_waitcnt lgkmcnt(0)
	v_lshl_add_u32 v7, v7, 2, v8
	ds_write_b32 v7, v4
	s_branch .LBB125_32
.LBB125_41:                             ;   in Loop: Header=BB125_25 Depth=1
	s_mov_b64 s[64:65], -1
	s_mov_b64 s[6:7], 0
.LBB125_42:                             ;   in Loop: Header=BB125_25 Depth=1
	s_and_b64 vcc, exec, s[64:65]
	s_cbranch_vccz .LBB125_53
.LBB125_43:                             ;   in Loop: Header=BB125_25 Depth=1
	s_waitcnt vmcnt(0)
	v_mov_b32_e32 v4, 0
	s_mov_b64 s[6:7], exec
	v_readlane_b32 s8, v44, 14
	v_readlane_b32 s9, v44, 15
	s_and_b64 s[8:9], s[6:7], s[8:9]
	s_mov_b64 exec, s[8:9]
	s_cbranch_execz .LBB125_45
; %bb.44:                               ;   in Loop: Header=BB125_25 Depth=1
	global_load_dword v4, v[14:15], off
.LBB125_45:                             ;   in Loop: Header=BB125_25 Depth=1
	s_or_b64 exec, exec, s[6:7]
	s_mov_b64 s[8:9], exec
	v_readlane_b32 s6, v44, 14
	v_readlane_b32 s7, v44, 15
	s_and_b64 s[6:7], s[8:9], s[6:7]
	s_mov_b64 exec, s[6:7]
	s_cbranch_execz .LBB125_50
; %bb.46:                               ;   in Loop: Header=BB125_25 Depth=1
	global_load_ushort v2, v11, s[88:89]
	s_mov_b64 s[10:11], 0
	v_mov_b32_e32 v5, v12
	s_waitcnt vmcnt(0)
	v_and_b32_e32 v6, 0xffff, v2
	v_lshlrev_b32_e32 v7, 2, v6
	v_pk_mov_b32 v[2:3], v[0:1], v[0:1] op_sel:[0,1]
	s_branch .LBB125_48
.LBB125_47:                             ;   in Loop: Header=BB125_48 Depth=2
	s_or_b64 exec, exec, s[12:13]
	s_and_b64 s[6:7], exec, vcc
	s_or_b64 s[10:11], s[6:7], s[10:11]
	ds_write_b32 v5, v4
	v_add_u32_e32 v5, v5, v7
	s_waitcnt vmcnt(0)
	v_mov_b32_e32 v4, v8
	s_andn2_b64 exec, exec, s[10:11]
	s_cbranch_execz .LBB125_50
.LBB125_48:                             ;   Parent Loop BB125_25 Depth=1
                                        ; =>  This Inner Loop Header: Depth=2
	v_add_co_u32_e32 v2, vcc, v2, v6
	v_addc_co_u32_e32 v3, vcc, 0, v3, vcc
	v_cmp_gt_u64_e64 s[6:7], s[52:53], v[2:3]
	v_cmp_le_u64_e32 vcc, s[52:53], v[2:3]
	v_mov_b32_e32 v8, 0
	s_and_saveexec_b64 s[12:13], s[6:7]
	s_cbranch_execz .LBB125_47
; %bb.49:                               ;   in Loop: Header=BB125_48 Depth=2
	v_mul_lo_u32 v10, v3, s68
	v_mul_lo_u32 v19, v2, s69
	v_mad_u64_u32 v[8:9], s[6:7], v2, s68, 0
	v_add3_u32 v9, v9, v19, v10
	v_lshlrev_b64 v[8:9], 2, v[8:9]
	v_mov_b32_e32 v10, s55
	v_add_co_u32_e64 v8, s[6:7], s33, v8
	v_addc_co_u32_e64 v9, s[6:7], v10, v9, s[6:7]
	global_load_dword v8, v[8:9], off
	s_branch .LBB125_47
.LBB125_50:                             ;   in Loop: Header=BB125_25 Depth=1
	s_or_b64 exec, exec, s[8:9]
	s_waitcnt lgkmcnt(0)
	s_barrier
	s_mov_b64 s[6:7], exec
	v_readlane_b32 s8, v44, 16
	v_readlane_b32 s9, v44, 17
	s_and_b64 s[8:9], s[6:7], s[8:9]
	s_mov_b64 exec, s[8:9]
	s_cbranch_execz .LBB125_52
; %bb.51:                               ;   in Loop: Header=BB125_25 Depth=1
	v_pk_mov_b32 v[2:3], s[52:53], s[52:53] op_sel:[0,1]
	ds_write_b64 v11, v[2:3] offset:5120
.LBB125_52:                             ;   in Loop: Header=BB125_25 Depth=1
	s_or_b64 exec, exec, s[6:7]
	s_mov_b64 s[6:7], -1
	s_waitcnt lgkmcnt(0)
	s_barrier
                                        ; implicit-def: $sgpr64_sgpr65
.LBB125_53:                             ;   in Loop: Header=BB125_25 Depth=1
	s_and_b64 vcc, exec, s[6:7]
	s_cbranch_vccz .LBB125_55
; %bb.54:                               ;   in Loop: Header=BB125_25 Depth=1
	ds_read_b64 v[2:3], v11 offset:5120
	s_waitcnt lgkmcnt(0)
	v_readfirstlane_b32 s64, v2
.LBB125_55:                             ;   in Loop: Header=BB125_25 Depth=1
	s_cmp_lt_i32 s64, 1
	s_cbranch_scc0 .LBB125_70
; %bb.56:                               ;   in Loop: Header=BB125_25 Depth=1
	global_load_ushort v19, v11, s[88:89]
	s_mov_b32 s6, s79
	s_waitcnt vmcnt(0)
	v_readfirstlane_b32 s7, v19
	s_and_b32 s7, 0xffff, s7
	s_lshl_b32 s65, s7, 2
	s_mov_b32 s7, s53
	s_cmp_lg_u64 s[6:7], 0
	s_cbranch_scc0 .LBB125_90
; %bb.57:                               ;   in Loop: Header=BB125_25 Depth=1
	v_cvt_f32_u32_e32 v2, s65
	s_sub_u32 s6, 0, s65
	s_subb_u32 s7, 0, 0
	v_mac_f32_e32 v2, 0, v34
	v_rcp_f32_e32 v2, v2
	v_mul_f32_e32 v2, 0x5f7ffffc, v2
	v_mul_f32_e32 v3, 0x2f800000, v2
	v_trunc_f32_e32 v3, v3
	v_mac_f32_e32 v2, 0xcf800000, v3
	v_cvt_u32_f32_e32 v3, v3
	v_cvt_u32_f32_e32 v2, v2
	v_readfirstlane_b32 s8, v3
	v_readfirstlane_b32 s9, v2
	s_mul_i32 s10, s6, s8
	s_mul_hi_u32 s12, s6, s9
	s_mul_i32 s11, s7, s9
	s_add_i32 s10, s12, s10
	s_mul_i32 s13, s6, s9
	s_add_i32 s10, s10, s11
	s_mul_hi_u32 s12, s9, s13
	s_mul_hi_u32 s11, s9, s10
	s_mul_i32 s9, s9, s10
	s_add_u32 s9, s12, s9
	s_addc_u32 s11, 0, s11
	s_mul_hi_u32 s14, s8, s13
	s_mul_i32 s13, s8, s13
	s_add_u32 s9, s9, s13
	s_mul_hi_u32 s12, s8, s10
	s_addc_u32 s9, s11, s14
	s_addc_u32 s11, s12, 0
	s_mul_i32 s10, s8, s10
	s_add_u32 s9, s9, s10
	s_addc_u32 s10, 0, s11
	v_add_co_u32_e32 v2, vcc, s9, v2
	s_cmp_lg_u64 vcc, 0
	s_addc_u32 s8, s8, s10
	v_readfirstlane_b32 s10, v2
	s_mul_i32 s9, s6, s8
	s_mul_hi_u32 s11, s6, s10
	s_add_i32 s9, s11, s9
	s_mul_i32 s7, s7, s10
	s_add_i32 s9, s9, s7
	s_mul_i32 s6, s6, s10
	s_mul_hi_u32 s11, s8, s6
	s_mul_i32 s12, s8, s6
	s_mul_i32 s14, s10, s9
	s_mul_hi_u32 s6, s10, s6
	s_mul_hi_u32 s13, s10, s9
	s_add_u32 s6, s6, s14
	s_addc_u32 s10, 0, s13
	s_add_u32 s6, s6, s12
	s_mul_hi_u32 s7, s8, s9
	s_addc_u32 s6, s10, s11
	s_addc_u32 s7, s7, 0
	s_mul_i32 s9, s8, s9
	s_add_u32 s6, s6, s9
	s_addc_u32 s7, 0, s7
	v_add_co_u32_e32 v2, vcc, s6, v2
	s_cmp_lg_u64 vcc, 0
	s_addc_u32 s6, s8, s7
	v_readfirstlane_b32 s9, v2
	s_mul_i32 s8, s52, s6
	s_mul_hi_u32 s10, s52, s9
	s_mul_hi_u32 s7, s52, s6
	s_add_u32 s8, s10, s8
	s_addc_u32 s7, 0, s7
	s_mul_hi_u32 s11, s53, s9
	s_mul_i32 s9, s53, s9
	s_add_u32 s8, s8, s9
	s_mul_hi_u32 s10, s53, s6
	s_addc_u32 s7, s7, s11
	s_addc_u32 s8, s10, 0
	s_mul_i32 s6, s53, s6
	s_add_u32 s6, s7, s6
	s_addc_u32 s7, 0, s8
	s_mul_hi_u32 s8, s65, s6
	s_mul_i32 s6, s65, s6
	s_mul_i32 s7, s65, s7
	v_mov_b32_e32 v2, s6
	s_add_i32 s8, s8, s7
	v_sub_co_u32_e32 v2, vcc, s52, v2
	s_cmp_lg_u64 vcc, 0
	s_subb_u32 s6, s53, s8
	v_subrev_co_u32_e32 v3, vcc, s65, v2
	s_cmp_lg_u64 vcc, 0
	s_subb_u32 s7, s6, 0
	v_subrev_co_u32_e32 v4, vcc, s65, v3
	s_cmp_lg_u64 vcc, 0
	s_subb_u32 s8, s7, 0
	v_cmp_le_u32_e32 vcc, s65, v3
	s_cmp_eq_u32 s7, 0
	v_cndmask_b32_e64 v5, 0, -1, vcc
	s_cselect_b64 vcc, -1, 0
	v_cndmask_b32_e32 v5, -1, v5, vcc
	v_mov_b32_e32 v6, s7
	v_mov_b32_e32 v7, s8
	v_cmp_ne_u32_e32 vcc, 0, v5
	v_cndmask_b32_e32 v5, v6, v7, vcc
	v_cndmask_b32_e32 v4, v3, v4, vcc
	v_cmp_le_u32_e32 vcc, s65, v2
	s_cmp_eq_u32 s6, 0
	v_cndmask_b32_e64 v3, 0, -1, vcc
	s_cselect_b64 vcc, -1, 0
	v_cndmask_b32_e32 v3, -1, v3, vcc
	v_mov_b32_e32 v6, s6
	v_cmp_ne_u32_e32 vcc, 0, v3
	v_cndmask_b32_e32 v3, v6, v5, vcc
	v_cndmask_b32_e32 v2, v2, v4, vcc
	s_cbranch_execnz .LBB125_59
.LBB125_58:                             ;   in Loop: Header=BB125_25 Depth=1
	v_cvt_f32_u32_e32 v2, s65
	s_sub_i32 s6, 0, s65
	v_rcp_iflag_f32_e32 v2, v2
	v_mul_f32_e32 v2, 0x4f7ffffe, v2
	v_cvt_u32_f32_e32 v2, v2
	v_mul_lo_u32 v3, s6, v2
	v_mul_hi_u32 v3, v2, v3
	v_add_u32_e32 v2, v2, v3
	v_mul_hi_u32 v2, s52, v2
	v_mul_lo_u32 v2, v2, s65
	v_sub_u32_e32 v2, s52, v2
	v_subrev_u32_e32 v3, s65, v2
	v_cmp_le_u32_e32 vcc, s65, v2
	v_cndmask_b32_e32 v2, v2, v3, vcc
	v_subrev_u32_e32 v3, s65, v2
	v_cmp_le_u32_e32 vcc, s65, v2
	v_cndmask_b32_e32 v10, v2, v3, vcc
	v_pk_mov_b32 v[2:3], v[10:11], v[10:11] op_sel:[0,1]
.LBB125_59:                             ;   in Loop: Header=BB125_25 Depth=1
	v_mov_b32_e32 v4, s53
	v_sub_co_u32_e32 v22, vcc, s52, v2
	v_subb_co_u32_e32 v23, vcc, v4, v3, vcc
	v_pk_mov_b32 v[2:3], 0, 0
	v_cmp_gt_u64_e32 vcc, v[22:23], v[12:13]
	s_mov_b64 s[72:73], 0
	v_pk_mov_b32 v[4:5], v[2:3], v[2:3] op_sel:[0,1]
	v_pk_mov_b32 v[6:7], v[2:3], v[2:3] op_sel:[0,1]
	v_pk_mov_b32 v[8:9], v[2:3], v[2:3] op_sel:[0,1]
	s_and_saveexec_b64 s[50:51], vcc
	s_cbranch_execz .LBB125_63
; %bb.60:                               ;   in Loop: Header=BB125_25 Depth=1
	s_and_b32 s78, s0, 0xfe
	s_mov_b64 s[74:75], 0
	s_mov_b64 s[70:71], 0
	;; [unrolled: 1-line block ×4, first 2 shown]
	v_pk_mov_b32 v[24:25], v[12:13], v[12:13] op_sel:[0,1]
.LBB125_61:                             ;   Parent Loop BB125_25 Depth=1
                                        ; =>  This Inner Loop Header: Depth=2
	v_mul_lo_u32 v4, v25, s68
	v_mul_lo_u32 v5, v24, s69
	v_mad_u64_u32 v[2:3], s[6:7], v24, s68, 0
	v_add3_u32 v3, v3, v5, v4
	v_lshlrev_b64 v[2:3], 2, v[2:3]
	v_mov_b32_e32 v6, s55
	v_add_co_u32_e64 v2, s[6:7], s33, v2
	s_lshl_b64 s[8:9], s[68:69], 2
	v_addc_co_u32_e64 v3, s[6:7], v6, v3, s[6:7]
	v_mov_b32_e32 v4, s9
	global_load_dword v5, v[2:3], off
	v_add_co_u32_e64 v2, s[6:7], s8, v2
	v_addc_co_u32_e64 v3, s[6:7], v3, v4, s[6:7]
	global_load_dword v6, v[2:3], off
	v_add_co_u32_e64 v2, s[6:7], s8, v2
	v_addc_co_u32_e64 v3, s[6:7], v3, v4, s[6:7]
	;; [unrolled: 3-line block ×3, first 2 shown]
	global_load_dword v2, v[2:3], off
	v_add_co_u32_e32 v24, vcc, s65, v24
	v_addc_co_u32_e32 v25, vcc, 0, v25, vcc
	v_cmp_ge_u64_e32 vcc, v[24:25], v[22:23]
	s_waitcnt vmcnt(3)
	v_cmp_lt_i32_e64 s[6:7], -1, v5
	v_cndmask_b32_e64 v3, -1, v33, s[6:7]
	v_xor_b32_e32 v3, v3, v5
	s_waitcnt vmcnt(2)
	v_cmp_lt_i32_e64 s[6:7], -1, v6
	v_cndmask_b32_e64 v4, -1, v33, s[6:7]
	v_cmp_o_f32_e64 s[6:7], v5, v5
	v_cndmask_b32_e64 v3, -1, v3, s[6:7]
	v_xor_b32_e32 v4, v4, v6
	s_waitcnt vmcnt(1)
	v_cmp_lt_i32_e64 s[6:7], -1, v7
	v_cndmask_b32_e64 v5, -1, v33, s[6:7]
	v_cmp_o_f32_e64 s[6:7], v6, v6
	v_cndmask_b32_e64 v4, -1, v4, s[6:7]
	v_xor_b32_e32 v5, v5, v7
	s_waitcnt vmcnt(0)
	v_cmp_lt_i32_e64 s[6:7], -1, v2
	v_cndmask_b32_e64 v6, -1, v33, s[6:7]
	v_and_b32_e32 v8, s26, v3
	v_bfe_u32 v3, v3, s78, 2
	v_cmp_o_f32_e64 s[6:7], v7, v7
	v_cndmask_b32_e64 v5, -1, v5, s[6:7]
	v_xor_b32_e32 v6, v6, v2
	v_cmp_eq_u32_e64 s[10:11], s27, v8
	v_cmp_eq_u32_e64 s[6:7], 0, v3
	v_cmp_o_f32_e64 s[12:13], v2, v2
	v_and_b32_e32 v7, s26, v4
	v_bfe_u32 v4, v4, s78, 2
	v_cmp_eq_u32_e64 s[28:29], 1, v3
	v_cmp_eq_u32_e64 s[30:31], 2, v3
	;; [unrolled: 1-line block ×3, first 2 shown]
	v_cndmask_b32_e64 v2, -1, v6, s[12:13]
	v_and_b32_e32 v3, s26, v5
	v_bfe_u32 v5, v5, s78, 2
	s_and_b64 s[6:7], s[10:11], s[6:7]
	v_cmp_eq_u32_e64 s[12:13], s27, v7
	v_cmp_eq_u32_e64 s[22:23], 0, v4
	;; [unrolled: 1-line block ×5, first 2 shown]
	v_cndmask_b32_e64 v4, 0, 1, s[6:7]
	v_cmp_eq_u32_e64 s[18:19], s27, v3
	v_and_b32_e32 v3, s26, v2
	v_bfe_u32 v2, v2, s78, 2
	v_cmp_eq_u32_e64 s[6:7], 0, v5
	s_and_b64 s[8:9], s[12:13], s[22:23]
	v_cmp_eq_u32_e64 s[22:23], s27, v3
	v_cmp_eq_u32_e64 s[44:45], 0, v2
	s_and_b64 s[6:7], s[18:19], s[6:7]
	v_cmp_ne_u32_e64 s[42:43], 0, v4
	v_cndmask_b32_e64 v4, 0, 1, s[8:9]
	v_cmp_eq_u32_e64 s[46:47], 1, v2
	v_cmp_eq_u32_e64 s[48:49], 2, v2
	;; [unrolled: 1-line block ×3, first 2 shown]
	v_cndmask_b32_e64 v2, 0, 1, s[6:7]
	s_and_b64 s[8:9], s[22:23], s[44:45]
	v_cmp_ne_u32_e64 s[6:7], 0, v2
	v_cndmask_b32_e64 v2, 0, 1, s[8:9]
	s_bcnt1_i32_b64 s86, s[42:43]
	v_cmp_ne_u32_e64 s[42:43], 0, v4
	s_bcnt1_i32_b64 s8, s[6:7]
	v_cmp_ne_u32_e64 s[6:7], 0, v2
	s_bcnt1_i32_b64 s42, s[42:43]
	s_bcnt1_i32_b64 s6, s[6:7]
	s_add_u32 s7, s86, s92
	s_addc_u32 s9, 0, s93
	s_add_u32 s7, s7, s42
	s_addc_u32 s9, s9, 0
	;; [unrolled: 2-line block ×4, first 2 shown]
	s_and_b64 s[6:7], s[10:11], s[28:29]
	v_cmp_eq_u32_e64 s[38:39], 1, v5
	v_cndmask_b32_e64 v4, 0, 1, s[6:7]
	s_and_b64 s[6:7], s[12:13], s[34:35]
	v_cmp_eq_u32_e64 s[40:41], 2, v5
	v_cmp_eq_u32_e64 s[20:21], 3, v5
	v_cndmask_b32_e64 v5, 0, 1, s[6:7]
	s_and_b64 s[6:7], s[18:19], s[38:39]
	v_cndmask_b32_e64 v6, 0, 1, s[6:7]
	s_and_b64 s[6:7], s[22:23], s[46:47]
	v_cndmask_b32_e64 v7, 0, 1, s[6:7]
	v_cmp_ne_u32_e64 s[6:7], 0, v4
	v_cmp_ne_u32_e64 s[28:29], 0, v5
	;; [unrolled: 1-line block ×4, first 2 shown]
	s_bcnt1_i32_b64 s6, s[6:7]
	s_bcnt1_i32_b64 s7, s[28:29]
	;; [unrolled: 1-line block ×4, first 2 shown]
	s_add_u32 s6, s6, s90
	s_addc_u32 s28, 0, s91
	s_add_u32 s6, s6, s7
	s_addc_u32 s7, s28, 0
	;; [unrolled: 2-line block ×4, first 2 shown]
	s_and_b64 s[6:7], s[10:11], s[30:31]
	v_cndmask_b32_e64 v6, 0, 1, s[6:7]
	s_and_b64 s[6:7], s[12:13], s[36:37]
	v_cndmask_b32_e64 v7, 0, 1, s[6:7]
	;; [unrolled: 2-line block ×4, first 2 shown]
	v_cmp_ne_u32_e64 s[6:7], 0, v6
	v_cmp_ne_u32_e64 s[28:29], 0, v7
	;; [unrolled: 1-line block ×4, first 2 shown]
	s_bcnt1_i32_b64 s6, s[6:7]
	s_bcnt1_i32_b64 s7, s[28:29]
	;; [unrolled: 1-line block ×4, first 2 shown]
	s_add_u32 s6, s6, s70
	s_addc_u32 s28, 0, s71
	s_add_u32 s6, s6, s7
	s_addc_u32 s7, s28, 0
	;; [unrolled: 2-line block ×4, first 2 shown]
	s_and_b64 s[6:7], s[10:11], s[14:15]
	v_cndmask_b32_e64 v8, 0, 1, s[6:7]
	s_and_b64 s[6:7], s[12:13], s[16:17]
	v_cndmask_b32_e64 v9, 0, 1, s[6:7]
	;; [unrolled: 2-line block ×4, first 2 shown]
	v_cmp_ne_u32_e64 s[6:7], 0, v8
	v_cmp_ne_u32_e64 s[10:11], 0, v9
	;; [unrolled: 1-line block ×4, first 2 shown]
	s_bcnt1_i32_b64 s6, s[6:7]
	s_bcnt1_i32_b64 s7, s[10:11]
	;; [unrolled: 1-line block ×4, first 2 shown]
	s_add_u32 s6, s6, s74
	s_addc_u32 s10, 0, s75
	s_add_u32 s6, s6, s7
	s_addc_u32 s7, s10, 0
	;; [unrolled: 2-line block ×4, first 2 shown]
	v_pk_mov_b32 v[2:3], s[92:93], s[92:93] op_sel:[0,1]
	v_pk_mov_b32 v[4:5], s[90:91], s[90:91] op_sel:[0,1]
	;; [unrolled: 1-line block ×3, first 2 shown]
	s_or_b64 s[72:73], vcc, s[72:73]
	v_pk_mov_b32 v[8:9], s[74:75], s[74:75] op_sel:[0,1]
	s_andn2_b64 exec, exec, s[72:73]
	s_cbranch_execnz .LBB125_61
; %bb.62:                               ;   in Loop: Header=BB125_25 Depth=1
	s_or_b64 exec, exec, s[72:73]
.LBB125_63:                             ;   in Loop: Header=BB125_25 Depth=1
	s_or_b64 exec, exec, s[50:51]
	v_add_co_u32_e32 v22, vcc, v22, v0
	v_addc_co_u32_e32 v23, vcc, 0, v23, vcc
	v_cmp_gt_u64_e32 vcc, s[52:53], v[22:23]
	v_mov_b32_e32 v10, 0
	s_and_saveexec_b64 s[8:9], vcc
	s_cbranch_execz .LBB125_65
; %bb.64:                               ;   in Loop: Header=BB125_25 Depth=1
	v_mul_lo_u32 v10, v23, s68
	v_mul_lo_u32 v20, v22, s69
	v_mad_u64_u32 v[24:25], s[6:7], v22, s68, 0
	v_add3_u32 v25, v25, v20, v10
	v_lshlrev_b64 v[24:25], 2, v[24:25]
	v_mov_b32_e32 v10, s55
	v_add_co_u32_e64 v24, s[6:7], s33, v24
	v_addc_co_u32_e64 v25, s[6:7], v10, v25, s[6:7]
	global_load_dword v10, v[24:25], off
.LBB125_65:                             ;   in Loop: Header=BB125_25 Depth=1
	s_or_b64 exec, exec, s[8:9]
	s_and_saveexec_b64 s[8:9], vcc
	s_cbranch_execz .LBB125_72
; %bb.66:                               ;   in Loop: Header=BB125_25 Depth=1
	s_and_b32 s14, s0, 0xfe
	s_mov_b64 s[10:11], 0
	s_branch .LBB125_68
.LBB125_67:                             ;   in Loop: Header=BB125_68 Depth=2
	s_or_b64 exec, exec, s[12:13]
	s_and_b64 s[6:7], exec, vcc
	s_waitcnt vmcnt(0)
	v_cmp_lt_i32_e32 vcc, -1, v10
	v_cndmask_b32_e32 v24, -1, v33, vcc
	v_xor_b32_e32 v24, v24, v10
	v_cmp_o_f32_e32 vcc, v10, v10
	v_cndmask_b32_e32 v10, -1, v24, vcc
	v_and_b32_e32 v24, s26, v10
	v_bfe_u32 v10, v10, s14, 2
	s_or_b64 s[10:11], s[6:7], s[10:11]
	v_cmp_eq_u32_e32 vcc, s27, v24
	v_cmp_eq_u32_e64 s[6:7], 0, v10
	s_and_b64 s[6:7], vcc, s[6:7]
	v_cndmask_b32_e64 v24, 0, 1, s[6:7]
	v_cmp_ne_u32_e64 s[6:7], 0, v24
	s_bcnt1_i32_b64 s6, s[6:7]
	v_add_co_u32_e64 v2, s[6:7], s6, v2
	v_addc_co_u32_e64 v3, s[6:7], 0, v3, s[6:7]
	v_cmp_eq_u32_e64 s[6:7], 1, v10
	s_and_b64 s[6:7], vcc, s[6:7]
	v_cndmask_b32_e64 v24, 0, 1, s[6:7]
	v_cmp_ne_u32_e64 s[6:7], 0, v24
	s_bcnt1_i32_b64 s6, s[6:7]
	v_add_co_u32_e64 v4, s[6:7], s6, v4
	v_addc_co_u32_e64 v5, s[6:7], 0, v5, s[6:7]
	;; [unrolled: 7-line block ×3, first 2 shown]
	v_cmp_eq_u32_e64 s[6:7], 3, v10
	s_and_b64 s[6:7], vcc, s[6:7]
	v_cndmask_b32_e64 v10, 0, 1, s[6:7]
	v_cmp_ne_u32_e32 vcc, 0, v10
	s_bcnt1_i32_b64 s6, vcc
	v_add_co_u32_e32 v8, vcc, s6, v8
	v_addc_co_u32_e32 v9, vcc, 0, v9, vcc
	v_mov_b32_e32 v10, v20
	s_andn2_b64 exec, exec, s[10:11]
	s_cbranch_execz .LBB125_71
.LBB125_68:                             ;   Parent Loop BB125_25 Depth=1
                                        ; =>  This Inner Loop Header: Depth=2
	v_add_co_u32_sdwa v22, vcc, v22, v19 dst_sel:DWORD dst_unused:UNUSED_PAD src0_sel:DWORD src1_sel:WORD_0
	v_addc_co_u32_e32 v23, vcc, 0, v23, vcc
	v_cmp_gt_u64_e64 s[6:7], s[52:53], v[22:23]
	v_cmp_le_u64_e32 vcc, s[52:53], v[22:23]
	v_mov_b32_e32 v20, 0
	s_and_saveexec_b64 s[12:13], s[6:7]
	s_cbranch_execz .LBB125_67
; %bb.69:                               ;   in Loop: Header=BB125_68 Depth=2
	v_mul_lo_u32 v20, v23, s68
	v_mul_lo_u32 v35, v22, s69
	v_mad_u64_u32 v[24:25], s[6:7], v22, s68, 0
	v_add3_u32 v25, v25, v35, v20
	v_lshlrev_b64 v[24:25], 2, v[24:25]
	v_mov_b32_e32 v20, s55
	v_add_co_u32_e64 v24, s[6:7], s33, v24
	v_addc_co_u32_e64 v25, s[6:7], v20, v25, s[6:7]
	global_load_dword v20, v[24:25], off
	s_branch .LBB125_67
.LBB125_70:                             ;   in Loop: Header=BB125_25 Depth=1
                                        ; implicit-def: $vgpr8_vgpr9
                                        ; implicit-def: $vgpr4_vgpr5
	s_cbranch_execnz .LBB125_73
	s_branch .LBB125_82
.LBB125_71:                             ;   in Loop: Header=BB125_25 Depth=1
	s_or_b64 exec, exec, s[10:11]
.LBB125_72:                             ;   in Loop: Header=BB125_25 Depth=1
	s_or_b64 exec, exec, s[8:9]
	s_branch .LBB125_82
.LBB125_73:                             ;   in Loop: Header=BB125_25 Depth=1
	global_load_ushort v8, v11, s[88:89]
	s_mov_b64 s[70:71], 0
	s_waitcnt vmcnt(0)
	v_readfirstlane_b32 s6, v8
	s_and_b32 s6, 0xffff, s6
	s_lshl_b32 s65, s6, 2
	v_cvt_f32_u32_e32 v2, s65
	s_sub_i32 s6, 0, s65
	v_and_b32_e32 v19, 0xffff, v8
	v_rcp_iflag_f32_e32 v6, v2
	v_pk_mov_b32 v[2:3], 0, 0
	v_pk_mov_b32 v[4:5], v[2:3], v[2:3] op_sel:[0,1]
	v_mul_f32_e32 v6, 0x4f7ffffe, v6
	v_cvt_u32_f32_e32 v9, v6
	v_pk_mov_b32 v[6:7], v[2:3], v[2:3] op_sel:[0,1]
	v_readfirstlane_b32 s7, v9
	s_mul_i32 s6, s6, s7
	s_mul_hi_u32 s6, s7, s6
	s_add_i32 s7, s7, s6
	s_mul_hi_u32 s6, s64, s7
	s_mul_i32 s6, s6, s65
	s_sub_i32 s6, s64, s6
	s_sub_i32 s7, s6, s65
	s_cmp_ge_u32 s6, s65
	s_cselect_b32 s6, s7, s6
	s_sub_i32 s7, s6, s65
	s_cmp_ge_u32 s6, s65
	s_cselect_b32 s6, s7, s6
	s_sub_i32 s78, s64, s6
	v_cmp_gt_u32_e32 vcc, s78, v12
	v_pk_mov_b32 v[8:9], v[2:3], v[2:3] op_sel:[0,1]
	s_and_saveexec_b64 s[72:73], vcc
	s_cbranch_execz .LBB125_77
; %bb.74:                               ;   in Loop: Header=BB125_25 Depth=1
	s_and_b32 s86, s0, 0xfe
	v_lshlrev_b32_e32 v10, 4, v19
	v_mov_b32_e32 v20, v31
	s_mov_b64 s[74:75], 0
	s_mov_b64 s[90:91], 0
	;; [unrolled: 1-line block ×4, first 2 shown]
	v_pk_mov_b32 v[22:23], v[12:13], v[12:13] op_sel:[0,1]
.LBB125_75:                             ;   Parent Loop BB125_25 Depth=1
                                        ; =>  This Inner Loop Header: Depth=2
	ds_read_b128 v[2:5], v20
	v_add_co_u32_e32 v22, vcc, s65, v22
	v_addc_co_u32_e32 v23, vcc, 0, v23, vcc
	s_waitcnt lgkmcnt(0)
	v_cmp_lt_i32_e64 s[6:7], -1, v2
	v_cndmask_b32_e64 v6, -1, v33, s[6:7]
	v_cmp_lt_i32_e64 s[6:7], -1, v3
	v_cndmask_b32_e64 v7, -1, v33, s[6:7]
	;; [unrolled: 2-line block ×4, first 2 shown]
	v_xor_b32_e32 v7, v7, v3
	v_cmp_o_f32_e64 s[6:7], v3, v3
	v_xor_b32_e32 v3, v8, v4
	v_cmp_o_f32_e64 s[10:11], v4, v4
	;; [unrolled: 2-line block ×4, first 2 shown]
	v_cndmask_b32_e64 v2, -1, v5, s[14:15]
	v_cndmask_b32_e64 v5, -1, v7, s[6:7]
	v_and_b32_e32 v6, s26, v2
	v_bfe_u32 v2, v2, s86, 2
	v_cndmask_b32_e64 v3, -1, v3, s[10:11]
	v_and_b32_e32 v7, s26, v5
	v_bfe_u32 v5, v5, s86, 2
	v_cmp_eq_u32_e64 s[16:17], s27, v6
	v_cmp_eq_u32_e64 s[6:7], 0, v2
	v_cndmask_b32_e64 v4, -1, v4, s[12:13]
	v_and_b32_e32 v8, s26, v3
	v_bfe_u32 v3, v3, s86, 2
	v_cmp_eq_u32_e64 s[14:15], s27, v7
	v_cmp_eq_u32_e64 s[28:29], 0, v5
	s_and_b64 s[6:7], s[16:17], s[6:7]
	v_and_b32_e32 v9, s26, v4
	v_bfe_u32 v4, v4, s86, 2
	v_cmp_eq_u32_e64 s[12:13], s27, v8
	v_cmp_eq_u32_e64 s[30:31], 0, v3
	;; [unrolled: 1-line block ×5, first 2 shown]
	v_cndmask_b32_e64 v2, 0, 1, s[6:7]
	s_and_b64 s[6:7], s[14:15], s[28:29]
	v_cmp_eq_u32_e64 s[10:11], s27, v9
	v_cmp_eq_u32_e64 s[34:35], 0, v4
	;; [unrolled: 1-line block ×5, first 2 shown]
	v_cndmask_b32_e64 v3, 0, 1, s[6:7]
	s_and_b64 s[6:7], s[12:13], s[30:31]
	v_cmp_eq_u32_e64 s[42:43], 1, v4
	v_cmp_eq_u32_e64 s[50:51], 2, v4
	;; [unrolled: 1-line block ×3, first 2 shown]
	v_cndmask_b32_e64 v4, 0, 1, s[6:7]
	s_and_b64 s[6:7], s[10:11], s[34:35]
	v_cmp_eq_u32_e64 s[38:39], 1, v5
	v_cmp_eq_u32_e64 s[46:47], 2, v5
	;; [unrolled: 1-line block ×3, first 2 shown]
	v_cndmask_b32_e64 v5, 0, 1, s[6:7]
	v_cmp_ne_u32_e64 s[6:7], 0, v2
	v_cmp_ne_u32_e64 s[28:29], 0, v3
	v_cmp_ne_u32_e64 s[30:31], 0, v4
	v_cmp_ne_u32_e64 s[34:35], 0, v5
	s_bcnt1_i32_b64 s6, s[6:7]
	s_bcnt1_i32_b64 s7, s[28:29]
	s_bcnt1_i32_b64 s28, s[30:31]
	s_bcnt1_i32_b64 s29, s[34:35]
	s_add_u32 s6, s6, s8
	s_addc_u32 s8, 0, s9
	s_add_u32 s6, s6, s7
	s_addc_u32 s7, s8, 0
	s_add_u32 s6, s6, s28
	s_addc_u32 s7, s7, 0
	s_add_u32 s8, s6, s29
	s_addc_u32 s9, s7, 0
	s_and_b64 s[6:7], s[16:17], s[36:37]
	v_cndmask_b32_e64 v4, 0, 1, s[6:7]
	s_and_b64 s[6:7], s[14:15], s[38:39]
	v_cndmask_b32_e64 v5, 0, 1, s[6:7]
	s_and_b64 s[6:7], s[12:13], s[40:41]
	v_cndmask_b32_e64 v6, 0, 1, s[6:7]
	s_and_b64 s[6:7], s[10:11], s[42:43]
	v_cndmask_b32_e64 v7, 0, 1, s[6:7]
	v_cmp_ne_u32_e64 s[6:7], 0, v4
	v_cmp_ne_u32_e64 s[28:29], 0, v5
	v_cmp_ne_u32_e64 s[30:31], 0, v6
	v_cmp_ne_u32_e64 s[34:35], 0, v7
	s_bcnt1_i32_b64 s6, s[6:7]
	s_bcnt1_i32_b64 s7, s[28:29]
	s_bcnt1_i32_b64 s28, s[30:31]
	s_bcnt1_i32_b64 s29, s[34:35]
	s_add_u32 s6, s6, s92
	s_addc_u32 s30, 0, s93
	s_add_u32 s6, s6, s7
	s_addc_u32 s7, s30, 0
	s_add_u32 s6, s6, s28
	s_addc_u32 s7, s7, 0
	s_add_u32 s92, s6, s29
	s_addc_u32 s93, s7, 0
	s_and_b64 s[6:7], s[16:17], s[44:45]
	v_cndmask_b32_e64 v6, 0, 1, s[6:7]
	s_and_b64 s[6:7], s[14:15], s[46:47]
	v_cndmask_b32_e64 v7, 0, 1, s[6:7]
	s_and_b64 s[6:7], s[12:13], s[48:49]
	v_cndmask_b32_e64 v8, 0, 1, s[6:7]
	s_and_b64 s[6:7], s[10:11], s[50:51]
	;; [unrolled: 24-line block ×3, first 2 shown]
	v_cndmask_b32_e64 v25, 0, 1, s[6:7]
	v_cmp_ne_u32_e64 s[6:7], 0, v8
	v_cmp_ne_u32_e64 s[10:11], 0, v9
	;; [unrolled: 1-line block ×4, first 2 shown]
	s_bcnt1_i32_b64 s6, s[6:7]
	s_bcnt1_i32_b64 s7, s[10:11]
	;; [unrolled: 1-line block ×4, first 2 shown]
	s_add_u32 s6, s6, s74
	s_addc_u32 s12, 0, s75
	s_add_u32 s6, s6, s7
	s_addc_u32 s7, s12, 0
	;; [unrolled: 2-line block ×3, first 2 shown]
	s_add_u32 s74, s6, s11
	v_cmp_le_u64_e32 vcc, s[78:79], v[22:23]
	s_addc_u32 s75, s7, 0
	v_add_u32_e32 v20, v20, v10
	v_pk_mov_b32 v[2:3], s[8:9], s[8:9] op_sel:[0,1]
	v_pk_mov_b32 v[4:5], s[92:93], s[92:93] op_sel:[0,1]
	v_pk_mov_b32 v[6:7], s[90:91], s[90:91] op_sel:[0,1]
	s_or_b64 s[70:71], vcc, s[70:71]
	v_pk_mov_b32 v[8:9], s[74:75], s[74:75] op_sel:[0,1]
	s_andn2_b64 exec, exec, s[70:71]
	s_cbranch_execnz .LBB125_75
; %bb.76:                               ;   in Loop: Header=BB125_25 Depth=1
	s_or_b64 exec, exec, s[70:71]
.LBB125_77:                             ;   in Loop: Header=BB125_25 Depth=1
	s_or_b64 exec, exec, s[72:73]
	v_add_u32_e32 v10, s78, v0
	v_cmp_gt_u32_e32 vcc, s64, v10
	s_and_saveexec_b64 s[8:9], vcc
	s_cbranch_execz .LBB125_81
; %bb.78:                               ;   in Loop: Header=BB125_25 Depth=1
	s_and_b32 s78, s64, 0x7fffffff
	s_and_b32 s20, s0, 0xfe
	v_lshlrev_b32_e32 v20, 2, v10
	s_mov_b64 s[18:19], 0
	v_pk_mov_b32 v[22:23], v[10:11], v[10:11] op_sel:[0,1]
.LBB125_79:                             ;   Parent Loop BB125_25 Depth=1
                                        ; =>  This Inner Loop Header: Depth=2
	ds_read_b32 v10, v20
	v_add_co_u32_e32 v22, vcc, v22, v19
	v_addc_co_u32_e32 v23, vcc, 0, v23, vcc
	s_waitcnt lgkmcnt(0)
	v_cmp_lt_i32_e64 s[6:7], -1, v10
	v_cndmask_b32_e64 v24, -1, v33, s[6:7]
	v_xor_b32_e32 v24, v24, v10
	v_cmp_o_f32_e64 s[6:7], v10, v10
	v_cndmask_b32_e64 v10, -1, v24, s[6:7]
	v_and_b32_e32 v24, s26, v10
	v_bfe_u32 v10, v10, s20, 2
	v_cmp_eq_u32_e64 s[6:7], s27, v24
	v_cmp_eq_u32_e64 s[10:11], 0, v10
	;; [unrolled: 1-line block ×3, first 2 shown]
	s_and_b64 s[10:11], s[6:7], s[10:11]
	v_cmp_eq_u32_e64 s[14:15], 2, v10
	v_cmp_eq_u32_e64 s[16:17], 3, v10
	v_cndmask_b32_e64 v10, 0, 1, s[10:11]
	s_and_b64 s[10:11], s[6:7], s[12:13]
	v_cndmask_b32_e64 v24, 0, 1, s[10:11]
	s_and_b64 s[10:11], s[6:7], s[14:15]
	s_and_b64 s[6:7], s[6:7], s[16:17]
	v_cndmask_b32_e64 v35, 0, 1, s[6:7]
	v_cmp_ne_u32_e64 s[6:7], 0, v10
	s_bcnt1_i32_b64 s6, s[6:7]
	v_cndmask_b32_e64 v25, 0, 1, s[10:11]
	v_cmp_ne_u32_e64 s[10:11], 0, v24
	v_add_co_u32_e64 v2, s[6:7], s6, v2
	s_bcnt1_i32_b64 s10, s[10:11]
	v_addc_co_u32_e64 v3, s[6:7], 0, v3, s[6:7]
	v_cmp_ne_u32_e64 s[12:13], 0, v25
	v_cmp_ne_u32_e64 s[14:15], 0, v35
	v_add_co_u32_e64 v4, s[6:7], s10, v4
	v_cmp_le_u64_e32 vcc, s[78:79], v[22:23]
	s_bcnt1_i32_b64 s11, s[12:13]
	s_bcnt1_i32_b64 s12, s[14:15]
	v_addc_co_u32_e64 v5, s[6:7], 0, v5, s[6:7]
	v_add_co_u32_e64 v6, s[6:7], s11, v6
	s_or_b64 s[18:19], vcc, s[18:19]
	v_add_co_u32_e32 v8, vcc, s12, v8
	v_add_u32_e32 v20, s65, v20
	v_addc_co_u32_e64 v7, s[6:7], 0, v7, s[6:7]
	v_addc_co_u32_e32 v9, vcc, 0, v9, vcc
	s_andn2_b64 exec, exec, s[18:19]
	s_cbranch_execnz .LBB125_79
; %bb.80:                               ;   in Loop: Header=BB125_25 Depth=1
	s_or_b64 exec, exec, s[18:19]
.LBB125_81:                             ;   in Loop: Header=BB125_25 Depth=1
	s_or_b64 exec, exec, s[8:9]
.LBB125_82:                             ;   in Loop: Header=BB125_25 Depth=1
	s_lshl_b32 s8, s1, 6
	s_and_saveexec_b64 s[6:7], s[4:5]
	s_cbranch_execz .LBB125_84
; %bb.83:                               ;   in Loop: Header=BB125_25 Depth=1
	s_waitcnt vmcnt(0)
	v_or_b32_e32 v10, s8, v29
	v_lshlrev_b32_e32 v10, 3, v10
	ds_write_b128 v10, v[2:5] offset:3072
	ds_write_b128 v10, v[6:9] offset:3088
.LBB125_84:                             ;   in Loop: Header=BB125_25 Depth=1
	s_or_b64 exec, exec, s[6:7]
	s_waitcnt lgkmcnt(0)
	s_barrier
	s_and_saveexec_b64 s[6:7], s[80:81]
	s_cbranch_execz .LBB125_96
; %bb.85:                               ;   in Loop: Header=BB125_25 Depth=1
	v_readlane_b32 s10, v44, 30
	v_readlane_b32 s11, v44, 31
	s_andn2_b64 vcc, exec, s[10:11]
	v_pk_mov_b32 v[2:3], 0, 0
	s_cbranch_vccnz .LBB125_95
; %bb.86:                               ;   in Loop: Header=BB125_25 Depth=1
	v_readlane_b32 s10, v44, 34
	v_readlane_b32 s11, v44, 35
	s_andn2_b64 vcc, exec, s[10:11]
	s_cbranch_vccnz .LBB125_91
; %bb.87:                               ;   in Loop: Header=BB125_25 Depth=1
	s_waitcnt vmcnt(0)
	v_lshl_add_u32 v4, s1, 9, v32
	s_mov_b32 s9, 0
	v_pk_mov_b32 v[2:3], 0, 0
.LBB125_88:                             ;   Parent Loop BB125_25 Depth=1
                                        ; =>  This Inner Loop Header: Depth=2
	ds_read2_b64 v[6:9], v4 offset1:4
	ds_read2_b64 v[22:25], v4 offset0:8 offset1:12
	ds_read2_b64 v[36:39], v4 offset0:16 offset1:20
	;; [unrolled: 1-line block ×3, first 2 shown]
	s_add_i32 s9, s9, 8
	s_waitcnt lgkmcnt(3)
	v_add_co_u32_e32 v2, vcc, v6, v2
	v_addc_co_u32_e32 v3, vcc, v7, v3, vcc
	v_add_co_u32_e32 v2, vcc, v8, v2
	v_addc_co_u32_e32 v3, vcc, v9, v3, vcc
	s_waitcnt lgkmcnt(2)
	v_add_co_u32_e32 v2, vcc, v22, v2
	v_addc_co_u32_e32 v3, vcc, v23, v3, vcc
	v_add_co_u32_e32 v2, vcc, v24, v2
	v_addc_co_u32_e32 v3, vcc, v25, v3, vcc
	;; [unrolled: 5-line block ×3, first 2 shown]
	s_waitcnt lgkmcnt(0)
	v_add_co_u32_e32 v2, vcc, v40, v2
	v_addc_co_u32_e32 v3, vcc, v41, v3, vcc
	v_add_co_u32_e32 v2, vcc, v42, v2
	v_add_u32_e32 v4, 0x100, v4
	s_cmp_eq_u32 s2, s9
	v_addc_co_u32_e32 v3, vcc, v43, v3, vcc
	s_cbranch_scc0 .LBB125_88
; %bb.89:                               ;   in Loop: Header=BB125_25 Depth=1
	s_mov_b32 s9, s2
	s_branch .LBB125_92
.LBB125_90:                             ;   in Loop: Header=BB125_25 Depth=1
                                        ; implicit-def: $vgpr2_vgpr3
	s_branch .LBB125_58
.LBB125_91:                             ;   in Loop: Header=BB125_25 Depth=1
	s_mov_b32 s9, 0
	v_pk_mov_b32 v[2:3], 0, 0
.LBB125_92:                             ;   in Loop: Header=BB125_25 Depth=1
	v_readlane_b32 s10, v44, 37
	v_readlane_b32 s11, v44, 38
	s_andn2_b64 vcc, exec, s[10:11]
	s_cbranch_vccnz .LBB125_95
; %bb.93:                               ;   in Loop: Header=BB125_25 Depth=1
	s_lshl_b32 s10, s1, 9
	s_lshl_b32 s9, s9, 5
	s_add_i32 s10, s10, s9
	s_waitcnt vmcnt(0)
	v_add_u32_e32 v4, s10, v32
	v_readlane_b32 s9, v44, 36
.LBB125_94:                             ;   Parent Loop BB125_25 Depth=1
                                        ; =>  This Inner Loop Header: Depth=2
	ds_read_b64 v[6:7], v4
	s_add_i32 s9, s9, -1
	v_add_u32_e32 v4, 32, v4
	s_cmp_lg_u32 s9, 0
	s_waitcnt lgkmcnt(0)
	v_add_co_u32_e32 v2, vcc, v6, v2
	v_addc_co_u32_e32 v3, vcc, v7, v3, vcc
	s_cbranch_scc1 .LBB125_94
.LBB125_95:                             ;   in Loop: Header=BB125_25 Depth=1
	s_waitcnt vmcnt(0)
	v_add_lshl_u32 v4, s8, v26, 3
	ds_write_b64 v4, v[2:3] offset:3072
.LBB125_96:                             ;   in Loop: Header=BB125_25 Depth=1
	s_or_b64 exec, exec, s[6:7]
	s_lshl_b32 s6, s8, 3
	v_mov_b32_e32 v6, s6
	s_waitcnt lgkmcnt(0)
	s_barrier
	s_waitcnt vmcnt(0)
	ds_read_b128 v[2:5], v6 offset:3072
	ds_read_b128 v[6:9], v6 offset:3088
	s_and_b32 s40, s0, 0xfe
	s_lshl_b32 s48, 3, s40
	s_not_b32 s41, s48
	s_waitcnt lgkmcnt(1)
	v_readfirstlane_b32 s15, v3
	v_readfirstlane_b32 s14, v2
	s_cmp_eq_u64 s[14:15], 1
	s_cselect_b64 s[6:7], -1, 0
	s_cmp_eq_u64 s[82:83], 1
	s_cselect_b64 s[8:9], -1, 0
	s_and_b64 s[20:21], s[6:7], s[8:9]
	v_readfirstlane_b32 s28, v4
	v_readfirstlane_b32 s29, v5
	s_waitcnt lgkmcnt(0)
	v_readfirstlane_b32 s16, v6
	v_readfirstlane_b32 s17, v7
	;; [unrolled: 1-line block ×4, first 2 shown]
	s_mov_b64 s[18:19], -1
	s_and_b64 vcc, exec, s[20:21]
	s_cbranch_vccz .LBB125_111
; %bb.97:                               ;   in Loop: Header=BB125_25 Depth=1
	ds_read_b64 v[2:3], v11 offset:5120
	s_waitcnt lgkmcnt(0)
	s_barrier
	v_readfirstlane_b32 s8, v2
	v_readfirstlane_b32 s9, v3
	s_mov_b64 s[6:7], exec
	v_readlane_b32 s12, v44, 26
	v_readlane_b32 s13, v44, 27
	s_and_b64 s[12:13], s[6:7], s[12:13]
	s_mov_b64 exec, s[12:13]
	s_cbranch_execz .LBB125_99
; %bb.98:                               ;   in Loop: Header=BB125_25 Depth=1
	ds_write_b32 v27, v11
.LBB125_99:                             ;   in Loop: Header=BB125_25 Depth=1
	s_or_b64 exec, exec, s[6:7]
	s_and_b32 s27, s27, s41
	s_or_b32 s26, s26, s48
	s_cmp_eq_u64 s[8:9], 0
	s_waitcnt lgkmcnt(0)
	s_barrier
	s_cbranch_scc1 .LBB125_112
; %bb.100:                              ;   in Loop: Header=BB125_25 Depth=1
	v_readlane_b32 s6, v44, 32
	s_add_u32 s22, s6, s8
	v_readlane_b32 s6, v44, 33
	s_addc_u32 s7, s6, s9
	s_mov_b32 s6, s79
	s_cmp_lg_u64 s[6:7], 0
	s_cbranch_scc0 .LBB125_157
; %bb.101:                              ;   in Loop: Header=BB125_25 Depth=1
	v_cvt_f32_u32_e32 v2, s54
	s_sub_u32 s6, 0, s54
	s_subb_u32 s12, 0, 0
	v_mac_f32_e32 v2, 0, v34
	v_rcp_f32_e32 v2, v2
	v_mul_f32_e32 v2, 0x5f7ffffc, v2
	v_mul_f32_e32 v3, 0x2f800000, v2
	v_trunc_f32_e32 v3, v3
	v_mac_f32_e32 v2, 0xcf800000, v3
	v_cvt_u32_f32_e32 v3, v3
	v_cvt_u32_f32_e32 v2, v2
	v_readfirstlane_b32 s13, v3
	v_readfirstlane_b32 s23, v2
	s_mul_i32 s24, s6, s13
	s_mul_hi_u32 s30, s6, s23
	s_mul_i32 s25, s12, s23
	s_add_i32 s24, s30, s24
	s_mul_i32 s31, s6, s23
	s_add_i32 s24, s24, s25
	s_mul_hi_u32 s30, s23, s31
	s_mul_hi_u32 s25, s23, s24
	s_mul_i32 s23, s23, s24
	s_add_u32 s23, s30, s23
	s_addc_u32 s25, 0, s25
	s_mul_hi_u32 s34, s13, s31
	s_mul_i32 s31, s13, s31
	s_add_u32 s23, s23, s31
	s_mul_hi_u32 s30, s13, s24
	s_addc_u32 s23, s25, s34
	s_addc_u32 s25, s30, 0
	s_mul_i32 s24, s13, s24
	s_add_u32 s23, s23, s24
	s_addc_u32 s24, 0, s25
	v_add_co_u32_e32 v2, vcc, s23, v2
	s_cmp_lg_u64 vcc, 0
	s_addc_u32 s13, s13, s24
	v_readfirstlane_b32 s24, v2
	s_mul_i32 s23, s6, s13
	s_mul_hi_u32 s25, s6, s24
	s_add_i32 s23, s25, s23
	s_mul_i32 s12, s12, s24
	s_add_i32 s23, s23, s12
	s_mul_i32 s6, s6, s24
	s_mul_hi_u32 s25, s13, s6
	s_mul_i32 s30, s13, s6
	s_mul_i32 s34, s24, s23
	s_mul_hi_u32 s6, s24, s6
	s_mul_hi_u32 s31, s24, s23
	s_add_u32 s6, s6, s34
	s_addc_u32 s24, 0, s31
	s_add_u32 s6, s6, s30
	s_mul_hi_u32 s12, s13, s23
	s_addc_u32 s6, s24, s25
	s_addc_u32 s12, s12, 0
	s_mul_i32 s23, s13, s23
	s_add_u32 s6, s6, s23
	s_addc_u32 s12, 0, s12
	v_add_co_u32_e32 v2, vcc, s6, v2
	s_cmp_lg_u64 vcc, 0
	s_addc_u32 s6, s13, s12
	v_readfirstlane_b32 s23, v2
	s_mul_i32 s13, s22, s6
	s_mul_hi_u32 s24, s22, s23
	s_mul_hi_u32 s12, s22, s6
	s_add_u32 s13, s24, s13
	s_addc_u32 s12, 0, s12
	s_mul_hi_u32 s25, s7, s23
	s_mul_i32 s23, s7, s23
	s_add_u32 s13, s13, s23
	s_mul_hi_u32 s24, s7, s6
	s_addc_u32 s12, s12, s25
	s_addc_u32 s13, s24, 0
	s_mul_i32 s6, s7, s6
	s_add_u32 s6, s12, s6
	s_addc_u32 s12, 0, s13
	s_mul_hi_u32 s13, s54, s6
	s_mul_i32 s6, s54, s6
	s_mul_i32 s12, s54, s12
	v_mov_b32_e32 v2, s6
	s_add_i32 s13, s13, s12
	v_sub_co_u32_e32 v2, vcc, s22, v2
	s_cmp_lg_u64 vcc, 0
	s_subb_u32 s6, s7, s13
	v_subrev_co_u32_e32 v3, vcc, s54, v2
	s_cmp_lg_u64 vcc, 0
	s_subb_u32 s12, s6, 0
	v_subrev_co_u32_e32 v4, vcc, s54, v3
	s_cmp_lg_u64 vcc, 0
	s_subb_u32 s13, s12, 0
	v_cmp_le_u32_e32 vcc, s54, v3
	s_cmp_eq_u32 s12, 0
	v_cndmask_b32_e64 v5, 0, -1, vcc
	s_cselect_b64 vcc, -1, 0
	v_cndmask_b32_e32 v5, -1, v5, vcc
	v_mov_b32_e32 v6, s12
	v_mov_b32_e32 v7, s13
	v_cmp_ne_u32_e32 vcc, 0, v5
	v_cndmask_b32_e32 v5, v6, v7, vcc
	v_cndmask_b32_e32 v4, v3, v4, vcc
	v_cmp_le_u32_e32 vcc, s54, v2
	s_cmp_eq_u32 s6, 0
	v_cndmask_b32_e64 v3, 0, -1, vcc
	s_cselect_b64 vcc, -1, 0
	v_cndmask_b32_e32 v3, -1, v3, vcc
	v_mov_b32_e32 v6, s6
	v_cmp_ne_u32_e32 vcc, 0, v3
	v_cndmask_b32_e32 v3, v6, v5, vcc
	v_cndmask_b32_e32 v2, v2, v4, vcc
	s_cbranch_execnz .LBB125_103
.LBB125_102:                            ;   in Loop: Header=BB125_25 Depth=1
	v_cvt_f32_u32_e32 v2, s54
	s_sub_i32 s6, 0, s54
	v_rcp_iflag_f32_e32 v2, v2
	v_mul_f32_e32 v2, 0x4f7ffffe, v2
	v_cvt_u32_f32_e32 v2, v2
	v_mul_lo_u32 v3, s6, v2
	v_mul_hi_u32 v3, v2, v3
	v_add_u32_e32 v2, v2, v3
	v_mul_hi_u32 v2, s22, v2
	v_mul_lo_u32 v2, v2, s54
	v_sub_u32_e32 v2, s22, v2
	v_subrev_u32_e32 v3, s54, v2
	v_cmp_le_u32_e32 vcc, s54, v2
	v_cndmask_b32_e32 v2, v2, v3, vcc
	v_subrev_u32_e32 v3, s54, v2
	v_cmp_le_u32_e32 vcc, s54, v2
	v_cndmask_b32_e32 v10, v2, v3, vcc
	v_pk_mov_b32 v[2:3], v[10:11], v[10:11] op_sel:[0,1]
.LBB125_103:                            ;   in Loop: Header=BB125_25 Depth=1
	v_mov_b32_e32 v4, s7
	v_sub_co_u32_e32 v2, vcc, s22, v2
	v_subb_co_u32_e32 v3, vcc, v4, v3, vcc
	v_cmp_gt_u64_e32 vcc, v[2:3], v[0:1]
	s_mov_b64 s[6:7], 0
                                        ; implicit-def: $vgpr21
	s_and_saveexec_b64 s[12:13], vcc
	s_cbranch_execz .LBB125_114
; %bb.104:                              ;   in Loop: Header=BB125_25 Depth=1
	s_mov_b64 s[22:23], 0
	v_mov_b32_e32 v6, v12
	v_pk_mov_b32 v[4:5], v[0:1], v[0:1] op_sel:[0,1]
                                        ; implicit-def: $sgpr24_sgpr25
	s_branch .LBB125_106
.LBB125_105:                            ;   in Loop: Header=BB125_106 Depth=2
	s_or_b64 exec, exec, s[6:7]
	s_waitcnt lgkmcnt(0)
	s_barrier
	ds_read_b64 v[20:21], v11 offset:3072
	v_mov_b32_e32 v7, s84
	v_add_co_u32_e64 v4, s[6:7], s54, v4
	v_addc_co_u32_e64 v5, s[6:7], v5, v7, s[6:7]
	s_waitcnt lgkmcnt(0)
	v_cmp_neq_f32_e32 vcc, 0, v20
	v_cmp_ge_u64_e64 s[6:7], v[4:5], v[2:3]
	s_or_b64 s[6:7], s[6:7], vcc
	s_and_b64 s[6:7], exec, s[6:7]
	s_or_b64 s[22:23], s[6:7], s[22:23]
	s_andn2_b64 s[6:7], s[24:25], exec
	s_and_b64 s[24:25], vcc, exec
	v_add_u32_e32 v6, s3, v6
	s_or_b64 s[24:25], s[6:7], s[24:25]
	s_barrier
	s_andn2_b64 exec, exec, s[22:23]
	s_cbranch_execz .LBB125_113
.LBB125_106:                            ;   Parent Loop BB125_25 Depth=1
                                        ; =>  This Inner Loop Header: Depth=2
	v_cmp_gt_u64_e32 vcc, s[8:9], v[4:5]
	v_mov_b32_e32 v19, 0
	s_and_saveexec_b64 s[6:7], vcc
	s_cbranch_execz .LBB125_108
; %bb.107:                              ;   in Loop: Header=BB125_106 Depth=2
	ds_read_b32 v19, v6
.LBB125_108:                            ;   in Loop: Header=BB125_106 Depth=2
	s_or_b64 exec, exec, s[6:7]
	s_and_saveexec_b64 s[6:7], vcc
	s_cbranch_execz .LBB125_105
; %bb.109:                              ;   in Loop: Header=BB125_106 Depth=2
	s_waitcnt lgkmcnt(0)
	v_cmp_lt_i32_e32 vcc, -1, v19
	v_cndmask_b32_e32 v7, -1, v33, vcc
	v_xor_b32_e32 v7, v7, v19
	v_cmp_o_f32_e32 vcc, v19, v19
	v_cndmask_b32_e32 v7, -1, v7, vcc
	v_and_b32_e32 v7, s26, v7
	v_cmp_eq_u32_e32 vcc, s27, v7
	s_and_b64 exec, exec, vcc
	s_cbranch_execz .LBB125_105
; %bb.110:                              ;   in Loop: Header=BB125_106 Depth=2
	ds_write_b64 v11, v[18:19] offset:3072
	s_branch .LBB125_105
.LBB125_111:                            ;   in Loop: Header=BB125_25 Depth=1
	s_mov_b64 s[6:7], -1
                                        ; implicit-def: $sgpr8_sgpr9
                                        ; implicit-def: $sgpr22_sgpr23
                                        ; implicit-def: $sgpr12_sgpr13
	s_branch .LBB125_128
.LBB125_112:                            ;   in Loop: Header=BB125_25 Depth=1
	s_mov_b64 s[8:9], -1
	s_mov_b64 s[6:7], 0
                                        ; implicit-def: $sgpr12_sgpr13
                                        ; implicit-def: $vgpr21
	s_mov_b64 s[22:23], s[8:9]
	s_cbranch_execnz .LBB125_115
	s_branch .LBB125_128
.LBB125_113:                            ;   in Loop: Header=BB125_25 Depth=1
	s_or_b64 exec, exec, s[22:23]
	s_and_b64 s[6:7], s[24:25], exec
.LBB125_114:                            ;   in Loop: Header=BB125_25 Depth=1
	s_or_b64 exec, exec, s[12:13]
	s_mov_b64 s[12:13], -1
	s_mov_b64 s[8:9], 0
	s_mov_b64 s[22:23], s[8:9]
	s_branch .LBB125_128
.LBB125_115:                            ;   in Loop: Header=BB125_25 Depth=1
	s_mov_b32 s86, s79
	s_cmp_lg_u64 s[86:87], 0
	s_cbranch_scc0 .LBB125_161
; %bb.116:                              ;   in Loop: Header=BB125_25 Depth=1
	v_cvt_f32_u32_e32 v2, s54
	s_sub_u32 s6, 0, s54
	s_subb_u32 s7, 0, 0
	v_mac_f32_e32 v2, 0, v34
	v_rcp_f32_e32 v2, v2
	v_mul_f32_e32 v2, 0x5f7ffffc, v2
	v_mul_f32_e32 v3, 0x2f800000, v2
	v_trunc_f32_e32 v3, v3
	v_mac_f32_e32 v2, 0xcf800000, v3
	v_cvt_u32_f32_e32 v3, v3
	v_cvt_u32_f32_e32 v2, v2
	v_readfirstlane_b32 s8, v3
	v_readfirstlane_b32 s9, v2
	s_mul_i32 s12, s6, s8
	s_mul_hi_u32 s22, s6, s9
	s_mul_i32 s13, s7, s9
	s_add_i32 s12, s22, s12
	s_mul_i32 s23, s6, s9
	s_add_i32 s12, s12, s13
	s_mul_hi_u32 s22, s9, s23
	s_mul_hi_u32 s13, s9, s12
	s_mul_i32 s9, s9, s12
	s_add_u32 s9, s22, s9
	s_addc_u32 s13, 0, s13
	s_mul_hi_u32 s24, s8, s23
	s_mul_i32 s23, s8, s23
	s_add_u32 s9, s9, s23
	s_mul_hi_u32 s22, s8, s12
	s_addc_u32 s9, s13, s24
	s_addc_u32 s13, s22, 0
	s_mul_i32 s12, s8, s12
	s_add_u32 s9, s9, s12
	s_addc_u32 s12, 0, s13
	v_add_co_u32_e32 v2, vcc, s9, v2
	s_cmp_lg_u64 vcc, 0
	s_addc_u32 s8, s8, s12
	v_readfirstlane_b32 s12, v2
	s_mul_i32 s9, s6, s8
	s_mul_hi_u32 s13, s6, s12
	s_add_i32 s9, s13, s9
	s_mul_i32 s7, s7, s12
	s_add_i32 s9, s9, s7
	s_mul_i32 s6, s6, s12
	s_mul_hi_u32 s13, s8, s6
	s_mul_i32 s22, s8, s6
	s_mul_i32 s24, s12, s9
	s_mul_hi_u32 s6, s12, s6
	s_mul_hi_u32 s23, s12, s9
	s_add_u32 s6, s6, s24
	s_addc_u32 s12, 0, s23
	s_add_u32 s6, s6, s22
	s_mul_hi_u32 s7, s8, s9
	s_addc_u32 s6, s12, s13
	s_addc_u32 s7, s7, 0
	s_mul_i32 s9, s8, s9
	s_add_u32 s6, s6, s9
	s_addc_u32 s7, 0, s7
	v_add_co_u32_e32 v2, vcc, s6, v2
	s_cmp_lg_u64 vcc, 0
	s_addc_u32 s6, s8, s7
	v_readfirstlane_b32 s9, v2
	s_mul_i32 s8, s85, s6
	s_mul_hi_u32 s12, s85, s9
	s_mul_hi_u32 s7, s85, s6
	s_add_u32 s8, s12, s8
	s_addc_u32 s7, 0, s7
	s_mul_hi_u32 s13, s87, s9
	s_mul_i32 s9, s87, s9
	s_add_u32 s8, s8, s9
	s_mul_hi_u32 s12, s87, s6
	s_addc_u32 s7, s7, s13
	s_addc_u32 s8, s12, 0
	s_mul_i32 s6, s87, s6
	s_add_u32 s6, s7, s6
	s_addc_u32 s7, 0, s8
	s_mul_hi_u32 s8, s54, s6
	s_mul_i32 s6, s54, s6
	s_mul_i32 s7, s54, s7
	v_mov_b32_e32 v2, s6
	s_add_i32 s8, s8, s7
	v_sub_co_u32_e32 v2, vcc, s85, v2
	s_cmp_lg_u64 vcc, 0
	s_subb_u32 s6, s87, s8
	v_subrev_co_u32_e32 v3, vcc, s54, v2
	s_cmp_lg_u64 vcc, 0
	s_subb_u32 s7, s6, 0
	v_subrev_co_u32_e32 v4, vcc, s54, v3
	s_cmp_lg_u64 vcc, 0
	s_subb_u32 s8, s7, 0
	v_cmp_le_u32_e32 vcc, s54, v3
	s_cmp_eq_u32 s7, 0
	v_cndmask_b32_e64 v5, 0, -1, vcc
	s_cselect_b64 vcc, -1, 0
	v_cndmask_b32_e32 v5, -1, v5, vcc
	v_mov_b32_e32 v6, s7
	v_mov_b32_e32 v7, s8
	v_cmp_ne_u32_e32 vcc, 0, v5
	v_cndmask_b32_e32 v5, v6, v7, vcc
	v_cndmask_b32_e32 v4, v3, v4, vcc
	v_cmp_le_u32_e32 vcc, s54, v2
	s_cmp_eq_u32 s6, 0
	v_cndmask_b32_e64 v3, 0, -1, vcc
	s_cselect_b64 vcc, -1, 0
	v_cndmask_b32_e32 v3, -1, v3, vcc
	v_mov_b32_e32 v6, s6
	v_cmp_ne_u32_e32 vcc, 0, v3
	v_cndmask_b32_e32 v3, v6, v5, vcc
	v_cndmask_b32_e32 v2, v2, v4, vcc
	s_cbranch_execnz .LBB125_118
.LBB125_117:                            ;   in Loop: Header=BB125_25 Depth=1
	v_cvt_f32_u32_e32 v2, s54
	s_sub_i32 s6, 0, s54
	v_rcp_iflag_f32_e32 v2, v2
	v_mul_f32_e32 v2, 0x4f7ffffe, v2
	v_cvt_u32_f32_e32 v2, v2
	v_mul_lo_u32 v3, s6, v2
	v_mul_hi_u32 v3, v2, v3
	v_add_u32_e32 v2, v2, v3
	v_mul_hi_u32 v2, s85, v2
	v_mul_lo_u32 v2, v2, s54
	v_sub_u32_e32 v2, s85, v2
	v_subrev_u32_e32 v3, s54, v2
	v_cmp_le_u32_e32 vcc, s54, v2
	v_cndmask_b32_e32 v2, v2, v3, vcc
	v_subrev_u32_e32 v3, s54, v2
	v_cmp_le_u32_e32 vcc, s54, v2
	v_cndmask_b32_e32 v10, v2, v3, vcc
	v_pk_mov_b32 v[2:3], v[10:11], v[10:11] op_sel:[0,1]
.LBB125_118:                            ;   in Loop: Header=BB125_25 Depth=1
	v_mov_b32_e32 v4, s87
	v_sub_co_u32_e32 v2, vcc, s85, v2
	v_subb_co_u32_e32 v3, vcc, v4, v3, vcc
	v_cmp_gt_u64_e32 vcc, v[2:3], v[0:1]
	s_mov_b64 s[6:7], 0
                                        ; implicit-def: $vgpr21
	s_and_saveexec_b64 s[8:9], vcc
	s_cbranch_execz .LBB125_127
; %bb.119:                              ;   in Loop: Header=BB125_25 Depth=1
	s_mov_b64 s[12:13], 0
	v_pk_mov_b32 v[4:5], v[0:1], v[0:1] op_sel:[0,1]
                                        ; implicit-def: $sgpr22_sgpr23
	s_branch .LBB125_121
.LBB125_120:                            ;   in Loop: Header=BB125_121 Depth=2
	s_or_b64 exec, exec, s[6:7]
	s_waitcnt lgkmcnt(0)
	s_barrier
	ds_read_b64 v[20:21], v11 offset:3072
	v_mov_b32_e32 v6, s84
	v_add_co_u32_e64 v4, s[6:7], s54, v4
	v_addc_co_u32_e64 v5, s[6:7], v5, v6, s[6:7]
	s_waitcnt lgkmcnt(0)
	v_cmp_neq_f32_e32 vcc, 0, v20
	v_cmp_ge_u64_e64 s[6:7], v[4:5], v[2:3]
	s_or_b64 s[6:7], s[6:7], vcc
	s_and_b64 s[6:7], exec, s[6:7]
	s_or_b64 s[12:13], s[6:7], s[12:13]
	s_andn2_b64 s[6:7], s[22:23], exec
	s_and_b64 s[22:23], vcc, exec
	s_or_b64 s[22:23], s[6:7], s[22:23]
	s_barrier
	s_andn2_b64 exec, exec, s[12:13]
	s_cbranch_execz .LBB125_126
.LBB125_121:                            ;   Parent Loop BB125_25 Depth=1
                                        ; =>  This Inner Loop Header: Depth=2
	v_cmp_gt_u64_e32 vcc, s[52:53], v[4:5]
	s_waitcnt vmcnt(0)
	v_mov_b32_e32 v19, 0
	s_and_saveexec_b64 s[24:25], vcc
	s_cbranch_execz .LBB125_123
; %bb.122:                              ;   in Loop: Header=BB125_121 Depth=2
	v_mul_lo_u32 v8, v5, s68
	v_mul_lo_u32 v9, v4, s69
	v_mad_u64_u32 v[6:7], s[6:7], v4, s68, 0
	v_add3_u32 v7, v7, v9, v8
	v_lshlrev_b64 v[6:7], 2, v[6:7]
	v_mov_b32_e32 v8, s55
	v_add_co_u32_e64 v6, s[6:7], s33, v6
	v_addc_co_u32_e64 v7, s[6:7], v8, v7, s[6:7]
	global_load_dword v19, v[6:7], off
.LBB125_123:                            ;   in Loop: Header=BB125_121 Depth=2
	s_or_b64 exec, exec, s[24:25]
	s_and_saveexec_b64 s[6:7], vcc
	s_cbranch_execz .LBB125_120
; %bb.124:                              ;   in Loop: Header=BB125_121 Depth=2
	s_waitcnt vmcnt(0)
	v_cmp_lt_i32_e32 vcc, -1, v19
	v_cndmask_b32_e32 v6, -1, v33, vcc
	v_xor_b32_e32 v6, v6, v19
	v_cmp_o_f32_e32 vcc, v19, v19
	v_cndmask_b32_e32 v6, -1, v6, vcc
	v_and_b32_e32 v6, s26, v6
	v_cmp_eq_u32_e32 vcc, s27, v6
	s_and_b64 exec, exec, vcc
	s_cbranch_execz .LBB125_120
; %bb.125:                              ;   in Loop: Header=BB125_121 Depth=2
	ds_write_b64 v11, v[18:19] offset:3072
	s_branch .LBB125_120
.LBB125_126:                            ;   in Loop: Header=BB125_25 Depth=1
	s_or_b64 exec, exec, s[12:13]
	s_and_b64 s[6:7], s[22:23], exec
.LBB125_127:                            ;   in Loop: Header=BB125_25 Depth=1
	s_or_b64 exec, exec, s[8:9]
	s_mov_b64 s[22:23], -1
	s_mov_b64 s[8:9], 0
	s_mov_b64 s[12:13], 0
.LBB125_128:                            ;   in Loop: Header=BB125_25 Depth=1
	s_andn2_b64 s[24:25], s[66:67], exec
	s_and_b64 s[8:9], s[8:9], exec
	s_or_b64 s[66:67], s[24:25], s[8:9]
	s_andn2_b64 s[8:9], s[62:63], exec
	s_and_b64 s[22:23], s[22:23], exec
	s_or_b64 s[62:63], s[8:9], s[22:23]
	s_andn2_b64 s[8:9], s[60:61], exec
	s_and_b64 s[12:13], s[12:13], exec
	s_or_b64 s[60:61], s[8:9], s[12:13]
	s_and_saveexec_b64 s[12:13], s[6:7]
	s_cbranch_execz .LBB125_24
; %bb.129:                              ;   in Loop: Header=BB125_25 Depth=1
	s_xor_b64 s[6:7], s[20:21], -1
	s_andn2_b64 vcc, exec, s[6:7]
	s_mov_b32 s49, 1
	s_cbranch_vccnz .LBB125_140
; %bb.130:                              ;   in Loop: Header=BB125_25 Depth=1
	v_pk_mov_b32 v[2:3], s[14:15], s[14:15] op_sel:[0,1]
	v_cmp_gt_u64_e32 vcc, s[82:83], v[2:3]
	s_mov_b64 s[6:7], -1
                                        ; implicit-def: $sgpr49
                                        ; implicit-def: $sgpr8
                                        ; implicit-def: $sgpr9
	s_cbranch_vccnz .LBB125_136
; %bb.131:                              ;   in Loop: Header=BB125_25 Depth=1
	ds_read_b64 v[2:3], v11 offset:5120
	s_waitcnt lgkmcnt(0)
	v_cmp_ne_u64_e32 vcc, 0, v[2:3]
	s_cbranch_vccnz .LBB125_135
; %bb.132:                              ;   in Loop: Header=BB125_25 Depth=1
	s_mov_b64 s[6:7], exec
	v_readlane_b32 s8, v44, 16
	v_readlane_b32 s9, v44, 17
	s_and_b64 s[8:9], s[6:7], s[8:9]
	s_mov_b64 exec, s[8:9]
	s_cbranch_execz .LBB125_134
; %bb.133:                              ;   in Loop: Header=BB125_25 Depth=1
	v_pk_mov_b32 v[2:3], s[14:15], s[14:15] op_sel:[0,1]
	ds_write_b64 v11, v[2:3] offset:5128
.LBB125_134:                            ;   in Loop: Header=BB125_25 Depth=1
	s_or_b64 exec, exec, s[6:7]
	s_waitcnt lgkmcnt(0)
	s_barrier
.LBB125_135:                            ;   in Loop: Header=BB125_25 Depth=1
	s_and_b32 s8, s27, s41
	s_or_b32 s9, s26, s48
	s_mov_b64 s[6:7], 0
	s_mov_b32 s49, 8
.LBB125_136:                            ;   in Loop: Header=BB125_25 Depth=1
	s_andn2_b64 vcc, exec, s[6:7]
	s_cbranch_vccnz .LBB125_138
; %bb.137:                              ;   in Loop: Header=BB125_25 Depth=1
	s_sub_u32 s82, s82, s14
	s_subb_u32 s83, s83, s15
	s_mov_b64 s[6:7], -1
	s_mov_b32 s49, 0
	s_mov_b32 s8, s27
	;; [unrolled: 1-line block ×3, first 2 shown]
.LBB125_138:                            ;   in Loop: Header=BB125_25 Depth=1
	s_mov_b32 s26, s9
	s_mov_b32 s27, s8
	s_mov_b64 s[14:15], -1
	s_and_b64 vcc, exec, s[6:7]
	s_cbranch_vccnz .LBB125_141
.LBB125_139:                            ;   in Loop: Header=BB125_25 Depth=1
	s_mov_b64 s[8:9], -1
                                        ; implicit-def: $sgpr18_sgpr19
                                        ; implicit-def: $sgpr22_sgpr23
                                        ; implicit-def: $sgpr20_sgpr21
	s_and_saveexec_b64 s[6:7], s[8:9]
	s_xor_b64 s[6:7], exec, s[6:7]
	s_cbranch_execz .LBB125_23
	s_branch .LBB125_290
.LBB125_140:                            ;   in Loop: Header=BB125_25 Depth=1
	s_mov_b64 s[82:83], 1
	s_mov_b64 s[14:15], -1
	s_branch .LBB125_139
.LBB125_141:                            ;   in Loop: Header=BB125_25 Depth=1
	s_cmp_eq_u64 s[28:29], 1
	s_cselect_b64 s[6:7], -1, 0
	s_cmp_eq_u64 s[82:83], 1
	s_cselect_b64 s[8:9], -1, 0
	s_and_b64 s[30:31], s[6:7], s[8:9]
	s_mov_b64 s[6:7], -1
	s_and_b64 vcc, exec, s[30:31]
	s_cbranch_vccz .LBB125_156
; %bb.142:                              ;   in Loop: Header=BB125_25 Depth=1
	ds_read_b64 v[2:3], v11 offset:5120
	s_waitcnt lgkmcnt(0)
	s_barrier
	v_readfirstlane_b32 s8, v2
	v_readfirstlane_b32 s9, v3
	s_mov_b64 s[6:7], exec
	v_readlane_b32 s18, v44, 26
	v_readlane_b32 s19, v44, 27
	s_and_b64 s[18:19], s[6:7], s[18:19]
	s_mov_b64 exec, s[18:19]
	s_cbranch_execz .LBB125_144
; %bb.143:                              ;   in Loop: Header=BB125_25 Depth=1
	ds_write_b32 v27, v11
.LBB125_144:                            ;   in Loop: Header=BB125_25 Depth=1
	s_or_b64 exec, exec, s[6:7]
	s_lshl_b32 s6, 1, s40
	s_and_b32 s7, s27, s41
	s_or_b32 s27, s7, s6
	s_or_b32 s26, s26, s48
	s_cmp_eq_u64 s[8:9], 0
	s_waitcnt lgkmcnt(0)
	s_barrier
	s_cbranch_scc1 .LBB125_162
; %bb.145:                              ;   in Loop: Header=BB125_25 Depth=1
	v_readlane_b32 s6, v44, 32
	s_add_u32 s20, s6, s8
	v_readlane_b32 s6, v44, 33
	s_addc_u32 s7, s6, s9
	s_mov_b32 s6, s79
	s_cmp_lg_u64 s[6:7], 0
	s_cbranch_scc0 .LBB125_207
; %bb.146:                              ;   in Loop: Header=BB125_25 Depth=1
	v_cvt_f32_u32_e32 v2, s54
	s_sub_u32 s6, 0, s54
	s_subb_u32 s18, 0, 0
	v_mac_f32_e32 v2, 0, v34
	v_rcp_f32_e32 v2, v2
	v_mul_f32_e32 v2, 0x5f7ffffc, v2
	v_mul_f32_e32 v3, 0x2f800000, v2
	v_trunc_f32_e32 v3, v3
	v_mac_f32_e32 v2, 0xcf800000, v3
	v_cvt_u32_f32_e32 v3, v3
	v_cvt_u32_f32_e32 v2, v2
	v_readfirstlane_b32 s19, v3
	v_readfirstlane_b32 s21, v2
	s_mul_i32 s22, s6, s19
	s_mul_hi_u32 s24, s6, s21
	s_mul_i32 s23, s18, s21
	s_add_i32 s22, s24, s22
	s_mul_i32 s25, s6, s21
	s_add_i32 s22, s22, s23
	s_mul_hi_u32 s24, s21, s25
	s_mul_hi_u32 s23, s21, s22
	s_mul_i32 s21, s21, s22
	s_add_u32 s21, s24, s21
	s_addc_u32 s23, 0, s23
	s_mul_hi_u32 s34, s19, s25
	s_mul_i32 s25, s19, s25
	s_add_u32 s21, s21, s25
	s_mul_hi_u32 s24, s19, s22
	s_addc_u32 s21, s23, s34
	s_addc_u32 s23, s24, 0
	s_mul_i32 s22, s19, s22
	s_add_u32 s21, s21, s22
	s_addc_u32 s22, 0, s23
	v_add_co_u32_e32 v2, vcc, s21, v2
	s_cmp_lg_u64 vcc, 0
	s_addc_u32 s19, s19, s22
	v_readfirstlane_b32 s22, v2
	s_mul_i32 s21, s6, s19
	s_mul_hi_u32 s23, s6, s22
	s_add_i32 s21, s23, s21
	s_mul_i32 s18, s18, s22
	s_add_i32 s21, s21, s18
	s_mul_i32 s6, s6, s22
	s_mul_hi_u32 s23, s19, s6
	s_mul_i32 s24, s19, s6
	s_mul_i32 s34, s22, s21
	s_mul_hi_u32 s6, s22, s6
	s_mul_hi_u32 s25, s22, s21
	s_add_u32 s6, s6, s34
	s_addc_u32 s22, 0, s25
	s_add_u32 s6, s6, s24
	s_mul_hi_u32 s18, s19, s21
	s_addc_u32 s6, s22, s23
	s_addc_u32 s18, s18, 0
	s_mul_i32 s21, s19, s21
	s_add_u32 s6, s6, s21
	s_addc_u32 s18, 0, s18
	v_add_co_u32_e32 v2, vcc, s6, v2
	s_cmp_lg_u64 vcc, 0
	s_addc_u32 s6, s19, s18
	v_readfirstlane_b32 s21, v2
	s_mul_i32 s19, s20, s6
	s_mul_hi_u32 s22, s20, s21
	s_mul_hi_u32 s18, s20, s6
	s_add_u32 s19, s22, s19
	s_addc_u32 s18, 0, s18
	s_mul_hi_u32 s23, s7, s21
	s_mul_i32 s21, s7, s21
	s_add_u32 s19, s19, s21
	s_mul_hi_u32 s22, s7, s6
	s_addc_u32 s18, s18, s23
	s_addc_u32 s19, s22, 0
	s_mul_i32 s6, s7, s6
	s_add_u32 s6, s18, s6
	s_addc_u32 s18, 0, s19
	s_mul_hi_u32 s19, s54, s6
	s_mul_i32 s6, s54, s6
	s_mul_i32 s18, s54, s18
	v_mov_b32_e32 v2, s6
	s_add_i32 s19, s19, s18
	v_sub_co_u32_e32 v2, vcc, s20, v2
	s_cmp_lg_u64 vcc, 0
	s_subb_u32 s6, s7, s19
	v_subrev_co_u32_e32 v3, vcc, s54, v2
	s_cmp_lg_u64 vcc, 0
	s_subb_u32 s18, s6, 0
	v_subrev_co_u32_e32 v4, vcc, s54, v3
	s_cmp_lg_u64 vcc, 0
	s_subb_u32 s19, s18, 0
	v_cmp_le_u32_e32 vcc, s54, v3
	s_cmp_eq_u32 s18, 0
	v_cndmask_b32_e64 v5, 0, -1, vcc
	s_cselect_b64 vcc, -1, 0
	v_cndmask_b32_e32 v5, -1, v5, vcc
	v_mov_b32_e32 v6, s18
	v_mov_b32_e32 v7, s19
	v_cmp_ne_u32_e32 vcc, 0, v5
	v_cndmask_b32_e32 v5, v6, v7, vcc
	v_cndmask_b32_e32 v4, v3, v4, vcc
	v_cmp_le_u32_e32 vcc, s54, v2
	s_cmp_eq_u32 s6, 0
	v_cndmask_b32_e64 v3, 0, -1, vcc
	s_cselect_b64 vcc, -1, 0
	v_cndmask_b32_e32 v3, -1, v3, vcc
	v_mov_b32_e32 v6, s6
	v_cmp_ne_u32_e32 vcc, 0, v3
	v_cndmask_b32_e32 v3, v6, v5, vcc
	v_cndmask_b32_e32 v2, v2, v4, vcc
	s_cbranch_execnz .LBB125_148
.LBB125_147:                            ;   in Loop: Header=BB125_25 Depth=1
	v_cvt_f32_u32_e32 v2, s54
	s_sub_i32 s6, 0, s54
	v_rcp_iflag_f32_e32 v2, v2
	v_mul_f32_e32 v2, 0x4f7ffffe, v2
	v_cvt_u32_f32_e32 v2, v2
	v_mul_lo_u32 v3, s6, v2
	v_mul_hi_u32 v3, v2, v3
	v_add_u32_e32 v2, v2, v3
	v_mul_hi_u32 v2, s20, v2
	v_mul_lo_u32 v2, v2, s54
	v_sub_u32_e32 v2, s20, v2
	v_subrev_u32_e32 v3, s54, v2
	v_cmp_le_u32_e32 vcc, s54, v2
	v_cndmask_b32_e32 v2, v2, v3, vcc
	v_subrev_u32_e32 v3, s54, v2
	v_cmp_le_u32_e32 vcc, s54, v2
	v_cndmask_b32_e32 v10, v2, v3, vcc
	v_pk_mov_b32 v[2:3], v[10:11], v[10:11] op_sel:[0,1]
.LBB125_148:                            ;   in Loop: Header=BB125_25 Depth=1
	v_mov_b32_e32 v4, s7
	v_sub_co_u32_e32 v2, vcc, s20, v2
	v_subb_co_u32_e32 v3, vcc, v4, v3, vcc
	v_cmp_gt_u64_e32 vcc, v[2:3], v[0:1]
	s_mov_b64 s[6:7], 0
                                        ; implicit-def: $vgpr21
	s_and_saveexec_b64 s[18:19], vcc
	s_cbranch_execz .LBB125_164
; %bb.149:                              ;   in Loop: Header=BB125_25 Depth=1
	s_mov_b64 s[20:21], 0
	v_mov_b32_e32 v6, v12
	v_pk_mov_b32 v[4:5], v[0:1], v[0:1] op_sel:[0,1]
                                        ; implicit-def: $sgpr22_sgpr23
	s_branch .LBB125_151
.LBB125_150:                            ;   in Loop: Header=BB125_151 Depth=2
	s_or_b64 exec, exec, s[6:7]
	s_waitcnt lgkmcnt(0)
	s_barrier
	ds_read_b64 v[20:21], v11 offset:3072
	v_mov_b32_e32 v7, s84
	v_add_co_u32_e64 v4, s[6:7], s54, v4
	v_addc_co_u32_e64 v5, s[6:7], v5, v7, s[6:7]
	s_waitcnt lgkmcnt(0)
	v_cmp_neq_f32_e32 vcc, 0, v20
	v_cmp_ge_u64_e64 s[6:7], v[4:5], v[2:3]
	s_or_b64 s[6:7], s[6:7], vcc
	s_and_b64 s[6:7], exec, s[6:7]
	s_or_b64 s[20:21], s[6:7], s[20:21]
	s_andn2_b64 s[6:7], s[22:23], exec
	s_and_b64 s[22:23], vcc, exec
	v_add_u32_e32 v6, s3, v6
	s_or_b64 s[22:23], s[6:7], s[22:23]
	s_barrier
	s_andn2_b64 exec, exec, s[20:21]
	s_cbranch_execz .LBB125_163
.LBB125_151:                            ;   Parent Loop BB125_25 Depth=1
                                        ; =>  This Inner Loop Header: Depth=2
	v_cmp_gt_u64_e32 vcc, s[8:9], v[4:5]
	s_waitcnt vmcnt(0)
	v_mov_b32_e32 v19, 0
	s_and_saveexec_b64 s[6:7], vcc
	s_cbranch_execz .LBB125_153
; %bb.152:                              ;   in Loop: Header=BB125_151 Depth=2
	ds_read_b32 v19, v6
.LBB125_153:                            ;   in Loop: Header=BB125_151 Depth=2
	s_or_b64 exec, exec, s[6:7]
	s_and_saveexec_b64 s[6:7], vcc
	s_cbranch_execz .LBB125_150
; %bb.154:                              ;   in Loop: Header=BB125_151 Depth=2
	s_waitcnt lgkmcnt(0)
	v_cmp_lt_i32_e32 vcc, -1, v19
	v_cndmask_b32_e32 v7, -1, v33, vcc
	v_xor_b32_e32 v7, v7, v19
	v_cmp_o_f32_e32 vcc, v19, v19
	v_cndmask_b32_e32 v7, -1, v7, vcc
	v_and_b32_e32 v7, s26, v7
	v_cmp_eq_u32_e32 vcc, s27, v7
	s_and_b64 exec, exec, vcc
	s_cbranch_execz .LBB125_150
; %bb.155:                              ;   in Loop: Header=BB125_151 Depth=2
	ds_write_b64 v11, v[18:19] offset:3072
	s_branch .LBB125_150
.LBB125_156:                            ;   in Loop: Header=BB125_25 Depth=1
                                        ; implicit-def: $sgpr20_sgpr21
                                        ; implicit-def: $sgpr22_sgpr23
                                        ; implicit-def: $sgpr18_sgpr19
	s_branch .LBB125_178
.LBB125_157:                            ;   in Loop: Header=BB125_25 Depth=1
                                        ; implicit-def: $vgpr2_vgpr3
	s_branch .LBB125_102
.LBB125_158:                            ;   in Loop: Header=BB125_25 Depth=1
	s_or_b64 exec, exec, s[8:9]
	s_waitcnt lgkmcnt(0)
	s_barrier
	s_mov_b64 s[6:7], exec
	v_readlane_b32 s8, v44, 16
	v_readlane_b32 s9, v44, 17
	s_and_b64 s[8:9], s[6:7], s[8:9]
	s_mov_b64 exec, s[8:9]
	s_cbranch_execz .LBB125_160
; %bb.159:                              ;   in Loop: Header=BB125_25 Depth=1
	ds_read_b32 v2, v11 offset:5144
	s_waitcnt lgkmcnt(0)
	v_ashrrev_i32_e32 v3, 31, v2
	ds_write_b64 v11, v[2:3] offset:5120
.LBB125_160:                            ;   in Loop: Header=BB125_25 Depth=1
	s_or_b64 exec, exec, s[6:7]
	s_waitcnt lgkmcnt(0)
	s_barrier
	s_mov_b64 s[6:7], -1
	s_and_b64 vcc, exec, s[64:65]
	s_cbranch_vccnz .LBB125_43
	s_branch .LBB125_53
.LBB125_161:                            ;   in Loop: Header=BB125_25 Depth=1
                                        ; implicit-def: $vgpr2_vgpr3
	s_branch .LBB125_117
.LBB125_162:                            ;   in Loop: Header=BB125_25 Depth=1
	s_mov_b64 s[20:21], -1
	s_mov_b64 s[6:7], 0
                                        ; implicit-def: $sgpr18_sgpr19
                                        ; implicit-def: $vgpr21
	s_mov_b64 s[22:23], s[20:21]
	s_cbranch_execnz .LBB125_165
	s_branch .LBB125_178
.LBB125_163:                            ;   in Loop: Header=BB125_25 Depth=1
	s_or_b64 exec, exec, s[20:21]
	s_and_b64 s[6:7], s[22:23], exec
.LBB125_164:                            ;   in Loop: Header=BB125_25 Depth=1
	s_or_b64 exec, exec, s[18:19]
	s_mov_b64 s[18:19], -1
	s_mov_b64 s[20:21], 0
	s_mov_b64 s[22:23], s[20:21]
	s_branch .LBB125_178
.LBB125_165:                            ;   in Loop: Header=BB125_25 Depth=1
	s_mov_b32 s86, s79
	s_cmp_lg_u64 s[86:87], 0
	s_cbranch_scc0 .LBB125_208
; %bb.166:                              ;   in Loop: Header=BB125_25 Depth=1
	v_cvt_f32_u32_e32 v2, s54
	s_sub_u32 s6, 0, s54
	s_subb_u32 s7, 0, 0
	v_mac_f32_e32 v2, 0, v34
	v_rcp_f32_e32 v2, v2
	v_mul_f32_e32 v2, 0x5f7ffffc, v2
	v_mul_f32_e32 v3, 0x2f800000, v2
	v_trunc_f32_e32 v3, v3
	v_mac_f32_e32 v2, 0xcf800000, v3
	v_cvt_u32_f32_e32 v3, v3
	v_cvt_u32_f32_e32 v2, v2
	v_readfirstlane_b32 s8, v3
	v_readfirstlane_b32 s9, v2
	s_mul_i32 s18, s6, s8
	s_mul_hi_u32 s20, s6, s9
	s_mul_i32 s19, s7, s9
	s_add_i32 s18, s20, s18
	s_mul_i32 s21, s6, s9
	s_add_i32 s18, s18, s19
	s_mul_hi_u32 s20, s9, s21
	s_mul_hi_u32 s19, s9, s18
	s_mul_i32 s9, s9, s18
	s_add_u32 s9, s20, s9
	s_addc_u32 s19, 0, s19
	s_mul_hi_u32 s22, s8, s21
	s_mul_i32 s21, s8, s21
	s_add_u32 s9, s9, s21
	s_mul_hi_u32 s20, s8, s18
	s_addc_u32 s9, s19, s22
	s_addc_u32 s19, s20, 0
	s_mul_i32 s18, s8, s18
	s_add_u32 s9, s9, s18
	s_addc_u32 s18, 0, s19
	v_add_co_u32_e32 v2, vcc, s9, v2
	s_cmp_lg_u64 vcc, 0
	s_addc_u32 s8, s8, s18
	v_readfirstlane_b32 s18, v2
	s_mul_i32 s9, s6, s8
	s_mul_hi_u32 s19, s6, s18
	s_add_i32 s9, s19, s9
	s_mul_i32 s7, s7, s18
	s_add_i32 s9, s9, s7
	s_mul_i32 s6, s6, s18
	s_mul_hi_u32 s19, s8, s6
	s_mul_i32 s20, s8, s6
	s_mul_i32 s22, s18, s9
	s_mul_hi_u32 s6, s18, s6
	s_mul_hi_u32 s21, s18, s9
	s_add_u32 s6, s6, s22
	s_addc_u32 s18, 0, s21
	s_add_u32 s6, s6, s20
	s_mul_hi_u32 s7, s8, s9
	s_addc_u32 s6, s18, s19
	s_addc_u32 s7, s7, 0
	s_mul_i32 s9, s8, s9
	s_add_u32 s6, s6, s9
	s_addc_u32 s7, 0, s7
	v_add_co_u32_e32 v2, vcc, s6, v2
	s_cmp_lg_u64 vcc, 0
	s_addc_u32 s6, s8, s7
	v_readfirstlane_b32 s9, v2
	s_mul_i32 s8, s85, s6
	s_mul_hi_u32 s18, s85, s9
	s_mul_hi_u32 s7, s85, s6
	s_add_u32 s8, s18, s8
	s_addc_u32 s7, 0, s7
	s_mul_hi_u32 s19, s87, s9
	s_mul_i32 s9, s87, s9
	s_add_u32 s8, s8, s9
	s_mul_hi_u32 s18, s87, s6
	s_addc_u32 s7, s7, s19
	s_addc_u32 s8, s18, 0
	s_mul_i32 s6, s87, s6
	s_add_u32 s6, s7, s6
	s_addc_u32 s7, 0, s8
	s_mul_hi_u32 s8, s54, s6
	s_mul_i32 s6, s54, s6
	s_mul_i32 s7, s54, s7
	v_mov_b32_e32 v2, s6
	s_add_i32 s8, s8, s7
	v_sub_co_u32_e32 v2, vcc, s85, v2
	s_cmp_lg_u64 vcc, 0
	s_subb_u32 s6, s87, s8
	v_subrev_co_u32_e32 v3, vcc, s54, v2
	s_cmp_lg_u64 vcc, 0
	s_subb_u32 s7, s6, 0
	v_subrev_co_u32_e32 v4, vcc, s54, v3
	s_cmp_lg_u64 vcc, 0
	s_subb_u32 s8, s7, 0
	v_cmp_le_u32_e32 vcc, s54, v3
	s_cmp_eq_u32 s7, 0
	v_cndmask_b32_e64 v5, 0, -1, vcc
	s_cselect_b64 vcc, -1, 0
	v_cndmask_b32_e32 v5, -1, v5, vcc
	v_mov_b32_e32 v6, s7
	v_mov_b32_e32 v7, s8
	v_cmp_ne_u32_e32 vcc, 0, v5
	v_cndmask_b32_e32 v5, v6, v7, vcc
	v_cndmask_b32_e32 v4, v3, v4, vcc
	v_cmp_le_u32_e32 vcc, s54, v2
	s_cmp_eq_u32 s6, 0
	v_cndmask_b32_e64 v3, 0, -1, vcc
	s_cselect_b64 vcc, -1, 0
	v_cndmask_b32_e32 v3, -1, v3, vcc
	v_mov_b32_e32 v6, s6
	v_cmp_ne_u32_e32 vcc, 0, v3
	v_cndmask_b32_e32 v3, v6, v5, vcc
	v_cndmask_b32_e32 v2, v2, v4, vcc
	s_cbranch_execnz .LBB125_168
.LBB125_167:                            ;   in Loop: Header=BB125_25 Depth=1
	v_cvt_f32_u32_e32 v2, s54
	s_sub_i32 s6, 0, s54
	v_rcp_iflag_f32_e32 v2, v2
	v_mul_f32_e32 v2, 0x4f7ffffe, v2
	v_cvt_u32_f32_e32 v2, v2
	v_mul_lo_u32 v3, s6, v2
	v_mul_hi_u32 v3, v2, v3
	v_add_u32_e32 v2, v2, v3
	v_mul_hi_u32 v2, s85, v2
	v_mul_lo_u32 v2, v2, s54
	v_sub_u32_e32 v2, s85, v2
	v_subrev_u32_e32 v3, s54, v2
	v_cmp_le_u32_e32 vcc, s54, v2
	v_cndmask_b32_e32 v2, v2, v3, vcc
	v_subrev_u32_e32 v3, s54, v2
	v_cmp_le_u32_e32 vcc, s54, v2
	v_cndmask_b32_e32 v10, v2, v3, vcc
	v_pk_mov_b32 v[2:3], v[10:11], v[10:11] op_sel:[0,1]
.LBB125_168:                            ;   in Loop: Header=BB125_25 Depth=1
	v_mov_b32_e32 v4, s87
	v_sub_co_u32_e32 v2, vcc, s85, v2
	v_subb_co_u32_e32 v3, vcc, v4, v3, vcc
	v_cmp_gt_u64_e32 vcc, v[2:3], v[0:1]
	s_mov_b64 s[6:7], 0
                                        ; implicit-def: $vgpr21
	s_and_saveexec_b64 s[8:9], vcc
	s_cbranch_execz .LBB125_177
; %bb.169:                              ;   in Loop: Header=BB125_25 Depth=1
	s_mov_b64 s[18:19], 0
	v_pk_mov_b32 v[4:5], v[0:1], v[0:1] op_sel:[0,1]
                                        ; implicit-def: $sgpr20_sgpr21
	s_branch .LBB125_171
.LBB125_170:                            ;   in Loop: Header=BB125_171 Depth=2
	s_or_b64 exec, exec, s[6:7]
	s_waitcnt lgkmcnt(0)
	s_barrier
	ds_read_b64 v[20:21], v11 offset:3072
	v_mov_b32_e32 v6, s84
	v_add_co_u32_e64 v4, s[6:7], s54, v4
	v_addc_co_u32_e64 v5, s[6:7], v5, v6, s[6:7]
	s_waitcnt lgkmcnt(0)
	v_cmp_neq_f32_e32 vcc, 0, v20
	v_cmp_ge_u64_e64 s[6:7], v[4:5], v[2:3]
	s_or_b64 s[6:7], s[6:7], vcc
	s_and_b64 s[6:7], exec, s[6:7]
	s_or_b64 s[18:19], s[6:7], s[18:19]
	s_andn2_b64 s[6:7], s[20:21], exec
	s_and_b64 s[20:21], vcc, exec
	s_or_b64 s[20:21], s[6:7], s[20:21]
	s_barrier
	s_andn2_b64 exec, exec, s[18:19]
	s_cbranch_execz .LBB125_176
.LBB125_171:                            ;   Parent Loop BB125_25 Depth=1
                                        ; =>  This Inner Loop Header: Depth=2
	v_cmp_gt_u64_e32 vcc, s[52:53], v[4:5]
	s_waitcnt vmcnt(0)
	v_mov_b32_e32 v19, 0
	s_and_saveexec_b64 s[22:23], vcc
	s_cbranch_execz .LBB125_173
; %bb.172:                              ;   in Loop: Header=BB125_171 Depth=2
	v_mul_lo_u32 v8, v5, s68
	v_mul_lo_u32 v9, v4, s69
	v_mad_u64_u32 v[6:7], s[6:7], v4, s68, 0
	v_add3_u32 v7, v7, v9, v8
	v_lshlrev_b64 v[6:7], 2, v[6:7]
	v_mov_b32_e32 v8, s55
	v_add_co_u32_e64 v6, s[6:7], s33, v6
	v_addc_co_u32_e64 v7, s[6:7], v8, v7, s[6:7]
	global_load_dword v19, v[6:7], off
.LBB125_173:                            ;   in Loop: Header=BB125_171 Depth=2
	s_or_b64 exec, exec, s[22:23]
	s_and_saveexec_b64 s[6:7], vcc
	s_cbranch_execz .LBB125_170
; %bb.174:                              ;   in Loop: Header=BB125_171 Depth=2
	s_waitcnt vmcnt(0)
	v_cmp_lt_i32_e32 vcc, -1, v19
	v_cndmask_b32_e32 v6, -1, v33, vcc
	v_xor_b32_e32 v6, v6, v19
	v_cmp_o_f32_e32 vcc, v19, v19
	v_cndmask_b32_e32 v6, -1, v6, vcc
	v_and_b32_e32 v6, s26, v6
	v_cmp_eq_u32_e32 vcc, s27, v6
	s_and_b64 exec, exec, vcc
	s_cbranch_execz .LBB125_170
; %bb.175:                              ;   in Loop: Header=BB125_171 Depth=2
	ds_write_b64 v11, v[18:19] offset:3072
	s_branch .LBB125_170
.LBB125_176:                            ;   in Loop: Header=BB125_25 Depth=1
	s_or_b64 exec, exec, s[18:19]
	s_and_b64 s[6:7], s[20:21], exec
.LBB125_177:                            ;   in Loop: Header=BB125_25 Depth=1
	s_or_b64 exec, exec, s[8:9]
	s_mov_b64 s[22:23], -1
	s_mov_b64 s[20:21], 0
	s_mov_b64 s[18:19], 0
.LBB125_178:                            ;   in Loop: Header=BB125_25 Depth=1
	s_mov_b64 s[8:9], 0
                                        ; implicit-def: $sgpr49
	s_and_saveexec_b64 s[24:25], s[6:7]
	s_cbranch_execz .LBB125_289
; %bb.179:                              ;   in Loop: Header=BB125_25 Depth=1
	s_xor_b64 s[6:7], s[30:31], -1
	s_andn2_b64 vcc, exec, s[6:7]
	s_mov_b32 s49, 1
	s_cbranch_vccnz .LBB125_190
; %bb.180:                              ;   in Loop: Header=BB125_25 Depth=1
	v_pk_mov_b32 v[2:3], s[28:29], s[28:29] op_sel:[0,1]
	v_cmp_gt_u64_e32 vcc, s[82:83], v[2:3]
	s_mov_b64 s[6:7], -1
                                        ; implicit-def: $sgpr49
                                        ; implicit-def: $sgpr8
                                        ; implicit-def: $sgpr9
	s_cbranch_vccnz .LBB125_186
; %bb.181:                              ;   in Loop: Header=BB125_25 Depth=1
	ds_read_b64 v[2:3], v11 offset:5120
	s_waitcnt lgkmcnt(0)
	v_cmp_ne_u64_e32 vcc, 0, v[2:3]
	s_cbranch_vccnz .LBB125_185
; %bb.182:                              ;   in Loop: Header=BB125_25 Depth=1
	s_mov_b64 s[6:7], exec
	v_readlane_b32 s8, v44, 16
	v_readlane_b32 s9, v44, 17
	s_and_b64 s[8:9], s[6:7], s[8:9]
	s_mov_b64 exec, s[8:9]
	s_cbranch_execz .LBB125_184
; %bb.183:                              ;   in Loop: Header=BB125_25 Depth=1
	v_pk_mov_b32 v[2:3], s[28:29], s[28:29] op_sel:[0,1]
	ds_write_b64 v11, v[2:3] offset:5128
.LBB125_184:                            ;   in Loop: Header=BB125_25 Depth=1
	s_or_b64 exec, exec, s[6:7]
	s_waitcnt lgkmcnt(0)
	s_barrier
.LBB125_185:                            ;   in Loop: Header=BB125_25 Depth=1
	s_lshl_b32 s6, 1, s40
	s_and_b32 s7, s27, s41
	s_or_b32 s8, s7, s6
	s_or_b32 s9, s26, s48
	s_mov_b64 s[6:7], 0
	s_mov_b32 s49, 8
.LBB125_186:                            ;   in Loop: Header=BB125_25 Depth=1
	s_andn2_b64 vcc, exec, s[6:7]
	s_cbranch_vccnz .LBB125_188
; %bb.187:                              ;   in Loop: Header=BB125_25 Depth=1
	s_sub_u32 s82, s82, s28
	s_subb_u32 s83, s83, s29
	s_mov_b64 s[6:7], -1
	s_mov_b32 s49, 0
	s_mov_b32 s8, s27
	;; [unrolled: 1-line block ×3, first 2 shown]
.LBB125_188:                            ;   in Loop: Header=BB125_25 Depth=1
	s_mov_b32 s26, s9
	s_mov_b32 s27, s8
	s_andn2_b64 vcc, exec, s[6:7]
	s_mov_b64 s[8:9], -1
	s_cbranch_vccz .LBB125_191
.LBB125_189:                            ;   in Loop: Header=BB125_25 Depth=1
                                        ; implicit-def: $sgpr30_sgpr31
                                        ; implicit-def: $sgpr34_sgpr35
                                        ; implicit-def: $sgpr28_sgpr29
	s_branch .LBB125_288
.LBB125_190:                            ;   in Loop: Header=BB125_25 Depth=1
	s_mov_b64 s[82:83], 1
	s_mov_b64 s[8:9], -1
	s_cbranch_execnz .LBB125_189
.LBB125_191:                            ;   in Loop: Header=BB125_25 Depth=1
	s_cmp_eq_u64 s[16:17], 1
	s_cselect_b64 s[6:7], -1, 0
	s_cmp_eq_u64 s[82:83], 1
	s_cselect_b64 s[8:9], -1, 0
	s_and_b64 s[38:39], s[6:7], s[8:9]
	s_mov_b64 s[6:7], -1
	s_and_b64 vcc, exec, s[38:39]
	s_cbranch_vccz .LBB125_206
; %bb.192:                              ;   in Loop: Header=BB125_25 Depth=1
	ds_read_b64 v[2:3], v11 offset:5120
	s_waitcnt lgkmcnt(0)
	s_barrier
	v_readfirstlane_b32 s8, v2
	v_readfirstlane_b32 s9, v3
	s_mov_b64 s[6:7], exec
	v_readlane_b32 s28, v44, 26
	v_readlane_b32 s29, v44, 27
	s_and_b64 s[28:29], s[6:7], s[28:29]
	s_mov_b64 exec, s[28:29]
	s_cbranch_execz .LBB125_194
; %bb.193:                              ;   in Loop: Header=BB125_25 Depth=1
	ds_write_b32 v27, v11
.LBB125_194:                            ;   in Loop: Header=BB125_25 Depth=1
	s_or_b64 exec, exec, s[6:7]
	s_lshl_b32 s6, 2, s40
	s_and_b32 s7, s27, s41
	s_or_b32 s27, s7, s6
	s_or_b32 s26, s26, s48
	s_cmp_eq_u64 s[8:9], 0
	s_waitcnt lgkmcnt(0)
	s_barrier
	s_cbranch_scc1 .LBB125_209
; %bb.195:                              ;   in Loop: Header=BB125_25 Depth=1
	v_readlane_b32 s6, v44, 32
	s_add_u32 s30, s6, s8
	v_readlane_b32 s6, v44, 33
	s_addc_u32 s7, s6, s9
	s_mov_b32 s6, s79
	s_cmp_lg_u64 s[6:7], 0
	s_cbranch_scc0 .LBB125_254
; %bb.196:                              ;   in Loop: Header=BB125_25 Depth=1
	v_cvt_f32_u32_e32 v2, s54
	s_sub_u32 s6, 0, s54
	s_subb_u32 s28, 0, 0
	v_mac_f32_e32 v2, 0, v34
	v_rcp_f32_e32 v2, v2
	v_mul_f32_e32 v2, 0x5f7ffffc, v2
	v_mul_f32_e32 v3, 0x2f800000, v2
	v_trunc_f32_e32 v3, v3
	v_mac_f32_e32 v2, 0xcf800000, v3
	v_cvt_u32_f32_e32 v3, v3
	v_cvt_u32_f32_e32 v2, v2
	v_readfirstlane_b32 s29, v3
	v_readfirstlane_b32 s31, v2
	s_mul_i32 s34, s6, s29
	s_mul_hi_u32 s36, s6, s31
	s_mul_i32 s35, s28, s31
	s_add_i32 s34, s36, s34
	s_mul_i32 s37, s6, s31
	s_add_i32 s34, s34, s35
	s_mul_hi_u32 s36, s31, s37
	s_mul_hi_u32 s35, s31, s34
	s_mul_i32 s31, s31, s34
	s_add_u32 s31, s36, s31
	s_addc_u32 s35, 0, s35
	s_mul_hi_u32 s42, s29, s37
	s_mul_i32 s37, s29, s37
	s_add_u32 s31, s31, s37
	s_mul_hi_u32 s36, s29, s34
	s_addc_u32 s31, s35, s42
	s_addc_u32 s35, s36, 0
	s_mul_i32 s34, s29, s34
	s_add_u32 s31, s31, s34
	s_addc_u32 s34, 0, s35
	v_add_co_u32_e32 v2, vcc, s31, v2
	s_cmp_lg_u64 vcc, 0
	s_addc_u32 s29, s29, s34
	v_readfirstlane_b32 s34, v2
	s_mul_i32 s31, s6, s29
	s_mul_hi_u32 s35, s6, s34
	s_add_i32 s31, s35, s31
	s_mul_i32 s28, s28, s34
	s_add_i32 s31, s31, s28
	s_mul_i32 s6, s6, s34
	s_mul_hi_u32 s35, s29, s6
	s_mul_i32 s36, s29, s6
	s_mul_i32 s42, s34, s31
	s_mul_hi_u32 s6, s34, s6
	s_mul_hi_u32 s37, s34, s31
	s_add_u32 s6, s6, s42
	s_addc_u32 s34, 0, s37
	s_add_u32 s6, s6, s36
	s_mul_hi_u32 s28, s29, s31
	s_addc_u32 s6, s34, s35
	s_addc_u32 s28, s28, 0
	s_mul_i32 s31, s29, s31
	s_add_u32 s6, s6, s31
	s_addc_u32 s28, 0, s28
	v_add_co_u32_e32 v2, vcc, s6, v2
	s_cmp_lg_u64 vcc, 0
	s_addc_u32 s6, s29, s28
	v_readfirstlane_b32 s31, v2
	s_mul_i32 s29, s30, s6
	s_mul_hi_u32 s34, s30, s31
	s_mul_hi_u32 s28, s30, s6
	s_add_u32 s29, s34, s29
	s_addc_u32 s28, 0, s28
	s_mul_hi_u32 s35, s7, s31
	s_mul_i32 s31, s7, s31
	s_add_u32 s29, s29, s31
	s_mul_hi_u32 s34, s7, s6
	s_addc_u32 s28, s28, s35
	s_addc_u32 s29, s34, 0
	s_mul_i32 s6, s7, s6
	s_add_u32 s6, s28, s6
	s_addc_u32 s28, 0, s29
	s_mul_hi_u32 s29, s54, s6
	s_mul_i32 s6, s54, s6
	s_mul_i32 s28, s54, s28
	v_mov_b32_e32 v2, s6
	s_add_i32 s29, s29, s28
	v_sub_co_u32_e32 v2, vcc, s30, v2
	s_cmp_lg_u64 vcc, 0
	s_subb_u32 s6, s7, s29
	v_subrev_co_u32_e32 v3, vcc, s54, v2
	s_cmp_lg_u64 vcc, 0
	s_subb_u32 s28, s6, 0
	v_subrev_co_u32_e32 v4, vcc, s54, v3
	s_cmp_lg_u64 vcc, 0
	s_subb_u32 s29, s28, 0
	v_cmp_le_u32_e32 vcc, s54, v3
	s_cmp_eq_u32 s28, 0
	v_cndmask_b32_e64 v5, 0, -1, vcc
	s_cselect_b64 vcc, -1, 0
	v_cndmask_b32_e32 v5, -1, v5, vcc
	v_mov_b32_e32 v6, s28
	v_mov_b32_e32 v7, s29
	v_cmp_ne_u32_e32 vcc, 0, v5
	v_cndmask_b32_e32 v5, v6, v7, vcc
	v_cndmask_b32_e32 v4, v3, v4, vcc
	v_cmp_le_u32_e32 vcc, s54, v2
	s_cmp_eq_u32 s6, 0
	v_cndmask_b32_e64 v3, 0, -1, vcc
	s_cselect_b64 vcc, -1, 0
	v_cndmask_b32_e32 v3, -1, v3, vcc
	v_mov_b32_e32 v6, s6
	v_cmp_ne_u32_e32 vcc, 0, v3
	v_cndmask_b32_e32 v3, v6, v5, vcc
	v_cndmask_b32_e32 v2, v2, v4, vcc
	s_cbranch_execnz .LBB125_198
.LBB125_197:                            ;   in Loop: Header=BB125_25 Depth=1
	v_cvt_f32_u32_e32 v2, s54
	s_sub_i32 s6, 0, s54
	v_rcp_iflag_f32_e32 v2, v2
	v_mul_f32_e32 v2, 0x4f7ffffe, v2
	v_cvt_u32_f32_e32 v2, v2
	v_mul_lo_u32 v3, s6, v2
	v_mul_hi_u32 v3, v2, v3
	v_add_u32_e32 v2, v2, v3
	v_mul_hi_u32 v2, s30, v2
	v_mul_lo_u32 v2, v2, s54
	v_sub_u32_e32 v2, s30, v2
	v_subrev_u32_e32 v3, s54, v2
	v_cmp_le_u32_e32 vcc, s54, v2
	v_cndmask_b32_e32 v2, v2, v3, vcc
	v_subrev_u32_e32 v3, s54, v2
	v_cmp_le_u32_e32 vcc, s54, v2
	v_cndmask_b32_e32 v10, v2, v3, vcc
	v_pk_mov_b32 v[2:3], v[10:11], v[10:11] op_sel:[0,1]
.LBB125_198:                            ;   in Loop: Header=BB125_25 Depth=1
	v_mov_b32_e32 v4, s7
	v_sub_co_u32_e32 v2, vcc, s30, v2
	v_subb_co_u32_e32 v3, vcc, v4, v3, vcc
	v_cmp_gt_u64_e32 vcc, v[2:3], v[0:1]
	s_mov_b64 s[6:7], 0
                                        ; implicit-def: $vgpr21
	s_and_saveexec_b64 s[28:29], vcc
	s_cbranch_execz .LBB125_211
; %bb.199:                              ;   in Loop: Header=BB125_25 Depth=1
	s_mov_b64 s[30:31], 0
	v_mov_b32_e32 v6, v12
	v_pk_mov_b32 v[4:5], v[0:1], v[0:1] op_sel:[0,1]
                                        ; implicit-def: $sgpr34_sgpr35
	s_branch .LBB125_201
.LBB125_200:                            ;   in Loop: Header=BB125_201 Depth=2
	s_or_b64 exec, exec, s[6:7]
	s_waitcnt lgkmcnt(0)
	s_barrier
	ds_read_b64 v[20:21], v11 offset:3072
	v_mov_b32_e32 v7, s84
	v_add_co_u32_e64 v4, s[6:7], s54, v4
	v_addc_co_u32_e64 v5, s[6:7], v5, v7, s[6:7]
	s_waitcnt lgkmcnt(0)
	v_cmp_neq_f32_e32 vcc, 0, v20
	v_cmp_ge_u64_e64 s[6:7], v[4:5], v[2:3]
	s_or_b64 s[6:7], s[6:7], vcc
	s_and_b64 s[6:7], exec, s[6:7]
	s_or_b64 s[30:31], s[6:7], s[30:31]
	s_andn2_b64 s[6:7], s[34:35], exec
	s_and_b64 s[34:35], vcc, exec
	v_add_u32_e32 v6, s3, v6
	s_or_b64 s[34:35], s[6:7], s[34:35]
	s_barrier
	s_andn2_b64 exec, exec, s[30:31]
	s_cbranch_execz .LBB125_210
.LBB125_201:                            ;   Parent Loop BB125_25 Depth=1
                                        ; =>  This Inner Loop Header: Depth=2
	v_cmp_gt_u64_e32 vcc, s[8:9], v[4:5]
	s_waitcnt vmcnt(0)
	v_mov_b32_e32 v19, 0
	s_and_saveexec_b64 s[6:7], vcc
	s_cbranch_execz .LBB125_203
; %bb.202:                              ;   in Loop: Header=BB125_201 Depth=2
	ds_read_b32 v19, v6
.LBB125_203:                            ;   in Loop: Header=BB125_201 Depth=2
	s_or_b64 exec, exec, s[6:7]
	s_and_saveexec_b64 s[6:7], vcc
	s_cbranch_execz .LBB125_200
; %bb.204:                              ;   in Loop: Header=BB125_201 Depth=2
	s_waitcnt lgkmcnt(0)
	v_cmp_lt_i32_e32 vcc, -1, v19
	v_cndmask_b32_e32 v7, -1, v33, vcc
	v_xor_b32_e32 v7, v7, v19
	v_cmp_o_f32_e32 vcc, v19, v19
	v_cndmask_b32_e32 v7, -1, v7, vcc
	v_and_b32_e32 v7, s26, v7
	v_cmp_eq_u32_e32 vcc, s27, v7
	s_and_b64 exec, exec, vcc
	s_cbranch_execz .LBB125_200
; %bb.205:                              ;   in Loop: Header=BB125_201 Depth=2
	ds_write_b64 v11, v[18:19] offset:3072
	s_branch .LBB125_200
.LBB125_206:                            ;   in Loop: Header=BB125_25 Depth=1
                                        ; implicit-def: $sgpr28_sgpr29
                                        ; implicit-def: $sgpr34_sgpr35
                                        ; implicit-def: $sgpr30_sgpr31
	s_branch .LBB125_225
.LBB125_207:                            ;   in Loop: Header=BB125_25 Depth=1
                                        ; implicit-def: $vgpr2_vgpr3
	s_branch .LBB125_147
.LBB125_208:                            ;   in Loop: Header=BB125_25 Depth=1
                                        ; implicit-def: $vgpr2_vgpr3
	s_branch .LBB125_167
.LBB125_209:                            ;   in Loop: Header=BB125_25 Depth=1
	s_mov_b64 s[28:29], -1
	s_mov_b64 s[6:7], 0
                                        ; implicit-def: $sgpr30_sgpr31
                                        ; implicit-def: $vgpr21
	s_mov_b64 s[34:35], s[28:29]
	s_cbranch_execnz .LBB125_212
	s_branch .LBB125_225
.LBB125_210:                            ;   in Loop: Header=BB125_25 Depth=1
	s_or_b64 exec, exec, s[30:31]
	s_and_b64 s[6:7], s[34:35], exec
.LBB125_211:                            ;   in Loop: Header=BB125_25 Depth=1
	s_or_b64 exec, exec, s[28:29]
	s_mov_b64 s[30:31], -1
	s_mov_b64 s[28:29], 0
	s_mov_b64 s[34:35], s[28:29]
	s_branch .LBB125_225
.LBB125_212:                            ;   in Loop: Header=BB125_25 Depth=1
	s_mov_b32 s86, s79
	s_cmp_lg_u64 s[86:87], 0
	s_cbranch_scc0 .LBB125_255
; %bb.213:                              ;   in Loop: Header=BB125_25 Depth=1
	v_cvt_f32_u32_e32 v2, s54
	s_sub_u32 s6, 0, s54
	s_subb_u32 s7, 0, 0
	v_mac_f32_e32 v2, 0, v34
	v_rcp_f32_e32 v2, v2
	v_mul_f32_e32 v2, 0x5f7ffffc, v2
	v_mul_f32_e32 v3, 0x2f800000, v2
	v_trunc_f32_e32 v3, v3
	v_mac_f32_e32 v2, 0xcf800000, v3
	v_cvt_u32_f32_e32 v3, v3
	v_cvt_u32_f32_e32 v2, v2
	v_readfirstlane_b32 s8, v3
	v_readfirstlane_b32 s9, v2
	s_mul_i32 s28, s6, s8
	s_mul_hi_u32 s30, s6, s9
	s_mul_i32 s29, s7, s9
	s_add_i32 s28, s30, s28
	s_mul_i32 s31, s6, s9
	s_add_i32 s28, s28, s29
	s_mul_hi_u32 s30, s9, s31
	s_mul_hi_u32 s29, s9, s28
	s_mul_i32 s9, s9, s28
	s_add_u32 s9, s30, s9
	s_addc_u32 s29, 0, s29
	s_mul_hi_u32 s34, s8, s31
	s_mul_i32 s31, s8, s31
	s_add_u32 s9, s9, s31
	s_mul_hi_u32 s30, s8, s28
	s_addc_u32 s9, s29, s34
	s_addc_u32 s29, s30, 0
	s_mul_i32 s28, s8, s28
	s_add_u32 s9, s9, s28
	s_addc_u32 s28, 0, s29
	v_add_co_u32_e32 v2, vcc, s9, v2
	s_cmp_lg_u64 vcc, 0
	s_addc_u32 s8, s8, s28
	v_readfirstlane_b32 s28, v2
	s_mul_i32 s9, s6, s8
	s_mul_hi_u32 s29, s6, s28
	s_add_i32 s9, s29, s9
	s_mul_i32 s7, s7, s28
	s_add_i32 s9, s9, s7
	s_mul_i32 s6, s6, s28
	s_mul_hi_u32 s29, s8, s6
	s_mul_i32 s30, s8, s6
	s_mul_i32 s34, s28, s9
	s_mul_hi_u32 s6, s28, s6
	s_mul_hi_u32 s31, s28, s9
	s_add_u32 s6, s6, s34
	s_addc_u32 s28, 0, s31
	s_add_u32 s6, s6, s30
	s_mul_hi_u32 s7, s8, s9
	s_addc_u32 s6, s28, s29
	s_addc_u32 s7, s7, 0
	s_mul_i32 s9, s8, s9
	s_add_u32 s6, s6, s9
	s_addc_u32 s7, 0, s7
	v_add_co_u32_e32 v2, vcc, s6, v2
	s_cmp_lg_u64 vcc, 0
	s_addc_u32 s6, s8, s7
	v_readfirstlane_b32 s9, v2
	s_mul_i32 s8, s85, s6
	s_mul_hi_u32 s28, s85, s9
	s_mul_hi_u32 s7, s85, s6
	s_add_u32 s8, s28, s8
	s_addc_u32 s7, 0, s7
	s_mul_hi_u32 s29, s87, s9
	s_mul_i32 s9, s87, s9
	s_add_u32 s8, s8, s9
	s_mul_hi_u32 s28, s87, s6
	s_addc_u32 s7, s7, s29
	s_addc_u32 s8, s28, 0
	s_mul_i32 s6, s87, s6
	s_add_u32 s6, s7, s6
	s_addc_u32 s7, 0, s8
	s_mul_hi_u32 s8, s54, s6
	s_mul_i32 s6, s54, s6
	s_mul_i32 s7, s54, s7
	v_mov_b32_e32 v2, s6
	s_add_i32 s8, s8, s7
	v_sub_co_u32_e32 v2, vcc, s85, v2
	s_cmp_lg_u64 vcc, 0
	s_subb_u32 s6, s87, s8
	v_subrev_co_u32_e32 v3, vcc, s54, v2
	s_cmp_lg_u64 vcc, 0
	s_subb_u32 s7, s6, 0
	v_subrev_co_u32_e32 v4, vcc, s54, v3
	s_cmp_lg_u64 vcc, 0
	s_subb_u32 s8, s7, 0
	v_cmp_le_u32_e32 vcc, s54, v3
	s_cmp_eq_u32 s7, 0
	v_cndmask_b32_e64 v5, 0, -1, vcc
	s_cselect_b64 vcc, -1, 0
	v_cndmask_b32_e32 v5, -1, v5, vcc
	v_mov_b32_e32 v6, s7
	v_mov_b32_e32 v7, s8
	v_cmp_ne_u32_e32 vcc, 0, v5
	v_cndmask_b32_e32 v5, v6, v7, vcc
	v_cndmask_b32_e32 v4, v3, v4, vcc
	v_cmp_le_u32_e32 vcc, s54, v2
	s_cmp_eq_u32 s6, 0
	v_cndmask_b32_e64 v3, 0, -1, vcc
	s_cselect_b64 vcc, -1, 0
	v_cndmask_b32_e32 v3, -1, v3, vcc
	v_mov_b32_e32 v6, s6
	v_cmp_ne_u32_e32 vcc, 0, v3
	v_cndmask_b32_e32 v3, v6, v5, vcc
	v_cndmask_b32_e32 v2, v2, v4, vcc
	s_cbranch_execnz .LBB125_215
.LBB125_214:                            ;   in Loop: Header=BB125_25 Depth=1
	v_cvt_f32_u32_e32 v2, s54
	s_sub_i32 s6, 0, s54
	v_rcp_iflag_f32_e32 v2, v2
	v_mul_f32_e32 v2, 0x4f7ffffe, v2
	v_cvt_u32_f32_e32 v2, v2
	v_mul_lo_u32 v3, s6, v2
	v_mul_hi_u32 v3, v2, v3
	v_add_u32_e32 v2, v2, v3
	v_mul_hi_u32 v2, s85, v2
	v_mul_lo_u32 v2, v2, s54
	v_sub_u32_e32 v2, s85, v2
	v_subrev_u32_e32 v3, s54, v2
	v_cmp_le_u32_e32 vcc, s54, v2
	v_cndmask_b32_e32 v2, v2, v3, vcc
	v_subrev_u32_e32 v3, s54, v2
	v_cmp_le_u32_e32 vcc, s54, v2
	v_cndmask_b32_e32 v10, v2, v3, vcc
	v_pk_mov_b32 v[2:3], v[10:11], v[10:11] op_sel:[0,1]
.LBB125_215:                            ;   in Loop: Header=BB125_25 Depth=1
	v_mov_b32_e32 v4, s87
	v_sub_co_u32_e32 v2, vcc, s85, v2
	v_subb_co_u32_e32 v3, vcc, v4, v3, vcc
	v_cmp_gt_u64_e32 vcc, v[2:3], v[0:1]
	s_mov_b64 s[6:7], 0
                                        ; implicit-def: $vgpr21
	s_and_saveexec_b64 s[8:9], vcc
	s_cbranch_execz .LBB125_224
; %bb.216:                              ;   in Loop: Header=BB125_25 Depth=1
	s_mov_b64 s[28:29], 0
	v_pk_mov_b32 v[4:5], v[0:1], v[0:1] op_sel:[0,1]
                                        ; implicit-def: $sgpr30_sgpr31
	s_branch .LBB125_218
.LBB125_217:                            ;   in Loop: Header=BB125_218 Depth=2
	s_or_b64 exec, exec, s[6:7]
	s_waitcnt lgkmcnt(0)
	s_barrier
	ds_read_b64 v[20:21], v11 offset:3072
	v_mov_b32_e32 v6, s84
	v_add_co_u32_e64 v4, s[6:7], s54, v4
	v_addc_co_u32_e64 v5, s[6:7], v5, v6, s[6:7]
	s_waitcnt lgkmcnt(0)
	v_cmp_neq_f32_e32 vcc, 0, v20
	v_cmp_ge_u64_e64 s[6:7], v[4:5], v[2:3]
	s_or_b64 s[6:7], s[6:7], vcc
	s_and_b64 s[6:7], exec, s[6:7]
	s_or_b64 s[28:29], s[6:7], s[28:29]
	s_andn2_b64 s[6:7], s[30:31], exec
	s_and_b64 s[30:31], vcc, exec
	s_or_b64 s[30:31], s[6:7], s[30:31]
	s_barrier
	s_andn2_b64 exec, exec, s[28:29]
	s_cbranch_execz .LBB125_223
.LBB125_218:                            ;   Parent Loop BB125_25 Depth=1
                                        ; =>  This Inner Loop Header: Depth=2
	v_cmp_gt_u64_e32 vcc, s[52:53], v[4:5]
	s_waitcnt vmcnt(0)
	v_mov_b32_e32 v19, 0
	s_and_saveexec_b64 s[34:35], vcc
	s_cbranch_execz .LBB125_220
; %bb.219:                              ;   in Loop: Header=BB125_218 Depth=2
	v_mul_lo_u32 v8, v5, s68
	v_mul_lo_u32 v9, v4, s69
	v_mad_u64_u32 v[6:7], s[6:7], v4, s68, 0
	v_add3_u32 v7, v7, v9, v8
	v_lshlrev_b64 v[6:7], 2, v[6:7]
	v_mov_b32_e32 v8, s55
	v_add_co_u32_e64 v6, s[6:7], s33, v6
	v_addc_co_u32_e64 v7, s[6:7], v8, v7, s[6:7]
	global_load_dword v19, v[6:7], off
.LBB125_220:                            ;   in Loop: Header=BB125_218 Depth=2
	s_or_b64 exec, exec, s[34:35]
	s_and_saveexec_b64 s[6:7], vcc
	s_cbranch_execz .LBB125_217
; %bb.221:                              ;   in Loop: Header=BB125_218 Depth=2
	s_waitcnt vmcnt(0)
	v_cmp_lt_i32_e32 vcc, -1, v19
	v_cndmask_b32_e32 v6, -1, v33, vcc
	v_xor_b32_e32 v6, v6, v19
	v_cmp_o_f32_e32 vcc, v19, v19
	v_cndmask_b32_e32 v6, -1, v6, vcc
	v_and_b32_e32 v6, s26, v6
	v_cmp_eq_u32_e32 vcc, s27, v6
	s_and_b64 exec, exec, vcc
	s_cbranch_execz .LBB125_217
; %bb.222:                              ;   in Loop: Header=BB125_218 Depth=2
	ds_write_b64 v11, v[18:19] offset:3072
	s_branch .LBB125_217
.LBB125_223:                            ;   in Loop: Header=BB125_25 Depth=1
	s_or_b64 exec, exec, s[28:29]
	s_and_b64 s[6:7], s[30:31], exec
.LBB125_224:                            ;   in Loop: Header=BB125_25 Depth=1
	s_or_b64 exec, exec, s[8:9]
	s_mov_b64 s[34:35], -1
	s_mov_b64 s[28:29], 0
	s_mov_b64 s[30:31], 0
.LBB125_225:                            ;   in Loop: Header=BB125_25 Depth=1
	s_mov_b64 s[8:9], 0
                                        ; implicit-def: $sgpr49
	s_and_saveexec_b64 s[36:37], s[6:7]
	s_cbranch_execz .LBB125_287
; %bb.226:                              ;   in Loop: Header=BB125_25 Depth=1
	s_xor_b64 s[6:7], s[38:39], -1
	s_andn2_b64 vcc, exec, s[6:7]
	s_mov_b32 s49, 1
	s_cbranch_vccnz .LBB125_237
; %bb.227:                              ;   in Loop: Header=BB125_25 Depth=1
	v_pk_mov_b32 v[2:3], s[16:17], s[16:17] op_sel:[0,1]
	v_cmp_gt_u64_e32 vcc, s[82:83], v[2:3]
	s_mov_b64 s[6:7], -1
                                        ; implicit-def: $sgpr49
                                        ; implicit-def: $sgpr8
                                        ; implicit-def: $sgpr9
	s_cbranch_vccnz .LBB125_233
; %bb.228:                              ;   in Loop: Header=BB125_25 Depth=1
	ds_read_b64 v[2:3], v11 offset:5120
	s_waitcnt lgkmcnt(0)
	v_cmp_ne_u64_e32 vcc, 0, v[2:3]
	s_cbranch_vccnz .LBB125_232
; %bb.229:                              ;   in Loop: Header=BB125_25 Depth=1
	s_mov_b64 s[6:7], exec
	v_readlane_b32 s8, v44, 16
	v_readlane_b32 s9, v44, 17
	s_and_b64 s[8:9], s[6:7], s[8:9]
	s_mov_b64 exec, s[8:9]
	s_cbranch_execz .LBB125_231
; %bb.230:                              ;   in Loop: Header=BB125_25 Depth=1
	v_pk_mov_b32 v[2:3], s[16:17], s[16:17] op_sel:[0,1]
	ds_write_b64 v11, v[2:3] offset:5128
.LBB125_231:                            ;   in Loop: Header=BB125_25 Depth=1
	s_or_b64 exec, exec, s[6:7]
	s_waitcnt lgkmcnt(0)
	s_barrier
.LBB125_232:                            ;   in Loop: Header=BB125_25 Depth=1
	s_lshl_b32 s6, 2, s40
	s_and_b32 s7, s27, s41
	s_or_b32 s8, s7, s6
	s_or_b32 s9, s26, s48
	s_mov_b64 s[6:7], 0
	s_mov_b32 s49, 8
.LBB125_233:                            ;   in Loop: Header=BB125_25 Depth=1
	s_andn2_b64 vcc, exec, s[6:7]
	s_cbranch_vccnz .LBB125_235
; %bb.234:                              ;   in Loop: Header=BB125_25 Depth=1
	s_sub_u32 s82, s82, s16
	s_subb_u32 s83, s83, s17
	s_mov_b64 s[6:7], -1
	s_mov_b32 s49, 0
	s_mov_b32 s8, s27
	s_mov_b32 s9, s26
.LBB125_235:                            ;   in Loop: Header=BB125_25 Depth=1
	s_mov_b32 s26, s9
	s_mov_b32 s27, s8
	s_andn2_b64 vcc, exec, s[6:7]
	s_mov_b64 s[44:45], -1
	s_cbranch_vccz .LBB125_238
.LBB125_236:                            ;   in Loop: Header=BB125_25 Depth=1
                                        ; implicit-def: $sgpr6_sgpr7
                                        ; implicit-def: $sgpr38_sgpr39
                                        ; implicit-def: $sgpr8_sgpr9
	s_branch .LBB125_286
.LBB125_237:                            ;   in Loop: Header=BB125_25 Depth=1
	s_mov_b64 s[82:83], 1
	s_mov_b64 s[44:45], -1
	s_cbranch_execnz .LBB125_236
.LBB125_238:                            ;   in Loop: Header=BB125_25 Depth=1
	s_cmp_eq_u64 s[10:11], 1
	s_cselect_b64 s[6:7], -1, 0
	s_cmp_eq_u64 s[82:83], 1
	s_cselect_b64 s[8:9], -1, 0
	s_and_b64 s[16:17], s[6:7], s[8:9]
	s_mov_b64 s[40:41], -1
	s_and_b64 vcc, exec, s[16:17]
	s_cbranch_vccz .LBB125_253
; %bb.239:                              ;   in Loop: Header=BB125_25 Depth=1
	ds_read_b64 v[2:3], v11 offset:5120
	s_waitcnt lgkmcnt(0)
	s_barrier
	v_readfirstlane_b32 s8, v2
	v_readfirstlane_b32 s9, v3
	s_mov_b64 s[6:7], exec
	v_readlane_b32 s38, v44, 26
	v_readlane_b32 s39, v44, 27
	s_and_b64 s[38:39], s[6:7], s[38:39]
	s_mov_b64 exec, s[38:39]
	s_cbranch_execz .LBB125_241
; %bb.240:                              ;   in Loop: Header=BB125_25 Depth=1
	ds_write_b32 v27, v11
.LBB125_241:                            ;   in Loop: Header=BB125_25 Depth=1
	s_or_b64 exec, exec, s[6:7]
	s_or_b32 s27, s27, s48
	s_or_b32 s26, s26, s48
	s_cmp_eq_u64 s[8:9], 0
	s_waitcnt lgkmcnt(0)
	s_barrier
	s_cbranch_scc1 .LBB125_256
; %bb.242:                              ;   in Loop: Header=BB125_25 Depth=1
	v_readlane_b32 s6, v44, 32
	s_add_u32 s40, s6, s8
	v_readlane_b32 s6, v44, 33
	s_addc_u32 s7, s6, s9
	s_mov_b32 s6, s79
	s_cmp_lg_u64 s[6:7], 0
	s_cbranch_scc0 .LBB125_292
; %bb.243:                              ;   in Loop: Header=BB125_25 Depth=1
	v_cvt_f32_u32_e32 v2, s54
	s_sub_u32 s6, 0, s54
	s_subb_u32 s38, 0, 0
	v_mac_f32_e32 v2, 0, v34
	v_rcp_f32_e32 v2, v2
	v_mul_f32_e32 v2, 0x5f7ffffc, v2
	v_mul_f32_e32 v3, 0x2f800000, v2
	v_trunc_f32_e32 v3, v3
	v_mac_f32_e32 v2, 0xcf800000, v3
	v_cvt_u32_f32_e32 v3, v3
	v_cvt_u32_f32_e32 v2, v2
	v_readfirstlane_b32 s39, v3
	v_readfirstlane_b32 s41, v2
	s_mul_i32 s42, s6, s39
	s_mul_hi_u32 s44, s6, s41
	s_mul_i32 s43, s38, s41
	s_add_i32 s42, s44, s42
	s_mul_i32 s45, s6, s41
	s_add_i32 s42, s42, s43
	s_mul_hi_u32 s44, s41, s45
	s_mul_hi_u32 s43, s41, s42
	s_mul_i32 s41, s41, s42
	s_add_u32 s41, s44, s41
	s_addc_u32 s43, 0, s43
	s_mul_hi_u32 s46, s39, s45
	s_mul_i32 s45, s39, s45
	s_add_u32 s41, s41, s45
	s_mul_hi_u32 s44, s39, s42
	s_addc_u32 s41, s43, s46
	s_addc_u32 s43, s44, 0
	s_mul_i32 s42, s39, s42
	s_add_u32 s41, s41, s42
	s_addc_u32 s42, 0, s43
	v_add_co_u32_e32 v2, vcc, s41, v2
	s_cmp_lg_u64 vcc, 0
	s_addc_u32 s39, s39, s42
	v_readfirstlane_b32 s42, v2
	s_mul_i32 s41, s6, s39
	s_mul_hi_u32 s43, s6, s42
	s_add_i32 s41, s43, s41
	s_mul_i32 s38, s38, s42
	s_add_i32 s41, s41, s38
	s_mul_i32 s6, s6, s42
	s_mul_hi_u32 s43, s39, s6
	s_mul_i32 s44, s39, s6
	s_mul_i32 s46, s42, s41
	s_mul_hi_u32 s6, s42, s6
	s_mul_hi_u32 s45, s42, s41
	s_add_u32 s6, s6, s46
	s_addc_u32 s42, 0, s45
	s_add_u32 s6, s6, s44
	s_mul_hi_u32 s38, s39, s41
	s_addc_u32 s6, s42, s43
	s_addc_u32 s38, s38, 0
	s_mul_i32 s41, s39, s41
	s_add_u32 s6, s6, s41
	s_addc_u32 s38, 0, s38
	v_add_co_u32_e32 v2, vcc, s6, v2
	s_cmp_lg_u64 vcc, 0
	s_addc_u32 s6, s39, s38
	v_readfirstlane_b32 s41, v2
	s_mul_i32 s39, s40, s6
	s_mul_hi_u32 s42, s40, s41
	s_mul_hi_u32 s38, s40, s6
	s_add_u32 s39, s42, s39
	s_addc_u32 s38, 0, s38
	s_mul_hi_u32 s43, s7, s41
	s_mul_i32 s41, s7, s41
	s_add_u32 s39, s39, s41
	s_mul_hi_u32 s42, s7, s6
	s_addc_u32 s38, s38, s43
	s_addc_u32 s39, s42, 0
	s_mul_i32 s6, s7, s6
	s_add_u32 s6, s38, s6
	s_addc_u32 s38, 0, s39
	s_mul_hi_u32 s39, s54, s6
	s_mul_i32 s6, s54, s6
	s_mul_i32 s38, s54, s38
	v_mov_b32_e32 v2, s6
	s_add_i32 s39, s39, s38
	v_sub_co_u32_e32 v2, vcc, s40, v2
	s_cmp_lg_u64 vcc, 0
	s_subb_u32 s6, s7, s39
	v_subrev_co_u32_e32 v3, vcc, s54, v2
	s_cmp_lg_u64 vcc, 0
	s_subb_u32 s38, s6, 0
	v_subrev_co_u32_e32 v4, vcc, s54, v3
	s_cmp_lg_u64 vcc, 0
	s_subb_u32 s39, s38, 0
	v_cmp_le_u32_e32 vcc, s54, v3
	s_cmp_eq_u32 s38, 0
	v_cndmask_b32_e64 v5, 0, -1, vcc
	s_cselect_b64 vcc, -1, 0
	v_cndmask_b32_e32 v5, -1, v5, vcc
	v_mov_b32_e32 v6, s38
	v_mov_b32_e32 v7, s39
	v_cmp_ne_u32_e32 vcc, 0, v5
	v_cndmask_b32_e32 v5, v6, v7, vcc
	v_cndmask_b32_e32 v4, v3, v4, vcc
	v_cmp_le_u32_e32 vcc, s54, v2
	s_cmp_eq_u32 s6, 0
	v_cndmask_b32_e64 v3, 0, -1, vcc
	s_cselect_b64 vcc, -1, 0
	v_cndmask_b32_e32 v3, -1, v3, vcc
	v_mov_b32_e32 v6, s6
	v_cmp_ne_u32_e32 vcc, 0, v3
	v_cndmask_b32_e32 v3, v6, v5, vcc
	v_cndmask_b32_e32 v2, v2, v4, vcc
	s_cbranch_execnz .LBB125_245
.LBB125_244:                            ;   in Loop: Header=BB125_25 Depth=1
	v_cvt_f32_u32_e32 v2, s54
	s_sub_i32 s6, 0, s54
	v_rcp_iflag_f32_e32 v2, v2
	v_mul_f32_e32 v2, 0x4f7ffffe, v2
	v_cvt_u32_f32_e32 v2, v2
	v_mul_lo_u32 v3, s6, v2
	v_mul_hi_u32 v3, v2, v3
	v_add_u32_e32 v2, v2, v3
	v_mul_hi_u32 v2, s40, v2
	v_mul_lo_u32 v2, v2, s54
	v_sub_u32_e32 v2, s40, v2
	v_subrev_u32_e32 v3, s54, v2
	v_cmp_le_u32_e32 vcc, s54, v2
	v_cndmask_b32_e32 v2, v2, v3, vcc
	v_subrev_u32_e32 v3, s54, v2
	v_cmp_le_u32_e32 vcc, s54, v2
	v_cndmask_b32_e32 v10, v2, v3, vcc
	v_pk_mov_b32 v[2:3], v[10:11], v[10:11] op_sel:[0,1]
.LBB125_245:                            ;   in Loop: Header=BB125_25 Depth=1
	v_mov_b32_e32 v4, s7
	v_sub_co_u32_e32 v2, vcc, s40, v2
	v_subb_co_u32_e32 v3, vcc, v4, v3, vcc
	v_cmp_gt_u64_e32 vcc, v[2:3], v[0:1]
	s_mov_b64 s[40:41], 0
                                        ; implicit-def: $vgpr21
	s_and_saveexec_b64 s[38:39], vcc
	s_cbranch_execz .LBB125_258
; %bb.246:                              ;   in Loop: Header=BB125_25 Depth=1
	v_mov_b32_e32 v6, v12
	v_pk_mov_b32 v[4:5], v[0:1], v[0:1] op_sel:[0,1]
                                        ; implicit-def: $sgpr42_sgpr43
	s_branch .LBB125_248
.LBB125_247:                            ;   in Loop: Header=BB125_248 Depth=2
	s_or_b64 exec, exec, s[6:7]
	s_waitcnt lgkmcnt(0)
	s_barrier
	ds_read_b64 v[20:21], v11 offset:3072
	v_mov_b32_e32 v7, s84
	v_add_co_u32_e64 v4, s[6:7], s54, v4
	v_addc_co_u32_e64 v5, s[6:7], v5, v7, s[6:7]
	s_waitcnt lgkmcnt(0)
	v_cmp_neq_f32_e32 vcc, 0, v20
	v_cmp_ge_u64_e64 s[6:7], v[4:5], v[2:3]
	s_or_b64 s[6:7], s[6:7], vcc
	s_and_b64 s[6:7], exec, s[6:7]
	s_or_b64 s[40:41], s[6:7], s[40:41]
	s_andn2_b64 s[6:7], s[42:43], exec
	s_and_b64 s[42:43], vcc, exec
	v_add_u32_e32 v6, s3, v6
	s_or_b64 s[42:43], s[6:7], s[42:43]
	s_barrier
	s_andn2_b64 exec, exec, s[40:41]
	s_cbranch_execz .LBB125_257
.LBB125_248:                            ;   Parent Loop BB125_25 Depth=1
                                        ; =>  This Inner Loop Header: Depth=2
	v_cmp_gt_u64_e32 vcc, s[8:9], v[4:5]
	s_waitcnt vmcnt(0)
	v_mov_b32_e32 v19, 0
	s_and_saveexec_b64 s[6:7], vcc
	s_cbranch_execz .LBB125_250
; %bb.249:                              ;   in Loop: Header=BB125_248 Depth=2
	ds_read_b32 v19, v6
.LBB125_250:                            ;   in Loop: Header=BB125_248 Depth=2
	s_or_b64 exec, exec, s[6:7]
	s_and_saveexec_b64 s[6:7], vcc
	s_cbranch_execz .LBB125_247
; %bb.251:                              ;   in Loop: Header=BB125_248 Depth=2
	s_waitcnt lgkmcnt(0)
	v_cmp_lt_i32_e32 vcc, -1, v19
	v_cndmask_b32_e32 v7, -1, v33, vcc
	v_xor_b32_e32 v7, v7, v19
	v_cmp_o_f32_e32 vcc, v19, v19
	v_cndmask_b32_e32 v7, -1, v7, vcc
	v_and_b32_e32 v7, s26, v7
	v_cmp_eq_u32_e32 vcc, s27, v7
	s_and_b64 exec, exec, vcc
	s_cbranch_execz .LBB125_247
; %bb.252:                              ;   in Loop: Header=BB125_248 Depth=2
	ds_write_b64 v11, v[18:19] offset:3072
	s_branch .LBB125_247
.LBB125_253:                            ;   in Loop: Header=BB125_25 Depth=1
                                        ; implicit-def: $sgpr6_sgpr7
                                        ; implicit-def: $sgpr38_sgpr39
                                        ; implicit-def: $sgpr8_sgpr9
	s_branch .LBB125_272
.LBB125_254:                            ;   in Loop: Header=BB125_25 Depth=1
                                        ; implicit-def: $vgpr2_vgpr3
	s_branch .LBB125_197
.LBB125_255:                            ;   in Loop: Header=BB125_25 Depth=1
                                        ; implicit-def: $vgpr2_vgpr3
	s_branch .LBB125_214
.LBB125_256:                            ;   in Loop: Header=BB125_25 Depth=1
	s_mov_b64 s[6:7], -1
	s_mov_b64 s[40:41], 0
                                        ; implicit-def: $sgpr8_sgpr9
                                        ; implicit-def: $vgpr21
	s_mov_b64 s[38:39], s[6:7]
	s_cbranch_execnz .LBB125_259
	s_branch .LBB125_272
.LBB125_257:                            ;   in Loop: Header=BB125_25 Depth=1
	s_or_b64 exec, exec, s[40:41]
	s_and_b64 s[40:41], s[42:43], exec
.LBB125_258:                            ;   in Loop: Header=BB125_25 Depth=1
	s_or_b64 exec, exec, s[38:39]
	s_mov_b64 s[8:9], -1
	s_mov_b64 s[6:7], 0
	s_mov_b64 s[38:39], s[6:7]
	s_branch .LBB125_272
.LBB125_259:                            ;   in Loop: Header=BB125_25 Depth=1
	s_mov_b32 s86, s79
	s_cmp_lg_u64 s[86:87], 0
	s_cbranch_scc0 .LBB125_293
; %bb.260:                              ;   in Loop: Header=BB125_25 Depth=1
	v_cvt_f32_u32_e32 v2, s54
	s_sub_u32 s6, 0, s54
	s_subb_u32 s7, 0, 0
	v_mac_f32_e32 v2, 0, v34
	v_rcp_f32_e32 v2, v2
	v_mul_f32_e32 v2, 0x5f7ffffc, v2
	v_mul_f32_e32 v3, 0x2f800000, v2
	v_trunc_f32_e32 v3, v3
	v_mac_f32_e32 v2, 0xcf800000, v3
	v_cvt_u32_f32_e32 v3, v3
	v_cvt_u32_f32_e32 v2, v2
	v_readfirstlane_b32 s8, v3
	v_readfirstlane_b32 s9, v2
	s_mul_i32 s38, s6, s8
	s_mul_hi_u32 s40, s6, s9
	s_mul_i32 s39, s7, s9
	s_add_i32 s38, s40, s38
	s_mul_i32 s41, s6, s9
	s_add_i32 s38, s38, s39
	s_mul_hi_u32 s40, s9, s41
	s_mul_hi_u32 s39, s9, s38
	s_mul_i32 s9, s9, s38
	s_add_u32 s9, s40, s9
	s_addc_u32 s39, 0, s39
	s_mul_hi_u32 s42, s8, s41
	s_mul_i32 s41, s8, s41
	s_add_u32 s9, s9, s41
	s_mul_hi_u32 s40, s8, s38
	s_addc_u32 s9, s39, s42
	s_addc_u32 s39, s40, 0
	s_mul_i32 s38, s8, s38
	s_add_u32 s9, s9, s38
	s_addc_u32 s38, 0, s39
	v_add_co_u32_e32 v2, vcc, s9, v2
	s_cmp_lg_u64 vcc, 0
	s_addc_u32 s8, s8, s38
	v_readfirstlane_b32 s38, v2
	s_mul_i32 s9, s6, s8
	s_mul_hi_u32 s39, s6, s38
	s_add_i32 s9, s39, s9
	s_mul_i32 s7, s7, s38
	s_add_i32 s9, s9, s7
	s_mul_i32 s6, s6, s38
	s_mul_hi_u32 s39, s8, s6
	s_mul_i32 s40, s8, s6
	s_mul_i32 s42, s38, s9
	s_mul_hi_u32 s6, s38, s6
	s_mul_hi_u32 s41, s38, s9
	s_add_u32 s6, s6, s42
	s_addc_u32 s38, 0, s41
	s_add_u32 s6, s6, s40
	s_mul_hi_u32 s7, s8, s9
	s_addc_u32 s6, s38, s39
	s_addc_u32 s7, s7, 0
	s_mul_i32 s9, s8, s9
	s_add_u32 s6, s6, s9
	s_addc_u32 s7, 0, s7
	v_add_co_u32_e32 v2, vcc, s6, v2
	s_cmp_lg_u64 vcc, 0
	s_addc_u32 s6, s8, s7
	v_readfirstlane_b32 s9, v2
	s_mul_i32 s8, s85, s6
	s_mul_hi_u32 s38, s85, s9
	s_mul_hi_u32 s7, s85, s6
	s_add_u32 s8, s38, s8
	s_addc_u32 s7, 0, s7
	s_mul_hi_u32 s39, s87, s9
	s_mul_i32 s9, s87, s9
	s_add_u32 s8, s8, s9
	s_mul_hi_u32 s38, s87, s6
	s_addc_u32 s7, s7, s39
	s_addc_u32 s8, s38, 0
	s_mul_i32 s6, s87, s6
	s_add_u32 s6, s7, s6
	s_addc_u32 s7, 0, s8
	s_mul_hi_u32 s8, s54, s6
	s_mul_i32 s6, s54, s6
	s_mul_i32 s7, s54, s7
	v_mov_b32_e32 v2, s6
	s_add_i32 s8, s8, s7
	v_sub_co_u32_e32 v2, vcc, s85, v2
	s_cmp_lg_u64 vcc, 0
	s_subb_u32 s6, s87, s8
	v_subrev_co_u32_e32 v3, vcc, s54, v2
	s_cmp_lg_u64 vcc, 0
	s_subb_u32 s7, s6, 0
	v_subrev_co_u32_e32 v4, vcc, s54, v3
	s_cmp_lg_u64 vcc, 0
	s_subb_u32 s8, s7, 0
	v_cmp_le_u32_e32 vcc, s54, v3
	s_cmp_eq_u32 s7, 0
	v_cndmask_b32_e64 v5, 0, -1, vcc
	s_cselect_b64 vcc, -1, 0
	v_cndmask_b32_e32 v5, -1, v5, vcc
	v_mov_b32_e32 v6, s7
	v_mov_b32_e32 v7, s8
	v_cmp_ne_u32_e32 vcc, 0, v5
	v_cndmask_b32_e32 v5, v6, v7, vcc
	v_cndmask_b32_e32 v4, v3, v4, vcc
	v_cmp_le_u32_e32 vcc, s54, v2
	s_cmp_eq_u32 s6, 0
	v_cndmask_b32_e64 v3, 0, -1, vcc
	s_cselect_b64 vcc, -1, 0
	v_cndmask_b32_e32 v3, -1, v3, vcc
	v_mov_b32_e32 v6, s6
	v_cmp_ne_u32_e32 vcc, 0, v3
	v_cndmask_b32_e32 v3, v6, v5, vcc
	v_cndmask_b32_e32 v2, v2, v4, vcc
	s_cbranch_execnz .LBB125_262
.LBB125_261:                            ;   in Loop: Header=BB125_25 Depth=1
	v_cvt_f32_u32_e32 v2, s54
	s_sub_i32 s6, 0, s54
	v_rcp_iflag_f32_e32 v2, v2
	v_mul_f32_e32 v2, 0x4f7ffffe, v2
	v_cvt_u32_f32_e32 v2, v2
	v_mul_lo_u32 v3, s6, v2
	v_mul_hi_u32 v3, v2, v3
	v_add_u32_e32 v2, v2, v3
	v_mul_hi_u32 v2, s85, v2
	v_mul_lo_u32 v2, v2, s54
	v_sub_u32_e32 v2, s85, v2
	v_subrev_u32_e32 v3, s54, v2
	v_cmp_le_u32_e32 vcc, s54, v2
	v_cndmask_b32_e32 v2, v2, v3, vcc
	v_subrev_u32_e32 v3, s54, v2
	v_cmp_le_u32_e32 vcc, s54, v2
	v_cndmask_b32_e32 v10, v2, v3, vcc
	v_pk_mov_b32 v[2:3], v[10:11], v[10:11] op_sel:[0,1]
.LBB125_262:                            ;   in Loop: Header=BB125_25 Depth=1
	v_mov_b32_e32 v4, s87
	v_sub_co_u32_e32 v2, vcc, s85, v2
	v_subb_co_u32_e32 v3, vcc, v4, v3, vcc
	v_cmp_gt_u64_e32 vcc, v[2:3], v[0:1]
	s_mov_b64 s[40:41], 0
                                        ; implicit-def: $vgpr21
	s_and_saveexec_b64 s[8:9], vcc
	s_cbranch_execz .LBB125_271
; %bb.263:                              ;   in Loop: Header=BB125_25 Depth=1
	s_mov_b64 s[38:39], 0
	v_pk_mov_b32 v[4:5], v[0:1], v[0:1] op_sel:[0,1]
                                        ; implicit-def: $sgpr40_sgpr41
	s_branch .LBB125_265
.LBB125_264:                            ;   in Loop: Header=BB125_265 Depth=2
	s_or_b64 exec, exec, s[6:7]
	s_waitcnt lgkmcnt(0)
	s_barrier
	ds_read_b64 v[20:21], v11 offset:3072
	v_mov_b32_e32 v6, s84
	v_add_co_u32_e64 v4, s[6:7], s54, v4
	v_addc_co_u32_e64 v5, s[6:7], v5, v6, s[6:7]
	s_waitcnt lgkmcnt(0)
	v_cmp_neq_f32_e32 vcc, 0, v20
	v_cmp_ge_u64_e64 s[6:7], v[4:5], v[2:3]
	s_or_b64 s[6:7], s[6:7], vcc
	s_and_b64 s[6:7], exec, s[6:7]
	s_or_b64 s[38:39], s[6:7], s[38:39]
	s_andn2_b64 s[6:7], s[40:41], exec
	s_and_b64 s[40:41], vcc, exec
	s_or_b64 s[40:41], s[6:7], s[40:41]
	s_barrier
	s_andn2_b64 exec, exec, s[38:39]
	s_cbranch_execz .LBB125_270
.LBB125_265:                            ;   Parent Loop BB125_25 Depth=1
                                        ; =>  This Inner Loop Header: Depth=2
	v_cmp_gt_u64_e32 vcc, s[52:53], v[4:5]
	s_waitcnt vmcnt(0)
	v_mov_b32_e32 v19, 0
	s_and_saveexec_b64 s[42:43], vcc
	s_cbranch_execz .LBB125_267
; %bb.266:                              ;   in Loop: Header=BB125_265 Depth=2
	v_mul_lo_u32 v8, v5, s68
	v_mul_lo_u32 v9, v4, s69
	v_mad_u64_u32 v[6:7], s[6:7], v4, s68, 0
	v_add3_u32 v7, v7, v9, v8
	v_lshlrev_b64 v[6:7], 2, v[6:7]
	v_mov_b32_e32 v8, s55
	v_add_co_u32_e64 v6, s[6:7], s33, v6
	v_addc_co_u32_e64 v7, s[6:7], v8, v7, s[6:7]
	global_load_dword v19, v[6:7], off
.LBB125_267:                            ;   in Loop: Header=BB125_265 Depth=2
	s_or_b64 exec, exec, s[42:43]
	s_and_saveexec_b64 s[6:7], vcc
	s_cbranch_execz .LBB125_264
; %bb.268:                              ;   in Loop: Header=BB125_265 Depth=2
	s_waitcnt vmcnt(0)
	v_cmp_lt_i32_e32 vcc, -1, v19
	v_cndmask_b32_e32 v6, -1, v33, vcc
	v_xor_b32_e32 v6, v6, v19
	v_cmp_o_f32_e32 vcc, v19, v19
	v_cndmask_b32_e32 v6, -1, v6, vcc
	v_and_b32_e32 v6, s26, v6
	v_cmp_eq_u32_e32 vcc, s27, v6
	s_and_b64 exec, exec, vcc
	s_cbranch_execz .LBB125_264
; %bb.269:                              ;   in Loop: Header=BB125_265 Depth=2
	ds_write_b64 v11, v[18:19] offset:3072
	s_branch .LBB125_264
.LBB125_270:                            ;   in Loop: Header=BB125_25 Depth=1
	s_or_b64 exec, exec, s[38:39]
	s_and_b64 s[40:41], s[40:41], exec
.LBB125_271:                            ;   in Loop: Header=BB125_25 Depth=1
	s_or_b64 exec, exec, s[8:9]
	s_mov_b64 s[38:39], -1
	s_mov_b64 s[6:7], 0
	s_mov_b64 s[8:9], 0
.LBB125_272:                            ;   in Loop: Header=BB125_25 Depth=1
	s_mov_b64 s[44:45], 0
                                        ; implicit-def: $sgpr49
                                        ; implicit-def: $sgpr46_sgpr47
	s_and_saveexec_b64 s[42:43], s[40:41]
	s_cbranch_execz .LBB125_285
; %bb.273:                              ;   in Loop: Header=BB125_25 Depth=1
	s_xor_b64 s[16:17], s[16:17], -1
	s_mov_b64 s[46:47], 1
	s_andn2_b64 vcc, exec, s[16:17]
	s_mov_b32 s49, 1
	s_cbranch_vccnz .LBB125_284
; %bb.274:                              ;   in Loop: Header=BB125_25 Depth=1
	v_pk_mov_b32 v[2:3], s[10:11], s[10:11] op_sel:[0,1]
	v_cmp_gt_u64_e32 vcc, s[82:83], v[2:3]
	s_cbranch_vccnz .LBB125_280
; %bb.275:                              ;   in Loop: Header=BB125_25 Depth=1
	ds_read_b64 v[2:3], v11 offset:5120
	s_waitcnt lgkmcnt(0)
	v_cmp_ne_u64_e32 vcc, 0, v[2:3]
	s_cbranch_vccnz .LBB125_279
; %bb.276:                              ;   in Loop: Header=BB125_25 Depth=1
	s_mov_b64 s[16:17], exec
	v_readlane_b32 s40, v44, 16
	v_readlane_b32 s41, v44, 17
	s_and_b64 s[40:41], s[16:17], s[40:41]
	s_mov_b64 exec, s[40:41]
	s_cbranch_execz .LBB125_278
; %bb.277:                              ;   in Loop: Header=BB125_25 Depth=1
	v_pk_mov_b32 v[2:3], s[10:11], s[10:11] op_sel:[0,1]
	ds_write_b64 v11, v[2:3] offset:5128
.LBB125_278:                            ;   in Loop: Header=BB125_25 Depth=1
	s_or_b64 exec, exec, s[16:17]
	s_waitcnt lgkmcnt(0)
	s_barrier
.LBB125_279:                            ;   in Loop: Header=BB125_25 Depth=1
	s_or_b32 s40, s27, s48
	s_or_b32 s41, s26, s48
	s_mov_b64 s[16:17], 0
	s_mov_b32 s49, 8
	s_branch .LBB125_281
.LBB125_280:                            ;   in Loop: Header=BB125_25 Depth=1
	s_mov_b64 s[16:17], -1
                                        ; implicit-def: $sgpr49
                                        ; implicit-def: $sgpr40
                                        ; implicit-def: $sgpr41
.LBB125_281:                            ;   in Loop: Header=BB125_25 Depth=1
	s_andn2_b64 vcc, exec, s[16:17]
	s_cbranch_vccnz .LBB125_283
; %bb.282:                              ;   in Loop: Header=BB125_25 Depth=1
	s_sub_u32 s82, s82, s10
	s_subb_u32 s83, s83, s11
	s_mov_b32 s49, 8
	s_mov_b32 s40, s27
	;; [unrolled: 1-line block ×3, first 2 shown]
.LBB125_283:                            ;   in Loop: Header=BB125_25 Depth=1
	s_mov_b64 s[46:47], s[82:83]
	s_mov_b32 s27, s40
	s_mov_b32 s26, s41
.LBB125_284:                            ;   in Loop: Header=BB125_25 Depth=1
	s_mov_b64 s[44:45], exec
.LBB125_285:                            ;   in Loop: Header=BB125_25 Depth=1
	s_or_b64 exec, exec, s[42:43]
	s_mov_b64 s[82:83], s[46:47]
.LBB125_286:                            ;   in Loop: Header=BB125_25 Depth=1
	s_andn2_b64 s[10:11], s[28:29], exec
	s_and_b64 s[6:7], s[6:7], exec
	s_or_b64 s[28:29], s[10:11], s[6:7]
	s_andn2_b64 s[6:7], s[34:35], exec
	s_and_b64 s[10:11], s[38:39], exec
	s_or_b64 s[34:35], s[6:7], s[10:11]
	;; [unrolled: 3-line block ×3, first 2 shown]
	s_and_b64 s[8:9], s[44:45], exec
.LBB125_287:                            ;   in Loop: Header=BB125_25 Depth=1
	s_or_b64 exec, exec, s[36:37]
.LBB125_288:                            ;   in Loop: Header=BB125_25 Depth=1
	s_andn2_b64 s[6:7], s[20:21], exec
	s_and_b64 s[10:11], s[28:29], exec
	s_or_b64 s[20:21], s[6:7], s[10:11]
	s_andn2_b64 s[6:7], s[22:23], exec
	s_and_b64 s[10:11], s[34:35], exec
	s_or_b64 s[22:23], s[6:7], s[10:11]
	;; [unrolled: 3-line block ×3, first 2 shown]
	s_and_b64 s[8:9], s[8:9], exec
.LBB125_289:                            ;   in Loop: Header=BB125_25 Depth=1
	s_or_b64 exec, exec, s[24:25]
	s_and_saveexec_b64 s[6:7], s[8:9]
	s_xor_b64 s[6:7], exec, s[6:7]
	s_cbranch_execz .LBB125_23
.LBB125_290:                            ;   in Loop: Header=BB125_25 Depth=1
	s_and_b32 s8, s49, -9
	s_cmp_eq_u32 s8, 0
	s_cbranch_scc1 .LBB125_21
; %bb.291:                              ;   in Loop: Header=BB125_25 Depth=1
	s_mov_b64 s[8:9], -1
                                        ; implicit-def: $sgpr26
                                        ; implicit-def: $sgpr82_sgpr83
                                        ; implicit-def: $sgpr0
                                        ; implicit-def: $sgpr1
	s_mov_b64 s[10:11], -1
	s_branch .LBB125_22
.LBB125_292:                            ;   in Loop: Header=BB125_25 Depth=1
                                        ; implicit-def: $vgpr2_vgpr3
	s_branch .LBB125_244
.LBB125_293:                            ;   in Loop: Header=BB125_25 Depth=1
                                        ; implicit-def: $vgpr2_vgpr3
	s_branch .LBB125_261
.LBB125_294:
	s_or_b64 exec, exec, s[94:95]
	s_xor_b64 s[8:9], s[76:77], -1
	s_xor_b64 s[0:1], s[56:57], -1
	s_xor_b64 s[6:7], s[58:59], -1
	s_mov_b64 s[4:5], 0
	s_and_saveexec_b64 s[2:3], s[0:1]
	s_xor_b64 s[2:3], exec, s[2:3]
	s_cbranch_execnz .LBB125_299
; %bb.295:
	s_andn2_saveexec_b64 s[0:1], s[2:3]
	s_cbranch_execnz .LBB125_312
.LBB125_296:
	s_or_b64 exec, exec, s[0:1]
	s_and_saveexec_b64 s[0:1], s[4:5]
.LBB125_297:
	; divergent unreachable
.LBB125_298:
	s_endpgm
.LBB125_299:
	s_and_saveexec_b64 s[0:1], s[8:9]
	s_xor_b64 s[4:5], exec, s[0:1]
	s_cbranch_execz .LBB125_310
; %bb.300:
	s_and_saveexec_b64 s[0:1], s[6:7]
	s_xor_b64 s[6:7], exec, s[0:1]
; %bb.301:
	v_bfrev_b32_e32 v3, 1
	v_cmp_lt_i32_e32 vcc, -1, v2
	v_cndmask_b32_e64 v3, v3, -1, vcc
	v_xor_b32_e32 v21, v3, v2
; %bb.302:
	s_or_b64 exec, exec, s[6:7]
	v_readlane_b32 s6, v44, 6
	v_readlane_b32 s0, v44, 4
	;; [unrolled: 1-line block ×4, first 2 shown]
	s_mov_b32 s8, s0
	s_mul_i32 s0, s0, s7
	s_mul_hi_u32 s1, s8, s6
	s_add_i32 s1, s1, s0
	s_mul_i32 s0, s8, s6
	v_readlane_b32 s6, v44, 12
	v_readlane_b32 s12, v44, 22
	;; [unrolled: 1-line block ×3, first 2 shown]
	s_sub_u32 s0, s6, s0
	v_readlane_b32 s14, v44, 24
	v_readlane_b32 s15, v44, 25
	s_subb_u32 s1, 0, s1
	s_mul_i32 s6, s0, s15
	s_mul_hi_u32 s7, s0, s14
	v_readlane_b32 s13, v44, 23
	s_add_i32 s6, s7, s6
	s_mul_i32 s1, s1, s14
	s_add_i32 s1, s6, s1
	s_mul_i32 s6, s8, s13
	s_mul_hi_u32 s7, s8, s12
	s_add_i32 s7, s7, s6
	s_mul_i32 s6, s8, s12
	s_lshl_b64 s[6:7], s[6:7], 2
	v_readlane_b32 s8, v44, 10
	s_mul_i32 s0, s0, s14
	v_readlane_b32 s9, v44, 11
	s_add_u32 s6, s8, s6
	s_addc_u32 s7, s9, s7
	s_lshl_b64 s[0:1], s[0:1], 2
	s_add_u32 s0, s6, s0
	s_addc_u32 s1, s7, s1
	v_mov_b32_e32 v2, 0
	global_store_dword v2, v21, s[0:1]
	s_mov_b64 s[6:7], exec
	v_readlane_b32 s0, v44, 14
	v_readlane_b32 s1, v44, 15
	s_and_b64 s[0:1], s[6:7], s[0:1]
	s_mov_b64 exec, s[0:1]
	s_cbranch_execz .LBB125_309
; %bb.303:
	v_cmp_u_f32_e32 vcc, v21, v21
	s_mov_b64 s[8:9], 0
	v_mov_b32_e32 v4, s55
	s_xor_b64 s[12:13], vcc, -1
                                        ; implicit-def: $sgpr10_sgpr11
                                        ; implicit-def: $sgpr16_sgpr17
                                        ; implicit-def: $sgpr14_sgpr15
	s_branch .LBB125_305
.LBB125_304:                            ;   in Loop: Header=BB125_305 Depth=1
	s_or_b64 exec, exec, s[0:1]
	s_and_b64 s[0:1], exec, s[16:17]
	s_or_b64 s[8:9], s[0:1], s[8:9]
	s_andn2_b64 s[0:1], s[10:11], exec
	s_and_b64 s[10:11], s[14:15], exec
	s_or_b64 s[10:11], s[0:1], s[10:11]
	s_andn2_b64 exec, exec, s[8:9]
	s_cbranch_execz .LBB125_307
.LBB125_305:                            ; =>This Inner Loop Header: Depth=1
	v_pk_mov_b32 v[2:3], v[0:1], v[0:1] op_sel:[0,1]
	v_mul_lo_u32 v5, v3, s68
	v_mul_lo_u32 v6, v2, s69
	v_mad_u64_u32 v[0:1], s[0:1], v2, s68, 0
	v_add3_u32 v1, v1, v6, v5
	v_lshlrev_b64 v[0:1], 2, v[0:1]
	v_add_co_u32_e32 v0, vcc, s33, v0
	v_addc_co_u32_e32 v1, vcc, v4, v1, vcc
	global_load_dword v0, v[0:1], off
	s_or_b64 s[14:15], s[14:15], exec
	s_or_b64 s[16:17], s[16:17], exec
	s_waitcnt vmcnt(0)
	v_cmp_o_f32_e64 s[0:1], v0, v0
	v_cmp_neq_f32_e32 vcc, v0, v21
	s_or_b64 s[0:1], s[0:1], s[12:13]
	s_and_b64 s[18:19], vcc, s[0:1]
                                        ; implicit-def: $vgpr0_vgpr1
	s_and_saveexec_b64 s[0:1], s[18:19]
	s_cbranch_execz .LBB125_304
; %bb.306:                              ;   in Loop: Header=BB125_305 Depth=1
	v_mov_b32_e32 v1, s84
	v_add_co_u32_e32 v0, vcc, s54, v2
	v_addc_co_u32_e32 v1, vcc, v3, v1, vcc
	v_cmp_le_u64_e32 vcc, s[52:53], v[0:1]
	s_andn2_b64 s[16:17], s[16:17], exec
	s_and_b64 s[18:19], vcc, exec
	s_andn2_b64 s[14:15], s[14:15], exec
	s_or_b64 s[16:17], s[16:17], s[18:19]
	s_branch .LBB125_304
.LBB125_307:
	s_or_b64 exec, exec, s[8:9]
	s_and_saveexec_b64 s[0:1], s[10:11]
	s_xor_b64 s[0:1], exec, s[0:1]
	s_cbranch_execz .LBB125_309
; %bb.308:
	v_readlane_b32 s8, v44, 0
	v_readlane_b32 s0, v44, 2
	;; [unrolled: 1-line block ×4, first 2 shown]
	s_mov_b32 s10, s0
	s_mul_i32 s0, s0, s9
	s_mul_hi_u32 s1, s10, s8
	s_add_i32 s1, s1, s0
	s_mul_i32 s0, s10, s8
	v_readlane_b32 s8, v44, 12
	v_readlane_b32 s12, v44, 18
	;; [unrolled: 1-line block ×3, first 2 shown]
	s_sub_u32 s0, s8, s0
	v_readlane_b32 s14, v44, 20
	v_readlane_b32 s15, v44, 21
	s_subb_u32 s1, 0, s1
	s_mul_i32 s8, s0, s15
	s_mul_hi_u32 s9, s0, s14
	v_readlane_b32 s13, v44, 19
	s_add_i32 s8, s9, s8
	s_mul_i32 s1, s1, s14
	s_add_i32 s1, s8, s1
	s_mul_i32 s8, s10, s13
	s_mul_hi_u32 s9, s10, s12
	s_add_i32 s9, s9, s8
	s_mul_i32 s8, s10, s12
	s_lshl_b64 s[8:9], s[8:9], 3
	v_readlane_b32 s10, v44, 8
	s_mul_i32 s0, s0, s14
	v_readlane_b32 s11, v44, 9
	s_add_u32 s8, s10, s8
	s_addc_u32 s9, s11, s9
	s_lshl_b64 s[0:1], s[0:1], 3
	s_add_u32 s0, s8, s0
	s_addc_u32 s1, s9, s1
	v_mov_b32_e32 v0, 0
	global_store_dwordx2 v0, v[2:3], s[0:1]
.LBB125_309:
	s_or_b64 exec, exec, s[6:7]
.LBB125_310:
	s_or_saveexec_b64 s[0:1], s[4:5]
	s_mov_b64 s[4:5], 0
	s_xor_b64 exec, exec, s[0:1]
	s_cbranch_execnz .LBB125_313
.LBB125_311:
	s_or_b64 exec, exec, s[0:1]
	s_and_b64 s[4:5], s[4:5], exec
	s_andn2_saveexec_b64 s[0:1], s[2:3]
	s_cbranch_execz .LBB125_296
.LBB125_312:
	s_or_b64 s[4:5], s[4:5], exec
	s_trap 2
	s_or_b64 exec, exec, s[0:1]
	s_and_saveexec_b64 s[0:1], s[4:5]
	s_cbranch_execnz .LBB125_297
	s_branch .LBB125_298
.LBB125_313:
	s_mov_b64 s[4:5], exec
	s_trap 2
	s_branch .LBB125_311
	.section	.rodata,"a",@progbits
	.p2align	6, 0x0
	.amdhsa_kernel _ZN2at6native12_GLOBAL__N_112gatherMedianIfmLi2EEEvNS_4cuda6detail10TensorInfoIT_T0_EENS5_IlS7_EENS5_IKS6_S7_EES7_S7_S7_b
		.amdhsa_group_segment_fixed_size 5152
		.amdhsa_private_segment_fixed_size 0
		.amdhsa_kernarg_size 1536
		.amdhsa_user_sgpr_count 6
		.amdhsa_user_sgpr_private_segment_buffer 1
		.amdhsa_user_sgpr_dispatch_ptr 0
		.amdhsa_user_sgpr_queue_ptr 0
		.amdhsa_user_sgpr_kernarg_segment_ptr 1
		.amdhsa_user_sgpr_dispatch_id 0
		.amdhsa_user_sgpr_flat_scratch_init 0
		.amdhsa_user_sgpr_kernarg_preload_length 0
		.amdhsa_user_sgpr_kernarg_preload_offset 0
		.amdhsa_user_sgpr_private_segment_size 0
		.amdhsa_uses_dynamic_stack 0
		.amdhsa_system_sgpr_private_segment_wavefront_offset 0
		.amdhsa_system_sgpr_workgroup_id_x 1
		.amdhsa_system_sgpr_workgroup_id_y 1
		.amdhsa_system_sgpr_workgroup_id_z 1
		.amdhsa_system_sgpr_workgroup_info 0
		.amdhsa_system_vgpr_workitem_id 0
		.amdhsa_next_free_vgpr 45
		.amdhsa_next_free_sgpr 96
		.amdhsa_accum_offset 48
		.amdhsa_reserve_vcc 1
		.amdhsa_reserve_flat_scratch 0
		.amdhsa_float_round_mode_32 0
		.amdhsa_float_round_mode_16_64 0
		.amdhsa_float_denorm_mode_32 3
		.amdhsa_float_denorm_mode_16_64 3
		.amdhsa_dx10_clamp 1
		.amdhsa_ieee_mode 1
		.amdhsa_fp16_overflow 0
		.amdhsa_tg_split 0
		.amdhsa_exception_fp_ieee_invalid_op 0
		.amdhsa_exception_fp_denorm_src 0
		.amdhsa_exception_fp_ieee_div_zero 0
		.amdhsa_exception_fp_ieee_overflow 0
		.amdhsa_exception_fp_ieee_underflow 0
		.amdhsa_exception_fp_ieee_inexact 0
		.amdhsa_exception_int_div_zero 0
	.end_amdhsa_kernel
	.section	.text._ZN2at6native12_GLOBAL__N_112gatherMedianIfmLi2EEEvNS_4cuda6detail10TensorInfoIT_T0_EENS5_IlS7_EENS5_IKS6_S7_EES7_S7_S7_b,"axG",@progbits,_ZN2at6native12_GLOBAL__N_112gatherMedianIfmLi2EEEvNS_4cuda6detail10TensorInfoIT_T0_EENS5_IlS7_EENS5_IKS6_S7_EES7_S7_S7_b,comdat
.Lfunc_end125:
	.size	_ZN2at6native12_GLOBAL__N_112gatherMedianIfmLi2EEEvNS_4cuda6detail10TensorInfoIT_T0_EENS5_IlS7_EENS5_IKS6_S7_EES7_S7_S7_b, .Lfunc_end125-_ZN2at6native12_GLOBAL__N_112gatherMedianIfmLi2EEEvNS_4cuda6detail10TensorInfoIT_T0_EENS5_IlS7_EENS5_IKS6_S7_EES7_S7_S7_b
                                        ; -- End function
	.section	.AMDGPU.csdata,"",@progbits
; Kernel info:
; codeLenInByte = 16648
; NumSgprs: 100
; NumVgprs: 45
; NumAgprs: 0
; TotalNumVgprs: 45
; ScratchSize: 0
; MemoryBound: 0
; FloatMode: 240
; IeeeMode: 1
; LDSByteSize: 5152 bytes/workgroup (compile time only)
; SGPRBlocks: 12
; VGPRBlocks: 5
; NumSGPRsForWavesPerEU: 100
; NumVGPRsForWavesPerEU: 45
; AccumOffset: 48
; Occupancy: 8
; WaveLimiterHint : 1
; COMPUTE_PGM_RSRC2:SCRATCH_EN: 0
; COMPUTE_PGM_RSRC2:USER_SGPR: 6
; COMPUTE_PGM_RSRC2:TRAP_HANDLER: 0
; COMPUTE_PGM_RSRC2:TGID_X_EN: 1
; COMPUTE_PGM_RSRC2:TGID_Y_EN: 1
; COMPUTE_PGM_RSRC2:TGID_Z_EN: 1
; COMPUTE_PGM_RSRC2:TIDIG_COMP_CNT: 0
; COMPUTE_PGM_RSRC3_GFX90A:ACCUM_OFFSET: 11
; COMPUTE_PGM_RSRC3_GFX90A:TG_SPLIT: 0
	.section	.text._ZN2at6native12_GLOBAL__N_112gatherMedianIfmLi3EEEvNS_4cuda6detail10TensorInfoIT_T0_EENS5_IlS7_EENS5_IKS6_S7_EES7_S7_S7_b,"axG",@progbits,_ZN2at6native12_GLOBAL__N_112gatherMedianIfmLi3EEEvNS_4cuda6detail10TensorInfoIT_T0_EENS5_IlS7_EENS5_IKS6_S7_EES7_S7_S7_b,comdat
	.globl	_ZN2at6native12_GLOBAL__N_112gatherMedianIfmLi3EEEvNS_4cuda6detail10TensorInfoIT_T0_EENS5_IlS7_EENS5_IKS6_S7_EES7_S7_S7_b ; -- Begin function _ZN2at6native12_GLOBAL__N_112gatherMedianIfmLi3EEEvNS_4cuda6detail10TensorInfoIT_T0_EENS5_IlS7_EENS5_IKS6_S7_EES7_S7_S7_b
	.p2align	8
	.type	_ZN2at6native12_GLOBAL__N_112gatherMedianIfmLi3EEEvNS_4cuda6detail10TensorInfoIT_T0_EENS5_IlS7_EENS5_IKS6_S7_EES7_S7_S7_b,@function
_ZN2at6native12_GLOBAL__N_112gatherMedianIfmLi3EEEvNS_4cuda6detail10TensorInfoIT_T0_EENS5_IlS7_EENS5_IKS6_S7_EES7_S7_S7_b: ; @_ZN2at6native12_GLOBAL__N_112gatherMedianIfmLi3EEEvNS_4cuda6detail10TensorInfoIT_T0_EENS5_IlS7_EENS5_IKS6_S7_EES7_S7_S7_b
; %bb.0:
	s_load_dwordx4 s[52:55], s[4:5], 0x4e0
	s_load_dwordx2 s[12:13], s[4:5], 0x500
	s_add_u32 s14, s4, 0x500
	s_addc_u32 s15, s5, 0
	s_mov_b32 s25, 0
	s_waitcnt lgkmcnt(0)
	v_mov_b32_e32 v2, s54
	s_mul_i32 s0, s13, s8
	s_add_i32 s0, s0, s7
	s_mul_i32 s0, s0, s12
	v_mov_b32_e32 v3, s55
	s_add_i32 s24, s0, s6
	v_cmp_ge_u64_e32 vcc, s[24:25], v[2:3]
	s_cbranch_vccnz .LBB126_304
; %bb.1:
	s_load_dwordx4 s[8:11], s[4:5], 0x10
	s_mov_b64 s[28:29], 0
	s_mov_b64 s[26:27], 0
	s_waitcnt lgkmcnt(0)
	v_pk_mov_b32 v[2:3], s[10:11], s[10:11] op_sel:[0,1]
	v_cmp_lt_u64_e32 vcc, s[24:25], v[2:3]
	s_cbranch_vccnz .LBB126_3
; %bb.2:
	v_cvt_f32_u32_e32 v1, s10
	s_sub_i32 s0, 0, s10
	s_mov_b32 s27, 0
	v_rcp_iflag_f32_e32 v1, v1
	v_mul_f32_e32 v1, 0x4f7ffffe, v1
	v_cvt_u32_f32_e32 v1, v1
	v_readfirstlane_b32 s1, v1
	s_mul_i32 s0, s0, s1
	s_mul_hi_u32 s0, s1, s0
	s_add_i32 s1, s1, s0
	s_mul_hi_u32 s0, s24, s1
	s_mul_i32 s2, s0, s10
	s_sub_i32 s2, s24, s2
	s_add_i32 s1, s0, 1
	s_sub_i32 s3, s2, s10
	s_cmp_ge_u32 s2, s10
	s_cselect_b32 s0, s1, s0
	s_cselect_b32 s2, s3, s2
	s_add_i32 s1, s0, 1
	s_cmp_ge_u32 s2, s10
	s_cselect_b32 s26, s1, s0
.LBB126_3:
	s_load_dwordx4 s[20:23], s[4:5], 0x1b0
                                        ; implicit-def: $vgpr44 : SGPR spill to VGPR lane
	v_pk_mov_b32 v[2:3], s[8:9], s[8:9] op_sel:[0,1]
	v_cmp_lt_u64_e32 vcc, s[26:27], v[2:3]
	s_and_b64 vcc, exec, vcc
	s_waitcnt lgkmcnt(0)
	v_writelane_b32 v44, s20, 0
	v_writelane_b32 v44, s21, 1
	;; [unrolled: 1-line block ×4, first 2 shown]
	s_cbranch_vccnz .LBB126_5
; %bb.4:
	v_cvt_f32_u32_e32 v1, s8
	s_sub_i32 s0, 0, s8
	s_load_dwordx4 s[20:23], s[4:5], 0x1b0
	v_rcp_iflag_f32_e32 v1, v1
	v_mul_f32_e32 v1, 0x4f7ffffe, v1
	v_cvt_u32_f32_e32 v1, v1
	v_readfirstlane_b32 s1, v1
	s_mul_i32 s0, s0, s1
	s_mul_hi_u32 s0, s1, s0
	s_add_i32 s1, s1, s0
	s_mul_hi_u32 s0, s26, s1
	s_mul_i32 s2, s0, s8
	s_sub_i32 s2, s26, s2
	s_add_i32 s1, s0, 1
	s_sub_i32 s3, s2, s8
	s_cmp_ge_u32 s2, s8
	s_cselect_b32 s0, s1, s0
	s_cselect_b32 s2, s3, s2
	s_add_i32 s1, s0, 1
	s_cmp_ge_u32 s2, s8
	s_cselect_b32 s28, s1, s0
.LBB126_5:
	v_writelane_b32 v44, s8, 4
	v_writelane_b32 v44, s9, 5
	;; [unrolled: 1-line block ×4, first 2 shown]
	s_waitcnt lgkmcnt(0)
	v_pk_mov_b32 v[2:3], s[22:23], s[22:23] op_sel:[0,1]
	s_mov_b64 s[0:1], 0
	v_cmp_lt_u64_e32 vcc, s[24:25], v[2:3]
	v_writelane_b32 v44, s0, 8
	v_writelane_b32 v44, s1, 9
	s_mov_b64 s[0:1], 0
	s_cbranch_vccnz .LBB126_7
; %bb.6:
	v_cvt_f32_u32_e32 v1, s22
	s_sub_i32 s0, 0, s22
	s_mov_b32 s9, 0
	v_rcp_iflag_f32_e32 v1, v1
	v_mul_f32_e32 v1, 0x4f7ffffe, v1
	v_cvt_u32_f32_e32 v1, v1
	v_readfirstlane_b32 s1, v1
	s_mul_i32 s0, s0, s1
	s_mul_hi_u32 s0, s1, s0
	s_add_i32 s1, s1, s0
	s_mul_hi_u32 s0, s24, s1
	s_mul_i32 s2, s0, s22
	s_sub_i32 s2, s24, s2
	s_add_i32 s1, s0, 1
	s_sub_i32 s3, s2, s22
	s_cmp_ge_u32 s2, s22
	s_cselect_b32 s0, s1, s0
	s_cselect_b32 s2, s3, s2
	s_add_i32 s1, s0, 1
	s_cmp_ge_u32 s2, s22
	s_cselect_b32 s8, s1, s0
	s_mov_b64 s[0:1], s[8:9]
.LBB126_7:
	s_load_dwordx2 s[76:77], s[4:5], 0x4f0
	s_load_dwordx2 s[16:17], s[4:5], 0x420
	s_mov_b64 s[18:19], s[0:1]
	s_load_dwordx4 s[0:3], s[4:5], 0x410
	s_load_dwordx4 s[8:11], s[4:5], 0x350
	v_pk_mov_b32 v[2:3], s[20:21], s[20:21] op_sel:[0,1]
	v_writelane_b32 v44, s18, 10
	v_cmp_lt_u64_e32 vcc, s[18:19], v[2:3]
	v_writelane_b32 v44, s19, 11
	s_cbranch_vccnz .LBB126_9
; %bb.8:
	s_load_dwordx4 s[20:23], s[4:5], 0x1b0
	s_waitcnt lgkmcnt(0)
	v_readlane_b32 s22, v44, 10
	v_readlane_b32 s23, v44, 11
	v_cvt_f32_u32_e32 v1, s20
	s_sub_i32 s7, 0, s20
	v_rcp_iflag_f32_e32 v1, v1
	v_mul_f32_e32 v1, 0x4f7ffffe, v1
	v_cvt_u32_f32_e32 v1, v1
	v_readfirstlane_b32 s13, v1
	s_mul_i32 s7, s7, s13
	s_mul_hi_u32 s7, s13, s7
	s_add_i32 s13, s13, s7
	s_mul_hi_u32 s7, s22, s13
	s_mul_i32 s18, s7, s20
	s_sub_i32 s18, s22, s18
	s_add_i32 s13, s7, 1
	s_sub_i32 s19, s18, s20
	s_cmp_ge_u32 s18, s20
	s_cselect_b32 s7, s13, s7
	s_cselect_b32 s18, s19, s18
	s_add_i32 s13, s7, 1
	s_cmp_ge_u32 s18, s20
	s_cselect_b32 s18, s13, s7
	v_writelane_b32 v44, s18, 8
	v_writelane_b32 v44, s19, 9
.LBB126_9:
	s_load_dwordx2 s[18:19], s[4:5], 0x340
	s_waitcnt lgkmcnt(0)
	v_pk_mov_b32 v[2:3], s[10:11], s[10:11] op_sel:[0,1]
	v_cmp_lt_u64_e32 vcc, s[24:25], v[2:3]
	s_mov_b64 s[20:21], 0
	s_mov_b64 s[22:23], 0
	s_cbranch_vccnz .LBB126_11
; %bb.10:
	v_cvt_f32_u32_e32 v1, s10
	s_sub_i32 s7, 0, s10
	s_mov_b32 s23, 0
	v_rcp_iflag_f32_e32 v1, v1
	v_mul_f32_e32 v1, 0x4f7ffffe, v1
	v_cvt_u32_f32_e32 v1, v1
	v_readfirstlane_b32 s13, v1
	s_mul_i32 s7, s7, s13
	s_mul_hi_u32 s7, s13, s7
	s_add_i32 s13, s13, s7
	s_mul_hi_u32 s7, s24, s13
	s_mul_i32 s21, s7, s10
	s_sub_i32 s21, s24, s21
	s_add_i32 s13, s7, 1
	s_sub_i32 s22, s21, s10
	s_cmp_ge_u32 s21, s10
	s_cselect_b32 s7, s13, s7
	s_cselect_b32 s21, s22, s21
	s_add_i32 s13, s7, 1
	s_cmp_ge_u32 s21, s10
	s_cselect_b32 s22, s13, s7
.LBB126_11:
	v_writelane_b32 v44, s28, 12
	v_writelane_b32 v44, s29, 13
	;; [unrolled: 1-line block ×4, first 2 shown]
	s_load_dwordx2 s[26:27], s[4:5], 0x280
	s_load_dwordx4 s[28:31], s[4:5], 0x270
	v_pk_mov_b32 v[2:3], s[8:9], s[8:9] op_sel:[0,1]
	v_cmp_lt_u64_e32 vcc, s[22:23], v[2:3]
	s_and_b64 vcc, exec, vcc
	s_waitcnt lgkmcnt(0)
	v_writelane_b32 v44, s26, 16
	v_writelane_b32 v44, s27, 17
	;; [unrolled: 1-line block ×4, first 2 shown]
	s_load_dwordx2 s[26:27], s[4:5], 0xe0
	v_writelane_b32 v44, s30, 20
	v_writelane_b32 v44, s31, 21
	s_load_dwordx4 s[28:31], s[4:5], 0xd0
	s_waitcnt lgkmcnt(0)
	v_writelane_b32 v44, s26, 22
	v_writelane_b32 v44, s27, 23
	;; [unrolled: 1-line block ×6, first 2 shown]
	s_cbranch_vccnz .LBB126_13
; %bb.12:
	v_cvt_f32_u32_e32 v1, s8
	s_sub_i32 s7, 0, s8
	v_rcp_iflag_f32_e32 v1, v1
	v_mul_f32_e32 v1, 0x4f7ffffe, v1
	v_cvt_u32_f32_e32 v1, v1
	v_readfirstlane_b32 s13, v1
	s_mul_i32 s7, s7, s13
	s_mul_hi_u32 s7, s13, s7
	s_add_i32 s13, s13, s7
	s_mul_hi_u32 s7, s22, s13
	s_mul_i32 s20, s7, s8
	s_sub_i32 s20, s22, s20
	s_add_i32 s13, s7, 1
	s_sub_i32 s21, s20, s8
	s_cmp_ge_u32 s20, s8
	s_cselect_b32 s7, s13, s7
	s_cselect_b32 s20, s21, s20
	s_add_i32 s13, s7, 1
	s_cmp_ge_u32 s20, s8
	s_cselect_b32 s20, s13, s7
.LBB126_13:
	s_load_dwordx2 s[26:27], s[4:5], 0x1a0
	s_mul_i32 s7, s22, s11
	s_mul_hi_u32 s11, s22, s10
	s_add_i32 s11, s11, s7
	s_mul_i32 s7, s22, s10
	s_waitcnt lgkmcnt(0)
	v_writelane_b32 v44, s26, 28
	v_writelane_b32 v44, s27, 29
	s_load_dwordx2 s[26:27], s[4:5], 0x0
	s_mov_b32 s10, s24
	s_sub_u32 s7, s24, s7
	s_mul_hi_u32 s13, s7, s16
	s_mul_i32 s1, s20, s1
	s_waitcnt lgkmcnt(0)
	v_writelane_b32 v44, s26, 30
	v_writelane_b32 v44, s27, 31
	;; [unrolled: 1-line block ×4, first 2 shown]
	s_subb_u32 s10, 0, s11
	s_mul_i32 s11, s7, s17
	s_add_i32 s11, s13, s11
	s_mul_i32 s10, s10, s16
	s_add_i32 s11, s11, s10
	s_mul_i32 s10, s7, s16
	s_mul_i32 s7, s20, s9
	s_mul_hi_u32 s9, s20, s8
	s_add_i32 s9, s9, s7
	s_mul_i32 s7, s20, s8
	s_sub_u32 s7, s22, s7
	s_subb_u32 s8, s23, s9
	s_mul_i32 s3, s7, s3
	s_mul_hi_u32 s9, s7, s2
	s_mul_i32 s8, s8, s2
	s_mul_i32 s2, s7, s2
	s_mul_hi_u32 s7, s20, s0
	s_add_i32 s3, s9, s3
	s_add_i32 s1, s7, s1
	s_mul_i32 s0, s20, s0
	s_add_i32 s3, s3, s8
	s_lshl_b64 s[0:1], s[0:1], 2
	s_add_u32 s7, s18, s0
	s_addc_u32 s8, s19, s1
	s_lshl_b64 s[0:1], s[2:3], 2
	s_add_u32 s2, s7, s0
	s_addc_u32 s3, s8, s1
	;; [unrolled: 3-line block ×3, first 2 shown]
	v_mov_b32_e32 v1, 0
	v_pk_mov_b32 v[2:3], 0, 0
	v_cmp_gt_u64_e64 s[0:1], s[52:53], v[0:1]
	s_mov_b64 s[2:3], exec
	v_writelane_b32 v44, s0, 34
	v_writelane_b32 v44, s1, 35
	s_and_b64 s[0:1], s[2:3], s[0:1]
	s_mov_b64 exec, s[0:1]
	s_cbranch_execz .LBB126_17
; %bb.14:
	s_load_dword s0, s[14:15], 0xc
	s_mov_b32 s1, 0
	s_mov_b64 s[8:9], 0
	v_pk_mov_b32 v[2:3], 0, 0
	v_mov_b32_e32 v6, s55
	s_waitcnt lgkmcnt(0)
	s_and_b32 s0, s0, 0xffff
	v_mov_b32_e32 v7, s1
	v_pk_mov_b32 v[4:5], v[0:1], v[0:1] op_sel:[0,1]
.LBB126_15:                             ; =>This Inner Loop Header: Depth=1
	v_mul_lo_u32 v10, v5, s76
	v_mul_lo_u32 v11, v4, s77
	v_mad_u64_u32 v[8:9], s[10:11], v4, s76, 0
	v_add3_u32 v9, v9, v11, v10
	v_lshlrev_b64 v[8:9], 2, v[8:9]
	v_add_co_u32_e32 v8, vcc, s33, v8
	v_addc_co_u32_e32 v9, vcc, v6, v9, vcc
	global_load_dword v8, v[8:9], off
	v_add_co_u32_e32 v4, vcc, s0, v4
	v_addc_co_u32_e32 v5, vcc, v5, v7, vcc
	v_cmp_le_u64_e32 vcc, s[52:53], v[4:5]
	s_or_b64 s[8:9], vcc, s[8:9]
	s_waitcnt vmcnt(0)
	v_cmp_u_f32_e32 vcc, v8, v8
	v_cndmask_b32_e64 v8, 0, 1, vcc
	v_add_co_u32_e32 v2, vcc, v2, v8
	v_addc_co_u32_e32 v3, vcc, 0, v3, vcc
	s_andn2_b64 exec, exec, s[8:9]
	s_cbranch_execnz .LBB126_15
; %bb.16:
	s_or_b64 exec, exec, s[8:9]
.LBB126_17:
	s_or_b64 exec, exec, s[2:3]
	v_cmp_eq_u32_e64 s[0:1], 0, v0
	s_mov_b64 s[8:9], exec
	v_writelane_b32 v44, s0, 36
	v_writelane_b32 v44, s1, 37
	s_and_b64 s[0:1], s[8:9], s[0:1]
	s_mov_b64 exec, s[0:1]
	s_cbranch_execz .LBB126_19
; %bb.18:
	v_mov_b32_e32 v4, 0
	v_mov_b32_e32 v5, v4
	ds_write_b64 v4, v[4:5] offset:5136
.LBB126_19:
	s_or_b64 exec, exec, s[8:9]
	s_mov_b64 s[10:11], 0
	v_cmp_ne_u64_e32 vcc, 0, v[2:3]
	s_waitcnt lgkmcnt(0)
	s_barrier
	s_and_saveexec_b64 s[8:9], vcc
	s_cbranch_execz .LBB126_24
; %bb.20:
	s_mov_b64 s[16:17], exec
.LBB126_21:                             ; =>This Inner Loop Header: Depth=1
	s_ff1_i32_b64 s0, s[16:17]
	v_readlane_b32 s2, v2, s0
	v_readlane_b32 s1, v3, s0
	s_add_u32 s10, s10, s2
	s_addc_u32 s11, s11, s1
	s_lshl_b64 s[0:1], 1, s0
	s_andn2_b64 s[16:17], s[16:17], s[0:1]
	s_cmp_lg_u64 s[16:17], 0
	s_cbranch_scc1 .LBB126_21
; %bb.22:
	v_mbcnt_lo_u32_b32 v2, exec_lo, 0
	v_mbcnt_hi_u32_b32 v2, exec_hi, v2
	v_cmp_eq_u32_e32 vcc, 0, v2
	s_and_saveexec_b64 s[0:1], vcc
	s_xor_b64 s[0:1], exec, s[0:1]
	s_cbranch_execz .LBB126_24
; %bb.23:
	v_mov_b32_e32 v4, 0
	v_pk_mov_b32 v[2:3], s[10:11], s[10:11] op_sel:[0,1]
	ds_add_u64 v4, v[2:3] offset:5136
.LBB126_24:
	s_or_b64 exec, exec, s[8:9]
	v_mov_b32_e32 v11, 0
	s_waitcnt lgkmcnt(0)
	s_barrier
	ds_read_b64 v[2:3], v11 offset:5136
	s_waitcnt lgkmcnt(0)
	v_readfirstlane_b32 s8, v2
	v_readfirstlane_b32 s9, v3
	s_mov_b64 s[10:11], exec
	v_readlane_b32 s0, v44, 36
	v_readlane_b32 s1, v44, 37
	s_and_b64 s[0:1], s[10:11], s[0:1]
	s_mov_b64 exec, s[0:1]
	s_cbranch_execz .LBB126_26
; %bb.25:
	v_mov_b32_e32 v2, 0
	v_mov_b32_e32 v4, s52
	;; [unrolled: 1-line block ×4, first 2 shown]
	ds_write_b32 v2, v2 offset:5144
	ds_write_b128 v2, v[2:5] offset:5120
.LBB126_26:
	s_or_b64 exec, exec, s[10:11]
	s_load_dword s2, s[4:5], 0x4f8
	v_cmp_lt_i64_e64 s[0:1], s[8:9], 1
	v_mbcnt_lo_u32_b32 v2, -1, 0
	v_mbcnt_hi_u32_b32 v26, -1, v2
	v_mov_b32_e32 v2, 0x300
	s_waitcnt lgkmcnt(0)
	s_bitcmp1_b32 s2, 0
	s_cselect_b64 s[2:3], -1, 0
	s_not_b64 s[4:5], s[8:9]
	s_or_b64 s[0:1], s[2:3], s[0:1]
	s_add_u32 s2, s4, s52
	s_addc_u32 s3, s5, s53
	s_lshr_b64 s[2:3], s[2:3], 1
	s_add_u32 s2, s2, 1
	s_addc_u32 s3, s3, 0
	s_and_b64 s[0:1], s[0:1], exec
	v_cmp_gt_u32_e64 s[0:1], 2, v0
	v_writelane_b32 v44, s0, 38
	v_mov_b32_e32 v3, 0
	v_writelane_b32 v44, s1, 39
	v_cmp_gt_u64_e64 s[0:1], s[52:53], v[2:3]
	v_writelane_b32 v44, s0, 40
	v_writelane_b32 v44, s1, 41
	v_mad_u64_u32 v[2:3], s[0:1], v0, s76, 0
	v_mov_b32_e32 v4, v3
	v_mad_u64_u32 v[4:5], s[0:1], v0, s77, v[4:5]
	s_barrier
	s_load_dword s0, s[14:15], 0xc
	v_cmp_gt_u32_e32 vcc, 64, v0
	v_cmp_gt_i32_e64 s[8:9], 4, v26
	s_cselect_b32 s95, s3, s53
	s_cselect_b32 s94, s2, s52
	s_and_b64 s[92:93], vcc, s[8:9]
	s_waitcnt lgkmcnt(0)
	s_and_b32 s54, s0, 0xffff
	s_bfe_u32 s1, s0, 0xa0006
	v_cmp_gt_u16_e64 s[2:3], s0, 63
	v_writelane_b32 v44, s2, 42
	s_add_u32 s0, s54, -1
	v_writelane_b32 v44, s3, 43
	s_addc_u32 s2, 0, -1
	s_add_u32 s85, s0, s52
	s_addc_u32 s83, s2, s53
	s_cmp_lt_u32 s6, s12
	v_writelane_b32 v44, s0, 44
	s_cselect_b32 s0, 12, 18
	s_add_u32 s64, s14, s0
	s_addc_u32 s65, s15, 0
	s_add_i32 s0, s1, -1
	s_bfe_u32 s3, s54, 0x30006
	v_mov_b32_e32 v3, v4
	s_cmp_gt_u32 s0, 6
	v_lshlrev_b64 v[2:3], 2, v[2:3]
	v_writelane_b32 v44, s2, 45
	s_cselect_b64 s[6:7], -1, 0
	v_add_co_u32_e32 v14, vcc, s33, v2
	v_lshrrev_b32_e32 v2, 4, v0
	v_writelane_b32 v44, s6, 46
	s_and_b32 s2, s1, 0x3f8
	v_mov_b32_e32 v28, s55
	v_and_b32_e32 v29, 60, v2
	v_lshlrev_b32_e32 v2, 2, v26
	v_writelane_b32 v44, s7, 47
	s_cmp_lg_u32 s3, 0
	v_addc_co_u32_e32 v15, vcc, v28, v3, vcc
	v_and_b32_e32 v30, 0x100, v2
	v_lshlrev_b64 v[2:3], v26, -1
	v_writelane_b32 v44, s3, 48
	s_cselect_b64 s[0:1], -1, 0
	s_mov_b32 s91, 0
	v_lshlrev_b32_e32 v12, 2, v0
	v_not_b32_e32 v16, v2
	v_writelane_b32 v44, s0, 49
	v_mov_b32_e32 v2, 0xc00
	v_mov_b32_e32 v13, 0
	v_cmp_eq_u32_e64 s[4:5], 0, v26
	v_add_u32_e32 v27, 0xc00, v12
	v_not_b32_e32 v17, v3
	s_mov_b32 s84, s91
	v_writelane_b32 v44, s1, 50
	v_lshlrev_b32_e32 v31, 4, v0
	v_lshl_or_b32 v32, v26, 3, v2
	s_lshl_b32 s3, s54, 2
	s_mov_b32 s0, 30
	s_mov_b64 s[86:87], 0
	v_mov_b32_e32 v18, 1.0
	v_bfrev_b32_e32 v33, 1
	v_mov_b32_e32 v34, 0x4f800000
	v_mov_b32_e32 v21, 0
	s_mov_b32 s1, 0
	s_mov_b32 s27, 0
	;; [unrolled: 1-line block ×3, first 2 shown]
                                        ; implicit-def: $sgpr70_sgpr71
                                        ; implicit-def: $sgpr80_sgpr81
                                        ; implicit-def: $sgpr74_sgpr75
                                        ; implicit-def: $sgpr68_sgpr69
                                        ; implicit-def: $sgpr56_sgpr57
                                        ; implicit-def: $sgpr58_sgpr59
	s_branch .LBB126_31
.LBB126_27:                             ;   in Loop: Header=BB126_31 Depth=1
	s_xor_b32 s1, s1, 1
	s_add_i32 s14, s0, -2
	s_cmp_eq_u32 s0, 0
	s_mov_b64 s[8:9], 0
	s_cselect_b64 s[10:11], -1, 0
	s_mov_b32 s0, s14
.LBB126_28:                             ;   in Loop: Header=BB126_31 Depth=1
	s_andn2_b64 s[14:15], s[20:21], exec
	s_and_b64 s[8:9], s[8:9], exec
	s_or_b64 s[20:21], s[14:15], s[8:9]
	s_andn2_b64 s[22:23], s[22:23], exec
	s_andn2_b64 s[18:19], s[18:19], exec
	s_orn2_b64 s[14:15], s[10:11], exec
.LBB126_29:                             ;   in Loop: Header=BB126_31 Depth=1
	s_or_b64 exec, exec, s[6:7]
	s_andn2_b64 s[6:7], s[58:59], exec
	s_and_b64 s[8:9], s[20:21], exec
	s_or_b64 s[58:59], s[6:7], s[8:9]
	s_andn2_b64 s[6:7], s[56:57], exec
	s_and_b64 s[8:9], s[22:23], exec
	s_or_b64 s[56:57], s[6:7], s[8:9]
	;; [unrolled: 3-line block ×3, first 2 shown]
	s_orn2_b64 s[18:19], s[14:15], exec
.LBB126_30:                             ;   in Loop: Header=BB126_31 Depth=1
	s_or_b64 exec, exec, s[12:13]
	s_and_b64 s[6:7], exec, s[18:19]
	s_or_b64 s[86:87], s[6:7], s[86:87]
	s_andn2_b64 s[6:7], s[74:75], exec
	s_and_b64 s[8:9], s[58:59], exec
	s_or_b64 s[74:75], s[6:7], s[8:9]
	s_andn2_b64 s[6:7], s[80:81], exec
	s_and_b64 s[8:9], s[56:57], exec
	;; [unrolled: 3-line block ×3, first 2 shown]
	v_mov_b32_e32 v2, s27
	s_or_b64 s[70:71], s[6:7], s[8:9]
	s_andn2_b64 exec, exec, s[86:87]
	s_cbranch_execz .LBB126_300
.LBB126_31:                             ; =>This Loop Header: Depth=1
                                        ;     Child Loop BB126_39 Depth 2
                                        ;     Child Loop BB126_54 Depth 2
	;; [unrolled: 1-line block ×16, first 2 shown]
	ds_read_b128 v[2:5], v11 offset:5120
	s_waitcnt lgkmcnt(0)
	v_readfirstlane_b32 s73, v3
	v_readfirstlane_b32 s72, v2
	s_cmp_lg_u64 s[72:73], 0
	s_cbranch_scc1 .LBB126_61
; %bb.32:                               ;   in Loop: Header=BB126_31 Depth=1
	v_readlane_b32 s6, v44, 40
	v_readlane_b32 s7, v44, 41
	s_and_b64 vcc, exec, s[6:7]
	s_cbranch_vccz .LBB126_47
; %bb.33:                               ;   in Loop: Header=BB126_31 Depth=1
	s_mov_b64 s[6:7], 0x301
	v_cmp_gt_u64_e32 vcc, s[6:7], v[4:5]
	s_mov_b64 s[72:73], 0
	s_mov_b64 s[6:7], 0
	s_cbranch_vccz .LBB126_48
; %bb.34:                               ;   in Loop: Header=BB126_31 Depth=1
	v_mov_b32_e32 v4, 0
	s_mov_b64 s[6:7], exec
	v_readlane_b32 s8, v44, 34
	v_readlane_b32 s9, v44, 35
	s_and_b64 s[8:9], s[6:7], s[8:9]
	s_mov_b64 exec, s[8:9]
	s_cbranch_execz .LBB126_36
; %bb.35:                               ;   in Loop: Header=BB126_31 Depth=1
	global_load_dword v4, v[14:15], off
.LBB126_36:                             ;   in Loop: Header=BB126_31 Depth=1
	s_or_b64 exec, exec, s[6:7]
	s_mov_b64 s[8:9], exec
	v_readlane_b32 s6, v44, 34
	v_readlane_b32 s7, v44, 35
	s_and_b64 s[6:7], s[8:9], s[6:7]
	s_mov_b64 exec, s[6:7]
	s_cbranch_execz .LBB126_164
; %bb.37:                               ;   in Loop: Header=BB126_31 Depth=1
	global_load_ushort v5, v11, s[64:65]
	s_mov_b64 s[12:13], 0
	v_pk_mov_b32 v[2:3], v[0:1], v[0:1] op_sel:[0,1]
	s_branch .LBB126_39
.LBB126_38:                             ;   in Loop: Header=BB126_39 Depth=2
	s_or_b64 exec, exec, s[6:7]
	s_waitcnt vmcnt(0)
	v_mov_b32_e32 v4, v6
	s_andn2_b64 exec, exec, s[12:13]
	s_cbranch_execz .LBB126_164
.LBB126_39:                             ;   Parent Loop BB126_31 Depth=1
                                        ; =>  This Inner Loop Header: Depth=2
	s_waitcnt vmcnt(0)
	v_add_co_u32_sdwa v2, vcc, v2, v5 dst_sel:DWORD dst_unused:UNUSED_PAD src0_sel:DWORD src1_sel:WORD_0
	v_addc_co_u32_e32 v3, vcc, 0, v3, vcc
	v_cmp_gt_u64_e64 s[6:7], s[52:53], v[2:3]
	v_cmp_le_u64_e32 vcc, s[52:53], v[2:3]
	s_waitcnt lgkmcnt(0)
	v_mov_b32_e32 v7, 0
	v_mov_b32_e32 v6, 0
	s_and_saveexec_b64 s[10:11], s[6:7]
	s_cbranch_execz .LBB126_41
; %bb.40:                               ;   in Loop: Header=BB126_39 Depth=2
	v_mul_lo_u32 v6, v3, s76
	v_mul_lo_u32 v10, v2, s77
	v_mad_u64_u32 v[8:9], s[6:7], v2, s76, 0
	v_add3_u32 v9, v9, v10, v6
	v_lshlrev_b64 v[8:9], 2, v[8:9]
	v_add_co_u32_e64 v8, s[6:7], s33, v8
	v_addc_co_u32_e64 v9, s[6:7], v28, v9, s[6:7]
	global_load_dword v6, v[8:9], off
.LBB126_41:                             ;   in Loop: Header=BB126_39 Depth=2
	s_or_b64 exec, exec, s[10:11]
	v_cmp_lt_i32_e64 s[6:7], -1, v4
	v_cndmask_b32_e64 v8, -1, v33, s[6:7]
	v_xor_b32_e32 v8, v8, v4
	v_cmp_o_f32_e64 s[6:7], v4, v4
	v_cndmask_b32_e64 v8, -1, v8, s[6:7]
	v_and_b32_e32 v8, s26, v8
	v_cmp_eq_u32_e64 s[10:11], s27, v8
	s_cmp_lg_u64 s[10:11], 0
	s_cselect_b64 s[6:7], -1, 0
	s_and_b64 s[6:7], s[4:5], s[6:7]
	s_and_saveexec_b64 s[14:15], s[6:7]
	s_cbranch_execz .LBB126_45
; %bb.42:                               ;   in Loop: Header=BB126_39 Depth=2
	s_mov_b64 s[18:19], exec
	v_mbcnt_lo_u32_b32 v7, s18, 0
	v_mbcnt_hi_u32_b32 v7, s19, v7
	s_bcnt1_i32_b64 s20, s[10:11]
	v_cmp_eq_u32_e64 s[6:7], 0, v7
                                        ; implicit-def: $vgpr8
	s_and_saveexec_b64 s[16:17], s[6:7]
	s_cbranch_execz .LBB126_44
; %bb.43:                               ;   in Loop: Header=BB126_39 Depth=2
	s_bcnt1_i32_b64 s6, s[18:19]
	s_mul_i32 s6, s20, s6
	v_mov_b32_e32 v8, s6
	ds_add_rtn_u32 v8, v11, v8 offset:5144
.LBB126_44:                             ;   in Loop: Header=BB126_39 Depth=2
	s_or_b64 exec, exec, s[16:17]
	s_waitcnt lgkmcnt(0)
	v_readfirstlane_b32 s6, v8
	v_mov_b32_e32 v8, s6
	v_mad_u32_u24 v7, s20, v7, v8
.LBB126_45:                             ;   in Loop: Header=BB126_39 Depth=2
	s_or_b64 exec, exec, s[14:15]
	ds_bpermute_b32 v7, v30, v7
	s_and_b64 s[6:7], exec, vcc
	s_or_b64 s[12:13], s[6:7], s[12:13]
	s_and_saveexec_b64 s[6:7], s[10:11]
	s_cbranch_execz .LBB126_38
; %bb.46:                               ;   in Loop: Header=BB126_39 Depth=2
	v_and_b32_e32 v9, s10, v16
	v_and_b32_e32 v8, s11, v17
	v_bcnt_u32_b32 v9, v9, 0
	v_bcnt_u32_b32 v8, v8, v9
	v_lshlrev_b32_e32 v8, 2, v8
	s_waitcnt lgkmcnt(0)
	v_lshl_add_u32 v7, v7, 2, v8
	ds_write_b32 v7, v4
	s_branch .LBB126_38
.LBB126_47:                             ;   in Loop: Header=BB126_31 Depth=1
	s_mov_b64 s[72:73], -1
	s_mov_b64 s[6:7], 0
.LBB126_48:                             ;   in Loop: Header=BB126_31 Depth=1
	s_and_b64 vcc, exec, s[72:73]
	s_cbranch_vccz .LBB126_59
.LBB126_49:                             ;   in Loop: Header=BB126_31 Depth=1
	s_waitcnt vmcnt(0)
	v_mov_b32_e32 v4, 0
	s_mov_b64 s[6:7], exec
	v_readlane_b32 s8, v44, 34
	v_readlane_b32 s9, v44, 35
	s_and_b64 s[8:9], s[6:7], s[8:9]
	s_mov_b64 exec, s[8:9]
	s_cbranch_execz .LBB126_51
; %bb.50:                               ;   in Loop: Header=BB126_31 Depth=1
	global_load_dword v4, v[14:15], off
.LBB126_51:                             ;   in Loop: Header=BB126_31 Depth=1
	s_or_b64 exec, exec, s[6:7]
	s_mov_b64 s[8:9], exec
	v_readlane_b32 s6, v44, 34
	v_readlane_b32 s7, v44, 35
	s_and_b64 s[6:7], s[8:9], s[6:7]
	s_mov_b64 exec, s[6:7]
	s_cbranch_execz .LBB126_56
; %bb.52:                               ;   in Loop: Header=BB126_31 Depth=1
	global_load_ushort v2, v11, s[64:65]
	s_mov_b64 s[10:11], 0
	v_mov_b32_e32 v5, v12
	s_waitcnt vmcnt(0)
	v_and_b32_e32 v6, 0xffff, v2
	v_lshlrev_b32_e32 v7, 2, v6
	v_pk_mov_b32 v[2:3], v[0:1], v[0:1] op_sel:[0,1]
	s_branch .LBB126_54
.LBB126_53:                             ;   in Loop: Header=BB126_54 Depth=2
	s_or_b64 exec, exec, s[12:13]
	s_and_b64 s[6:7], exec, vcc
	s_or_b64 s[10:11], s[6:7], s[10:11]
	ds_write_b32 v5, v4
	v_add_u32_e32 v5, v5, v7
	s_waitcnt vmcnt(0)
	v_mov_b32_e32 v4, v8
	s_andn2_b64 exec, exec, s[10:11]
	s_cbranch_execz .LBB126_56
.LBB126_54:                             ;   Parent Loop BB126_31 Depth=1
                                        ; =>  This Inner Loop Header: Depth=2
	v_add_co_u32_e32 v2, vcc, v2, v6
	v_addc_co_u32_e32 v3, vcc, 0, v3, vcc
	v_cmp_gt_u64_e64 s[6:7], s[52:53], v[2:3]
	v_cmp_le_u64_e32 vcc, s[52:53], v[2:3]
	v_mov_b32_e32 v8, 0
	s_and_saveexec_b64 s[12:13], s[6:7]
	s_cbranch_execz .LBB126_53
; %bb.55:                               ;   in Loop: Header=BB126_54 Depth=2
	v_mul_lo_u32 v10, v3, s76
	v_mul_lo_u32 v19, v2, s77
	v_mad_u64_u32 v[8:9], s[6:7], v2, s76, 0
	v_add3_u32 v9, v9, v19, v10
	v_lshlrev_b64 v[8:9], 2, v[8:9]
	v_mov_b32_e32 v10, s55
	v_add_co_u32_e64 v8, s[6:7], s33, v8
	v_addc_co_u32_e64 v9, s[6:7], v10, v9, s[6:7]
	global_load_dword v8, v[8:9], off
	s_branch .LBB126_53
.LBB126_56:                             ;   in Loop: Header=BB126_31 Depth=1
	s_or_b64 exec, exec, s[8:9]
	s_waitcnt lgkmcnt(0)
	s_barrier
	s_mov_b64 s[6:7], exec
	v_readlane_b32 s8, v44, 36
	v_readlane_b32 s9, v44, 37
	s_and_b64 s[8:9], s[6:7], s[8:9]
	s_mov_b64 exec, s[8:9]
	s_cbranch_execz .LBB126_58
; %bb.57:                               ;   in Loop: Header=BB126_31 Depth=1
	v_pk_mov_b32 v[2:3], s[52:53], s[52:53] op_sel:[0,1]
	ds_write_b64 v11, v[2:3] offset:5120
.LBB126_58:                             ;   in Loop: Header=BB126_31 Depth=1
	s_or_b64 exec, exec, s[6:7]
	s_mov_b64 s[6:7], -1
	s_waitcnt lgkmcnt(0)
	s_barrier
                                        ; implicit-def: $sgpr72_sgpr73
.LBB126_59:                             ;   in Loop: Header=BB126_31 Depth=1
	s_and_b64 vcc, exec, s[6:7]
	s_cbranch_vccz .LBB126_61
; %bb.60:                               ;   in Loop: Header=BB126_31 Depth=1
	ds_read_b64 v[2:3], v11 offset:5120
	s_waitcnt lgkmcnt(0)
	v_readfirstlane_b32 s72, v2
.LBB126_61:                             ;   in Loop: Header=BB126_31 Depth=1
	s_cmp_lt_i32 s72, 1
	s_cbranch_scc0 .LBB126_76
; %bb.62:                               ;   in Loop: Header=BB126_31 Depth=1
	global_load_ushort v19, v11, s[64:65]
	s_mov_b32 s6, s91
	s_waitcnt vmcnt(0)
	v_readfirstlane_b32 s7, v19
	s_and_b32 s7, 0xffff, s7
	s_lshl_b32 s73, s7, 2
	s_mov_b32 s7, s53
	s_cmp_lg_u64 s[6:7], 0
	s_cbranch_scc0 .LBB126_96
; %bb.63:                               ;   in Loop: Header=BB126_31 Depth=1
	v_cvt_f32_u32_e32 v2, s73
	s_sub_u32 s6, 0, s73
	s_subb_u32 s7, 0, 0
	v_mac_f32_e32 v2, 0, v34
	v_rcp_f32_e32 v2, v2
	v_mul_f32_e32 v2, 0x5f7ffffc, v2
	v_mul_f32_e32 v3, 0x2f800000, v2
	v_trunc_f32_e32 v3, v3
	v_mac_f32_e32 v2, 0xcf800000, v3
	v_cvt_u32_f32_e32 v3, v3
	v_cvt_u32_f32_e32 v2, v2
	v_readfirstlane_b32 s8, v3
	v_readfirstlane_b32 s9, v2
	s_mul_i32 s10, s6, s8
	s_mul_hi_u32 s12, s6, s9
	s_mul_i32 s11, s7, s9
	s_add_i32 s10, s12, s10
	s_mul_i32 s13, s6, s9
	s_add_i32 s10, s10, s11
	s_mul_hi_u32 s12, s9, s13
	s_mul_hi_u32 s11, s9, s10
	s_mul_i32 s9, s9, s10
	s_add_u32 s9, s12, s9
	s_addc_u32 s11, 0, s11
	s_mul_hi_u32 s14, s8, s13
	s_mul_i32 s13, s8, s13
	s_add_u32 s9, s9, s13
	s_mul_hi_u32 s12, s8, s10
	s_addc_u32 s9, s11, s14
	s_addc_u32 s11, s12, 0
	s_mul_i32 s10, s8, s10
	s_add_u32 s9, s9, s10
	s_addc_u32 s10, 0, s11
	v_add_co_u32_e32 v2, vcc, s9, v2
	s_cmp_lg_u64 vcc, 0
	s_addc_u32 s8, s8, s10
	v_readfirstlane_b32 s10, v2
	s_mul_i32 s9, s6, s8
	s_mul_hi_u32 s11, s6, s10
	s_add_i32 s9, s11, s9
	s_mul_i32 s7, s7, s10
	s_add_i32 s9, s9, s7
	s_mul_i32 s6, s6, s10
	s_mul_hi_u32 s11, s8, s6
	s_mul_i32 s12, s8, s6
	s_mul_i32 s14, s10, s9
	s_mul_hi_u32 s6, s10, s6
	s_mul_hi_u32 s13, s10, s9
	s_add_u32 s6, s6, s14
	s_addc_u32 s10, 0, s13
	s_add_u32 s6, s6, s12
	s_mul_hi_u32 s7, s8, s9
	s_addc_u32 s6, s10, s11
	s_addc_u32 s7, s7, 0
	s_mul_i32 s9, s8, s9
	s_add_u32 s6, s6, s9
	s_addc_u32 s7, 0, s7
	v_add_co_u32_e32 v2, vcc, s6, v2
	s_cmp_lg_u64 vcc, 0
	s_addc_u32 s6, s8, s7
	v_readfirstlane_b32 s9, v2
	s_mul_i32 s8, s52, s6
	s_mul_hi_u32 s10, s52, s9
	s_mul_hi_u32 s7, s52, s6
	s_add_u32 s8, s10, s8
	s_addc_u32 s7, 0, s7
	s_mul_hi_u32 s11, s53, s9
	s_mul_i32 s9, s53, s9
	s_add_u32 s8, s8, s9
	s_mul_hi_u32 s10, s53, s6
	s_addc_u32 s7, s7, s11
	s_addc_u32 s8, s10, 0
	s_mul_i32 s6, s53, s6
	s_add_u32 s6, s7, s6
	s_addc_u32 s7, 0, s8
	s_mul_hi_u32 s8, s73, s6
	s_mul_i32 s6, s73, s6
	s_mul_i32 s7, s73, s7
	v_mov_b32_e32 v2, s6
	s_add_i32 s8, s8, s7
	v_sub_co_u32_e32 v2, vcc, s52, v2
	s_cmp_lg_u64 vcc, 0
	s_subb_u32 s6, s53, s8
	v_subrev_co_u32_e32 v3, vcc, s73, v2
	s_cmp_lg_u64 vcc, 0
	s_subb_u32 s7, s6, 0
	v_subrev_co_u32_e32 v4, vcc, s73, v3
	s_cmp_lg_u64 vcc, 0
	s_subb_u32 s8, s7, 0
	v_cmp_le_u32_e32 vcc, s73, v3
	s_cmp_eq_u32 s7, 0
	v_cndmask_b32_e64 v5, 0, -1, vcc
	s_cselect_b64 vcc, -1, 0
	v_cndmask_b32_e32 v5, -1, v5, vcc
	v_mov_b32_e32 v6, s7
	v_mov_b32_e32 v7, s8
	v_cmp_ne_u32_e32 vcc, 0, v5
	v_cndmask_b32_e32 v5, v6, v7, vcc
	v_cndmask_b32_e32 v4, v3, v4, vcc
	v_cmp_le_u32_e32 vcc, s73, v2
	s_cmp_eq_u32 s6, 0
	v_cndmask_b32_e64 v3, 0, -1, vcc
	s_cselect_b64 vcc, -1, 0
	v_cndmask_b32_e32 v3, -1, v3, vcc
	v_mov_b32_e32 v6, s6
	v_cmp_ne_u32_e32 vcc, 0, v3
	v_cndmask_b32_e32 v3, v6, v5, vcc
	v_cndmask_b32_e32 v2, v2, v4, vcc
	s_cbranch_execnz .LBB126_65
.LBB126_64:                             ;   in Loop: Header=BB126_31 Depth=1
	v_cvt_f32_u32_e32 v2, s73
	s_sub_i32 s6, 0, s73
	v_rcp_iflag_f32_e32 v2, v2
	v_mul_f32_e32 v2, 0x4f7ffffe, v2
	v_cvt_u32_f32_e32 v2, v2
	v_mul_lo_u32 v3, s6, v2
	v_mul_hi_u32 v3, v2, v3
	v_add_u32_e32 v2, v2, v3
	v_mul_hi_u32 v2, s52, v2
	v_mul_lo_u32 v2, v2, s73
	v_sub_u32_e32 v2, s52, v2
	v_subrev_u32_e32 v3, s73, v2
	v_cmp_le_u32_e32 vcc, s73, v2
	v_cndmask_b32_e32 v2, v2, v3, vcc
	v_subrev_u32_e32 v3, s73, v2
	v_cmp_le_u32_e32 vcc, s73, v2
	v_cndmask_b32_e32 v10, v2, v3, vcc
	v_pk_mov_b32 v[2:3], v[10:11], v[10:11] op_sel:[0,1]
.LBB126_65:                             ;   in Loop: Header=BB126_31 Depth=1
	v_mov_b32_e32 v4, s53
	v_sub_co_u32_e32 v22, vcc, s52, v2
	v_subb_co_u32_e32 v23, vcc, v4, v3, vcc
	v_pk_mov_b32 v[2:3], 0, 0
	v_cmp_gt_u64_e32 vcc, v[22:23], v[12:13]
	s_mov_b64 s[60:61], 0
	v_pk_mov_b32 v[4:5], v[2:3], v[2:3] op_sel:[0,1]
	v_pk_mov_b32 v[6:7], v[2:3], v[2:3] op_sel:[0,1]
	;; [unrolled: 1-line block ×3, first 2 shown]
	s_and_saveexec_b64 s[50:51], vcc
	s_cbranch_execz .LBB126_69
; %bb.66:                               ;   in Loop: Header=BB126_31 Depth=1
	s_and_b32 s82, s0, 0xfe
	s_mov_b64 s[62:63], 0
	s_mov_b64 s[78:79], 0
	s_mov_b64 s[66:67], 0
	s_mov_b64 s[88:89], 0
	v_pk_mov_b32 v[24:25], v[12:13], v[12:13] op_sel:[0,1]
.LBB126_67:                             ;   Parent Loop BB126_31 Depth=1
                                        ; =>  This Inner Loop Header: Depth=2
	v_mul_lo_u32 v4, v25, s76
	v_mul_lo_u32 v5, v24, s77
	v_mad_u64_u32 v[2:3], s[6:7], v24, s76, 0
	v_add3_u32 v3, v3, v5, v4
	v_lshlrev_b64 v[2:3], 2, v[2:3]
	v_mov_b32_e32 v6, s55
	v_add_co_u32_e64 v2, s[6:7], s33, v2
	s_lshl_b64 s[8:9], s[76:77], 2
	v_addc_co_u32_e64 v3, s[6:7], v6, v3, s[6:7]
	v_mov_b32_e32 v4, s9
	global_load_dword v5, v[2:3], off
	v_add_co_u32_e64 v2, s[6:7], s8, v2
	v_addc_co_u32_e64 v3, s[6:7], v3, v4, s[6:7]
	global_load_dword v6, v[2:3], off
	v_add_co_u32_e64 v2, s[6:7], s8, v2
	v_addc_co_u32_e64 v3, s[6:7], v3, v4, s[6:7]
	global_load_dword v7, v[2:3], off
	v_add_co_u32_e64 v2, s[6:7], s8, v2
	v_addc_co_u32_e64 v3, s[6:7], v3, v4, s[6:7]
	global_load_dword v2, v[2:3], off
	v_add_co_u32_e32 v24, vcc, s73, v24
	v_addc_co_u32_e32 v25, vcc, 0, v25, vcc
	v_cmp_ge_u64_e32 vcc, v[24:25], v[22:23]
	s_waitcnt vmcnt(3)
	v_cmp_lt_i32_e64 s[6:7], -1, v5
	v_cndmask_b32_e64 v3, -1, v33, s[6:7]
	v_xor_b32_e32 v3, v3, v5
	s_waitcnt vmcnt(2)
	v_cmp_lt_i32_e64 s[6:7], -1, v6
	v_cndmask_b32_e64 v4, -1, v33, s[6:7]
	v_cmp_o_f32_e64 s[6:7], v5, v5
	v_cndmask_b32_e64 v3, -1, v3, s[6:7]
	v_xor_b32_e32 v4, v4, v6
	s_waitcnt vmcnt(1)
	v_cmp_lt_i32_e64 s[6:7], -1, v7
	v_cndmask_b32_e64 v5, -1, v33, s[6:7]
	v_cmp_o_f32_e64 s[6:7], v6, v6
	v_cndmask_b32_e64 v4, -1, v4, s[6:7]
	v_xor_b32_e32 v5, v5, v7
	s_waitcnt vmcnt(0)
	v_cmp_lt_i32_e64 s[6:7], -1, v2
	v_cndmask_b32_e64 v6, -1, v33, s[6:7]
	v_and_b32_e32 v8, s26, v3
	v_bfe_u32 v3, v3, s82, 2
	v_cmp_o_f32_e64 s[6:7], v7, v7
	v_cndmask_b32_e64 v5, -1, v5, s[6:7]
	v_xor_b32_e32 v6, v6, v2
	v_cmp_eq_u32_e64 s[10:11], s27, v8
	v_cmp_eq_u32_e64 s[6:7], 0, v3
	v_cmp_o_f32_e64 s[12:13], v2, v2
	v_and_b32_e32 v7, s26, v4
	v_bfe_u32 v4, v4, s82, 2
	v_cmp_eq_u32_e64 s[28:29], 1, v3
	v_cmp_eq_u32_e64 s[30:31], 2, v3
	;; [unrolled: 1-line block ×3, first 2 shown]
	v_cndmask_b32_e64 v2, -1, v6, s[12:13]
	v_and_b32_e32 v3, s26, v5
	v_bfe_u32 v5, v5, s82, 2
	s_and_b64 s[6:7], s[10:11], s[6:7]
	v_cmp_eq_u32_e64 s[12:13], s27, v7
	v_cmp_eq_u32_e64 s[22:23], 0, v4
	v_cmp_eq_u32_e64 s[34:35], 1, v4
	v_cmp_eq_u32_e64 s[36:37], 2, v4
	v_cmp_eq_u32_e64 s[16:17], 3, v4
	v_cndmask_b32_e64 v4, 0, 1, s[6:7]
	v_cmp_eq_u32_e64 s[18:19], s27, v3
	v_and_b32_e32 v3, s26, v2
	v_bfe_u32 v2, v2, s82, 2
	v_cmp_eq_u32_e64 s[6:7], 0, v5
	s_and_b64 s[8:9], s[12:13], s[22:23]
	v_cmp_eq_u32_e64 s[22:23], s27, v3
	v_cmp_eq_u32_e64 s[44:45], 0, v2
	s_and_b64 s[6:7], s[18:19], s[6:7]
	v_cmp_ne_u32_e64 s[42:43], 0, v4
	v_cndmask_b32_e64 v4, 0, 1, s[8:9]
	v_cmp_eq_u32_e64 s[46:47], 1, v2
	v_cmp_eq_u32_e64 s[48:49], 2, v2
	;; [unrolled: 1-line block ×3, first 2 shown]
	v_cndmask_b32_e64 v2, 0, 1, s[6:7]
	s_and_b64 s[8:9], s[22:23], s[44:45]
	v_cmp_ne_u32_e64 s[6:7], 0, v2
	v_cndmask_b32_e64 v2, 0, 1, s[8:9]
	s_bcnt1_i32_b64 s90, s[42:43]
	v_cmp_ne_u32_e64 s[42:43], 0, v4
	s_bcnt1_i32_b64 s8, s[6:7]
	v_cmp_ne_u32_e64 s[6:7], 0, v2
	s_bcnt1_i32_b64 s42, s[42:43]
	s_bcnt1_i32_b64 s6, s[6:7]
	s_add_u32 s7, s90, s88
	s_addc_u32 s9, 0, s89
	s_add_u32 s7, s7, s42
	s_addc_u32 s9, s9, 0
	;; [unrolled: 2-line block ×4, first 2 shown]
	s_and_b64 s[6:7], s[10:11], s[28:29]
	v_cmp_eq_u32_e64 s[38:39], 1, v5
	v_cndmask_b32_e64 v4, 0, 1, s[6:7]
	s_and_b64 s[6:7], s[12:13], s[34:35]
	v_cmp_eq_u32_e64 s[40:41], 2, v5
	v_cmp_eq_u32_e64 s[20:21], 3, v5
	v_cndmask_b32_e64 v5, 0, 1, s[6:7]
	s_and_b64 s[6:7], s[18:19], s[38:39]
	v_cndmask_b32_e64 v6, 0, 1, s[6:7]
	s_and_b64 s[6:7], s[22:23], s[46:47]
	v_cndmask_b32_e64 v7, 0, 1, s[6:7]
	v_cmp_ne_u32_e64 s[6:7], 0, v4
	v_cmp_ne_u32_e64 s[28:29], 0, v5
	;; [unrolled: 1-line block ×4, first 2 shown]
	s_bcnt1_i32_b64 s6, s[6:7]
	s_bcnt1_i32_b64 s7, s[28:29]
	;; [unrolled: 1-line block ×4, first 2 shown]
	s_add_u32 s6, s6, s66
	s_addc_u32 s28, 0, s67
	s_add_u32 s6, s6, s7
	s_addc_u32 s7, s28, 0
	;; [unrolled: 2-line block ×4, first 2 shown]
	s_and_b64 s[6:7], s[10:11], s[30:31]
	v_cndmask_b32_e64 v6, 0, 1, s[6:7]
	s_and_b64 s[6:7], s[12:13], s[36:37]
	v_cndmask_b32_e64 v7, 0, 1, s[6:7]
	;; [unrolled: 2-line block ×4, first 2 shown]
	v_cmp_ne_u32_e64 s[6:7], 0, v6
	v_cmp_ne_u32_e64 s[28:29], 0, v7
	;; [unrolled: 1-line block ×4, first 2 shown]
	s_bcnt1_i32_b64 s6, s[6:7]
	s_bcnt1_i32_b64 s7, s[28:29]
	s_bcnt1_i32_b64 s8, s[30:31]
	s_bcnt1_i32_b64 s9, s[34:35]
	s_add_u32 s6, s6, s78
	s_addc_u32 s28, 0, s79
	s_add_u32 s6, s6, s7
	s_addc_u32 s7, s28, 0
	;; [unrolled: 2-line block ×4, first 2 shown]
	s_and_b64 s[6:7], s[10:11], s[14:15]
	v_cndmask_b32_e64 v8, 0, 1, s[6:7]
	s_and_b64 s[6:7], s[12:13], s[16:17]
	v_cndmask_b32_e64 v9, 0, 1, s[6:7]
	;; [unrolled: 2-line block ×4, first 2 shown]
	v_cmp_ne_u32_e64 s[6:7], 0, v8
	v_cmp_ne_u32_e64 s[10:11], 0, v9
	;; [unrolled: 1-line block ×4, first 2 shown]
	s_bcnt1_i32_b64 s6, s[6:7]
	s_bcnt1_i32_b64 s7, s[10:11]
	;; [unrolled: 1-line block ×4, first 2 shown]
	s_add_u32 s6, s6, s62
	s_addc_u32 s10, 0, s63
	s_add_u32 s6, s6, s7
	s_addc_u32 s7, s10, 0
	;; [unrolled: 2-line block ×4, first 2 shown]
	v_pk_mov_b32 v[2:3], s[88:89], s[88:89] op_sel:[0,1]
	v_pk_mov_b32 v[4:5], s[66:67], s[66:67] op_sel:[0,1]
	;; [unrolled: 1-line block ×3, first 2 shown]
	s_or_b64 s[60:61], vcc, s[60:61]
	v_pk_mov_b32 v[8:9], s[62:63], s[62:63] op_sel:[0,1]
	s_andn2_b64 exec, exec, s[60:61]
	s_cbranch_execnz .LBB126_67
; %bb.68:                               ;   in Loop: Header=BB126_31 Depth=1
	s_or_b64 exec, exec, s[60:61]
.LBB126_69:                             ;   in Loop: Header=BB126_31 Depth=1
	s_or_b64 exec, exec, s[50:51]
	v_add_co_u32_e32 v22, vcc, v22, v0
	v_addc_co_u32_e32 v23, vcc, 0, v23, vcc
	v_cmp_gt_u64_e32 vcc, s[52:53], v[22:23]
	v_mov_b32_e32 v10, 0
	s_and_saveexec_b64 s[8:9], vcc
	s_cbranch_execz .LBB126_71
; %bb.70:                               ;   in Loop: Header=BB126_31 Depth=1
	v_mul_lo_u32 v10, v23, s76
	v_mul_lo_u32 v20, v22, s77
	v_mad_u64_u32 v[24:25], s[6:7], v22, s76, 0
	v_add3_u32 v25, v25, v20, v10
	v_lshlrev_b64 v[24:25], 2, v[24:25]
	v_mov_b32_e32 v10, s55
	v_add_co_u32_e64 v24, s[6:7], s33, v24
	v_addc_co_u32_e64 v25, s[6:7], v10, v25, s[6:7]
	global_load_dword v10, v[24:25], off
.LBB126_71:                             ;   in Loop: Header=BB126_31 Depth=1
	s_or_b64 exec, exec, s[8:9]
	s_and_saveexec_b64 s[8:9], vcc
	s_cbranch_execz .LBB126_78
; %bb.72:                               ;   in Loop: Header=BB126_31 Depth=1
	s_and_b32 s14, s0, 0xfe
	s_mov_b64 s[10:11], 0
	s_branch .LBB126_74
.LBB126_73:                             ;   in Loop: Header=BB126_74 Depth=2
	s_or_b64 exec, exec, s[12:13]
	s_and_b64 s[6:7], exec, vcc
	s_waitcnt vmcnt(0)
	v_cmp_lt_i32_e32 vcc, -1, v10
	v_cndmask_b32_e32 v24, -1, v33, vcc
	v_xor_b32_e32 v24, v24, v10
	v_cmp_o_f32_e32 vcc, v10, v10
	v_cndmask_b32_e32 v10, -1, v24, vcc
	v_and_b32_e32 v24, s26, v10
	v_bfe_u32 v10, v10, s14, 2
	s_or_b64 s[10:11], s[6:7], s[10:11]
	v_cmp_eq_u32_e32 vcc, s27, v24
	v_cmp_eq_u32_e64 s[6:7], 0, v10
	s_and_b64 s[6:7], vcc, s[6:7]
	v_cndmask_b32_e64 v24, 0, 1, s[6:7]
	v_cmp_ne_u32_e64 s[6:7], 0, v24
	s_bcnt1_i32_b64 s6, s[6:7]
	v_add_co_u32_e64 v2, s[6:7], s6, v2
	v_addc_co_u32_e64 v3, s[6:7], 0, v3, s[6:7]
	v_cmp_eq_u32_e64 s[6:7], 1, v10
	s_and_b64 s[6:7], vcc, s[6:7]
	v_cndmask_b32_e64 v24, 0, 1, s[6:7]
	v_cmp_ne_u32_e64 s[6:7], 0, v24
	s_bcnt1_i32_b64 s6, s[6:7]
	v_add_co_u32_e64 v4, s[6:7], s6, v4
	v_addc_co_u32_e64 v5, s[6:7], 0, v5, s[6:7]
	;; [unrolled: 7-line block ×3, first 2 shown]
	v_cmp_eq_u32_e64 s[6:7], 3, v10
	s_and_b64 s[6:7], vcc, s[6:7]
	v_cndmask_b32_e64 v10, 0, 1, s[6:7]
	v_cmp_ne_u32_e32 vcc, 0, v10
	s_bcnt1_i32_b64 s6, vcc
	v_add_co_u32_e32 v8, vcc, s6, v8
	v_addc_co_u32_e32 v9, vcc, 0, v9, vcc
	v_mov_b32_e32 v10, v20
	s_andn2_b64 exec, exec, s[10:11]
	s_cbranch_execz .LBB126_77
.LBB126_74:                             ;   Parent Loop BB126_31 Depth=1
                                        ; =>  This Inner Loop Header: Depth=2
	v_add_co_u32_sdwa v22, vcc, v22, v19 dst_sel:DWORD dst_unused:UNUSED_PAD src0_sel:DWORD src1_sel:WORD_0
	v_addc_co_u32_e32 v23, vcc, 0, v23, vcc
	v_cmp_gt_u64_e64 s[6:7], s[52:53], v[22:23]
	v_cmp_le_u64_e32 vcc, s[52:53], v[22:23]
	v_mov_b32_e32 v20, 0
	s_and_saveexec_b64 s[12:13], s[6:7]
	s_cbranch_execz .LBB126_73
; %bb.75:                               ;   in Loop: Header=BB126_74 Depth=2
	v_mul_lo_u32 v20, v23, s76
	v_mul_lo_u32 v35, v22, s77
	v_mad_u64_u32 v[24:25], s[6:7], v22, s76, 0
	v_add3_u32 v25, v25, v35, v20
	v_lshlrev_b64 v[24:25], 2, v[24:25]
	v_mov_b32_e32 v20, s55
	v_add_co_u32_e64 v24, s[6:7], s33, v24
	v_addc_co_u32_e64 v25, s[6:7], v20, v25, s[6:7]
	global_load_dword v20, v[24:25], off
	s_branch .LBB126_73
.LBB126_76:                             ;   in Loop: Header=BB126_31 Depth=1
                                        ; implicit-def: $vgpr8_vgpr9
                                        ; implicit-def: $vgpr4_vgpr5
	s_cbranch_execnz .LBB126_79
	s_branch .LBB126_88
.LBB126_77:                             ;   in Loop: Header=BB126_31 Depth=1
	s_or_b64 exec, exec, s[10:11]
.LBB126_78:                             ;   in Loop: Header=BB126_31 Depth=1
	s_or_b64 exec, exec, s[8:9]
	s_branch .LBB126_88
.LBB126_79:                             ;   in Loop: Header=BB126_31 Depth=1
	global_load_ushort v8, v11, s[64:65]
	s_mov_b64 s[60:61], 0
	s_waitcnt vmcnt(0)
	v_readfirstlane_b32 s6, v8
	s_and_b32 s6, 0xffff, s6
	s_lshl_b32 s73, s6, 2
	v_cvt_f32_u32_e32 v2, s73
	s_sub_i32 s6, 0, s73
	v_and_b32_e32 v19, 0xffff, v8
	v_rcp_iflag_f32_e32 v6, v2
	v_pk_mov_b32 v[2:3], 0, 0
	v_pk_mov_b32 v[4:5], v[2:3], v[2:3] op_sel:[0,1]
	v_mul_f32_e32 v6, 0x4f7ffffe, v6
	v_cvt_u32_f32_e32 v9, v6
	v_pk_mov_b32 v[6:7], v[2:3], v[2:3] op_sel:[0,1]
	v_readfirstlane_b32 s7, v9
	s_mul_i32 s6, s6, s7
	s_mul_hi_u32 s6, s7, s6
	s_add_i32 s7, s7, s6
	s_mul_hi_u32 s6, s72, s7
	s_mul_i32 s6, s6, s73
	s_sub_i32 s6, s72, s6
	s_sub_i32 s7, s6, s73
	s_cmp_ge_u32 s6, s73
	s_cselect_b32 s6, s7, s6
	s_sub_i32 s7, s6, s73
	s_cmp_ge_u32 s6, s73
	s_cselect_b32 s6, s7, s6
	s_sub_i32 s90, s72, s6
	v_cmp_gt_u32_e32 vcc, s90, v12
	v_pk_mov_b32 v[8:9], v[2:3], v[2:3] op_sel:[0,1]
	s_and_saveexec_b64 s[62:63], vcc
	s_cbranch_execz .LBB126_83
; %bb.80:                               ;   in Loop: Header=BB126_31 Depth=1
	s_and_b32 s82, s0, 0xfe
	v_lshlrev_b32_e32 v10, 4, v19
	v_mov_b32_e32 v20, v31
	s_mov_b64 s[66:67], 0
	s_mov_b64 s[78:79], 0
	;; [unrolled: 1-line block ×4, first 2 shown]
	v_pk_mov_b32 v[22:23], v[12:13], v[12:13] op_sel:[0,1]
.LBB126_81:                             ;   Parent Loop BB126_31 Depth=1
                                        ; =>  This Inner Loop Header: Depth=2
	ds_read_b128 v[2:5], v20
	v_add_co_u32_e32 v22, vcc, s73, v22
	v_addc_co_u32_e32 v23, vcc, 0, v23, vcc
	s_waitcnt lgkmcnt(0)
	v_cmp_lt_i32_e64 s[6:7], -1, v2
	v_cndmask_b32_e64 v6, -1, v33, s[6:7]
	v_cmp_lt_i32_e64 s[6:7], -1, v3
	v_cndmask_b32_e64 v7, -1, v33, s[6:7]
	;; [unrolled: 2-line block ×4, first 2 shown]
	v_xor_b32_e32 v7, v7, v3
	v_cmp_o_f32_e64 s[6:7], v3, v3
	v_xor_b32_e32 v3, v8, v4
	v_cmp_o_f32_e64 s[10:11], v4, v4
	;; [unrolled: 2-line block ×4, first 2 shown]
	v_cndmask_b32_e64 v2, -1, v5, s[14:15]
	v_cndmask_b32_e64 v5, -1, v7, s[6:7]
	v_and_b32_e32 v6, s26, v2
	v_bfe_u32 v2, v2, s82, 2
	v_cndmask_b32_e64 v3, -1, v3, s[10:11]
	v_and_b32_e32 v7, s26, v5
	v_bfe_u32 v5, v5, s82, 2
	v_cmp_eq_u32_e64 s[16:17], s27, v6
	v_cmp_eq_u32_e64 s[6:7], 0, v2
	v_cndmask_b32_e64 v4, -1, v4, s[12:13]
	v_and_b32_e32 v8, s26, v3
	v_bfe_u32 v3, v3, s82, 2
	v_cmp_eq_u32_e64 s[14:15], s27, v7
	v_cmp_eq_u32_e64 s[28:29], 0, v5
	s_and_b64 s[6:7], s[16:17], s[6:7]
	v_and_b32_e32 v9, s26, v4
	v_bfe_u32 v4, v4, s82, 2
	v_cmp_eq_u32_e64 s[12:13], s27, v8
	v_cmp_eq_u32_e64 s[30:31], 0, v3
	;; [unrolled: 1-line block ×5, first 2 shown]
	v_cndmask_b32_e64 v2, 0, 1, s[6:7]
	s_and_b64 s[6:7], s[14:15], s[28:29]
	v_cmp_eq_u32_e64 s[10:11], s27, v9
	v_cmp_eq_u32_e64 s[34:35], 0, v4
	;; [unrolled: 1-line block ×5, first 2 shown]
	v_cndmask_b32_e64 v3, 0, 1, s[6:7]
	s_and_b64 s[6:7], s[12:13], s[30:31]
	v_cmp_eq_u32_e64 s[42:43], 1, v4
	v_cmp_eq_u32_e64 s[50:51], 2, v4
	;; [unrolled: 1-line block ×3, first 2 shown]
	v_cndmask_b32_e64 v4, 0, 1, s[6:7]
	s_and_b64 s[6:7], s[10:11], s[34:35]
	v_cmp_eq_u32_e64 s[38:39], 1, v5
	v_cmp_eq_u32_e64 s[46:47], 2, v5
	;; [unrolled: 1-line block ×3, first 2 shown]
	v_cndmask_b32_e64 v5, 0, 1, s[6:7]
	v_cmp_ne_u32_e64 s[6:7], 0, v2
	v_cmp_ne_u32_e64 s[28:29], 0, v3
	v_cmp_ne_u32_e64 s[30:31], 0, v4
	v_cmp_ne_u32_e64 s[34:35], 0, v5
	s_bcnt1_i32_b64 s6, s[6:7]
	s_bcnt1_i32_b64 s7, s[28:29]
	s_bcnt1_i32_b64 s28, s[30:31]
	s_bcnt1_i32_b64 s29, s[34:35]
	s_add_u32 s6, s6, s8
	s_addc_u32 s8, 0, s9
	s_add_u32 s6, s6, s7
	s_addc_u32 s7, s8, 0
	s_add_u32 s6, s6, s28
	s_addc_u32 s7, s7, 0
	s_add_u32 s8, s6, s29
	s_addc_u32 s9, s7, 0
	s_and_b64 s[6:7], s[16:17], s[36:37]
	v_cndmask_b32_e64 v4, 0, 1, s[6:7]
	s_and_b64 s[6:7], s[14:15], s[38:39]
	v_cndmask_b32_e64 v5, 0, 1, s[6:7]
	s_and_b64 s[6:7], s[12:13], s[40:41]
	v_cndmask_b32_e64 v6, 0, 1, s[6:7]
	s_and_b64 s[6:7], s[10:11], s[42:43]
	v_cndmask_b32_e64 v7, 0, 1, s[6:7]
	v_cmp_ne_u32_e64 s[6:7], 0, v4
	v_cmp_ne_u32_e64 s[28:29], 0, v5
	v_cmp_ne_u32_e64 s[30:31], 0, v6
	v_cmp_ne_u32_e64 s[34:35], 0, v7
	s_bcnt1_i32_b64 s6, s[6:7]
	s_bcnt1_i32_b64 s7, s[28:29]
	s_bcnt1_i32_b64 s28, s[30:31]
	s_bcnt1_i32_b64 s29, s[34:35]
	s_add_u32 s6, s6, s88
	s_addc_u32 s30, 0, s89
	s_add_u32 s6, s6, s7
	s_addc_u32 s7, s30, 0
	s_add_u32 s6, s6, s28
	s_addc_u32 s7, s7, 0
	s_add_u32 s88, s6, s29
	s_addc_u32 s89, s7, 0
	s_and_b64 s[6:7], s[16:17], s[44:45]
	v_cndmask_b32_e64 v6, 0, 1, s[6:7]
	s_and_b64 s[6:7], s[14:15], s[46:47]
	v_cndmask_b32_e64 v7, 0, 1, s[6:7]
	s_and_b64 s[6:7], s[12:13], s[48:49]
	v_cndmask_b32_e64 v8, 0, 1, s[6:7]
	s_and_b64 s[6:7], s[10:11], s[50:51]
	;; [unrolled: 24-line block ×3, first 2 shown]
	v_cndmask_b32_e64 v25, 0, 1, s[6:7]
	v_cmp_ne_u32_e64 s[6:7], 0, v8
	v_cmp_ne_u32_e64 s[10:11], 0, v9
	;; [unrolled: 1-line block ×4, first 2 shown]
	s_bcnt1_i32_b64 s6, s[6:7]
	s_bcnt1_i32_b64 s7, s[10:11]
	;; [unrolled: 1-line block ×4, first 2 shown]
	s_add_u32 s6, s6, s66
	s_addc_u32 s12, 0, s67
	s_add_u32 s6, s6, s7
	s_addc_u32 s7, s12, 0
	;; [unrolled: 2-line block ×3, first 2 shown]
	s_add_u32 s66, s6, s11
	v_cmp_le_u64_e32 vcc, s[90:91], v[22:23]
	s_addc_u32 s67, s7, 0
	v_add_u32_e32 v20, v20, v10
	v_pk_mov_b32 v[2:3], s[8:9], s[8:9] op_sel:[0,1]
	v_pk_mov_b32 v[4:5], s[88:89], s[88:89] op_sel:[0,1]
	;; [unrolled: 1-line block ×3, first 2 shown]
	s_or_b64 s[60:61], vcc, s[60:61]
	v_pk_mov_b32 v[8:9], s[66:67], s[66:67] op_sel:[0,1]
	s_andn2_b64 exec, exec, s[60:61]
	s_cbranch_execnz .LBB126_81
; %bb.82:                               ;   in Loop: Header=BB126_31 Depth=1
	s_or_b64 exec, exec, s[60:61]
.LBB126_83:                             ;   in Loop: Header=BB126_31 Depth=1
	s_or_b64 exec, exec, s[62:63]
	v_add_u32_e32 v10, s90, v0
	v_cmp_gt_u32_e32 vcc, s72, v10
	s_and_saveexec_b64 s[8:9], vcc
	s_cbranch_execz .LBB126_87
; %bb.84:                               ;   in Loop: Header=BB126_31 Depth=1
	s_and_b32 s90, s72, 0x7fffffff
	s_and_b32 s20, s0, 0xfe
	v_lshlrev_b32_e32 v20, 2, v10
	s_mov_b64 s[18:19], 0
	v_pk_mov_b32 v[22:23], v[10:11], v[10:11] op_sel:[0,1]
.LBB126_85:                             ;   Parent Loop BB126_31 Depth=1
                                        ; =>  This Inner Loop Header: Depth=2
	ds_read_b32 v10, v20
	v_add_co_u32_e32 v22, vcc, v22, v19
	v_addc_co_u32_e32 v23, vcc, 0, v23, vcc
	s_waitcnt lgkmcnt(0)
	v_cmp_lt_i32_e64 s[6:7], -1, v10
	v_cndmask_b32_e64 v24, -1, v33, s[6:7]
	v_xor_b32_e32 v24, v24, v10
	v_cmp_o_f32_e64 s[6:7], v10, v10
	v_cndmask_b32_e64 v10, -1, v24, s[6:7]
	v_and_b32_e32 v24, s26, v10
	v_bfe_u32 v10, v10, s20, 2
	v_cmp_eq_u32_e64 s[6:7], s27, v24
	v_cmp_eq_u32_e64 s[10:11], 0, v10
	;; [unrolled: 1-line block ×3, first 2 shown]
	s_and_b64 s[10:11], s[6:7], s[10:11]
	v_cmp_eq_u32_e64 s[14:15], 2, v10
	v_cmp_eq_u32_e64 s[16:17], 3, v10
	v_cndmask_b32_e64 v10, 0, 1, s[10:11]
	s_and_b64 s[10:11], s[6:7], s[12:13]
	v_cndmask_b32_e64 v24, 0, 1, s[10:11]
	s_and_b64 s[10:11], s[6:7], s[14:15]
	s_and_b64 s[6:7], s[6:7], s[16:17]
	v_cndmask_b32_e64 v25, 0, 1, s[10:11]
	v_cndmask_b32_e64 v35, 0, 1, s[6:7]
	v_cmp_ne_u32_e64 s[6:7], 0, v10
	v_cmp_ne_u32_e64 s[10:11], 0, v24
	;; [unrolled: 1-line block ×4, first 2 shown]
	v_cmp_le_u64_e32 vcc, s[90:91], v[22:23]
	s_bcnt1_i32_b64 s6, s[6:7]
	s_bcnt1_i32_b64 s7, s[10:11]
	;; [unrolled: 1-line block ×4, first 2 shown]
	s_or_b64 s[18:19], vcc, s[18:19]
	v_add_co_u32_e32 v2, vcc, s6, v2
	v_addc_co_u32_e32 v3, vcc, 0, v3, vcc
	v_add_co_u32_e32 v4, vcc, s7, v4
	v_addc_co_u32_e32 v5, vcc, 0, v5, vcc
	;; [unrolled: 2-line block ×3, first 2 shown]
	v_add_co_u32_e32 v8, vcc, s11, v8
	v_add_u32_e32 v20, s73, v20
	v_addc_co_u32_e32 v9, vcc, 0, v9, vcc
	s_andn2_b64 exec, exec, s[18:19]
	s_cbranch_execnz .LBB126_85
; %bb.86:                               ;   in Loop: Header=BB126_31 Depth=1
	s_or_b64 exec, exec, s[18:19]
.LBB126_87:                             ;   in Loop: Header=BB126_31 Depth=1
	s_or_b64 exec, exec, s[8:9]
.LBB126_88:                             ;   in Loop: Header=BB126_31 Depth=1
	s_lshl_b32 s8, s1, 6
	s_and_saveexec_b64 s[6:7], s[4:5]
	s_cbranch_execz .LBB126_90
; %bb.89:                               ;   in Loop: Header=BB126_31 Depth=1
	s_waitcnt vmcnt(0)
	v_or_b32_e32 v10, s8, v29
	v_lshlrev_b32_e32 v10, 3, v10
	ds_write_b128 v10, v[2:5] offset:3072
	ds_write_b128 v10, v[6:9] offset:3088
.LBB126_90:                             ;   in Loop: Header=BB126_31 Depth=1
	s_or_b64 exec, exec, s[6:7]
	s_waitcnt lgkmcnt(0)
	s_barrier
	s_and_saveexec_b64 s[6:7], s[92:93]
	s_cbranch_execz .LBB126_102
; %bb.91:                               ;   in Loop: Header=BB126_31 Depth=1
	v_readlane_b32 s10, v44, 42
	v_readlane_b32 s11, v44, 43
	s_andn2_b64 vcc, exec, s[10:11]
	v_pk_mov_b32 v[2:3], 0, 0
	s_cbranch_vccnz .LBB126_101
; %bb.92:                               ;   in Loop: Header=BB126_31 Depth=1
	v_readlane_b32 s10, v44, 46
	v_readlane_b32 s11, v44, 47
	s_andn2_b64 vcc, exec, s[10:11]
	s_cbranch_vccnz .LBB126_97
; %bb.93:                               ;   in Loop: Header=BB126_31 Depth=1
	s_waitcnt vmcnt(0)
	v_lshl_add_u32 v4, s1, 9, v32
	s_mov_b32 s9, 0
	v_pk_mov_b32 v[2:3], 0, 0
.LBB126_94:                             ;   Parent Loop BB126_31 Depth=1
                                        ; =>  This Inner Loop Header: Depth=2
	ds_read2_b64 v[6:9], v4 offset1:4
	ds_read2_b64 v[22:25], v4 offset0:8 offset1:12
	ds_read2_b64 v[36:39], v4 offset0:16 offset1:20
	;; [unrolled: 1-line block ×3, first 2 shown]
	s_add_i32 s9, s9, 8
	s_waitcnt lgkmcnt(3)
	v_add_co_u32_e32 v2, vcc, v6, v2
	v_addc_co_u32_e32 v3, vcc, v7, v3, vcc
	v_add_co_u32_e32 v2, vcc, v8, v2
	v_addc_co_u32_e32 v3, vcc, v9, v3, vcc
	s_waitcnt lgkmcnt(2)
	v_add_co_u32_e32 v2, vcc, v22, v2
	v_addc_co_u32_e32 v3, vcc, v23, v3, vcc
	v_add_co_u32_e32 v2, vcc, v24, v2
	v_addc_co_u32_e32 v3, vcc, v25, v3, vcc
	;; [unrolled: 5-line block ×3, first 2 shown]
	s_waitcnt lgkmcnt(0)
	v_add_co_u32_e32 v2, vcc, v40, v2
	v_addc_co_u32_e32 v3, vcc, v41, v3, vcc
	v_add_co_u32_e32 v2, vcc, v42, v2
	v_add_u32_e32 v4, 0x100, v4
	s_cmp_eq_u32 s2, s9
	v_addc_co_u32_e32 v3, vcc, v43, v3, vcc
	s_cbranch_scc0 .LBB126_94
; %bb.95:                               ;   in Loop: Header=BB126_31 Depth=1
	s_mov_b32 s9, s2
	s_branch .LBB126_98
.LBB126_96:                             ;   in Loop: Header=BB126_31 Depth=1
                                        ; implicit-def: $vgpr2_vgpr3
	s_branch .LBB126_64
.LBB126_97:                             ;   in Loop: Header=BB126_31 Depth=1
	s_mov_b32 s9, 0
	v_pk_mov_b32 v[2:3], 0, 0
.LBB126_98:                             ;   in Loop: Header=BB126_31 Depth=1
	v_readlane_b32 s10, v44, 49
	v_readlane_b32 s11, v44, 50
	s_andn2_b64 vcc, exec, s[10:11]
	s_cbranch_vccnz .LBB126_101
; %bb.99:                               ;   in Loop: Header=BB126_31 Depth=1
	s_lshl_b32 s10, s1, 9
	s_lshl_b32 s9, s9, 5
	s_add_i32 s10, s10, s9
	s_waitcnt vmcnt(0)
	v_add_u32_e32 v4, s10, v32
	v_readlane_b32 s9, v44, 48
.LBB126_100:                            ;   Parent Loop BB126_31 Depth=1
                                        ; =>  This Inner Loop Header: Depth=2
	ds_read_b64 v[6:7], v4
	s_add_i32 s9, s9, -1
	v_add_u32_e32 v4, 32, v4
	s_cmp_lg_u32 s9, 0
	s_waitcnt lgkmcnt(0)
	v_add_co_u32_e32 v2, vcc, v6, v2
	v_addc_co_u32_e32 v3, vcc, v7, v3, vcc
	s_cbranch_scc1 .LBB126_100
.LBB126_101:                            ;   in Loop: Header=BB126_31 Depth=1
	s_waitcnt vmcnt(0)
	v_add_lshl_u32 v4, s8, v26, 3
	ds_write_b64 v4, v[2:3] offset:3072
.LBB126_102:                            ;   in Loop: Header=BB126_31 Depth=1
	s_or_b64 exec, exec, s[6:7]
	s_lshl_b32 s6, s8, 3
	v_mov_b32_e32 v6, s6
	s_waitcnt lgkmcnt(0)
	s_barrier
	s_waitcnt vmcnt(0)
	ds_read_b128 v[2:5], v6 offset:3072
	ds_read_b128 v[6:9], v6 offset:3088
	s_and_b32 s40, s0, 0xfe
	s_lshl_b32 s48, 3, s40
	s_not_b32 s41, s48
	s_waitcnt lgkmcnt(1)
	v_readfirstlane_b32 s15, v3
	v_readfirstlane_b32 s14, v2
	s_cmp_eq_u64 s[14:15], 1
	s_cselect_b64 s[6:7], -1, 0
	s_cmp_eq_u64 s[94:95], 1
	s_cselect_b64 s[8:9], -1, 0
	s_and_b64 s[20:21], s[6:7], s[8:9]
	v_readfirstlane_b32 s28, v4
	v_readfirstlane_b32 s29, v5
	s_waitcnt lgkmcnt(0)
	v_readfirstlane_b32 s16, v6
	v_readfirstlane_b32 s17, v7
	;; [unrolled: 1-line block ×4, first 2 shown]
	s_mov_b64 s[18:19], -1
	s_and_b64 vcc, exec, s[20:21]
	s_cbranch_vccz .LBB126_117
; %bb.103:                              ;   in Loop: Header=BB126_31 Depth=1
	ds_read_b64 v[2:3], v11 offset:5120
	s_waitcnt lgkmcnt(0)
	s_barrier
	v_readfirstlane_b32 s8, v2
	v_readfirstlane_b32 s9, v3
	s_mov_b64 s[6:7], exec
	v_readlane_b32 s12, v44, 38
	v_readlane_b32 s13, v44, 39
	s_and_b64 s[12:13], s[6:7], s[12:13]
	s_mov_b64 exec, s[12:13]
	s_cbranch_execz .LBB126_105
; %bb.104:                              ;   in Loop: Header=BB126_31 Depth=1
	ds_write_b32 v27, v11
.LBB126_105:                            ;   in Loop: Header=BB126_31 Depth=1
	s_or_b64 exec, exec, s[6:7]
	s_and_b32 s27, s27, s41
	s_or_b32 s26, s26, s48
	s_cmp_eq_u64 s[8:9], 0
	s_waitcnt lgkmcnt(0)
	s_barrier
	s_cbranch_scc1 .LBB126_118
; %bb.106:                              ;   in Loop: Header=BB126_31 Depth=1
	v_readlane_b32 s6, v44, 44
	s_add_u32 s22, s6, s8
	v_readlane_b32 s6, v44, 45
	s_addc_u32 s7, s6, s9
	s_mov_b32 s6, s91
	s_cmp_lg_u64 s[6:7], 0
	s_cbranch_scc0 .LBB126_163
; %bb.107:                              ;   in Loop: Header=BB126_31 Depth=1
	v_cvt_f32_u32_e32 v2, s54
	s_sub_u32 s6, 0, s54
	s_subb_u32 s12, 0, 0
	v_mac_f32_e32 v2, 0, v34
	v_rcp_f32_e32 v2, v2
	v_mul_f32_e32 v2, 0x5f7ffffc, v2
	v_mul_f32_e32 v3, 0x2f800000, v2
	v_trunc_f32_e32 v3, v3
	v_mac_f32_e32 v2, 0xcf800000, v3
	v_cvt_u32_f32_e32 v3, v3
	v_cvt_u32_f32_e32 v2, v2
	v_readfirstlane_b32 s13, v3
	v_readfirstlane_b32 s23, v2
	s_mul_i32 s24, s6, s13
	s_mul_hi_u32 s30, s6, s23
	s_mul_i32 s25, s12, s23
	s_add_i32 s24, s30, s24
	s_mul_i32 s31, s6, s23
	s_add_i32 s24, s24, s25
	s_mul_hi_u32 s30, s23, s31
	s_mul_hi_u32 s25, s23, s24
	s_mul_i32 s23, s23, s24
	s_add_u32 s23, s30, s23
	s_addc_u32 s25, 0, s25
	s_mul_hi_u32 s34, s13, s31
	s_mul_i32 s31, s13, s31
	s_add_u32 s23, s23, s31
	s_mul_hi_u32 s30, s13, s24
	s_addc_u32 s23, s25, s34
	s_addc_u32 s25, s30, 0
	s_mul_i32 s24, s13, s24
	s_add_u32 s23, s23, s24
	s_addc_u32 s24, 0, s25
	v_add_co_u32_e32 v2, vcc, s23, v2
	s_cmp_lg_u64 vcc, 0
	s_addc_u32 s13, s13, s24
	v_readfirstlane_b32 s24, v2
	s_mul_i32 s23, s6, s13
	s_mul_hi_u32 s25, s6, s24
	s_add_i32 s23, s25, s23
	s_mul_i32 s12, s12, s24
	s_add_i32 s23, s23, s12
	s_mul_i32 s6, s6, s24
	s_mul_hi_u32 s25, s13, s6
	s_mul_i32 s30, s13, s6
	s_mul_i32 s34, s24, s23
	s_mul_hi_u32 s6, s24, s6
	s_mul_hi_u32 s31, s24, s23
	s_add_u32 s6, s6, s34
	s_addc_u32 s24, 0, s31
	s_add_u32 s6, s6, s30
	s_mul_hi_u32 s12, s13, s23
	s_addc_u32 s6, s24, s25
	s_addc_u32 s12, s12, 0
	s_mul_i32 s23, s13, s23
	s_add_u32 s6, s6, s23
	s_addc_u32 s12, 0, s12
	v_add_co_u32_e32 v2, vcc, s6, v2
	s_cmp_lg_u64 vcc, 0
	s_addc_u32 s6, s13, s12
	v_readfirstlane_b32 s23, v2
	s_mul_i32 s13, s22, s6
	s_mul_hi_u32 s24, s22, s23
	s_mul_hi_u32 s12, s22, s6
	s_add_u32 s13, s24, s13
	s_addc_u32 s12, 0, s12
	s_mul_hi_u32 s25, s7, s23
	s_mul_i32 s23, s7, s23
	s_add_u32 s13, s13, s23
	s_mul_hi_u32 s24, s7, s6
	s_addc_u32 s12, s12, s25
	s_addc_u32 s13, s24, 0
	s_mul_i32 s6, s7, s6
	s_add_u32 s6, s12, s6
	s_addc_u32 s12, 0, s13
	s_mul_hi_u32 s13, s54, s6
	s_mul_i32 s6, s54, s6
	s_mul_i32 s12, s54, s12
	v_mov_b32_e32 v2, s6
	s_add_i32 s13, s13, s12
	v_sub_co_u32_e32 v2, vcc, s22, v2
	s_cmp_lg_u64 vcc, 0
	s_subb_u32 s6, s7, s13
	v_subrev_co_u32_e32 v3, vcc, s54, v2
	s_cmp_lg_u64 vcc, 0
	s_subb_u32 s12, s6, 0
	v_subrev_co_u32_e32 v4, vcc, s54, v3
	s_cmp_lg_u64 vcc, 0
	s_subb_u32 s13, s12, 0
	v_cmp_le_u32_e32 vcc, s54, v3
	s_cmp_eq_u32 s12, 0
	v_cndmask_b32_e64 v5, 0, -1, vcc
	s_cselect_b64 vcc, -1, 0
	v_cndmask_b32_e32 v5, -1, v5, vcc
	v_mov_b32_e32 v6, s12
	v_mov_b32_e32 v7, s13
	v_cmp_ne_u32_e32 vcc, 0, v5
	v_cndmask_b32_e32 v5, v6, v7, vcc
	v_cndmask_b32_e32 v4, v3, v4, vcc
	v_cmp_le_u32_e32 vcc, s54, v2
	s_cmp_eq_u32 s6, 0
	v_cndmask_b32_e64 v3, 0, -1, vcc
	s_cselect_b64 vcc, -1, 0
	v_cndmask_b32_e32 v3, -1, v3, vcc
	v_mov_b32_e32 v6, s6
	v_cmp_ne_u32_e32 vcc, 0, v3
	v_cndmask_b32_e32 v3, v6, v5, vcc
	v_cndmask_b32_e32 v2, v2, v4, vcc
	s_cbranch_execnz .LBB126_109
.LBB126_108:                            ;   in Loop: Header=BB126_31 Depth=1
	v_cvt_f32_u32_e32 v2, s54
	s_sub_i32 s6, 0, s54
	v_rcp_iflag_f32_e32 v2, v2
	v_mul_f32_e32 v2, 0x4f7ffffe, v2
	v_cvt_u32_f32_e32 v2, v2
	v_mul_lo_u32 v3, s6, v2
	v_mul_hi_u32 v3, v2, v3
	v_add_u32_e32 v2, v2, v3
	v_mul_hi_u32 v2, s22, v2
	v_mul_lo_u32 v2, v2, s54
	v_sub_u32_e32 v2, s22, v2
	v_subrev_u32_e32 v3, s54, v2
	v_cmp_le_u32_e32 vcc, s54, v2
	v_cndmask_b32_e32 v2, v2, v3, vcc
	v_subrev_u32_e32 v3, s54, v2
	v_cmp_le_u32_e32 vcc, s54, v2
	v_cndmask_b32_e32 v10, v2, v3, vcc
	v_pk_mov_b32 v[2:3], v[10:11], v[10:11] op_sel:[0,1]
.LBB126_109:                            ;   in Loop: Header=BB126_31 Depth=1
	v_mov_b32_e32 v4, s7
	v_sub_co_u32_e32 v2, vcc, s22, v2
	v_subb_co_u32_e32 v3, vcc, v4, v3, vcc
	v_cmp_gt_u64_e32 vcc, v[2:3], v[0:1]
	s_mov_b64 s[6:7], 0
                                        ; implicit-def: $vgpr21
	s_and_saveexec_b64 s[12:13], vcc
	s_cbranch_execz .LBB126_120
; %bb.110:                              ;   in Loop: Header=BB126_31 Depth=1
	s_mov_b64 s[22:23], 0
	v_mov_b32_e32 v6, v12
	v_pk_mov_b32 v[4:5], v[0:1], v[0:1] op_sel:[0,1]
                                        ; implicit-def: $sgpr24_sgpr25
	s_branch .LBB126_112
.LBB126_111:                            ;   in Loop: Header=BB126_112 Depth=2
	s_or_b64 exec, exec, s[6:7]
	s_waitcnt lgkmcnt(0)
	s_barrier
	ds_read_b64 v[20:21], v11 offset:3072
	v_mov_b32_e32 v7, s84
	v_add_co_u32_e64 v4, s[6:7], s54, v4
	v_addc_co_u32_e64 v5, s[6:7], v5, v7, s[6:7]
	s_waitcnt lgkmcnt(0)
	v_cmp_neq_f32_e32 vcc, 0, v20
	v_cmp_ge_u64_e64 s[6:7], v[4:5], v[2:3]
	s_or_b64 s[6:7], s[6:7], vcc
	s_and_b64 s[6:7], exec, s[6:7]
	s_or_b64 s[22:23], s[6:7], s[22:23]
	s_andn2_b64 s[6:7], s[24:25], exec
	s_and_b64 s[24:25], vcc, exec
	v_add_u32_e32 v6, s3, v6
	s_or_b64 s[24:25], s[6:7], s[24:25]
	s_barrier
	s_andn2_b64 exec, exec, s[22:23]
	s_cbranch_execz .LBB126_119
.LBB126_112:                            ;   Parent Loop BB126_31 Depth=1
                                        ; =>  This Inner Loop Header: Depth=2
	v_cmp_gt_u64_e32 vcc, s[8:9], v[4:5]
	v_mov_b32_e32 v19, 0
	s_and_saveexec_b64 s[6:7], vcc
	s_cbranch_execz .LBB126_114
; %bb.113:                              ;   in Loop: Header=BB126_112 Depth=2
	ds_read_b32 v19, v6
.LBB126_114:                            ;   in Loop: Header=BB126_112 Depth=2
	s_or_b64 exec, exec, s[6:7]
	s_and_saveexec_b64 s[6:7], vcc
	s_cbranch_execz .LBB126_111
; %bb.115:                              ;   in Loop: Header=BB126_112 Depth=2
	s_waitcnt lgkmcnt(0)
	v_cmp_lt_i32_e32 vcc, -1, v19
	v_cndmask_b32_e32 v7, -1, v33, vcc
	v_xor_b32_e32 v7, v7, v19
	v_cmp_o_f32_e32 vcc, v19, v19
	v_cndmask_b32_e32 v7, -1, v7, vcc
	v_and_b32_e32 v7, s26, v7
	v_cmp_eq_u32_e32 vcc, s27, v7
	s_and_b64 exec, exec, vcc
	s_cbranch_execz .LBB126_111
; %bb.116:                              ;   in Loop: Header=BB126_112 Depth=2
	ds_write_b64 v11, v[18:19] offset:3072
	s_branch .LBB126_111
.LBB126_117:                            ;   in Loop: Header=BB126_31 Depth=1
	s_mov_b64 s[6:7], -1
                                        ; implicit-def: $sgpr8_sgpr9
                                        ; implicit-def: $sgpr22_sgpr23
                                        ; implicit-def: $sgpr12_sgpr13
	s_branch .LBB126_134
.LBB126_118:                            ;   in Loop: Header=BB126_31 Depth=1
	s_mov_b64 s[8:9], -1
	s_mov_b64 s[6:7], 0
                                        ; implicit-def: $sgpr12_sgpr13
                                        ; implicit-def: $vgpr21
	s_mov_b64 s[22:23], s[8:9]
	s_cbranch_execnz .LBB126_121
	s_branch .LBB126_134
.LBB126_119:                            ;   in Loop: Header=BB126_31 Depth=1
	s_or_b64 exec, exec, s[22:23]
	s_and_b64 s[6:7], s[24:25], exec
.LBB126_120:                            ;   in Loop: Header=BB126_31 Depth=1
	s_or_b64 exec, exec, s[12:13]
	s_mov_b64 s[12:13], -1
	s_mov_b64 s[8:9], 0
	s_mov_b64 s[22:23], s[8:9]
	s_branch .LBB126_134
.LBB126_121:                            ;   in Loop: Header=BB126_31 Depth=1
	s_mov_b32 s82, s91
	s_cmp_lg_u64 s[82:83], 0
	s_cbranch_scc0 .LBB126_167
; %bb.122:                              ;   in Loop: Header=BB126_31 Depth=1
	v_cvt_f32_u32_e32 v2, s54
	s_sub_u32 s6, 0, s54
	s_subb_u32 s7, 0, 0
	v_mac_f32_e32 v2, 0, v34
	v_rcp_f32_e32 v2, v2
	v_mul_f32_e32 v2, 0x5f7ffffc, v2
	v_mul_f32_e32 v3, 0x2f800000, v2
	v_trunc_f32_e32 v3, v3
	v_mac_f32_e32 v2, 0xcf800000, v3
	v_cvt_u32_f32_e32 v3, v3
	v_cvt_u32_f32_e32 v2, v2
	v_readfirstlane_b32 s8, v3
	v_readfirstlane_b32 s9, v2
	s_mul_i32 s12, s6, s8
	s_mul_hi_u32 s22, s6, s9
	s_mul_i32 s13, s7, s9
	s_add_i32 s12, s22, s12
	s_mul_i32 s23, s6, s9
	s_add_i32 s12, s12, s13
	s_mul_hi_u32 s22, s9, s23
	s_mul_hi_u32 s13, s9, s12
	s_mul_i32 s9, s9, s12
	s_add_u32 s9, s22, s9
	s_addc_u32 s13, 0, s13
	s_mul_hi_u32 s24, s8, s23
	s_mul_i32 s23, s8, s23
	s_add_u32 s9, s9, s23
	s_mul_hi_u32 s22, s8, s12
	s_addc_u32 s9, s13, s24
	s_addc_u32 s13, s22, 0
	s_mul_i32 s12, s8, s12
	s_add_u32 s9, s9, s12
	s_addc_u32 s12, 0, s13
	v_add_co_u32_e32 v2, vcc, s9, v2
	s_cmp_lg_u64 vcc, 0
	s_addc_u32 s8, s8, s12
	v_readfirstlane_b32 s12, v2
	s_mul_i32 s9, s6, s8
	s_mul_hi_u32 s13, s6, s12
	s_add_i32 s9, s13, s9
	s_mul_i32 s7, s7, s12
	s_add_i32 s9, s9, s7
	s_mul_i32 s6, s6, s12
	s_mul_hi_u32 s13, s8, s6
	s_mul_i32 s22, s8, s6
	s_mul_i32 s24, s12, s9
	s_mul_hi_u32 s6, s12, s6
	s_mul_hi_u32 s23, s12, s9
	s_add_u32 s6, s6, s24
	s_addc_u32 s12, 0, s23
	s_add_u32 s6, s6, s22
	s_mul_hi_u32 s7, s8, s9
	s_addc_u32 s6, s12, s13
	s_addc_u32 s7, s7, 0
	s_mul_i32 s9, s8, s9
	s_add_u32 s6, s6, s9
	s_addc_u32 s7, 0, s7
	v_add_co_u32_e32 v2, vcc, s6, v2
	s_cmp_lg_u64 vcc, 0
	s_addc_u32 s6, s8, s7
	v_readfirstlane_b32 s9, v2
	s_mul_i32 s8, s85, s6
	s_mul_hi_u32 s12, s85, s9
	s_mul_hi_u32 s7, s85, s6
	s_add_u32 s8, s12, s8
	s_addc_u32 s7, 0, s7
	s_mul_hi_u32 s13, s83, s9
	s_mul_i32 s9, s83, s9
	s_add_u32 s8, s8, s9
	s_mul_hi_u32 s12, s83, s6
	s_addc_u32 s7, s7, s13
	s_addc_u32 s8, s12, 0
	s_mul_i32 s6, s83, s6
	s_add_u32 s6, s7, s6
	s_addc_u32 s7, 0, s8
	s_mul_hi_u32 s8, s54, s6
	s_mul_i32 s6, s54, s6
	s_mul_i32 s7, s54, s7
	v_mov_b32_e32 v2, s6
	s_add_i32 s8, s8, s7
	v_sub_co_u32_e32 v2, vcc, s85, v2
	s_cmp_lg_u64 vcc, 0
	s_subb_u32 s6, s83, s8
	v_subrev_co_u32_e32 v3, vcc, s54, v2
	s_cmp_lg_u64 vcc, 0
	s_subb_u32 s7, s6, 0
	v_subrev_co_u32_e32 v4, vcc, s54, v3
	s_cmp_lg_u64 vcc, 0
	s_subb_u32 s8, s7, 0
	v_cmp_le_u32_e32 vcc, s54, v3
	s_cmp_eq_u32 s7, 0
	v_cndmask_b32_e64 v5, 0, -1, vcc
	s_cselect_b64 vcc, -1, 0
	v_cndmask_b32_e32 v5, -1, v5, vcc
	v_mov_b32_e32 v6, s7
	v_mov_b32_e32 v7, s8
	v_cmp_ne_u32_e32 vcc, 0, v5
	v_cndmask_b32_e32 v5, v6, v7, vcc
	v_cndmask_b32_e32 v4, v3, v4, vcc
	v_cmp_le_u32_e32 vcc, s54, v2
	s_cmp_eq_u32 s6, 0
	v_cndmask_b32_e64 v3, 0, -1, vcc
	s_cselect_b64 vcc, -1, 0
	v_cndmask_b32_e32 v3, -1, v3, vcc
	v_mov_b32_e32 v6, s6
	v_cmp_ne_u32_e32 vcc, 0, v3
	v_cndmask_b32_e32 v3, v6, v5, vcc
	v_cndmask_b32_e32 v2, v2, v4, vcc
	s_cbranch_execnz .LBB126_124
.LBB126_123:                            ;   in Loop: Header=BB126_31 Depth=1
	v_cvt_f32_u32_e32 v2, s54
	s_sub_i32 s6, 0, s54
	v_rcp_iflag_f32_e32 v2, v2
	v_mul_f32_e32 v2, 0x4f7ffffe, v2
	v_cvt_u32_f32_e32 v2, v2
	v_mul_lo_u32 v3, s6, v2
	v_mul_hi_u32 v3, v2, v3
	v_add_u32_e32 v2, v2, v3
	v_mul_hi_u32 v2, s85, v2
	v_mul_lo_u32 v2, v2, s54
	v_sub_u32_e32 v2, s85, v2
	v_subrev_u32_e32 v3, s54, v2
	v_cmp_le_u32_e32 vcc, s54, v2
	v_cndmask_b32_e32 v2, v2, v3, vcc
	v_subrev_u32_e32 v3, s54, v2
	v_cmp_le_u32_e32 vcc, s54, v2
	v_cndmask_b32_e32 v10, v2, v3, vcc
	v_pk_mov_b32 v[2:3], v[10:11], v[10:11] op_sel:[0,1]
.LBB126_124:                            ;   in Loop: Header=BB126_31 Depth=1
	v_mov_b32_e32 v4, s83
	v_sub_co_u32_e32 v2, vcc, s85, v2
	v_subb_co_u32_e32 v3, vcc, v4, v3, vcc
	v_cmp_gt_u64_e32 vcc, v[2:3], v[0:1]
	s_mov_b64 s[6:7], 0
                                        ; implicit-def: $vgpr21
	s_and_saveexec_b64 s[8:9], vcc
	s_cbranch_execz .LBB126_133
; %bb.125:                              ;   in Loop: Header=BB126_31 Depth=1
	s_mov_b64 s[12:13], 0
	v_pk_mov_b32 v[4:5], v[0:1], v[0:1] op_sel:[0,1]
                                        ; implicit-def: $sgpr22_sgpr23
	s_branch .LBB126_127
.LBB126_126:                            ;   in Loop: Header=BB126_127 Depth=2
	s_or_b64 exec, exec, s[6:7]
	s_waitcnt lgkmcnt(0)
	s_barrier
	ds_read_b64 v[20:21], v11 offset:3072
	v_mov_b32_e32 v6, s84
	v_add_co_u32_e64 v4, s[6:7], s54, v4
	v_addc_co_u32_e64 v5, s[6:7], v5, v6, s[6:7]
	s_waitcnt lgkmcnt(0)
	v_cmp_neq_f32_e32 vcc, 0, v20
	v_cmp_ge_u64_e64 s[6:7], v[4:5], v[2:3]
	s_or_b64 s[6:7], s[6:7], vcc
	s_and_b64 s[6:7], exec, s[6:7]
	s_or_b64 s[12:13], s[6:7], s[12:13]
	s_andn2_b64 s[6:7], s[22:23], exec
	s_and_b64 s[22:23], vcc, exec
	s_or_b64 s[22:23], s[6:7], s[22:23]
	s_barrier
	s_andn2_b64 exec, exec, s[12:13]
	s_cbranch_execz .LBB126_132
.LBB126_127:                            ;   Parent Loop BB126_31 Depth=1
                                        ; =>  This Inner Loop Header: Depth=2
	v_cmp_gt_u64_e32 vcc, s[52:53], v[4:5]
	s_waitcnt vmcnt(0)
	v_mov_b32_e32 v19, 0
	s_and_saveexec_b64 s[24:25], vcc
	s_cbranch_execz .LBB126_129
; %bb.128:                              ;   in Loop: Header=BB126_127 Depth=2
	v_mul_lo_u32 v8, v5, s76
	v_mul_lo_u32 v9, v4, s77
	v_mad_u64_u32 v[6:7], s[6:7], v4, s76, 0
	v_add3_u32 v7, v7, v9, v8
	v_lshlrev_b64 v[6:7], 2, v[6:7]
	v_mov_b32_e32 v8, s55
	v_add_co_u32_e64 v6, s[6:7], s33, v6
	v_addc_co_u32_e64 v7, s[6:7], v8, v7, s[6:7]
	global_load_dword v19, v[6:7], off
.LBB126_129:                            ;   in Loop: Header=BB126_127 Depth=2
	s_or_b64 exec, exec, s[24:25]
	s_and_saveexec_b64 s[6:7], vcc
	s_cbranch_execz .LBB126_126
; %bb.130:                              ;   in Loop: Header=BB126_127 Depth=2
	s_waitcnt vmcnt(0)
	v_cmp_lt_i32_e32 vcc, -1, v19
	v_cndmask_b32_e32 v6, -1, v33, vcc
	v_xor_b32_e32 v6, v6, v19
	v_cmp_o_f32_e32 vcc, v19, v19
	v_cndmask_b32_e32 v6, -1, v6, vcc
	v_and_b32_e32 v6, s26, v6
	v_cmp_eq_u32_e32 vcc, s27, v6
	s_and_b64 exec, exec, vcc
	s_cbranch_execz .LBB126_126
; %bb.131:                              ;   in Loop: Header=BB126_127 Depth=2
	ds_write_b64 v11, v[18:19] offset:3072
	s_branch .LBB126_126
.LBB126_132:                            ;   in Loop: Header=BB126_31 Depth=1
	s_or_b64 exec, exec, s[12:13]
	s_and_b64 s[6:7], s[22:23], exec
.LBB126_133:                            ;   in Loop: Header=BB126_31 Depth=1
	s_or_b64 exec, exec, s[8:9]
	s_mov_b64 s[22:23], -1
	s_mov_b64 s[8:9], 0
	s_mov_b64 s[12:13], 0
.LBB126_134:                            ;   in Loop: Header=BB126_31 Depth=1
	s_andn2_b64 s[24:25], s[58:59], exec
	s_and_b64 s[8:9], s[8:9], exec
	s_or_b64 s[58:59], s[24:25], s[8:9]
	s_andn2_b64 s[8:9], s[56:57], exec
	s_and_b64 s[22:23], s[22:23], exec
	s_or_b64 s[56:57], s[8:9], s[22:23]
	s_andn2_b64 s[8:9], s[68:69], exec
	s_and_b64 s[12:13], s[12:13], exec
	s_or_b64 s[68:69], s[8:9], s[12:13]
	s_and_saveexec_b64 s[12:13], s[6:7]
	s_cbranch_execz .LBB126_30
; %bb.135:                              ;   in Loop: Header=BB126_31 Depth=1
	s_xor_b64 s[6:7], s[20:21], -1
	s_andn2_b64 vcc, exec, s[6:7]
	s_mov_b32 s49, 1
	s_cbranch_vccnz .LBB126_146
; %bb.136:                              ;   in Loop: Header=BB126_31 Depth=1
	v_pk_mov_b32 v[2:3], s[14:15], s[14:15] op_sel:[0,1]
	v_cmp_gt_u64_e32 vcc, s[94:95], v[2:3]
	s_mov_b64 s[6:7], -1
                                        ; implicit-def: $sgpr49
                                        ; implicit-def: $sgpr8
                                        ; implicit-def: $sgpr9
	s_cbranch_vccnz .LBB126_142
; %bb.137:                              ;   in Loop: Header=BB126_31 Depth=1
	ds_read_b64 v[2:3], v11 offset:5120
	s_waitcnt lgkmcnt(0)
	v_cmp_ne_u64_e32 vcc, 0, v[2:3]
	s_cbranch_vccnz .LBB126_141
; %bb.138:                              ;   in Loop: Header=BB126_31 Depth=1
	s_mov_b64 s[6:7], exec
	v_readlane_b32 s8, v44, 36
	v_readlane_b32 s9, v44, 37
	s_and_b64 s[8:9], s[6:7], s[8:9]
	s_mov_b64 exec, s[8:9]
	s_cbranch_execz .LBB126_140
; %bb.139:                              ;   in Loop: Header=BB126_31 Depth=1
	v_pk_mov_b32 v[2:3], s[14:15], s[14:15] op_sel:[0,1]
	ds_write_b64 v11, v[2:3] offset:5128
.LBB126_140:                            ;   in Loop: Header=BB126_31 Depth=1
	s_or_b64 exec, exec, s[6:7]
	s_waitcnt lgkmcnt(0)
	s_barrier
.LBB126_141:                            ;   in Loop: Header=BB126_31 Depth=1
	s_and_b32 s8, s27, s41
	s_or_b32 s9, s26, s48
	s_mov_b64 s[6:7], 0
	s_mov_b32 s49, 8
.LBB126_142:                            ;   in Loop: Header=BB126_31 Depth=1
	s_andn2_b64 vcc, exec, s[6:7]
	s_cbranch_vccnz .LBB126_144
; %bb.143:                              ;   in Loop: Header=BB126_31 Depth=1
	s_sub_u32 s94, s94, s14
	s_subb_u32 s95, s95, s15
	s_mov_b64 s[6:7], -1
	s_mov_b32 s49, 0
	s_mov_b32 s8, s27
	;; [unrolled: 1-line block ×3, first 2 shown]
.LBB126_144:                            ;   in Loop: Header=BB126_31 Depth=1
	s_mov_b32 s26, s9
	s_mov_b32 s27, s8
	s_mov_b64 s[14:15], -1
	s_and_b64 vcc, exec, s[6:7]
	s_cbranch_vccnz .LBB126_147
.LBB126_145:                            ;   in Loop: Header=BB126_31 Depth=1
	s_mov_b64 s[8:9], -1
                                        ; implicit-def: $sgpr18_sgpr19
                                        ; implicit-def: $sgpr22_sgpr23
                                        ; implicit-def: $sgpr20_sgpr21
	s_and_saveexec_b64 s[6:7], s[8:9]
	s_xor_b64 s[6:7], exec, s[6:7]
	s_cbranch_execz .LBB126_29
	s_branch .LBB126_296
.LBB126_146:                            ;   in Loop: Header=BB126_31 Depth=1
	s_mov_b64 s[94:95], 1
	s_mov_b64 s[14:15], -1
	s_branch .LBB126_145
.LBB126_147:                            ;   in Loop: Header=BB126_31 Depth=1
	s_cmp_eq_u64 s[28:29], 1
	s_cselect_b64 s[6:7], -1, 0
	s_cmp_eq_u64 s[94:95], 1
	s_cselect_b64 s[8:9], -1, 0
	s_and_b64 s[30:31], s[6:7], s[8:9]
	s_mov_b64 s[6:7], -1
	s_and_b64 vcc, exec, s[30:31]
	s_cbranch_vccz .LBB126_162
; %bb.148:                              ;   in Loop: Header=BB126_31 Depth=1
	ds_read_b64 v[2:3], v11 offset:5120
	s_waitcnt lgkmcnt(0)
	s_barrier
	v_readfirstlane_b32 s8, v2
	v_readfirstlane_b32 s9, v3
	s_mov_b64 s[6:7], exec
	v_readlane_b32 s18, v44, 38
	v_readlane_b32 s19, v44, 39
	s_and_b64 s[18:19], s[6:7], s[18:19]
	s_mov_b64 exec, s[18:19]
	s_cbranch_execz .LBB126_150
; %bb.149:                              ;   in Loop: Header=BB126_31 Depth=1
	ds_write_b32 v27, v11
.LBB126_150:                            ;   in Loop: Header=BB126_31 Depth=1
	s_or_b64 exec, exec, s[6:7]
	s_lshl_b32 s6, 1, s40
	s_and_b32 s7, s27, s41
	s_or_b32 s27, s7, s6
	s_or_b32 s26, s26, s48
	s_cmp_eq_u64 s[8:9], 0
	s_waitcnt lgkmcnt(0)
	s_barrier
	s_cbranch_scc1 .LBB126_168
; %bb.151:                              ;   in Loop: Header=BB126_31 Depth=1
	v_readlane_b32 s6, v44, 44
	s_add_u32 s20, s6, s8
	v_readlane_b32 s6, v44, 45
	s_addc_u32 s7, s6, s9
	s_mov_b32 s6, s91
	s_cmp_lg_u64 s[6:7], 0
	s_cbranch_scc0 .LBB126_213
; %bb.152:                              ;   in Loop: Header=BB126_31 Depth=1
	v_cvt_f32_u32_e32 v2, s54
	s_sub_u32 s6, 0, s54
	s_subb_u32 s18, 0, 0
	v_mac_f32_e32 v2, 0, v34
	v_rcp_f32_e32 v2, v2
	v_mul_f32_e32 v2, 0x5f7ffffc, v2
	v_mul_f32_e32 v3, 0x2f800000, v2
	v_trunc_f32_e32 v3, v3
	v_mac_f32_e32 v2, 0xcf800000, v3
	v_cvt_u32_f32_e32 v3, v3
	v_cvt_u32_f32_e32 v2, v2
	v_readfirstlane_b32 s19, v3
	v_readfirstlane_b32 s21, v2
	s_mul_i32 s22, s6, s19
	s_mul_hi_u32 s24, s6, s21
	s_mul_i32 s23, s18, s21
	s_add_i32 s22, s24, s22
	s_mul_i32 s25, s6, s21
	s_add_i32 s22, s22, s23
	s_mul_hi_u32 s24, s21, s25
	s_mul_hi_u32 s23, s21, s22
	s_mul_i32 s21, s21, s22
	s_add_u32 s21, s24, s21
	s_addc_u32 s23, 0, s23
	s_mul_hi_u32 s34, s19, s25
	s_mul_i32 s25, s19, s25
	s_add_u32 s21, s21, s25
	s_mul_hi_u32 s24, s19, s22
	s_addc_u32 s21, s23, s34
	s_addc_u32 s23, s24, 0
	s_mul_i32 s22, s19, s22
	s_add_u32 s21, s21, s22
	s_addc_u32 s22, 0, s23
	v_add_co_u32_e32 v2, vcc, s21, v2
	s_cmp_lg_u64 vcc, 0
	s_addc_u32 s19, s19, s22
	v_readfirstlane_b32 s22, v2
	s_mul_i32 s21, s6, s19
	s_mul_hi_u32 s23, s6, s22
	s_add_i32 s21, s23, s21
	s_mul_i32 s18, s18, s22
	s_add_i32 s21, s21, s18
	s_mul_i32 s6, s6, s22
	s_mul_hi_u32 s23, s19, s6
	s_mul_i32 s24, s19, s6
	s_mul_i32 s34, s22, s21
	s_mul_hi_u32 s6, s22, s6
	s_mul_hi_u32 s25, s22, s21
	s_add_u32 s6, s6, s34
	s_addc_u32 s22, 0, s25
	s_add_u32 s6, s6, s24
	s_mul_hi_u32 s18, s19, s21
	s_addc_u32 s6, s22, s23
	s_addc_u32 s18, s18, 0
	s_mul_i32 s21, s19, s21
	s_add_u32 s6, s6, s21
	s_addc_u32 s18, 0, s18
	v_add_co_u32_e32 v2, vcc, s6, v2
	s_cmp_lg_u64 vcc, 0
	s_addc_u32 s6, s19, s18
	v_readfirstlane_b32 s21, v2
	s_mul_i32 s19, s20, s6
	s_mul_hi_u32 s22, s20, s21
	s_mul_hi_u32 s18, s20, s6
	s_add_u32 s19, s22, s19
	s_addc_u32 s18, 0, s18
	s_mul_hi_u32 s23, s7, s21
	s_mul_i32 s21, s7, s21
	s_add_u32 s19, s19, s21
	s_mul_hi_u32 s22, s7, s6
	s_addc_u32 s18, s18, s23
	s_addc_u32 s19, s22, 0
	s_mul_i32 s6, s7, s6
	s_add_u32 s6, s18, s6
	s_addc_u32 s18, 0, s19
	s_mul_hi_u32 s19, s54, s6
	s_mul_i32 s6, s54, s6
	s_mul_i32 s18, s54, s18
	v_mov_b32_e32 v2, s6
	s_add_i32 s19, s19, s18
	v_sub_co_u32_e32 v2, vcc, s20, v2
	s_cmp_lg_u64 vcc, 0
	s_subb_u32 s6, s7, s19
	v_subrev_co_u32_e32 v3, vcc, s54, v2
	s_cmp_lg_u64 vcc, 0
	s_subb_u32 s18, s6, 0
	v_subrev_co_u32_e32 v4, vcc, s54, v3
	s_cmp_lg_u64 vcc, 0
	s_subb_u32 s19, s18, 0
	v_cmp_le_u32_e32 vcc, s54, v3
	s_cmp_eq_u32 s18, 0
	v_cndmask_b32_e64 v5, 0, -1, vcc
	s_cselect_b64 vcc, -1, 0
	v_cndmask_b32_e32 v5, -1, v5, vcc
	v_mov_b32_e32 v6, s18
	v_mov_b32_e32 v7, s19
	v_cmp_ne_u32_e32 vcc, 0, v5
	v_cndmask_b32_e32 v5, v6, v7, vcc
	v_cndmask_b32_e32 v4, v3, v4, vcc
	v_cmp_le_u32_e32 vcc, s54, v2
	s_cmp_eq_u32 s6, 0
	v_cndmask_b32_e64 v3, 0, -1, vcc
	s_cselect_b64 vcc, -1, 0
	v_cndmask_b32_e32 v3, -1, v3, vcc
	v_mov_b32_e32 v6, s6
	v_cmp_ne_u32_e32 vcc, 0, v3
	v_cndmask_b32_e32 v3, v6, v5, vcc
	v_cndmask_b32_e32 v2, v2, v4, vcc
	s_cbranch_execnz .LBB126_154
.LBB126_153:                            ;   in Loop: Header=BB126_31 Depth=1
	v_cvt_f32_u32_e32 v2, s54
	s_sub_i32 s6, 0, s54
	v_rcp_iflag_f32_e32 v2, v2
	v_mul_f32_e32 v2, 0x4f7ffffe, v2
	v_cvt_u32_f32_e32 v2, v2
	v_mul_lo_u32 v3, s6, v2
	v_mul_hi_u32 v3, v2, v3
	v_add_u32_e32 v2, v2, v3
	v_mul_hi_u32 v2, s20, v2
	v_mul_lo_u32 v2, v2, s54
	v_sub_u32_e32 v2, s20, v2
	v_subrev_u32_e32 v3, s54, v2
	v_cmp_le_u32_e32 vcc, s54, v2
	v_cndmask_b32_e32 v2, v2, v3, vcc
	v_subrev_u32_e32 v3, s54, v2
	v_cmp_le_u32_e32 vcc, s54, v2
	v_cndmask_b32_e32 v10, v2, v3, vcc
	v_pk_mov_b32 v[2:3], v[10:11], v[10:11] op_sel:[0,1]
.LBB126_154:                            ;   in Loop: Header=BB126_31 Depth=1
	v_mov_b32_e32 v4, s7
	v_sub_co_u32_e32 v2, vcc, s20, v2
	v_subb_co_u32_e32 v3, vcc, v4, v3, vcc
	v_cmp_gt_u64_e32 vcc, v[2:3], v[0:1]
	s_mov_b64 s[6:7], 0
                                        ; implicit-def: $vgpr21
	s_and_saveexec_b64 s[18:19], vcc
	s_cbranch_execz .LBB126_170
; %bb.155:                              ;   in Loop: Header=BB126_31 Depth=1
	s_mov_b64 s[20:21], 0
	v_mov_b32_e32 v6, v12
	v_pk_mov_b32 v[4:5], v[0:1], v[0:1] op_sel:[0,1]
                                        ; implicit-def: $sgpr22_sgpr23
	s_branch .LBB126_157
.LBB126_156:                            ;   in Loop: Header=BB126_157 Depth=2
	s_or_b64 exec, exec, s[6:7]
	s_waitcnt lgkmcnt(0)
	s_barrier
	ds_read_b64 v[20:21], v11 offset:3072
	v_mov_b32_e32 v7, s84
	v_add_co_u32_e64 v4, s[6:7], s54, v4
	v_addc_co_u32_e64 v5, s[6:7], v5, v7, s[6:7]
	s_waitcnt lgkmcnt(0)
	v_cmp_neq_f32_e32 vcc, 0, v20
	v_cmp_ge_u64_e64 s[6:7], v[4:5], v[2:3]
	s_or_b64 s[6:7], s[6:7], vcc
	s_and_b64 s[6:7], exec, s[6:7]
	s_or_b64 s[20:21], s[6:7], s[20:21]
	s_andn2_b64 s[6:7], s[22:23], exec
	s_and_b64 s[22:23], vcc, exec
	v_add_u32_e32 v6, s3, v6
	s_or_b64 s[22:23], s[6:7], s[22:23]
	s_barrier
	s_andn2_b64 exec, exec, s[20:21]
	s_cbranch_execz .LBB126_169
.LBB126_157:                            ;   Parent Loop BB126_31 Depth=1
                                        ; =>  This Inner Loop Header: Depth=2
	v_cmp_gt_u64_e32 vcc, s[8:9], v[4:5]
	s_waitcnt vmcnt(0)
	v_mov_b32_e32 v19, 0
	s_and_saveexec_b64 s[6:7], vcc
	s_cbranch_execz .LBB126_159
; %bb.158:                              ;   in Loop: Header=BB126_157 Depth=2
	ds_read_b32 v19, v6
.LBB126_159:                            ;   in Loop: Header=BB126_157 Depth=2
	s_or_b64 exec, exec, s[6:7]
	s_and_saveexec_b64 s[6:7], vcc
	s_cbranch_execz .LBB126_156
; %bb.160:                              ;   in Loop: Header=BB126_157 Depth=2
	s_waitcnt lgkmcnt(0)
	v_cmp_lt_i32_e32 vcc, -1, v19
	v_cndmask_b32_e32 v7, -1, v33, vcc
	v_xor_b32_e32 v7, v7, v19
	v_cmp_o_f32_e32 vcc, v19, v19
	v_cndmask_b32_e32 v7, -1, v7, vcc
	v_and_b32_e32 v7, s26, v7
	v_cmp_eq_u32_e32 vcc, s27, v7
	s_and_b64 exec, exec, vcc
	s_cbranch_execz .LBB126_156
; %bb.161:                              ;   in Loop: Header=BB126_157 Depth=2
	ds_write_b64 v11, v[18:19] offset:3072
	s_branch .LBB126_156
.LBB126_162:                            ;   in Loop: Header=BB126_31 Depth=1
                                        ; implicit-def: $sgpr20_sgpr21
                                        ; implicit-def: $sgpr22_sgpr23
                                        ; implicit-def: $sgpr18_sgpr19
	s_branch .LBB126_184
.LBB126_163:                            ;   in Loop: Header=BB126_31 Depth=1
                                        ; implicit-def: $vgpr2_vgpr3
	s_branch .LBB126_108
.LBB126_164:                            ;   in Loop: Header=BB126_31 Depth=1
	s_or_b64 exec, exec, s[8:9]
	s_waitcnt lgkmcnt(0)
	s_barrier
	s_mov_b64 s[6:7], exec
	v_readlane_b32 s8, v44, 36
	v_readlane_b32 s9, v44, 37
	s_and_b64 s[8:9], s[6:7], s[8:9]
	s_mov_b64 exec, s[8:9]
	s_cbranch_execz .LBB126_166
; %bb.165:                              ;   in Loop: Header=BB126_31 Depth=1
	ds_read_b32 v2, v11 offset:5144
	s_waitcnt lgkmcnt(0)
	v_ashrrev_i32_e32 v3, 31, v2
	ds_write_b64 v11, v[2:3] offset:5120
.LBB126_166:                            ;   in Loop: Header=BB126_31 Depth=1
	s_or_b64 exec, exec, s[6:7]
	s_waitcnt lgkmcnt(0)
	s_barrier
	s_mov_b64 s[6:7], -1
	s_and_b64 vcc, exec, s[72:73]
	s_cbranch_vccnz .LBB126_49
	s_branch .LBB126_59
.LBB126_167:                            ;   in Loop: Header=BB126_31 Depth=1
                                        ; implicit-def: $vgpr2_vgpr3
	s_branch .LBB126_123
.LBB126_168:                            ;   in Loop: Header=BB126_31 Depth=1
	s_mov_b64 s[20:21], -1
	s_mov_b64 s[6:7], 0
                                        ; implicit-def: $sgpr18_sgpr19
                                        ; implicit-def: $vgpr21
	s_mov_b64 s[22:23], s[20:21]
	s_cbranch_execnz .LBB126_171
	s_branch .LBB126_184
.LBB126_169:                            ;   in Loop: Header=BB126_31 Depth=1
	s_or_b64 exec, exec, s[20:21]
	s_and_b64 s[6:7], s[22:23], exec
.LBB126_170:                            ;   in Loop: Header=BB126_31 Depth=1
	s_or_b64 exec, exec, s[18:19]
	s_mov_b64 s[18:19], -1
	s_mov_b64 s[20:21], 0
	s_mov_b64 s[22:23], s[20:21]
	s_branch .LBB126_184
.LBB126_171:                            ;   in Loop: Header=BB126_31 Depth=1
	s_mov_b32 s82, s91
	s_cmp_lg_u64 s[82:83], 0
	s_cbranch_scc0 .LBB126_214
; %bb.172:                              ;   in Loop: Header=BB126_31 Depth=1
	v_cvt_f32_u32_e32 v2, s54
	s_sub_u32 s6, 0, s54
	s_subb_u32 s7, 0, 0
	v_mac_f32_e32 v2, 0, v34
	v_rcp_f32_e32 v2, v2
	v_mul_f32_e32 v2, 0x5f7ffffc, v2
	v_mul_f32_e32 v3, 0x2f800000, v2
	v_trunc_f32_e32 v3, v3
	v_mac_f32_e32 v2, 0xcf800000, v3
	v_cvt_u32_f32_e32 v3, v3
	v_cvt_u32_f32_e32 v2, v2
	v_readfirstlane_b32 s8, v3
	v_readfirstlane_b32 s9, v2
	s_mul_i32 s18, s6, s8
	s_mul_hi_u32 s20, s6, s9
	s_mul_i32 s19, s7, s9
	s_add_i32 s18, s20, s18
	s_mul_i32 s21, s6, s9
	s_add_i32 s18, s18, s19
	s_mul_hi_u32 s20, s9, s21
	s_mul_hi_u32 s19, s9, s18
	s_mul_i32 s9, s9, s18
	s_add_u32 s9, s20, s9
	s_addc_u32 s19, 0, s19
	s_mul_hi_u32 s22, s8, s21
	s_mul_i32 s21, s8, s21
	s_add_u32 s9, s9, s21
	s_mul_hi_u32 s20, s8, s18
	s_addc_u32 s9, s19, s22
	s_addc_u32 s19, s20, 0
	s_mul_i32 s18, s8, s18
	s_add_u32 s9, s9, s18
	s_addc_u32 s18, 0, s19
	v_add_co_u32_e32 v2, vcc, s9, v2
	s_cmp_lg_u64 vcc, 0
	s_addc_u32 s8, s8, s18
	v_readfirstlane_b32 s18, v2
	s_mul_i32 s9, s6, s8
	s_mul_hi_u32 s19, s6, s18
	s_add_i32 s9, s19, s9
	s_mul_i32 s7, s7, s18
	s_add_i32 s9, s9, s7
	s_mul_i32 s6, s6, s18
	s_mul_hi_u32 s19, s8, s6
	s_mul_i32 s20, s8, s6
	s_mul_i32 s22, s18, s9
	s_mul_hi_u32 s6, s18, s6
	s_mul_hi_u32 s21, s18, s9
	s_add_u32 s6, s6, s22
	s_addc_u32 s18, 0, s21
	s_add_u32 s6, s6, s20
	s_mul_hi_u32 s7, s8, s9
	s_addc_u32 s6, s18, s19
	s_addc_u32 s7, s7, 0
	s_mul_i32 s9, s8, s9
	s_add_u32 s6, s6, s9
	s_addc_u32 s7, 0, s7
	v_add_co_u32_e32 v2, vcc, s6, v2
	s_cmp_lg_u64 vcc, 0
	s_addc_u32 s6, s8, s7
	v_readfirstlane_b32 s9, v2
	s_mul_i32 s8, s85, s6
	s_mul_hi_u32 s18, s85, s9
	s_mul_hi_u32 s7, s85, s6
	s_add_u32 s8, s18, s8
	s_addc_u32 s7, 0, s7
	s_mul_hi_u32 s19, s83, s9
	s_mul_i32 s9, s83, s9
	s_add_u32 s8, s8, s9
	s_mul_hi_u32 s18, s83, s6
	s_addc_u32 s7, s7, s19
	s_addc_u32 s8, s18, 0
	s_mul_i32 s6, s83, s6
	s_add_u32 s6, s7, s6
	s_addc_u32 s7, 0, s8
	s_mul_hi_u32 s8, s54, s6
	s_mul_i32 s6, s54, s6
	s_mul_i32 s7, s54, s7
	v_mov_b32_e32 v2, s6
	s_add_i32 s8, s8, s7
	v_sub_co_u32_e32 v2, vcc, s85, v2
	s_cmp_lg_u64 vcc, 0
	s_subb_u32 s6, s83, s8
	v_subrev_co_u32_e32 v3, vcc, s54, v2
	s_cmp_lg_u64 vcc, 0
	s_subb_u32 s7, s6, 0
	v_subrev_co_u32_e32 v4, vcc, s54, v3
	s_cmp_lg_u64 vcc, 0
	s_subb_u32 s8, s7, 0
	v_cmp_le_u32_e32 vcc, s54, v3
	s_cmp_eq_u32 s7, 0
	v_cndmask_b32_e64 v5, 0, -1, vcc
	s_cselect_b64 vcc, -1, 0
	v_cndmask_b32_e32 v5, -1, v5, vcc
	v_mov_b32_e32 v6, s7
	v_mov_b32_e32 v7, s8
	v_cmp_ne_u32_e32 vcc, 0, v5
	v_cndmask_b32_e32 v5, v6, v7, vcc
	v_cndmask_b32_e32 v4, v3, v4, vcc
	v_cmp_le_u32_e32 vcc, s54, v2
	s_cmp_eq_u32 s6, 0
	v_cndmask_b32_e64 v3, 0, -1, vcc
	s_cselect_b64 vcc, -1, 0
	v_cndmask_b32_e32 v3, -1, v3, vcc
	v_mov_b32_e32 v6, s6
	v_cmp_ne_u32_e32 vcc, 0, v3
	v_cndmask_b32_e32 v3, v6, v5, vcc
	v_cndmask_b32_e32 v2, v2, v4, vcc
	s_cbranch_execnz .LBB126_174
.LBB126_173:                            ;   in Loop: Header=BB126_31 Depth=1
	v_cvt_f32_u32_e32 v2, s54
	s_sub_i32 s6, 0, s54
	v_rcp_iflag_f32_e32 v2, v2
	v_mul_f32_e32 v2, 0x4f7ffffe, v2
	v_cvt_u32_f32_e32 v2, v2
	v_mul_lo_u32 v3, s6, v2
	v_mul_hi_u32 v3, v2, v3
	v_add_u32_e32 v2, v2, v3
	v_mul_hi_u32 v2, s85, v2
	v_mul_lo_u32 v2, v2, s54
	v_sub_u32_e32 v2, s85, v2
	v_subrev_u32_e32 v3, s54, v2
	v_cmp_le_u32_e32 vcc, s54, v2
	v_cndmask_b32_e32 v2, v2, v3, vcc
	v_subrev_u32_e32 v3, s54, v2
	v_cmp_le_u32_e32 vcc, s54, v2
	v_cndmask_b32_e32 v10, v2, v3, vcc
	v_pk_mov_b32 v[2:3], v[10:11], v[10:11] op_sel:[0,1]
.LBB126_174:                            ;   in Loop: Header=BB126_31 Depth=1
	v_mov_b32_e32 v4, s83
	v_sub_co_u32_e32 v2, vcc, s85, v2
	v_subb_co_u32_e32 v3, vcc, v4, v3, vcc
	v_cmp_gt_u64_e32 vcc, v[2:3], v[0:1]
	s_mov_b64 s[6:7], 0
                                        ; implicit-def: $vgpr21
	s_and_saveexec_b64 s[8:9], vcc
	s_cbranch_execz .LBB126_183
; %bb.175:                              ;   in Loop: Header=BB126_31 Depth=1
	s_mov_b64 s[18:19], 0
	v_pk_mov_b32 v[4:5], v[0:1], v[0:1] op_sel:[0,1]
                                        ; implicit-def: $sgpr20_sgpr21
	s_branch .LBB126_177
.LBB126_176:                            ;   in Loop: Header=BB126_177 Depth=2
	s_or_b64 exec, exec, s[6:7]
	s_waitcnt lgkmcnt(0)
	s_barrier
	ds_read_b64 v[20:21], v11 offset:3072
	v_mov_b32_e32 v6, s84
	v_add_co_u32_e64 v4, s[6:7], s54, v4
	v_addc_co_u32_e64 v5, s[6:7], v5, v6, s[6:7]
	s_waitcnt lgkmcnt(0)
	v_cmp_neq_f32_e32 vcc, 0, v20
	v_cmp_ge_u64_e64 s[6:7], v[4:5], v[2:3]
	s_or_b64 s[6:7], s[6:7], vcc
	s_and_b64 s[6:7], exec, s[6:7]
	s_or_b64 s[18:19], s[6:7], s[18:19]
	s_andn2_b64 s[6:7], s[20:21], exec
	s_and_b64 s[20:21], vcc, exec
	s_or_b64 s[20:21], s[6:7], s[20:21]
	s_barrier
	s_andn2_b64 exec, exec, s[18:19]
	s_cbranch_execz .LBB126_182
.LBB126_177:                            ;   Parent Loop BB126_31 Depth=1
                                        ; =>  This Inner Loop Header: Depth=2
	v_cmp_gt_u64_e32 vcc, s[52:53], v[4:5]
	s_waitcnt vmcnt(0)
	v_mov_b32_e32 v19, 0
	s_and_saveexec_b64 s[22:23], vcc
	s_cbranch_execz .LBB126_179
; %bb.178:                              ;   in Loop: Header=BB126_177 Depth=2
	v_mul_lo_u32 v8, v5, s76
	v_mul_lo_u32 v9, v4, s77
	v_mad_u64_u32 v[6:7], s[6:7], v4, s76, 0
	v_add3_u32 v7, v7, v9, v8
	v_lshlrev_b64 v[6:7], 2, v[6:7]
	v_mov_b32_e32 v8, s55
	v_add_co_u32_e64 v6, s[6:7], s33, v6
	v_addc_co_u32_e64 v7, s[6:7], v8, v7, s[6:7]
	global_load_dword v19, v[6:7], off
.LBB126_179:                            ;   in Loop: Header=BB126_177 Depth=2
	s_or_b64 exec, exec, s[22:23]
	s_and_saveexec_b64 s[6:7], vcc
	s_cbranch_execz .LBB126_176
; %bb.180:                              ;   in Loop: Header=BB126_177 Depth=2
	s_waitcnt vmcnt(0)
	v_cmp_lt_i32_e32 vcc, -1, v19
	v_cndmask_b32_e32 v6, -1, v33, vcc
	v_xor_b32_e32 v6, v6, v19
	v_cmp_o_f32_e32 vcc, v19, v19
	v_cndmask_b32_e32 v6, -1, v6, vcc
	v_and_b32_e32 v6, s26, v6
	v_cmp_eq_u32_e32 vcc, s27, v6
	s_and_b64 exec, exec, vcc
	s_cbranch_execz .LBB126_176
; %bb.181:                              ;   in Loop: Header=BB126_177 Depth=2
	ds_write_b64 v11, v[18:19] offset:3072
	s_branch .LBB126_176
.LBB126_182:                            ;   in Loop: Header=BB126_31 Depth=1
	s_or_b64 exec, exec, s[18:19]
	s_and_b64 s[6:7], s[20:21], exec
.LBB126_183:                            ;   in Loop: Header=BB126_31 Depth=1
	s_or_b64 exec, exec, s[8:9]
	s_mov_b64 s[22:23], -1
	s_mov_b64 s[20:21], 0
	s_mov_b64 s[18:19], 0
.LBB126_184:                            ;   in Loop: Header=BB126_31 Depth=1
	s_mov_b64 s[8:9], 0
                                        ; implicit-def: $sgpr49
	s_and_saveexec_b64 s[24:25], s[6:7]
	s_cbranch_execz .LBB126_295
; %bb.185:                              ;   in Loop: Header=BB126_31 Depth=1
	s_xor_b64 s[6:7], s[30:31], -1
	s_andn2_b64 vcc, exec, s[6:7]
	s_mov_b32 s49, 1
	s_cbranch_vccnz .LBB126_196
; %bb.186:                              ;   in Loop: Header=BB126_31 Depth=1
	v_pk_mov_b32 v[2:3], s[28:29], s[28:29] op_sel:[0,1]
	v_cmp_gt_u64_e32 vcc, s[94:95], v[2:3]
	s_mov_b64 s[6:7], -1
                                        ; implicit-def: $sgpr49
                                        ; implicit-def: $sgpr8
                                        ; implicit-def: $sgpr9
	s_cbranch_vccnz .LBB126_192
; %bb.187:                              ;   in Loop: Header=BB126_31 Depth=1
	ds_read_b64 v[2:3], v11 offset:5120
	s_waitcnt lgkmcnt(0)
	v_cmp_ne_u64_e32 vcc, 0, v[2:3]
	s_cbranch_vccnz .LBB126_191
; %bb.188:                              ;   in Loop: Header=BB126_31 Depth=1
	s_mov_b64 s[6:7], exec
	v_readlane_b32 s8, v44, 36
	v_readlane_b32 s9, v44, 37
	s_and_b64 s[8:9], s[6:7], s[8:9]
	s_mov_b64 exec, s[8:9]
	s_cbranch_execz .LBB126_190
; %bb.189:                              ;   in Loop: Header=BB126_31 Depth=1
	v_pk_mov_b32 v[2:3], s[28:29], s[28:29] op_sel:[0,1]
	ds_write_b64 v11, v[2:3] offset:5128
.LBB126_190:                            ;   in Loop: Header=BB126_31 Depth=1
	s_or_b64 exec, exec, s[6:7]
	s_waitcnt lgkmcnt(0)
	s_barrier
.LBB126_191:                            ;   in Loop: Header=BB126_31 Depth=1
	s_lshl_b32 s6, 1, s40
	s_and_b32 s7, s27, s41
	s_or_b32 s8, s7, s6
	s_or_b32 s9, s26, s48
	s_mov_b64 s[6:7], 0
	s_mov_b32 s49, 8
.LBB126_192:                            ;   in Loop: Header=BB126_31 Depth=1
	s_andn2_b64 vcc, exec, s[6:7]
	s_cbranch_vccnz .LBB126_194
; %bb.193:                              ;   in Loop: Header=BB126_31 Depth=1
	s_sub_u32 s94, s94, s28
	s_subb_u32 s95, s95, s29
	s_mov_b64 s[6:7], -1
	s_mov_b32 s49, 0
	s_mov_b32 s8, s27
	;; [unrolled: 1-line block ×3, first 2 shown]
.LBB126_194:                            ;   in Loop: Header=BB126_31 Depth=1
	s_mov_b32 s26, s9
	s_mov_b32 s27, s8
	s_andn2_b64 vcc, exec, s[6:7]
	s_mov_b64 s[8:9], -1
	s_cbranch_vccz .LBB126_197
.LBB126_195:                            ;   in Loop: Header=BB126_31 Depth=1
                                        ; implicit-def: $sgpr30_sgpr31
                                        ; implicit-def: $sgpr34_sgpr35
                                        ; implicit-def: $sgpr28_sgpr29
	s_branch .LBB126_294
.LBB126_196:                            ;   in Loop: Header=BB126_31 Depth=1
	s_mov_b64 s[94:95], 1
	s_mov_b64 s[8:9], -1
	s_cbranch_execnz .LBB126_195
.LBB126_197:                            ;   in Loop: Header=BB126_31 Depth=1
	s_cmp_eq_u64 s[16:17], 1
	s_cselect_b64 s[6:7], -1, 0
	s_cmp_eq_u64 s[94:95], 1
	s_cselect_b64 s[8:9], -1, 0
	s_and_b64 s[38:39], s[6:7], s[8:9]
	s_mov_b64 s[6:7], -1
	s_and_b64 vcc, exec, s[38:39]
	s_cbranch_vccz .LBB126_212
; %bb.198:                              ;   in Loop: Header=BB126_31 Depth=1
	ds_read_b64 v[2:3], v11 offset:5120
	s_waitcnt lgkmcnt(0)
	s_barrier
	v_readfirstlane_b32 s8, v2
	v_readfirstlane_b32 s9, v3
	s_mov_b64 s[6:7], exec
	v_readlane_b32 s28, v44, 38
	v_readlane_b32 s29, v44, 39
	s_and_b64 s[28:29], s[6:7], s[28:29]
	s_mov_b64 exec, s[28:29]
	s_cbranch_execz .LBB126_200
; %bb.199:                              ;   in Loop: Header=BB126_31 Depth=1
	ds_write_b32 v27, v11
.LBB126_200:                            ;   in Loop: Header=BB126_31 Depth=1
	s_or_b64 exec, exec, s[6:7]
	s_lshl_b32 s6, 2, s40
	s_and_b32 s7, s27, s41
	s_or_b32 s27, s7, s6
	s_or_b32 s26, s26, s48
	s_cmp_eq_u64 s[8:9], 0
	s_waitcnt lgkmcnt(0)
	s_barrier
	s_cbranch_scc1 .LBB126_215
; %bb.201:                              ;   in Loop: Header=BB126_31 Depth=1
	v_readlane_b32 s6, v44, 44
	s_add_u32 s30, s6, s8
	v_readlane_b32 s6, v44, 45
	s_addc_u32 s7, s6, s9
	s_mov_b32 s6, s91
	s_cmp_lg_u64 s[6:7], 0
	s_cbranch_scc0 .LBB126_260
; %bb.202:                              ;   in Loop: Header=BB126_31 Depth=1
	v_cvt_f32_u32_e32 v2, s54
	s_sub_u32 s6, 0, s54
	s_subb_u32 s28, 0, 0
	v_mac_f32_e32 v2, 0, v34
	v_rcp_f32_e32 v2, v2
	v_mul_f32_e32 v2, 0x5f7ffffc, v2
	v_mul_f32_e32 v3, 0x2f800000, v2
	v_trunc_f32_e32 v3, v3
	v_mac_f32_e32 v2, 0xcf800000, v3
	v_cvt_u32_f32_e32 v3, v3
	v_cvt_u32_f32_e32 v2, v2
	v_readfirstlane_b32 s29, v3
	v_readfirstlane_b32 s31, v2
	s_mul_i32 s34, s6, s29
	s_mul_hi_u32 s36, s6, s31
	s_mul_i32 s35, s28, s31
	s_add_i32 s34, s36, s34
	s_mul_i32 s37, s6, s31
	s_add_i32 s34, s34, s35
	s_mul_hi_u32 s36, s31, s37
	s_mul_hi_u32 s35, s31, s34
	s_mul_i32 s31, s31, s34
	s_add_u32 s31, s36, s31
	s_addc_u32 s35, 0, s35
	s_mul_hi_u32 s42, s29, s37
	s_mul_i32 s37, s29, s37
	s_add_u32 s31, s31, s37
	s_mul_hi_u32 s36, s29, s34
	s_addc_u32 s31, s35, s42
	s_addc_u32 s35, s36, 0
	s_mul_i32 s34, s29, s34
	s_add_u32 s31, s31, s34
	s_addc_u32 s34, 0, s35
	v_add_co_u32_e32 v2, vcc, s31, v2
	s_cmp_lg_u64 vcc, 0
	s_addc_u32 s29, s29, s34
	v_readfirstlane_b32 s34, v2
	s_mul_i32 s31, s6, s29
	s_mul_hi_u32 s35, s6, s34
	s_add_i32 s31, s35, s31
	s_mul_i32 s28, s28, s34
	s_add_i32 s31, s31, s28
	s_mul_i32 s6, s6, s34
	s_mul_hi_u32 s35, s29, s6
	s_mul_i32 s36, s29, s6
	s_mul_i32 s42, s34, s31
	s_mul_hi_u32 s6, s34, s6
	s_mul_hi_u32 s37, s34, s31
	s_add_u32 s6, s6, s42
	s_addc_u32 s34, 0, s37
	s_add_u32 s6, s6, s36
	s_mul_hi_u32 s28, s29, s31
	s_addc_u32 s6, s34, s35
	s_addc_u32 s28, s28, 0
	s_mul_i32 s31, s29, s31
	s_add_u32 s6, s6, s31
	s_addc_u32 s28, 0, s28
	v_add_co_u32_e32 v2, vcc, s6, v2
	s_cmp_lg_u64 vcc, 0
	s_addc_u32 s6, s29, s28
	v_readfirstlane_b32 s31, v2
	s_mul_i32 s29, s30, s6
	s_mul_hi_u32 s34, s30, s31
	s_mul_hi_u32 s28, s30, s6
	s_add_u32 s29, s34, s29
	s_addc_u32 s28, 0, s28
	s_mul_hi_u32 s35, s7, s31
	s_mul_i32 s31, s7, s31
	s_add_u32 s29, s29, s31
	s_mul_hi_u32 s34, s7, s6
	s_addc_u32 s28, s28, s35
	s_addc_u32 s29, s34, 0
	s_mul_i32 s6, s7, s6
	s_add_u32 s6, s28, s6
	s_addc_u32 s28, 0, s29
	s_mul_hi_u32 s29, s54, s6
	s_mul_i32 s6, s54, s6
	s_mul_i32 s28, s54, s28
	v_mov_b32_e32 v2, s6
	s_add_i32 s29, s29, s28
	v_sub_co_u32_e32 v2, vcc, s30, v2
	s_cmp_lg_u64 vcc, 0
	s_subb_u32 s6, s7, s29
	v_subrev_co_u32_e32 v3, vcc, s54, v2
	s_cmp_lg_u64 vcc, 0
	s_subb_u32 s28, s6, 0
	v_subrev_co_u32_e32 v4, vcc, s54, v3
	s_cmp_lg_u64 vcc, 0
	s_subb_u32 s29, s28, 0
	v_cmp_le_u32_e32 vcc, s54, v3
	s_cmp_eq_u32 s28, 0
	v_cndmask_b32_e64 v5, 0, -1, vcc
	s_cselect_b64 vcc, -1, 0
	v_cndmask_b32_e32 v5, -1, v5, vcc
	v_mov_b32_e32 v6, s28
	v_mov_b32_e32 v7, s29
	v_cmp_ne_u32_e32 vcc, 0, v5
	v_cndmask_b32_e32 v5, v6, v7, vcc
	v_cndmask_b32_e32 v4, v3, v4, vcc
	v_cmp_le_u32_e32 vcc, s54, v2
	s_cmp_eq_u32 s6, 0
	v_cndmask_b32_e64 v3, 0, -1, vcc
	s_cselect_b64 vcc, -1, 0
	v_cndmask_b32_e32 v3, -1, v3, vcc
	v_mov_b32_e32 v6, s6
	v_cmp_ne_u32_e32 vcc, 0, v3
	v_cndmask_b32_e32 v3, v6, v5, vcc
	v_cndmask_b32_e32 v2, v2, v4, vcc
	s_cbranch_execnz .LBB126_204
.LBB126_203:                            ;   in Loop: Header=BB126_31 Depth=1
	v_cvt_f32_u32_e32 v2, s54
	s_sub_i32 s6, 0, s54
	v_rcp_iflag_f32_e32 v2, v2
	v_mul_f32_e32 v2, 0x4f7ffffe, v2
	v_cvt_u32_f32_e32 v2, v2
	v_mul_lo_u32 v3, s6, v2
	v_mul_hi_u32 v3, v2, v3
	v_add_u32_e32 v2, v2, v3
	v_mul_hi_u32 v2, s30, v2
	v_mul_lo_u32 v2, v2, s54
	v_sub_u32_e32 v2, s30, v2
	v_subrev_u32_e32 v3, s54, v2
	v_cmp_le_u32_e32 vcc, s54, v2
	v_cndmask_b32_e32 v2, v2, v3, vcc
	v_subrev_u32_e32 v3, s54, v2
	v_cmp_le_u32_e32 vcc, s54, v2
	v_cndmask_b32_e32 v10, v2, v3, vcc
	v_pk_mov_b32 v[2:3], v[10:11], v[10:11] op_sel:[0,1]
.LBB126_204:                            ;   in Loop: Header=BB126_31 Depth=1
	v_mov_b32_e32 v4, s7
	v_sub_co_u32_e32 v2, vcc, s30, v2
	v_subb_co_u32_e32 v3, vcc, v4, v3, vcc
	v_cmp_gt_u64_e32 vcc, v[2:3], v[0:1]
	s_mov_b64 s[6:7], 0
                                        ; implicit-def: $vgpr21
	s_and_saveexec_b64 s[28:29], vcc
	s_cbranch_execz .LBB126_217
; %bb.205:                              ;   in Loop: Header=BB126_31 Depth=1
	s_mov_b64 s[30:31], 0
	v_mov_b32_e32 v6, v12
	v_pk_mov_b32 v[4:5], v[0:1], v[0:1] op_sel:[0,1]
                                        ; implicit-def: $sgpr34_sgpr35
	s_branch .LBB126_207
.LBB126_206:                            ;   in Loop: Header=BB126_207 Depth=2
	s_or_b64 exec, exec, s[6:7]
	s_waitcnt lgkmcnt(0)
	s_barrier
	ds_read_b64 v[20:21], v11 offset:3072
	v_mov_b32_e32 v7, s84
	v_add_co_u32_e64 v4, s[6:7], s54, v4
	v_addc_co_u32_e64 v5, s[6:7], v5, v7, s[6:7]
	s_waitcnt lgkmcnt(0)
	v_cmp_neq_f32_e32 vcc, 0, v20
	v_cmp_ge_u64_e64 s[6:7], v[4:5], v[2:3]
	s_or_b64 s[6:7], s[6:7], vcc
	s_and_b64 s[6:7], exec, s[6:7]
	s_or_b64 s[30:31], s[6:7], s[30:31]
	s_andn2_b64 s[6:7], s[34:35], exec
	s_and_b64 s[34:35], vcc, exec
	v_add_u32_e32 v6, s3, v6
	s_or_b64 s[34:35], s[6:7], s[34:35]
	s_barrier
	s_andn2_b64 exec, exec, s[30:31]
	s_cbranch_execz .LBB126_216
.LBB126_207:                            ;   Parent Loop BB126_31 Depth=1
                                        ; =>  This Inner Loop Header: Depth=2
	v_cmp_gt_u64_e32 vcc, s[8:9], v[4:5]
	s_waitcnt vmcnt(0)
	v_mov_b32_e32 v19, 0
	s_and_saveexec_b64 s[6:7], vcc
	s_cbranch_execz .LBB126_209
; %bb.208:                              ;   in Loop: Header=BB126_207 Depth=2
	ds_read_b32 v19, v6
.LBB126_209:                            ;   in Loop: Header=BB126_207 Depth=2
	s_or_b64 exec, exec, s[6:7]
	s_and_saveexec_b64 s[6:7], vcc
	s_cbranch_execz .LBB126_206
; %bb.210:                              ;   in Loop: Header=BB126_207 Depth=2
	s_waitcnt lgkmcnt(0)
	v_cmp_lt_i32_e32 vcc, -1, v19
	v_cndmask_b32_e32 v7, -1, v33, vcc
	v_xor_b32_e32 v7, v7, v19
	v_cmp_o_f32_e32 vcc, v19, v19
	v_cndmask_b32_e32 v7, -1, v7, vcc
	v_and_b32_e32 v7, s26, v7
	v_cmp_eq_u32_e32 vcc, s27, v7
	s_and_b64 exec, exec, vcc
	s_cbranch_execz .LBB126_206
; %bb.211:                              ;   in Loop: Header=BB126_207 Depth=2
	ds_write_b64 v11, v[18:19] offset:3072
	s_branch .LBB126_206
.LBB126_212:                            ;   in Loop: Header=BB126_31 Depth=1
                                        ; implicit-def: $sgpr28_sgpr29
                                        ; implicit-def: $sgpr34_sgpr35
                                        ; implicit-def: $sgpr30_sgpr31
	s_branch .LBB126_231
.LBB126_213:                            ;   in Loop: Header=BB126_31 Depth=1
                                        ; implicit-def: $vgpr2_vgpr3
	s_branch .LBB126_153
.LBB126_214:                            ;   in Loop: Header=BB126_31 Depth=1
                                        ; implicit-def: $vgpr2_vgpr3
	s_branch .LBB126_173
.LBB126_215:                            ;   in Loop: Header=BB126_31 Depth=1
	s_mov_b64 s[28:29], -1
	s_mov_b64 s[6:7], 0
                                        ; implicit-def: $sgpr30_sgpr31
                                        ; implicit-def: $vgpr21
	s_mov_b64 s[34:35], s[28:29]
	s_cbranch_execnz .LBB126_218
	s_branch .LBB126_231
.LBB126_216:                            ;   in Loop: Header=BB126_31 Depth=1
	s_or_b64 exec, exec, s[30:31]
	s_and_b64 s[6:7], s[34:35], exec
.LBB126_217:                            ;   in Loop: Header=BB126_31 Depth=1
	s_or_b64 exec, exec, s[28:29]
	s_mov_b64 s[30:31], -1
	s_mov_b64 s[28:29], 0
	s_mov_b64 s[34:35], s[28:29]
	s_branch .LBB126_231
.LBB126_218:                            ;   in Loop: Header=BB126_31 Depth=1
	s_mov_b32 s82, s91
	s_cmp_lg_u64 s[82:83], 0
	s_cbranch_scc0 .LBB126_261
; %bb.219:                              ;   in Loop: Header=BB126_31 Depth=1
	v_cvt_f32_u32_e32 v2, s54
	s_sub_u32 s6, 0, s54
	s_subb_u32 s7, 0, 0
	v_mac_f32_e32 v2, 0, v34
	v_rcp_f32_e32 v2, v2
	v_mul_f32_e32 v2, 0x5f7ffffc, v2
	v_mul_f32_e32 v3, 0x2f800000, v2
	v_trunc_f32_e32 v3, v3
	v_mac_f32_e32 v2, 0xcf800000, v3
	v_cvt_u32_f32_e32 v3, v3
	v_cvt_u32_f32_e32 v2, v2
	v_readfirstlane_b32 s8, v3
	v_readfirstlane_b32 s9, v2
	s_mul_i32 s28, s6, s8
	s_mul_hi_u32 s30, s6, s9
	s_mul_i32 s29, s7, s9
	s_add_i32 s28, s30, s28
	s_mul_i32 s31, s6, s9
	s_add_i32 s28, s28, s29
	s_mul_hi_u32 s30, s9, s31
	s_mul_hi_u32 s29, s9, s28
	s_mul_i32 s9, s9, s28
	s_add_u32 s9, s30, s9
	s_addc_u32 s29, 0, s29
	s_mul_hi_u32 s34, s8, s31
	s_mul_i32 s31, s8, s31
	s_add_u32 s9, s9, s31
	s_mul_hi_u32 s30, s8, s28
	s_addc_u32 s9, s29, s34
	s_addc_u32 s29, s30, 0
	s_mul_i32 s28, s8, s28
	s_add_u32 s9, s9, s28
	s_addc_u32 s28, 0, s29
	v_add_co_u32_e32 v2, vcc, s9, v2
	s_cmp_lg_u64 vcc, 0
	s_addc_u32 s8, s8, s28
	v_readfirstlane_b32 s28, v2
	s_mul_i32 s9, s6, s8
	s_mul_hi_u32 s29, s6, s28
	s_add_i32 s9, s29, s9
	s_mul_i32 s7, s7, s28
	s_add_i32 s9, s9, s7
	s_mul_i32 s6, s6, s28
	s_mul_hi_u32 s29, s8, s6
	s_mul_i32 s30, s8, s6
	s_mul_i32 s34, s28, s9
	s_mul_hi_u32 s6, s28, s6
	s_mul_hi_u32 s31, s28, s9
	s_add_u32 s6, s6, s34
	s_addc_u32 s28, 0, s31
	s_add_u32 s6, s6, s30
	s_mul_hi_u32 s7, s8, s9
	s_addc_u32 s6, s28, s29
	s_addc_u32 s7, s7, 0
	s_mul_i32 s9, s8, s9
	s_add_u32 s6, s6, s9
	s_addc_u32 s7, 0, s7
	v_add_co_u32_e32 v2, vcc, s6, v2
	s_cmp_lg_u64 vcc, 0
	s_addc_u32 s6, s8, s7
	v_readfirstlane_b32 s9, v2
	s_mul_i32 s8, s85, s6
	s_mul_hi_u32 s28, s85, s9
	s_mul_hi_u32 s7, s85, s6
	s_add_u32 s8, s28, s8
	s_addc_u32 s7, 0, s7
	s_mul_hi_u32 s29, s83, s9
	s_mul_i32 s9, s83, s9
	s_add_u32 s8, s8, s9
	s_mul_hi_u32 s28, s83, s6
	s_addc_u32 s7, s7, s29
	s_addc_u32 s8, s28, 0
	s_mul_i32 s6, s83, s6
	s_add_u32 s6, s7, s6
	s_addc_u32 s7, 0, s8
	s_mul_hi_u32 s8, s54, s6
	s_mul_i32 s6, s54, s6
	s_mul_i32 s7, s54, s7
	v_mov_b32_e32 v2, s6
	s_add_i32 s8, s8, s7
	v_sub_co_u32_e32 v2, vcc, s85, v2
	s_cmp_lg_u64 vcc, 0
	s_subb_u32 s6, s83, s8
	v_subrev_co_u32_e32 v3, vcc, s54, v2
	s_cmp_lg_u64 vcc, 0
	s_subb_u32 s7, s6, 0
	v_subrev_co_u32_e32 v4, vcc, s54, v3
	s_cmp_lg_u64 vcc, 0
	s_subb_u32 s8, s7, 0
	v_cmp_le_u32_e32 vcc, s54, v3
	s_cmp_eq_u32 s7, 0
	v_cndmask_b32_e64 v5, 0, -1, vcc
	s_cselect_b64 vcc, -1, 0
	v_cndmask_b32_e32 v5, -1, v5, vcc
	v_mov_b32_e32 v6, s7
	v_mov_b32_e32 v7, s8
	v_cmp_ne_u32_e32 vcc, 0, v5
	v_cndmask_b32_e32 v5, v6, v7, vcc
	v_cndmask_b32_e32 v4, v3, v4, vcc
	v_cmp_le_u32_e32 vcc, s54, v2
	s_cmp_eq_u32 s6, 0
	v_cndmask_b32_e64 v3, 0, -1, vcc
	s_cselect_b64 vcc, -1, 0
	v_cndmask_b32_e32 v3, -1, v3, vcc
	v_mov_b32_e32 v6, s6
	v_cmp_ne_u32_e32 vcc, 0, v3
	v_cndmask_b32_e32 v3, v6, v5, vcc
	v_cndmask_b32_e32 v2, v2, v4, vcc
	s_cbranch_execnz .LBB126_221
.LBB126_220:                            ;   in Loop: Header=BB126_31 Depth=1
	v_cvt_f32_u32_e32 v2, s54
	s_sub_i32 s6, 0, s54
	v_rcp_iflag_f32_e32 v2, v2
	v_mul_f32_e32 v2, 0x4f7ffffe, v2
	v_cvt_u32_f32_e32 v2, v2
	v_mul_lo_u32 v3, s6, v2
	v_mul_hi_u32 v3, v2, v3
	v_add_u32_e32 v2, v2, v3
	v_mul_hi_u32 v2, s85, v2
	v_mul_lo_u32 v2, v2, s54
	v_sub_u32_e32 v2, s85, v2
	v_subrev_u32_e32 v3, s54, v2
	v_cmp_le_u32_e32 vcc, s54, v2
	v_cndmask_b32_e32 v2, v2, v3, vcc
	v_subrev_u32_e32 v3, s54, v2
	v_cmp_le_u32_e32 vcc, s54, v2
	v_cndmask_b32_e32 v10, v2, v3, vcc
	v_pk_mov_b32 v[2:3], v[10:11], v[10:11] op_sel:[0,1]
.LBB126_221:                            ;   in Loop: Header=BB126_31 Depth=1
	v_mov_b32_e32 v4, s83
	v_sub_co_u32_e32 v2, vcc, s85, v2
	v_subb_co_u32_e32 v3, vcc, v4, v3, vcc
	v_cmp_gt_u64_e32 vcc, v[2:3], v[0:1]
	s_mov_b64 s[6:7], 0
                                        ; implicit-def: $vgpr21
	s_and_saveexec_b64 s[8:9], vcc
	s_cbranch_execz .LBB126_230
; %bb.222:                              ;   in Loop: Header=BB126_31 Depth=1
	s_mov_b64 s[28:29], 0
	v_pk_mov_b32 v[4:5], v[0:1], v[0:1] op_sel:[0,1]
                                        ; implicit-def: $sgpr30_sgpr31
	s_branch .LBB126_224
.LBB126_223:                            ;   in Loop: Header=BB126_224 Depth=2
	s_or_b64 exec, exec, s[6:7]
	s_waitcnt lgkmcnt(0)
	s_barrier
	ds_read_b64 v[20:21], v11 offset:3072
	v_mov_b32_e32 v6, s84
	v_add_co_u32_e64 v4, s[6:7], s54, v4
	v_addc_co_u32_e64 v5, s[6:7], v5, v6, s[6:7]
	s_waitcnt lgkmcnt(0)
	v_cmp_neq_f32_e32 vcc, 0, v20
	v_cmp_ge_u64_e64 s[6:7], v[4:5], v[2:3]
	s_or_b64 s[6:7], s[6:7], vcc
	s_and_b64 s[6:7], exec, s[6:7]
	s_or_b64 s[28:29], s[6:7], s[28:29]
	s_andn2_b64 s[6:7], s[30:31], exec
	s_and_b64 s[30:31], vcc, exec
	s_or_b64 s[30:31], s[6:7], s[30:31]
	s_barrier
	s_andn2_b64 exec, exec, s[28:29]
	s_cbranch_execz .LBB126_229
.LBB126_224:                            ;   Parent Loop BB126_31 Depth=1
                                        ; =>  This Inner Loop Header: Depth=2
	v_cmp_gt_u64_e32 vcc, s[52:53], v[4:5]
	s_waitcnt vmcnt(0)
	v_mov_b32_e32 v19, 0
	s_and_saveexec_b64 s[34:35], vcc
	s_cbranch_execz .LBB126_226
; %bb.225:                              ;   in Loop: Header=BB126_224 Depth=2
	v_mul_lo_u32 v8, v5, s76
	v_mul_lo_u32 v9, v4, s77
	v_mad_u64_u32 v[6:7], s[6:7], v4, s76, 0
	v_add3_u32 v7, v7, v9, v8
	v_lshlrev_b64 v[6:7], 2, v[6:7]
	v_mov_b32_e32 v8, s55
	v_add_co_u32_e64 v6, s[6:7], s33, v6
	v_addc_co_u32_e64 v7, s[6:7], v8, v7, s[6:7]
	global_load_dword v19, v[6:7], off
.LBB126_226:                            ;   in Loop: Header=BB126_224 Depth=2
	s_or_b64 exec, exec, s[34:35]
	s_and_saveexec_b64 s[6:7], vcc
	s_cbranch_execz .LBB126_223
; %bb.227:                              ;   in Loop: Header=BB126_224 Depth=2
	s_waitcnt vmcnt(0)
	v_cmp_lt_i32_e32 vcc, -1, v19
	v_cndmask_b32_e32 v6, -1, v33, vcc
	v_xor_b32_e32 v6, v6, v19
	v_cmp_o_f32_e32 vcc, v19, v19
	v_cndmask_b32_e32 v6, -1, v6, vcc
	v_and_b32_e32 v6, s26, v6
	v_cmp_eq_u32_e32 vcc, s27, v6
	s_and_b64 exec, exec, vcc
	s_cbranch_execz .LBB126_223
; %bb.228:                              ;   in Loop: Header=BB126_224 Depth=2
	ds_write_b64 v11, v[18:19] offset:3072
	s_branch .LBB126_223
.LBB126_229:                            ;   in Loop: Header=BB126_31 Depth=1
	s_or_b64 exec, exec, s[28:29]
	s_and_b64 s[6:7], s[30:31], exec
.LBB126_230:                            ;   in Loop: Header=BB126_31 Depth=1
	s_or_b64 exec, exec, s[8:9]
	s_mov_b64 s[34:35], -1
	s_mov_b64 s[28:29], 0
	s_mov_b64 s[30:31], 0
.LBB126_231:                            ;   in Loop: Header=BB126_31 Depth=1
	s_mov_b64 s[8:9], 0
                                        ; implicit-def: $sgpr49
	s_and_saveexec_b64 s[36:37], s[6:7]
	s_cbranch_execz .LBB126_293
; %bb.232:                              ;   in Loop: Header=BB126_31 Depth=1
	s_xor_b64 s[6:7], s[38:39], -1
	s_andn2_b64 vcc, exec, s[6:7]
	s_mov_b32 s49, 1
	s_cbranch_vccnz .LBB126_243
; %bb.233:                              ;   in Loop: Header=BB126_31 Depth=1
	v_pk_mov_b32 v[2:3], s[16:17], s[16:17] op_sel:[0,1]
	v_cmp_gt_u64_e32 vcc, s[94:95], v[2:3]
	s_mov_b64 s[6:7], -1
                                        ; implicit-def: $sgpr49
                                        ; implicit-def: $sgpr8
                                        ; implicit-def: $sgpr9
	s_cbranch_vccnz .LBB126_239
; %bb.234:                              ;   in Loop: Header=BB126_31 Depth=1
	ds_read_b64 v[2:3], v11 offset:5120
	s_waitcnt lgkmcnt(0)
	v_cmp_ne_u64_e32 vcc, 0, v[2:3]
	s_cbranch_vccnz .LBB126_238
; %bb.235:                              ;   in Loop: Header=BB126_31 Depth=1
	s_mov_b64 s[6:7], exec
	v_readlane_b32 s8, v44, 36
	v_readlane_b32 s9, v44, 37
	s_and_b64 s[8:9], s[6:7], s[8:9]
	s_mov_b64 exec, s[8:9]
	s_cbranch_execz .LBB126_237
; %bb.236:                              ;   in Loop: Header=BB126_31 Depth=1
	v_pk_mov_b32 v[2:3], s[16:17], s[16:17] op_sel:[0,1]
	ds_write_b64 v11, v[2:3] offset:5128
.LBB126_237:                            ;   in Loop: Header=BB126_31 Depth=1
	s_or_b64 exec, exec, s[6:7]
	s_waitcnt lgkmcnt(0)
	s_barrier
.LBB126_238:                            ;   in Loop: Header=BB126_31 Depth=1
	s_lshl_b32 s6, 2, s40
	s_and_b32 s7, s27, s41
	s_or_b32 s8, s7, s6
	s_or_b32 s9, s26, s48
	s_mov_b64 s[6:7], 0
	s_mov_b32 s49, 8
.LBB126_239:                            ;   in Loop: Header=BB126_31 Depth=1
	s_andn2_b64 vcc, exec, s[6:7]
	s_cbranch_vccnz .LBB126_241
; %bb.240:                              ;   in Loop: Header=BB126_31 Depth=1
	s_sub_u32 s94, s94, s16
	s_subb_u32 s95, s95, s17
	s_mov_b64 s[6:7], -1
	s_mov_b32 s49, 0
	s_mov_b32 s8, s27
	;; [unrolled: 1-line block ×3, first 2 shown]
.LBB126_241:                            ;   in Loop: Header=BB126_31 Depth=1
	s_mov_b32 s26, s9
	s_mov_b32 s27, s8
	s_andn2_b64 vcc, exec, s[6:7]
	s_mov_b64 s[44:45], -1
	s_cbranch_vccz .LBB126_244
.LBB126_242:                            ;   in Loop: Header=BB126_31 Depth=1
                                        ; implicit-def: $sgpr6_sgpr7
                                        ; implicit-def: $sgpr38_sgpr39
                                        ; implicit-def: $sgpr8_sgpr9
	s_branch .LBB126_292
.LBB126_243:                            ;   in Loop: Header=BB126_31 Depth=1
	s_mov_b64 s[94:95], 1
	s_mov_b64 s[44:45], -1
	s_cbranch_execnz .LBB126_242
.LBB126_244:                            ;   in Loop: Header=BB126_31 Depth=1
	s_cmp_eq_u64 s[10:11], 1
	s_cselect_b64 s[6:7], -1, 0
	s_cmp_eq_u64 s[94:95], 1
	s_cselect_b64 s[8:9], -1, 0
	s_and_b64 s[16:17], s[6:7], s[8:9]
	s_mov_b64 s[40:41], -1
	s_and_b64 vcc, exec, s[16:17]
	s_cbranch_vccz .LBB126_259
; %bb.245:                              ;   in Loop: Header=BB126_31 Depth=1
	ds_read_b64 v[2:3], v11 offset:5120
	s_waitcnt lgkmcnt(0)
	s_barrier
	v_readfirstlane_b32 s8, v2
	v_readfirstlane_b32 s9, v3
	s_mov_b64 s[6:7], exec
	v_readlane_b32 s38, v44, 38
	v_readlane_b32 s39, v44, 39
	s_and_b64 s[38:39], s[6:7], s[38:39]
	s_mov_b64 exec, s[38:39]
	s_cbranch_execz .LBB126_247
; %bb.246:                              ;   in Loop: Header=BB126_31 Depth=1
	ds_write_b32 v27, v11
.LBB126_247:                            ;   in Loop: Header=BB126_31 Depth=1
	s_or_b64 exec, exec, s[6:7]
	s_or_b32 s27, s27, s48
	s_or_b32 s26, s26, s48
	s_cmp_eq_u64 s[8:9], 0
	s_waitcnt lgkmcnt(0)
	s_barrier
	s_cbranch_scc1 .LBB126_262
; %bb.248:                              ;   in Loop: Header=BB126_31 Depth=1
	v_readlane_b32 s6, v44, 44
	s_add_u32 s40, s6, s8
	v_readlane_b32 s6, v44, 45
	s_addc_u32 s7, s6, s9
	s_mov_b32 s6, s91
	s_cmp_lg_u64 s[6:7], 0
	s_cbranch_scc0 .LBB126_298
; %bb.249:                              ;   in Loop: Header=BB126_31 Depth=1
	v_cvt_f32_u32_e32 v2, s54
	s_sub_u32 s6, 0, s54
	s_subb_u32 s38, 0, 0
	v_mac_f32_e32 v2, 0, v34
	v_rcp_f32_e32 v2, v2
	v_mul_f32_e32 v2, 0x5f7ffffc, v2
	v_mul_f32_e32 v3, 0x2f800000, v2
	v_trunc_f32_e32 v3, v3
	v_mac_f32_e32 v2, 0xcf800000, v3
	v_cvt_u32_f32_e32 v3, v3
	v_cvt_u32_f32_e32 v2, v2
	v_readfirstlane_b32 s39, v3
	v_readfirstlane_b32 s41, v2
	s_mul_i32 s42, s6, s39
	s_mul_hi_u32 s44, s6, s41
	s_mul_i32 s43, s38, s41
	s_add_i32 s42, s44, s42
	s_mul_i32 s45, s6, s41
	s_add_i32 s42, s42, s43
	s_mul_hi_u32 s44, s41, s45
	s_mul_hi_u32 s43, s41, s42
	s_mul_i32 s41, s41, s42
	s_add_u32 s41, s44, s41
	s_addc_u32 s43, 0, s43
	s_mul_hi_u32 s46, s39, s45
	s_mul_i32 s45, s39, s45
	s_add_u32 s41, s41, s45
	s_mul_hi_u32 s44, s39, s42
	s_addc_u32 s41, s43, s46
	s_addc_u32 s43, s44, 0
	s_mul_i32 s42, s39, s42
	s_add_u32 s41, s41, s42
	s_addc_u32 s42, 0, s43
	v_add_co_u32_e32 v2, vcc, s41, v2
	s_cmp_lg_u64 vcc, 0
	s_addc_u32 s39, s39, s42
	v_readfirstlane_b32 s42, v2
	s_mul_i32 s41, s6, s39
	s_mul_hi_u32 s43, s6, s42
	s_add_i32 s41, s43, s41
	s_mul_i32 s38, s38, s42
	s_add_i32 s41, s41, s38
	s_mul_i32 s6, s6, s42
	s_mul_hi_u32 s43, s39, s6
	s_mul_i32 s44, s39, s6
	s_mul_i32 s46, s42, s41
	s_mul_hi_u32 s6, s42, s6
	s_mul_hi_u32 s45, s42, s41
	s_add_u32 s6, s6, s46
	s_addc_u32 s42, 0, s45
	s_add_u32 s6, s6, s44
	s_mul_hi_u32 s38, s39, s41
	s_addc_u32 s6, s42, s43
	s_addc_u32 s38, s38, 0
	s_mul_i32 s41, s39, s41
	s_add_u32 s6, s6, s41
	s_addc_u32 s38, 0, s38
	v_add_co_u32_e32 v2, vcc, s6, v2
	s_cmp_lg_u64 vcc, 0
	s_addc_u32 s6, s39, s38
	v_readfirstlane_b32 s41, v2
	s_mul_i32 s39, s40, s6
	s_mul_hi_u32 s42, s40, s41
	s_mul_hi_u32 s38, s40, s6
	s_add_u32 s39, s42, s39
	s_addc_u32 s38, 0, s38
	s_mul_hi_u32 s43, s7, s41
	s_mul_i32 s41, s7, s41
	s_add_u32 s39, s39, s41
	s_mul_hi_u32 s42, s7, s6
	s_addc_u32 s38, s38, s43
	s_addc_u32 s39, s42, 0
	s_mul_i32 s6, s7, s6
	s_add_u32 s6, s38, s6
	s_addc_u32 s38, 0, s39
	s_mul_hi_u32 s39, s54, s6
	s_mul_i32 s6, s54, s6
	s_mul_i32 s38, s54, s38
	v_mov_b32_e32 v2, s6
	s_add_i32 s39, s39, s38
	v_sub_co_u32_e32 v2, vcc, s40, v2
	s_cmp_lg_u64 vcc, 0
	s_subb_u32 s6, s7, s39
	v_subrev_co_u32_e32 v3, vcc, s54, v2
	s_cmp_lg_u64 vcc, 0
	s_subb_u32 s38, s6, 0
	v_subrev_co_u32_e32 v4, vcc, s54, v3
	s_cmp_lg_u64 vcc, 0
	s_subb_u32 s39, s38, 0
	v_cmp_le_u32_e32 vcc, s54, v3
	s_cmp_eq_u32 s38, 0
	v_cndmask_b32_e64 v5, 0, -1, vcc
	s_cselect_b64 vcc, -1, 0
	v_cndmask_b32_e32 v5, -1, v5, vcc
	v_mov_b32_e32 v6, s38
	v_mov_b32_e32 v7, s39
	v_cmp_ne_u32_e32 vcc, 0, v5
	v_cndmask_b32_e32 v5, v6, v7, vcc
	v_cndmask_b32_e32 v4, v3, v4, vcc
	v_cmp_le_u32_e32 vcc, s54, v2
	s_cmp_eq_u32 s6, 0
	v_cndmask_b32_e64 v3, 0, -1, vcc
	s_cselect_b64 vcc, -1, 0
	v_cndmask_b32_e32 v3, -1, v3, vcc
	v_mov_b32_e32 v6, s6
	v_cmp_ne_u32_e32 vcc, 0, v3
	v_cndmask_b32_e32 v3, v6, v5, vcc
	v_cndmask_b32_e32 v2, v2, v4, vcc
	s_cbranch_execnz .LBB126_251
.LBB126_250:                            ;   in Loop: Header=BB126_31 Depth=1
	v_cvt_f32_u32_e32 v2, s54
	s_sub_i32 s6, 0, s54
	v_rcp_iflag_f32_e32 v2, v2
	v_mul_f32_e32 v2, 0x4f7ffffe, v2
	v_cvt_u32_f32_e32 v2, v2
	v_mul_lo_u32 v3, s6, v2
	v_mul_hi_u32 v3, v2, v3
	v_add_u32_e32 v2, v2, v3
	v_mul_hi_u32 v2, s40, v2
	v_mul_lo_u32 v2, v2, s54
	v_sub_u32_e32 v2, s40, v2
	v_subrev_u32_e32 v3, s54, v2
	v_cmp_le_u32_e32 vcc, s54, v2
	v_cndmask_b32_e32 v2, v2, v3, vcc
	v_subrev_u32_e32 v3, s54, v2
	v_cmp_le_u32_e32 vcc, s54, v2
	v_cndmask_b32_e32 v10, v2, v3, vcc
	v_pk_mov_b32 v[2:3], v[10:11], v[10:11] op_sel:[0,1]
.LBB126_251:                            ;   in Loop: Header=BB126_31 Depth=1
	v_mov_b32_e32 v4, s7
	v_sub_co_u32_e32 v2, vcc, s40, v2
	v_subb_co_u32_e32 v3, vcc, v4, v3, vcc
	v_cmp_gt_u64_e32 vcc, v[2:3], v[0:1]
	s_mov_b64 s[40:41], 0
                                        ; implicit-def: $vgpr21
	s_and_saveexec_b64 s[38:39], vcc
	s_cbranch_execz .LBB126_264
; %bb.252:                              ;   in Loop: Header=BB126_31 Depth=1
	v_mov_b32_e32 v6, v12
	v_pk_mov_b32 v[4:5], v[0:1], v[0:1] op_sel:[0,1]
                                        ; implicit-def: $sgpr42_sgpr43
	s_branch .LBB126_254
.LBB126_253:                            ;   in Loop: Header=BB126_254 Depth=2
	s_or_b64 exec, exec, s[6:7]
	s_waitcnt lgkmcnt(0)
	s_barrier
	ds_read_b64 v[20:21], v11 offset:3072
	v_mov_b32_e32 v7, s84
	v_add_co_u32_e64 v4, s[6:7], s54, v4
	v_addc_co_u32_e64 v5, s[6:7], v5, v7, s[6:7]
	s_waitcnt lgkmcnt(0)
	v_cmp_neq_f32_e32 vcc, 0, v20
	v_cmp_ge_u64_e64 s[6:7], v[4:5], v[2:3]
	s_or_b64 s[6:7], s[6:7], vcc
	s_and_b64 s[6:7], exec, s[6:7]
	s_or_b64 s[40:41], s[6:7], s[40:41]
	s_andn2_b64 s[6:7], s[42:43], exec
	s_and_b64 s[42:43], vcc, exec
	v_add_u32_e32 v6, s3, v6
	s_or_b64 s[42:43], s[6:7], s[42:43]
	s_barrier
	s_andn2_b64 exec, exec, s[40:41]
	s_cbranch_execz .LBB126_263
.LBB126_254:                            ;   Parent Loop BB126_31 Depth=1
                                        ; =>  This Inner Loop Header: Depth=2
	v_cmp_gt_u64_e32 vcc, s[8:9], v[4:5]
	s_waitcnt vmcnt(0)
	v_mov_b32_e32 v19, 0
	s_and_saveexec_b64 s[6:7], vcc
	s_cbranch_execz .LBB126_256
; %bb.255:                              ;   in Loop: Header=BB126_254 Depth=2
	ds_read_b32 v19, v6
.LBB126_256:                            ;   in Loop: Header=BB126_254 Depth=2
	s_or_b64 exec, exec, s[6:7]
	s_and_saveexec_b64 s[6:7], vcc
	s_cbranch_execz .LBB126_253
; %bb.257:                              ;   in Loop: Header=BB126_254 Depth=2
	s_waitcnt lgkmcnt(0)
	v_cmp_lt_i32_e32 vcc, -1, v19
	v_cndmask_b32_e32 v7, -1, v33, vcc
	v_xor_b32_e32 v7, v7, v19
	v_cmp_o_f32_e32 vcc, v19, v19
	v_cndmask_b32_e32 v7, -1, v7, vcc
	v_and_b32_e32 v7, s26, v7
	v_cmp_eq_u32_e32 vcc, s27, v7
	s_and_b64 exec, exec, vcc
	s_cbranch_execz .LBB126_253
; %bb.258:                              ;   in Loop: Header=BB126_254 Depth=2
	ds_write_b64 v11, v[18:19] offset:3072
	s_branch .LBB126_253
.LBB126_259:                            ;   in Loop: Header=BB126_31 Depth=1
                                        ; implicit-def: $sgpr6_sgpr7
                                        ; implicit-def: $sgpr38_sgpr39
                                        ; implicit-def: $sgpr8_sgpr9
	s_branch .LBB126_278
.LBB126_260:                            ;   in Loop: Header=BB126_31 Depth=1
                                        ; implicit-def: $vgpr2_vgpr3
	s_branch .LBB126_203
.LBB126_261:                            ;   in Loop: Header=BB126_31 Depth=1
                                        ; implicit-def: $vgpr2_vgpr3
	s_branch .LBB126_220
.LBB126_262:                            ;   in Loop: Header=BB126_31 Depth=1
	s_mov_b64 s[6:7], -1
	s_mov_b64 s[40:41], 0
                                        ; implicit-def: $sgpr8_sgpr9
                                        ; implicit-def: $vgpr21
	s_mov_b64 s[38:39], s[6:7]
	s_cbranch_execnz .LBB126_265
	s_branch .LBB126_278
.LBB126_263:                            ;   in Loop: Header=BB126_31 Depth=1
	s_or_b64 exec, exec, s[40:41]
	s_and_b64 s[40:41], s[42:43], exec
.LBB126_264:                            ;   in Loop: Header=BB126_31 Depth=1
	s_or_b64 exec, exec, s[38:39]
	s_mov_b64 s[8:9], -1
	s_mov_b64 s[6:7], 0
	s_mov_b64 s[38:39], s[6:7]
	s_branch .LBB126_278
.LBB126_265:                            ;   in Loop: Header=BB126_31 Depth=1
	s_mov_b32 s82, s91
	s_cmp_lg_u64 s[82:83], 0
	s_cbranch_scc0 .LBB126_299
; %bb.266:                              ;   in Loop: Header=BB126_31 Depth=1
	v_cvt_f32_u32_e32 v2, s54
	s_sub_u32 s6, 0, s54
	s_subb_u32 s7, 0, 0
	v_mac_f32_e32 v2, 0, v34
	v_rcp_f32_e32 v2, v2
	v_mul_f32_e32 v2, 0x5f7ffffc, v2
	v_mul_f32_e32 v3, 0x2f800000, v2
	v_trunc_f32_e32 v3, v3
	v_mac_f32_e32 v2, 0xcf800000, v3
	v_cvt_u32_f32_e32 v3, v3
	v_cvt_u32_f32_e32 v2, v2
	v_readfirstlane_b32 s8, v3
	v_readfirstlane_b32 s9, v2
	s_mul_i32 s38, s6, s8
	s_mul_hi_u32 s40, s6, s9
	s_mul_i32 s39, s7, s9
	s_add_i32 s38, s40, s38
	s_mul_i32 s41, s6, s9
	s_add_i32 s38, s38, s39
	s_mul_hi_u32 s40, s9, s41
	s_mul_hi_u32 s39, s9, s38
	s_mul_i32 s9, s9, s38
	s_add_u32 s9, s40, s9
	s_addc_u32 s39, 0, s39
	s_mul_hi_u32 s42, s8, s41
	s_mul_i32 s41, s8, s41
	s_add_u32 s9, s9, s41
	s_mul_hi_u32 s40, s8, s38
	s_addc_u32 s9, s39, s42
	s_addc_u32 s39, s40, 0
	s_mul_i32 s38, s8, s38
	s_add_u32 s9, s9, s38
	s_addc_u32 s38, 0, s39
	v_add_co_u32_e32 v2, vcc, s9, v2
	s_cmp_lg_u64 vcc, 0
	s_addc_u32 s8, s8, s38
	v_readfirstlane_b32 s38, v2
	s_mul_i32 s9, s6, s8
	s_mul_hi_u32 s39, s6, s38
	s_add_i32 s9, s39, s9
	s_mul_i32 s7, s7, s38
	s_add_i32 s9, s9, s7
	s_mul_i32 s6, s6, s38
	s_mul_hi_u32 s39, s8, s6
	s_mul_i32 s40, s8, s6
	s_mul_i32 s42, s38, s9
	s_mul_hi_u32 s6, s38, s6
	s_mul_hi_u32 s41, s38, s9
	s_add_u32 s6, s6, s42
	s_addc_u32 s38, 0, s41
	s_add_u32 s6, s6, s40
	s_mul_hi_u32 s7, s8, s9
	s_addc_u32 s6, s38, s39
	s_addc_u32 s7, s7, 0
	s_mul_i32 s9, s8, s9
	s_add_u32 s6, s6, s9
	s_addc_u32 s7, 0, s7
	v_add_co_u32_e32 v2, vcc, s6, v2
	s_cmp_lg_u64 vcc, 0
	s_addc_u32 s6, s8, s7
	v_readfirstlane_b32 s9, v2
	s_mul_i32 s8, s85, s6
	s_mul_hi_u32 s38, s85, s9
	s_mul_hi_u32 s7, s85, s6
	s_add_u32 s8, s38, s8
	s_addc_u32 s7, 0, s7
	s_mul_hi_u32 s39, s83, s9
	s_mul_i32 s9, s83, s9
	s_add_u32 s8, s8, s9
	s_mul_hi_u32 s38, s83, s6
	s_addc_u32 s7, s7, s39
	s_addc_u32 s8, s38, 0
	s_mul_i32 s6, s83, s6
	s_add_u32 s6, s7, s6
	s_addc_u32 s7, 0, s8
	s_mul_hi_u32 s8, s54, s6
	s_mul_i32 s6, s54, s6
	s_mul_i32 s7, s54, s7
	v_mov_b32_e32 v2, s6
	s_add_i32 s8, s8, s7
	v_sub_co_u32_e32 v2, vcc, s85, v2
	s_cmp_lg_u64 vcc, 0
	s_subb_u32 s6, s83, s8
	v_subrev_co_u32_e32 v3, vcc, s54, v2
	s_cmp_lg_u64 vcc, 0
	s_subb_u32 s7, s6, 0
	v_subrev_co_u32_e32 v4, vcc, s54, v3
	s_cmp_lg_u64 vcc, 0
	s_subb_u32 s8, s7, 0
	v_cmp_le_u32_e32 vcc, s54, v3
	s_cmp_eq_u32 s7, 0
	v_cndmask_b32_e64 v5, 0, -1, vcc
	s_cselect_b64 vcc, -1, 0
	v_cndmask_b32_e32 v5, -1, v5, vcc
	v_mov_b32_e32 v6, s7
	v_mov_b32_e32 v7, s8
	v_cmp_ne_u32_e32 vcc, 0, v5
	v_cndmask_b32_e32 v5, v6, v7, vcc
	v_cndmask_b32_e32 v4, v3, v4, vcc
	v_cmp_le_u32_e32 vcc, s54, v2
	s_cmp_eq_u32 s6, 0
	v_cndmask_b32_e64 v3, 0, -1, vcc
	s_cselect_b64 vcc, -1, 0
	v_cndmask_b32_e32 v3, -1, v3, vcc
	v_mov_b32_e32 v6, s6
	v_cmp_ne_u32_e32 vcc, 0, v3
	v_cndmask_b32_e32 v3, v6, v5, vcc
	v_cndmask_b32_e32 v2, v2, v4, vcc
	s_cbranch_execnz .LBB126_268
.LBB126_267:                            ;   in Loop: Header=BB126_31 Depth=1
	v_cvt_f32_u32_e32 v2, s54
	s_sub_i32 s6, 0, s54
	v_rcp_iflag_f32_e32 v2, v2
	v_mul_f32_e32 v2, 0x4f7ffffe, v2
	v_cvt_u32_f32_e32 v2, v2
	v_mul_lo_u32 v3, s6, v2
	v_mul_hi_u32 v3, v2, v3
	v_add_u32_e32 v2, v2, v3
	v_mul_hi_u32 v2, s85, v2
	v_mul_lo_u32 v2, v2, s54
	v_sub_u32_e32 v2, s85, v2
	v_subrev_u32_e32 v3, s54, v2
	v_cmp_le_u32_e32 vcc, s54, v2
	v_cndmask_b32_e32 v2, v2, v3, vcc
	v_subrev_u32_e32 v3, s54, v2
	v_cmp_le_u32_e32 vcc, s54, v2
	v_cndmask_b32_e32 v10, v2, v3, vcc
	v_pk_mov_b32 v[2:3], v[10:11], v[10:11] op_sel:[0,1]
.LBB126_268:                            ;   in Loop: Header=BB126_31 Depth=1
	v_mov_b32_e32 v4, s83
	v_sub_co_u32_e32 v2, vcc, s85, v2
	v_subb_co_u32_e32 v3, vcc, v4, v3, vcc
	v_cmp_gt_u64_e32 vcc, v[2:3], v[0:1]
	s_mov_b64 s[40:41], 0
                                        ; implicit-def: $vgpr21
	s_and_saveexec_b64 s[8:9], vcc
	s_cbranch_execz .LBB126_277
; %bb.269:                              ;   in Loop: Header=BB126_31 Depth=1
	s_mov_b64 s[38:39], 0
	v_pk_mov_b32 v[4:5], v[0:1], v[0:1] op_sel:[0,1]
                                        ; implicit-def: $sgpr40_sgpr41
	s_branch .LBB126_271
.LBB126_270:                            ;   in Loop: Header=BB126_271 Depth=2
	s_or_b64 exec, exec, s[6:7]
	s_waitcnt lgkmcnt(0)
	s_barrier
	ds_read_b64 v[20:21], v11 offset:3072
	v_mov_b32_e32 v6, s84
	v_add_co_u32_e64 v4, s[6:7], s54, v4
	v_addc_co_u32_e64 v5, s[6:7], v5, v6, s[6:7]
	s_waitcnt lgkmcnt(0)
	v_cmp_neq_f32_e32 vcc, 0, v20
	v_cmp_ge_u64_e64 s[6:7], v[4:5], v[2:3]
	s_or_b64 s[6:7], s[6:7], vcc
	s_and_b64 s[6:7], exec, s[6:7]
	s_or_b64 s[38:39], s[6:7], s[38:39]
	s_andn2_b64 s[6:7], s[40:41], exec
	s_and_b64 s[40:41], vcc, exec
	s_or_b64 s[40:41], s[6:7], s[40:41]
	s_barrier
	s_andn2_b64 exec, exec, s[38:39]
	s_cbranch_execz .LBB126_276
.LBB126_271:                            ;   Parent Loop BB126_31 Depth=1
                                        ; =>  This Inner Loop Header: Depth=2
	v_cmp_gt_u64_e32 vcc, s[52:53], v[4:5]
	s_waitcnt vmcnt(0)
	v_mov_b32_e32 v19, 0
	s_and_saveexec_b64 s[42:43], vcc
	s_cbranch_execz .LBB126_273
; %bb.272:                              ;   in Loop: Header=BB126_271 Depth=2
	v_mul_lo_u32 v8, v5, s76
	v_mul_lo_u32 v9, v4, s77
	v_mad_u64_u32 v[6:7], s[6:7], v4, s76, 0
	v_add3_u32 v7, v7, v9, v8
	v_lshlrev_b64 v[6:7], 2, v[6:7]
	v_mov_b32_e32 v8, s55
	v_add_co_u32_e64 v6, s[6:7], s33, v6
	v_addc_co_u32_e64 v7, s[6:7], v8, v7, s[6:7]
	global_load_dword v19, v[6:7], off
.LBB126_273:                            ;   in Loop: Header=BB126_271 Depth=2
	s_or_b64 exec, exec, s[42:43]
	s_and_saveexec_b64 s[6:7], vcc
	s_cbranch_execz .LBB126_270
; %bb.274:                              ;   in Loop: Header=BB126_271 Depth=2
	s_waitcnt vmcnt(0)
	v_cmp_lt_i32_e32 vcc, -1, v19
	v_cndmask_b32_e32 v6, -1, v33, vcc
	v_xor_b32_e32 v6, v6, v19
	v_cmp_o_f32_e32 vcc, v19, v19
	v_cndmask_b32_e32 v6, -1, v6, vcc
	v_and_b32_e32 v6, s26, v6
	v_cmp_eq_u32_e32 vcc, s27, v6
	s_and_b64 exec, exec, vcc
	s_cbranch_execz .LBB126_270
; %bb.275:                              ;   in Loop: Header=BB126_271 Depth=2
	ds_write_b64 v11, v[18:19] offset:3072
	s_branch .LBB126_270
.LBB126_276:                            ;   in Loop: Header=BB126_31 Depth=1
	s_or_b64 exec, exec, s[38:39]
	s_and_b64 s[40:41], s[40:41], exec
.LBB126_277:                            ;   in Loop: Header=BB126_31 Depth=1
	s_or_b64 exec, exec, s[8:9]
	s_mov_b64 s[38:39], -1
	s_mov_b64 s[6:7], 0
	s_mov_b64 s[8:9], 0
.LBB126_278:                            ;   in Loop: Header=BB126_31 Depth=1
	s_mov_b64 s[44:45], 0
                                        ; implicit-def: $sgpr49
                                        ; implicit-def: $sgpr46_sgpr47
	s_and_saveexec_b64 s[42:43], s[40:41]
	s_cbranch_execz .LBB126_291
; %bb.279:                              ;   in Loop: Header=BB126_31 Depth=1
	s_xor_b64 s[16:17], s[16:17], -1
	s_mov_b64 s[46:47], 1
	s_andn2_b64 vcc, exec, s[16:17]
	s_mov_b32 s49, 1
	s_cbranch_vccnz .LBB126_290
; %bb.280:                              ;   in Loop: Header=BB126_31 Depth=1
	v_pk_mov_b32 v[2:3], s[10:11], s[10:11] op_sel:[0,1]
	v_cmp_gt_u64_e32 vcc, s[94:95], v[2:3]
	s_cbranch_vccnz .LBB126_286
; %bb.281:                              ;   in Loop: Header=BB126_31 Depth=1
	ds_read_b64 v[2:3], v11 offset:5120
	s_waitcnt lgkmcnt(0)
	v_cmp_ne_u64_e32 vcc, 0, v[2:3]
	s_cbranch_vccnz .LBB126_285
; %bb.282:                              ;   in Loop: Header=BB126_31 Depth=1
	s_mov_b64 s[16:17], exec
	v_readlane_b32 s40, v44, 36
	v_readlane_b32 s41, v44, 37
	s_and_b64 s[40:41], s[16:17], s[40:41]
	s_mov_b64 exec, s[40:41]
	s_cbranch_execz .LBB126_284
; %bb.283:                              ;   in Loop: Header=BB126_31 Depth=1
	v_pk_mov_b32 v[2:3], s[10:11], s[10:11] op_sel:[0,1]
	ds_write_b64 v11, v[2:3] offset:5128
.LBB126_284:                            ;   in Loop: Header=BB126_31 Depth=1
	s_or_b64 exec, exec, s[16:17]
	s_waitcnt lgkmcnt(0)
	s_barrier
.LBB126_285:                            ;   in Loop: Header=BB126_31 Depth=1
	s_or_b32 s40, s27, s48
	s_or_b32 s41, s26, s48
	s_mov_b64 s[16:17], 0
	s_mov_b32 s49, 8
	s_branch .LBB126_287
.LBB126_286:                            ;   in Loop: Header=BB126_31 Depth=1
	s_mov_b64 s[16:17], -1
                                        ; implicit-def: $sgpr49
                                        ; implicit-def: $sgpr40
                                        ; implicit-def: $sgpr41
.LBB126_287:                            ;   in Loop: Header=BB126_31 Depth=1
	s_andn2_b64 vcc, exec, s[16:17]
	s_cbranch_vccnz .LBB126_289
; %bb.288:                              ;   in Loop: Header=BB126_31 Depth=1
	s_sub_u32 s94, s94, s10
	s_subb_u32 s95, s95, s11
	s_mov_b32 s49, 8
	s_mov_b32 s40, s27
	;; [unrolled: 1-line block ×3, first 2 shown]
.LBB126_289:                            ;   in Loop: Header=BB126_31 Depth=1
	s_mov_b64 s[46:47], s[94:95]
	s_mov_b32 s27, s40
	s_mov_b32 s26, s41
.LBB126_290:                            ;   in Loop: Header=BB126_31 Depth=1
	s_mov_b64 s[44:45], exec
.LBB126_291:                            ;   in Loop: Header=BB126_31 Depth=1
	s_or_b64 exec, exec, s[42:43]
	s_mov_b64 s[94:95], s[46:47]
.LBB126_292:                            ;   in Loop: Header=BB126_31 Depth=1
	s_andn2_b64 s[10:11], s[28:29], exec
	s_and_b64 s[6:7], s[6:7], exec
	s_or_b64 s[28:29], s[10:11], s[6:7]
	s_andn2_b64 s[6:7], s[34:35], exec
	s_and_b64 s[10:11], s[38:39], exec
	s_or_b64 s[34:35], s[6:7], s[10:11]
	;; [unrolled: 3-line block ×3, first 2 shown]
	s_and_b64 s[8:9], s[44:45], exec
.LBB126_293:                            ;   in Loop: Header=BB126_31 Depth=1
	s_or_b64 exec, exec, s[36:37]
.LBB126_294:                            ;   in Loop: Header=BB126_31 Depth=1
	s_andn2_b64 s[6:7], s[20:21], exec
	s_and_b64 s[10:11], s[28:29], exec
	s_or_b64 s[20:21], s[6:7], s[10:11]
	s_andn2_b64 s[6:7], s[22:23], exec
	s_and_b64 s[10:11], s[34:35], exec
	s_or_b64 s[22:23], s[6:7], s[10:11]
	;; [unrolled: 3-line block ×3, first 2 shown]
	s_and_b64 s[8:9], s[8:9], exec
.LBB126_295:                            ;   in Loop: Header=BB126_31 Depth=1
	s_or_b64 exec, exec, s[24:25]
	s_and_saveexec_b64 s[6:7], s[8:9]
	s_xor_b64 s[6:7], exec, s[6:7]
	s_cbranch_execz .LBB126_29
.LBB126_296:                            ;   in Loop: Header=BB126_31 Depth=1
	s_and_b32 s8, s49, -9
	s_cmp_eq_u32 s8, 0
	s_cbranch_scc1 .LBB126_27
; %bb.297:                              ;   in Loop: Header=BB126_31 Depth=1
	s_mov_b64 s[8:9], -1
                                        ; implicit-def: $sgpr26
                                        ; implicit-def: $sgpr94_sgpr95
                                        ; implicit-def: $sgpr0
                                        ; implicit-def: $sgpr1
	s_mov_b64 s[10:11], -1
	s_branch .LBB126_28
.LBB126_298:                            ;   in Loop: Header=BB126_31 Depth=1
                                        ; implicit-def: $vgpr2_vgpr3
	s_branch .LBB126_250
.LBB126_299:                            ;   in Loop: Header=BB126_31 Depth=1
                                        ; implicit-def: $vgpr2_vgpr3
	s_branch .LBB126_267
.LBB126_300:
	s_or_b64 exec, exec, s[86:87]
	s_xor_b64 s[8:9], s[80:81], -1
	s_xor_b64 s[0:1], s[70:71], -1
	;; [unrolled: 1-line block ×3, first 2 shown]
	s_mov_b64 s[4:5], 0
	s_and_saveexec_b64 s[2:3], s[0:1]
	s_xor_b64 s[2:3], exec, s[2:3]
	s_cbranch_execnz .LBB126_305
; %bb.301:
	s_andn2_saveexec_b64 s[0:1], s[2:3]
	s_cbranch_execnz .LBB126_318
.LBB126_302:
	s_or_b64 exec, exec, s[0:1]
	s_and_saveexec_b64 s[0:1], s[4:5]
.LBB126_303:
	; divergent unreachable
.LBB126_304:
	s_endpgm
.LBB126_305:
	s_and_saveexec_b64 s[0:1], s[8:9]
	s_xor_b64 s[4:5], exec, s[0:1]
	s_cbranch_execz .LBB126_316
; %bb.306:
	s_and_saveexec_b64 s[0:1], s[6:7]
	s_xor_b64 s[6:7], exec, s[0:1]
; %bb.307:
	v_bfrev_b32_e32 v3, 1
	v_cmp_lt_i32_e32 vcc, -1, v2
	v_cndmask_b32_e64 v3, v3, -1, vcc
	v_xor_b32_e32 v21, v3, v2
; %bb.308:
	s_or_b64 exec, exec, s[6:7]
	v_readlane_b32 s8, v44, 4
	v_readlane_b32 s0, v44, 12
	v_readlane_b32 s9, v44, 5
	v_readlane_b32 s1, v44, 13
	s_mov_b32 s14, s0
	s_mul_i32 s0, s0, s9
	s_mul_hi_u32 s1, s14, s8
	s_add_i32 s1, s1, s0
	s_mul_i32 s0, s14, s8
	v_readlane_b32 s12, v44, 14
	v_readlane_b32 s16, v44, 24
	;; [unrolled: 1-line block ×3, first 2 shown]
	s_sub_u32 s0, s12, s0
	v_readlane_b32 s18, v44, 26
	v_readlane_b32 s19, v44, 27
	s_subb_u32 s1, s13, s1
	s_mul_i32 s6, s0, s19
	s_mul_hi_u32 s7, s0, s18
	v_readlane_b32 s10, v44, 6
	v_readlane_b32 s11, v44, 7
	;; [unrolled: 1-line block ×3, first 2 shown]
	s_add_i32 s6, s7, s6
	s_mul_i32 s1, s1, s18
	s_add_i32 s1, s6, s1
	s_mul_i32 s6, s14, s17
	s_mul_hi_u32 s7, s14, s16
	s_mul_i32 s8, s12, s11
	s_mul_hi_u32 s9, s12, s10
	s_add_i32 s7, s7, s6
	s_add_i32 s9, s9, s8
	s_mul_i32 s8, s12, s10
	v_readlane_b32 s10, v44, 32
	v_readlane_b32 s12, v44, 22
	;; [unrolled: 1-line block ×3, first 2 shown]
	s_sub_u32 s8, s10, s8
	v_readlane_b32 s13, v44, 23
	s_subb_u32 s9, 0, s9
	s_mul_i32 s10, s8, s13
	s_mul_hi_u32 s11, s8, s12
	s_mul_i32 s6, s14, s16
	s_add_i32 s10, s11, s10
	s_mul_i32 s9, s9, s12
	s_add_i32 s9, s10, s9
	s_lshl_b64 s[6:7], s[6:7], 2
	v_readlane_b32 s10, v44, 30
	s_mul_i32 s0, s0, s18
	v_readlane_b32 s11, v44, 31
	s_add_u32 s6, s10, s6
	s_addc_u32 s7, s11, s7
	s_lshl_b64 s[0:1], s[0:1], 2
	s_mul_i32 s8, s8, s12
	s_add_u32 s6, s6, s0
	s_addc_u32 s7, s7, s1
	s_lshl_b64 s[0:1], s[8:9], 2
	s_add_u32 s0, s6, s0
	s_addc_u32 s1, s7, s1
	v_mov_b32_e32 v2, 0
	global_store_dword v2, v21, s[0:1]
	s_mov_b64 s[6:7], exec
	v_readlane_b32 s0, v44, 34
	v_readlane_b32 s1, v44, 35
	s_and_b64 s[0:1], s[6:7], s[0:1]
	s_mov_b64 exec, s[0:1]
	s_cbranch_execz .LBB126_315
; %bb.309:
	v_cmp_u_f32_e32 vcc, v21, v21
	s_mov_b64 s[8:9], 0
	v_mov_b32_e32 v4, s55
	s_xor_b64 s[12:13], vcc, -1
                                        ; implicit-def: $sgpr10_sgpr11
                                        ; implicit-def: $sgpr16_sgpr17
                                        ; implicit-def: $sgpr14_sgpr15
	s_branch .LBB126_311
.LBB126_310:                            ;   in Loop: Header=BB126_311 Depth=1
	s_or_b64 exec, exec, s[0:1]
	s_and_b64 s[0:1], exec, s[16:17]
	s_or_b64 s[8:9], s[0:1], s[8:9]
	s_andn2_b64 s[0:1], s[10:11], exec
	s_and_b64 s[10:11], s[14:15], exec
	s_or_b64 s[10:11], s[0:1], s[10:11]
	s_andn2_b64 exec, exec, s[8:9]
	s_cbranch_execz .LBB126_313
.LBB126_311:                            ; =>This Inner Loop Header: Depth=1
	v_pk_mov_b32 v[2:3], v[0:1], v[0:1] op_sel:[0,1]
	v_mul_lo_u32 v5, v3, s76
	v_mul_lo_u32 v6, v2, s77
	v_mad_u64_u32 v[0:1], s[0:1], v2, s76, 0
	v_add3_u32 v1, v1, v6, v5
	v_lshlrev_b64 v[0:1], 2, v[0:1]
	v_add_co_u32_e32 v0, vcc, s33, v0
	v_addc_co_u32_e32 v1, vcc, v4, v1, vcc
	global_load_dword v0, v[0:1], off
	s_or_b64 s[14:15], s[14:15], exec
	s_or_b64 s[16:17], s[16:17], exec
	s_waitcnt vmcnt(0)
	v_cmp_o_f32_e64 s[0:1], v0, v0
	v_cmp_neq_f32_e32 vcc, v0, v21
	s_or_b64 s[0:1], s[0:1], s[12:13]
	s_and_b64 s[18:19], vcc, s[0:1]
                                        ; implicit-def: $vgpr0_vgpr1
	s_and_saveexec_b64 s[0:1], s[18:19]
	s_cbranch_execz .LBB126_310
; %bb.312:                              ;   in Loop: Header=BB126_311 Depth=1
	v_mov_b32_e32 v1, s84
	v_add_co_u32_e32 v0, vcc, s54, v2
	v_addc_co_u32_e32 v1, vcc, v3, v1, vcc
	v_cmp_le_u64_e32 vcc, s[52:53], v[0:1]
	s_andn2_b64 s[16:17], s[16:17], exec
	s_and_b64 s[18:19], vcc, exec
	s_andn2_b64 s[14:15], s[14:15], exec
	s_or_b64 s[16:17], s[16:17], s[18:19]
	s_branch .LBB126_310
.LBB126_313:
	s_or_b64 exec, exec, s[8:9]
	s_and_saveexec_b64 s[0:1], s[10:11]
	s_xor_b64 s[0:1], exec, s[0:1]
	s_cbranch_execz .LBB126_315
; %bb.314:
	v_readlane_b32 s12, v44, 0
	v_readlane_b32 s0, v44, 8
	;; [unrolled: 1-line block ×4, first 2 shown]
	s_mov_b32 s10, s0
	s_mul_i32 s0, s0, s13
	s_mul_hi_u32 s1, s10, s12
	s_add_i32 s1, s1, s0
	s_mul_i32 s0, s10, s12
	v_readlane_b32 s12, v44, 10
	v_readlane_b32 s16, v44, 18
	;; [unrolled: 1-line block ×3, first 2 shown]
	s_sub_u32 s0, s12, s0
	v_readlane_b32 s18, v44, 20
	v_readlane_b32 s19, v44, 21
	s_subb_u32 s1, s13, s1
	s_mul_i32 s8, s0, s19
	s_mul_hi_u32 s9, s0, s18
	v_readlane_b32 s17, v44, 19
	s_add_i32 s8, s9, s8
	s_mul_i32 s1, s1, s18
	v_readlane_b32 s14, v44, 2
	v_readlane_b32 s15, v44, 3
	s_add_i32 s1, s8, s1
	s_mul_i32 s8, s10, s17
	s_mul_hi_u32 s9, s10, s16
	s_add_i32 s9, s9, s8
	s_mul_i32 s8, s10, s16
	s_mul_i32 s10, s12, s15
	s_mul_hi_u32 s11, s12, s14
	s_add_i32 s11, s11, s10
	s_mul_i32 s10, s12, s14
	v_readlane_b32 s12, v44, 32
	v_readlane_b32 s14, v44, 16
	;; [unrolled: 1-line block ×3, first 2 shown]
	s_sub_u32 s10, s12, s10
	v_readlane_b32 s15, v44, 17
	s_subb_u32 s11, 0, s11
	s_mul_i32 s12, s10, s15
	s_mul_hi_u32 s13, s10, s14
	s_add_i32 s12, s13, s12
	s_mul_i32 s11, s11, s14
	s_add_i32 s11, s12, s11
	s_lshl_b64 s[8:9], s[8:9], 3
	v_readlane_b32 s12, v44, 28
	s_mul_i32 s0, s0, s18
	v_readlane_b32 s13, v44, 29
	s_add_u32 s8, s12, s8
	s_addc_u32 s9, s13, s9
	s_lshl_b64 s[0:1], s[0:1], 3
	s_mul_i32 s10, s10, s14
	s_add_u32 s8, s8, s0
	s_addc_u32 s9, s9, s1
	s_lshl_b64 s[0:1], s[10:11], 3
	s_add_u32 s0, s8, s0
	s_addc_u32 s1, s9, s1
	v_mov_b32_e32 v0, 0
	global_store_dwordx2 v0, v[2:3], s[0:1]
.LBB126_315:
	s_or_b64 exec, exec, s[6:7]
.LBB126_316:
	s_or_saveexec_b64 s[0:1], s[4:5]
	s_mov_b64 s[4:5], 0
	s_xor_b64 exec, exec, s[0:1]
	s_cbranch_execnz .LBB126_319
.LBB126_317:
	s_or_b64 exec, exec, s[0:1]
	s_and_b64 s[4:5], s[4:5], exec
	s_andn2_saveexec_b64 s[0:1], s[2:3]
	s_cbranch_execz .LBB126_302
.LBB126_318:
	s_or_b64 s[4:5], s[4:5], exec
	s_trap 2
	s_or_b64 exec, exec, s[0:1]
	s_and_saveexec_b64 s[0:1], s[4:5]
	s_cbranch_execnz .LBB126_303
	s_branch .LBB126_304
.LBB126_319:
	s_mov_b64 s[4:5], exec
	s_trap 2
	s_branch .LBB126_317
	.section	.rodata,"a",@progbits
	.p2align	6, 0x0
	.amdhsa_kernel _ZN2at6native12_GLOBAL__N_112gatherMedianIfmLi3EEEvNS_4cuda6detail10TensorInfoIT_T0_EENS5_IlS7_EENS5_IKS6_S7_EES7_S7_S7_b
		.amdhsa_group_segment_fixed_size 5152
		.amdhsa_private_segment_fixed_size 0
		.amdhsa_kernarg_size 1536
		.amdhsa_user_sgpr_count 6
		.amdhsa_user_sgpr_private_segment_buffer 1
		.amdhsa_user_sgpr_dispatch_ptr 0
		.amdhsa_user_sgpr_queue_ptr 0
		.amdhsa_user_sgpr_kernarg_segment_ptr 1
		.amdhsa_user_sgpr_dispatch_id 0
		.amdhsa_user_sgpr_flat_scratch_init 0
		.amdhsa_user_sgpr_kernarg_preload_length 0
		.amdhsa_user_sgpr_kernarg_preload_offset 0
		.amdhsa_user_sgpr_private_segment_size 0
		.amdhsa_uses_dynamic_stack 0
		.amdhsa_system_sgpr_private_segment_wavefront_offset 0
		.amdhsa_system_sgpr_workgroup_id_x 1
		.amdhsa_system_sgpr_workgroup_id_y 1
		.amdhsa_system_sgpr_workgroup_id_z 1
		.amdhsa_system_sgpr_workgroup_info 0
		.amdhsa_system_vgpr_workitem_id 0
		.amdhsa_next_free_vgpr 45
		.amdhsa_next_free_sgpr 96
		.amdhsa_accum_offset 48
		.amdhsa_reserve_vcc 1
		.amdhsa_reserve_flat_scratch 0
		.amdhsa_float_round_mode_32 0
		.amdhsa_float_round_mode_16_64 0
		.amdhsa_float_denorm_mode_32 3
		.amdhsa_float_denorm_mode_16_64 3
		.amdhsa_dx10_clamp 1
		.amdhsa_ieee_mode 1
		.amdhsa_fp16_overflow 0
		.amdhsa_tg_split 0
		.amdhsa_exception_fp_ieee_invalid_op 0
		.amdhsa_exception_fp_denorm_src 0
		.amdhsa_exception_fp_ieee_div_zero 0
		.amdhsa_exception_fp_ieee_overflow 0
		.amdhsa_exception_fp_ieee_underflow 0
		.amdhsa_exception_fp_ieee_inexact 0
		.amdhsa_exception_int_div_zero 0
	.end_amdhsa_kernel
	.section	.text._ZN2at6native12_GLOBAL__N_112gatherMedianIfmLi3EEEvNS_4cuda6detail10TensorInfoIT_T0_EENS5_IlS7_EENS5_IKS6_S7_EES7_S7_S7_b,"axG",@progbits,_ZN2at6native12_GLOBAL__N_112gatherMedianIfmLi3EEEvNS_4cuda6detail10TensorInfoIT_T0_EENS5_IlS7_EENS5_IKS6_S7_EES7_S7_S7_b,comdat
.Lfunc_end126:
	.size	_ZN2at6native12_GLOBAL__N_112gatherMedianIfmLi3EEEvNS_4cuda6detail10TensorInfoIT_T0_EENS5_IlS7_EENS5_IKS6_S7_EES7_S7_S7_b, .Lfunc_end126-_ZN2at6native12_GLOBAL__N_112gatherMedianIfmLi3EEEvNS_4cuda6detail10TensorInfoIT_T0_EENS5_IlS7_EENS5_IKS6_S7_EES7_S7_S7_b
                                        ; -- End function
	.section	.AMDGPU.csdata,"",@progbits
; Kernel info:
; codeLenInByte = 17380
; NumSgprs: 100
; NumVgprs: 45
; NumAgprs: 0
; TotalNumVgprs: 45
; ScratchSize: 0
; MemoryBound: 0
; FloatMode: 240
; IeeeMode: 1
; LDSByteSize: 5152 bytes/workgroup (compile time only)
; SGPRBlocks: 12
; VGPRBlocks: 5
; NumSGPRsForWavesPerEU: 100
; NumVGPRsForWavesPerEU: 45
; AccumOffset: 48
; Occupancy: 8
; WaveLimiterHint : 1
; COMPUTE_PGM_RSRC2:SCRATCH_EN: 0
; COMPUTE_PGM_RSRC2:USER_SGPR: 6
; COMPUTE_PGM_RSRC2:TRAP_HANDLER: 0
; COMPUTE_PGM_RSRC2:TGID_X_EN: 1
; COMPUTE_PGM_RSRC2:TGID_Y_EN: 1
; COMPUTE_PGM_RSRC2:TGID_Z_EN: 1
; COMPUTE_PGM_RSRC2:TIDIG_COMP_CNT: 0
; COMPUTE_PGM_RSRC3_GFX90A:ACCUM_OFFSET: 11
; COMPUTE_PGM_RSRC3_GFX90A:TG_SPLIT: 0
	.section	.text._ZN2at6native12_GLOBAL__N_112gatherMedianIfmLin1EEEvNS_4cuda6detail10TensorInfoIT_T0_EENS5_IlS7_EENS5_IKS6_S7_EES7_S7_S7_b,"axG",@progbits,_ZN2at6native12_GLOBAL__N_112gatherMedianIfmLin1EEEvNS_4cuda6detail10TensorInfoIT_T0_EENS5_IlS7_EENS5_IKS6_S7_EES7_S7_S7_b,comdat
	.globl	_ZN2at6native12_GLOBAL__N_112gatherMedianIfmLin1EEEvNS_4cuda6detail10TensorInfoIT_T0_EENS5_IlS7_EENS5_IKS6_S7_EES7_S7_S7_b ; -- Begin function _ZN2at6native12_GLOBAL__N_112gatherMedianIfmLin1EEEvNS_4cuda6detail10TensorInfoIT_T0_EENS5_IlS7_EENS5_IKS6_S7_EES7_S7_S7_b
	.p2align	8
	.type	_ZN2at6native12_GLOBAL__N_112gatherMedianIfmLin1EEEvNS_4cuda6detail10TensorInfoIT_T0_EENS5_IlS7_EENS5_IKS6_S7_EES7_S7_S7_b,@function
_ZN2at6native12_GLOBAL__N_112gatherMedianIfmLin1EEEvNS_4cuda6detail10TensorInfoIT_T0_EENS5_IlS7_EENS5_IKS6_S7_EES7_S7_S7_b: ; @_ZN2at6native12_GLOBAL__N_112gatherMedianIfmLin1EEEvNS_4cuda6detail10TensorInfoIT_T0_EENS5_IlS7_EENS5_IKS6_S7_EES7_S7_S7_b
; %bb.0:
	s_load_dwordx4 s[52:55], s[4:5], 0x4e0
	s_load_dwordx2 s[2:3], s[4:5], 0x500
	s_add_u32 s10, s4, 0x500
	s_addc_u32 s11, s5, 0
	s_mov_b32 s9, 0
	s_waitcnt lgkmcnt(0)
	v_mov_b32_e32 v2, s54
	s_mul_i32 s0, s3, s8
	s_add_i32 s0, s0, s7
	s_mul_i32 s0, s0, s2
	v_mov_b32_e32 v3, s55
	s_add_i32 s8, s0, s6
	v_cmp_ge_u64_e32 vcc, s[8:9], v[2:3]
	s_cbranch_vccnz .LBB127_317
; %bb.1:
	s_load_dword s0, s[4:5], 0x198
	s_load_dwordx2 s[56:57], s[4:5], 0x4f0
	s_mov_b64 s[54:55], 0
	s_mov_b64 s[20:21], s[8:9]
	s_waitcnt lgkmcnt(0)
	s_cmp_lt_i32 s0, 2
	s_cbranch_scc1 .LBB127_9
; %bb.2:
	s_mov_b32 s12, 0
	s_add_i32 s3, s0, 1
	s_add_i32 s0, s0, -1
	s_mov_b32 s1, s12
	s_lshl_b64 s[0:1], s[0:1], 3
	s_add_u32 s0, s0, s4
	s_addc_u32 s1, s1, s5
	s_add_u32 s14, s0, 8
	s_addc_u32 s15, s1, 0
	s_mov_b64 s[16:17], s[8:9]
.LBB127_3:                              ; =>This Inner Loop Header: Depth=1
	s_load_dwordx2 s[18:19], s[14:15], 0x0
	s_waitcnt lgkmcnt(0)
	s_or_b64 s[0:1], s[16:17], s[18:19]
	s_mov_b32 s13, s1
	s_cmp_lg_u64 s[12:13], 0
	s_cbranch_scc0 .LBB127_8
; %bb.4:                                ;   in Loop: Header=BB127_3 Depth=1
	v_cvt_f32_u32_e32 v1, s18
	v_cvt_f32_u32_e32 v2, s19
	s_sub_u32 s0, 0, s18
	s_subb_u32 s1, 0, s19
	v_mac_f32_e32 v1, 0x4f800000, v2
	v_rcp_f32_e32 v1, v1
	v_mul_f32_e32 v1, 0x5f7ffffc, v1
	v_mul_f32_e32 v2, 0x2f800000, v1
	v_trunc_f32_e32 v2, v2
	v_mac_f32_e32 v1, 0xcf800000, v2
	v_cvt_u32_f32_e32 v2, v2
	v_cvt_u32_f32_e32 v1, v1
	v_readfirstlane_b32 s7, v2
	v_readfirstlane_b32 s13, v1
	s_mul_i32 s20, s0, s7
	s_mul_hi_u32 s22, s0, s13
	s_mul_i32 s21, s1, s13
	s_add_i32 s20, s22, s20
	s_mul_i32 s23, s0, s13
	s_add_i32 s20, s20, s21
	s_mul_hi_u32 s21, s13, s20
	s_mul_i32 s22, s13, s20
	s_mul_hi_u32 s13, s13, s23
	s_add_u32 s13, s13, s22
	s_addc_u32 s21, 0, s21
	s_mul_hi_u32 s24, s7, s23
	s_mul_i32 s23, s7, s23
	s_add_u32 s13, s13, s23
	s_mul_hi_u32 s22, s7, s20
	s_addc_u32 s13, s21, s24
	s_addc_u32 s21, s22, 0
	s_mul_i32 s20, s7, s20
	s_add_u32 s13, s13, s20
	s_addc_u32 s20, 0, s21
	v_add_co_u32_e32 v1, vcc, s13, v1
	s_cmp_lg_u64 vcc, 0
	s_addc_u32 s7, s7, s20
	v_readfirstlane_b32 s20, v1
	s_mul_i32 s13, s0, s7
	s_mul_hi_u32 s21, s0, s20
	s_add_i32 s13, s21, s13
	s_mul_i32 s1, s1, s20
	s_add_i32 s13, s13, s1
	s_mul_i32 s0, s0, s20
	s_mul_hi_u32 s21, s7, s0
	s_mul_i32 s22, s7, s0
	s_mul_i32 s24, s20, s13
	s_mul_hi_u32 s0, s20, s0
	s_mul_hi_u32 s23, s20, s13
	s_add_u32 s0, s0, s24
	s_addc_u32 s20, 0, s23
	s_add_u32 s0, s0, s22
	s_mul_hi_u32 s1, s7, s13
	s_addc_u32 s0, s20, s21
	s_addc_u32 s1, s1, 0
	s_mul_i32 s13, s7, s13
	s_add_u32 s0, s0, s13
	s_addc_u32 s1, 0, s1
	v_add_co_u32_e32 v1, vcc, s0, v1
	s_cmp_lg_u64 vcc, 0
	s_addc_u32 s0, s7, s1
	v_readfirstlane_b32 s13, v1
	s_mul_i32 s7, s16, s0
	s_mul_hi_u32 s20, s16, s13
	s_mul_hi_u32 s1, s16, s0
	s_add_u32 s7, s20, s7
	s_addc_u32 s1, 0, s1
	s_mul_hi_u32 s21, s17, s13
	s_mul_i32 s13, s17, s13
	s_add_u32 s7, s7, s13
	s_mul_hi_u32 s20, s17, s0
	s_addc_u32 s1, s1, s21
	s_addc_u32 s7, s20, 0
	s_mul_i32 s0, s17, s0
	s_add_u32 s13, s1, s0
	s_addc_u32 s7, 0, s7
	s_mul_i32 s0, s18, s7
	s_mul_hi_u32 s1, s18, s13
	s_add_i32 s0, s1, s0
	s_mul_i32 s1, s19, s13
	s_add_i32 s20, s0, s1
	s_mul_i32 s1, s18, s13
	v_mov_b32_e32 v1, s1
	s_sub_i32 s0, s17, s20
	v_sub_co_u32_e32 v1, vcc, s16, v1
	s_cmp_lg_u64 vcc, 0
	s_subb_u32 s21, s0, s19
	v_subrev_co_u32_e64 v2, s[0:1], s18, v1
	s_cmp_lg_u64 s[0:1], 0
	s_subb_u32 s0, s21, 0
	s_cmp_ge_u32 s0, s19
	v_readfirstlane_b32 s21, v2
	s_cselect_b32 s1, -1, 0
	s_cmp_ge_u32 s21, s18
	s_cselect_b32 s21, -1, 0
	s_cmp_eq_u32 s0, s19
	s_cselect_b32 s0, s21, s1
	s_add_u32 s1, s13, 1
	s_addc_u32 s21, s7, 0
	s_add_u32 s22, s13, 2
	s_addc_u32 s23, s7, 0
	s_cmp_lg_u32 s0, 0
	s_cselect_b32 s0, s22, s1
	s_cselect_b32 s1, s23, s21
	s_cmp_lg_u64 vcc, 0
	s_subb_u32 s20, s17, s20
	s_cmp_ge_u32 s20, s19
	v_readfirstlane_b32 s22, v1
	s_cselect_b32 s21, -1, 0
	s_cmp_ge_u32 s22, s18
	s_cselect_b32 s22, -1, 0
	s_cmp_eq_u32 s20, s19
	s_cselect_b32 s20, s22, s21
	s_cmp_lg_u32 s20, 0
	s_cselect_b32 s21, s1, s7
	s_cselect_b32 s20, s0, s13
	s_cbranch_execnz .LBB127_6
.LBB127_5:                              ;   in Loop: Header=BB127_3 Depth=1
	v_cvt_f32_u32_e32 v1, s18
	s_sub_i32 s0, 0, s18
	s_mov_b32 s21, s12
	v_rcp_iflag_f32_e32 v1, v1
	v_mul_f32_e32 v1, 0x4f7ffffe, v1
	v_cvt_u32_f32_e32 v1, v1
	v_readfirstlane_b32 s1, v1
	s_mul_i32 s0, s0, s1
	s_mul_hi_u32 s0, s1, s0
	s_add_i32 s1, s1, s0
	s_mul_hi_u32 s0, s16, s1
	s_mul_i32 s7, s0, s18
	s_sub_i32 s7, s16, s7
	s_add_i32 s1, s0, 1
	s_sub_i32 s13, s7, s18
	s_cmp_ge_u32 s7, s18
	s_cselect_b32 s0, s1, s0
	s_cselect_b32 s7, s13, s7
	s_add_i32 s1, s0, 1
	s_cmp_ge_u32 s7, s18
	s_cselect_b32 s20, s1, s0
.LBB127_6:                              ;   in Loop: Header=BB127_3 Depth=1
	s_mul_i32 s0, s20, s19
	s_mul_hi_u32 s1, s20, s18
	s_add_i32 s7, s1, s0
	s_load_dwordx2 s[0:1], s[14:15], 0xc8
	s_mul_i32 s13, s21, s18
	s_add_i32 s7, s7, s13
	s_mul_i32 s13, s20, s18
	s_sub_u32 s13, s16, s13
	s_subb_u32 s7, s17, s7
	s_waitcnt lgkmcnt(0)
	s_mul_i32 s7, s0, s7
	s_mul_hi_u32 s16, s0, s13
	s_add_i32 s7, s16, s7
	s_mul_i32 s1, s1, s13
	s_add_i32 s7, s7, s1
	s_mul_i32 s0, s0, s13
	s_add_u32 s54, s0, s54
	s_addc_u32 s55, s7, s55
	s_add_i32 s3, s3, -1
	s_add_u32 s14, s14, -8
	s_addc_u32 s15, s15, -1
	s_cmp_gt_u32 s3, 2
	s_cbranch_scc0 .LBB127_9
; %bb.7:                                ;   in Loop: Header=BB127_3 Depth=1
	s_mov_b64 s[16:17], s[20:21]
	s_branch .LBB127_3
.LBB127_8:                              ;   in Loop: Header=BB127_3 Depth=1
                                        ; implicit-def: $sgpr20_sgpr21
	s_branch .LBB127_5
.LBB127_9:
	s_load_dword s0, s[4:5], 0x338
	s_load_dwordx2 s[12:13], s[4:5], 0xd0
                                        ; implicit-def: $vgpr52 : SGPR spill to VGPR lane
	s_mov_b64 s[58:59], 0
	v_writelane_b32 v52, s20, 0
	v_writelane_b32 v52, s21, 1
	s_mov_b64 s[46:47], s[8:9]
	s_waitcnt lgkmcnt(0)
	v_writelane_b32 v52, s12, 2
	v_writelane_b32 v52, s13, 3
	s_add_u32 s12, s4, 0x1a0
	s_addc_u32 s13, s5, 0
	s_cmp_lt_i32 s0, 2
	s_cbranch_scc1 .LBB127_17
; %bb.10:
	s_mov_b32 s14, 0
	s_add_i32 s3, s0, 1
	s_add_i32 s0, s0, -1
	s_mov_b32 s1, s14
	s_lshl_b64 s[0:1], s[0:1], 3
	s_add_u32 s0, s0, s12
	s_addc_u32 s1, s1, s13
	s_add_u32 s16, s0, 8
	s_addc_u32 s17, s1, 0
	s_mov_b64 s[18:19], s[8:9]
.LBB127_11:                             ; =>This Inner Loop Header: Depth=1
	s_load_dwordx2 s[20:21], s[16:17], 0x0
	s_waitcnt lgkmcnt(0)
	s_or_b64 s[0:1], s[18:19], s[20:21]
	s_mov_b32 s15, s1
	s_cmp_lg_u64 s[14:15], 0
	s_cbranch_scc0 .LBB127_16
; %bb.12:                               ;   in Loop: Header=BB127_11 Depth=1
	v_cvt_f32_u32_e32 v1, s20
	v_cvt_f32_u32_e32 v2, s21
	s_sub_u32 s0, 0, s20
	s_subb_u32 s1, 0, s21
	v_mac_f32_e32 v1, 0x4f800000, v2
	v_rcp_f32_e32 v1, v1
	v_mul_f32_e32 v1, 0x5f7ffffc, v1
	v_mul_f32_e32 v2, 0x2f800000, v1
	v_trunc_f32_e32 v2, v2
	v_mac_f32_e32 v1, 0xcf800000, v2
	v_cvt_u32_f32_e32 v2, v2
	v_cvt_u32_f32_e32 v1, v1
	v_readfirstlane_b32 s7, v2
	v_readfirstlane_b32 s15, v1
	s_mul_i32 s22, s0, s7
	s_mul_hi_u32 s24, s0, s15
	s_mul_i32 s23, s1, s15
	s_add_i32 s22, s24, s22
	s_mul_i32 s25, s0, s15
	s_add_i32 s22, s22, s23
	s_mul_hi_u32 s23, s15, s22
	s_mul_i32 s24, s15, s22
	s_mul_hi_u32 s15, s15, s25
	s_add_u32 s15, s15, s24
	s_addc_u32 s23, 0, s23
	s_mul_hi_u32 s26, s7, s25
	s_mul_i32 s25, s7, s25
	s_add_u32 s15, s15, s25
	s_mul_hi_u32 s24, s7, s22
	s_addc_u32 s15, s23, s26
	s_addc_u32 s23, s24, 0
	s_mul_i32 s22, s7, s22
	s_add_u32 s15, s15, s22
	s_addc_u32 s22, 0, s23
	v_add_co_u32_e32 v1, vcc, s15, v1
	s_cmp_lg_u64 vcc, 0
	s_addc_u32 s7, s7, s22
	v_readfirstlane_b32 s22, v1
	s_mul_i32 s15, s0, s7
	s_mul_hi_u32 s23, s0, s22
	s_add_i32 s15, s23, s15
	s_mul_i32 s1, s1, s22
	s_add_i32 s15, s15, s1
	s_mul_i32 s0, s0, s22
	s_mul_hi_u32 s23, s7, s0
	s_mul_i32 s24, s7, s0
	s_mul_i32 s26, s22, s15
	s_mul_hi_u32 s0, s22, s0
	s_mul_hi_u32 s25, s22, s15
	s_add_u32 s0, s0, s26
	s_addc_u32 s22, 0, s25
	s_add_u32 s0, s0, s24
	s_mul_hi_u32 s1, s7, s15
	s_addc_u32 s0, s22, s23
	s_addc_u32 s1, s1, 0
	s_mul_i32 s15, s7, s15
	s_add_u32 s0, s0, s15
	s_addc_u32 s1, 0, s1
	v_add_co_u32_e32 v1, vcc, s0, v1
	s_cmp_lg_u64 vcc, 0
	s_addc_u32 s0, s7, s1
	v_readfirstlane_b32 s15, v1
	s_mul_i32 s7, s18, s0
	s_mul_hi_u32 s22, s18, s15
	s_mul_hi_u32 s1, s18, s0
	s_add_u32 s7, s22, s7
	s_addc_u32 s1, 0, s1
	s_mul_hi_u32 s23, s19, s15
	s_mul_i32 s15, s19, s15
	s_add_u32 s7, s7, s15
	s_mul_hi_u32 s22, s19, s0
	s_addc_u32 s1, s1, s23
	s_addc_u32 s7, s22, 0
	s_mul_i32 s0, s19, s0
	s_add_u32 s15, s1, s0
	s_addc_u32 s7, 0, s7
	s_mul_i32 s0, s20, s7
	s_mul_hi_u32 s1, s20, s15
	s_add_i32 s0, s1, s0
	s_mul_i32 s1, s21, s15
	s_add_i32 s22, s0, s1
	s_mul_i32 s1, s20, s15
	v_mov_b32_e32 v1, s1
	s_sub_i32 s0, s19, s22
	v_sub_co_u32_e32 v1, vcc, s18, v1
	s_cmp_lg_u64 vcc, 0
	s_subb_u32 s23, s0, s21
	v_subrev_co_u32_e64 v2, s[0:1], s20, v1
	s_cmp_lg_u64 s[0:1], 0
	s_subb_u32 s0, s23, 0
	s_cmp_ge_u32 s0, s21
	v_readfirstlane_b32 s23, v2
	s_cselect_b32 s1, -1, 0
	s_cmp_ge_u32 s23, s20
	s_cselect_b32 s23, -1, 0
	s_cmp_eq_u32 s0, s21
	s_cselect_b32 s0, s23, s1
	s_add_u32 s1, s15, 1
	s_addc_u32 s23, s7, 0
	s_add_u32 s24, s15, 2
	s_addc_u32 s25, s7, 0
	s_cmp_lg_u32 s0, 0
	s_cselect_b32 s0, s24, s1
	s_cselect_b32 s1, s25, s23
	s_cmp_lg_u64 vcc, 0
	s_subb_u32 s22, s19, s22
	s_cmp_ge_u32 s22, s21
	v_readfirstlane_b32 s24, v1
	s_cselect_b32 s23, -1, 0
	s_cmp_ge_u32 s24, s20
	s_cselect_b32 s24, -1, 0
	s_cmp_eq_u32 s22, s21
	s_cselect_b32 s22, s24, s23
	s_cmp_lg_u32 s22, 0
	s_cselect_b32 s47, s1, s7
	s_cselect_b32 s46, s0, s15
	s_cbranch_execnz .LBB127_14
.LBB127_13:                             ;   in Loop: Header=BB127_11 Depth=1
	v_cvt_f32_u32_e32 v1, s20
	s_sub_i32 s0, 0, s20
	s_mov_b32 s47, s14
	v_rcp_iflag_f32_e32 v1, v1
	v_mul_f32_e32 v1, 0x4f7ffffe, v1
	v_cvt_u32_f32_e32 v1, v1
	v_readfirstlane_b32 s1, v1
	s_mul_i32 s0, s0, s1
	s_mul_hi_u32 s0, s1, s0
	s_add_i32 s1, s1, s0
	s_mul_hi_u32 s0, s18, s1
	s_mul_i32 s7, s0, s20
	s_sub_i32 s7, s18, s7
	s_add_i32 s1, s0, 1
	s_sub_i32 s15, s7, s20
	s_cmp_ge_u32 s7, s20
	s_cselect_b32 s0, s1, s0
	s_cselect_b32 s7, s15, s7
	s_add_i32 s1, s0, 1
	s_cmp_ge_u32 s7, s20
	s_cselect_b32 s46, s1, s0
.LBB127_14:                             ;   in Loop: Header=BB127_11 Depth=1
	s_mul_i32 s0, s46, s21
	s_mul_hi_u32 s1, s46, s20
	s_add_i32 s7, s1, s0
	s_load_dwordx2 s[0:1], s[16:17], 0xc8
	s_mul_i32 s15, s47, s20
	s_add_i32 s7, s7, s15
	s_mul_i32 s15, s46, s20
	s_sub_u32 s15, s18, s15
	s_subb_u32 s7, s19, s7
	s_waitcnt lgkmcnt(0)
	s_mul_i32 s7, s0, s7
	s_mul_hi_u32 s18, s0, s15
	s_add_i32 s7, s18, s7
	s_mul_i32 s1, s1, s15
	s_add_i32 s7, s7, s1
	s_mul_i32 s0, s0, s15
	s_add_u32 s58, s0, s58
	s_addc_u32 s59, s7, s59
	s_add_i32 s3, s3, -1
	s_add_u32 s16, s16, -8
	s_addc_u32 s17, s17, -1
	s_cmp_gt_u32 s3, 2
	s_cbranch_scc0 .LBB127_17
; %bb.15:                               ;   in Loop: Header=BB127_11 Depth=1
	s_mov_b64 s[18:19], s[46:47]
	s_branch .LBB127_11
.LBB127_16:                             ;   in Loop: Header=BB127_11 Depth=1
                                        ; implicit-def: $sgpr46_sgpr47
	s_branch .LBB127_13
.LBB127_17:
	s_load_dword s7, s[4:5], 0x4d8
	s_load_dwordx2 s[0:1], s[12:13], 0xd0
                                        ; kill: killed $sgpr12 killed $sgpr13
	s_mov_b64 s[12:13], 0
	s_waitcnt lgkmcnt(0)
	v_writelane_b32 v52, s0, 4
	v_writelane_b32 v52, s1, 5
	s_add_u32 s0, s4, 0x340
	s_addc_u32 s1, s5, 0
	s_cmp_lt_i32 s7, 2
	s_cbranch_scc1 .LBB127_25
; %bb.18:
	s_mov_b32 s14, 0
	s_add_i32 s12, s7, -1
	s_mov_b32 s13, s14
	s_add_i32 s3, s7, 1
	s_lshl_b64 s[12:13], s[12:13], 3
	s_add_u32 s0, s12, s0
	s_addc_u32 s1, s13, s1
	s_add_u32 s16, s0, 8
	s_addc_u32 s17, s1, 0
	s_mov_b64 s[12:13], 0
.LBB127_19:                             ; =>This Inner Loop Header: Depth=1
	s_load_dwordx2 s[18:19], s[16:17], 0x0
	s_waitcnt lgkmcnt(0)
	s_or_b64 s[0:1], s[8:9], s[18:19]
	s_mov_b32 s15, s1
	s_cmp_lg_u64 s[14:15], 0
	s_cbranch_scc0 .LBB127_24
; %bb.20:                               ;   in Loop: Header=BB127_19 Depth=1
	v_cvt_f32_u32_e32 v1, s18
	v_cvt_f32_u32_e32 v2, s19
	s_sub_u32 s0, 0, s18
	s_subb_u32 s1, 0, s19
	v_mac_f32_e32 v1, 0x4f800000, v2
	v_rcp_f32_e32 v1, v1
	v_mul_f32_e32 v1, 0x5f7ffffc, v1
	v_mul_f32_e32 v2, 0x2f800000, v1
	v_trunc_f32_e32 v2, v2
	v_mac_f32_e32 v1, 0xcf800000, v2
	v_cvt_u32_f32_e32 v2, v2
	v_cvt_u32_f32_e32 v1, v1
	v_readfirstlane_b32 s7, v2
	v_readfirstlane_b32 s15, v1
	s_mul_i32 s20, s0, s7
	s_mul_hi_u32 s22, s0, s15
	s_mul_i32 s21, s1, s15
	s_add_i32 s20, s22, s20
	s_mul_i32 s23, s0, s15
	s_add_i32 s20, s20, s21
	s_mul_hi_u32 s21, s15, s20
	s_mul_i32 s22, s15, s20
	s_mul_hi_u32 s15, s15, s23
	s_add_u32 s15, s15, s22
	s_addc_u32 s21, 0, s21
	s_mul_hi_u32 s24, s7, s23
	s_mul_i32 s23, s7, s23
	s_add_u32 s15, s15, s23
	s_mul_hi_u32 s22, s7, s20
	s_addc_u32 s15, s21, s24
	s_addc_u32 s21, s22, 0
	s_mul_i32 s20, s7, s20
	s_add_u32 s15, s15, s20
	s_addc_u32 s20, 0, s21
	v_add_co_u32_e32 v1, vcc, s15, v1
	s_cmp_lg_u64 vcc, 0
	s_addc_u32 s7, s7, s20
	v_readfirstlane_b32 s20, v1
	s_mul_i32 s15, s0, s7
	s_mul_hi_u32 s21, s0, s20
	s_add_i32 s15, s21, s15
	s_mul_i32 s1, s1, s20
	s_add_i32 s15, s15, s1
	s_mul_i32 s0, s0, s20
	s_mul_hi_u32 s21, s7, s0
	s_mul_i32 s22, s7, s0
	s_mul_i32 s24, s20, s15
	s_mul_hi_u32 s0, s20, s0
	s_mul_hi_u32 s23, s20, s15
	s_add_u32 s0, s0, s24
	s_addc_u32 s20, 0, s23
	s_add_u32 s0, s0, s22
	s_mul_hi_u32 s1, s7, s15
	s_addc_u32 s0, s20, s21
	s_addc_u32 s1, s1, 0
	s_mul_i32 s15, s7, s15
	s_add_u32 s0, s0, s15
	s_addc_u32 s1, 0, s1
	v_add_co_u32_e32 v1, vcc, s0, v1
	s_cmp_lg_u64 vcc, 0
	s_addc_u32 s0, s7, s1
	v_readfirstlane_b32 s15, v1
	s_mul_i32 s7, s8, s0
	s_mul_hi_u32 s20, s8, s15
	s_mul_hi_u32 s1, s8, s0
	s_add_u32 s7, s20, s7
	s_addc_u32 s1, 0, s1
	s_mul_hi_u32 s21, s9, s15
	s_mul_i32 s15, s9, s15
	s_add_u32 s7, s7, s15
	s_mul_hi_u32 s20, s9, s0
	s_addc_u32 s1, s1, s21
	s_addc_u32 s7, s20, 0
	s_mul_i32 s0, s9, s0
	s_add_u32 s15, s1, s0
	s_addc_u32 s7, 0, s7
	s_mul_i32 s0, s18, s7
	s_mul_hi_u32 s1, s18, s15
	s_add_i32 s0, s1, s0
	s_mul_i32 s1, s19, s15
	s_add_i32 s20, s0, s1
	s_mul_i32 s1, s18, s15
	v_mov_b32_e32 v1, s1
	s_sub_i32 s0, s9, s20
	v_sub_co_u32_e32 v1, vcc, s8, v1
	s_cmp_lg_u64 vcc, 0
	s_subb_u32 s21, s0, s19
	v_subrev_co_u32_e64 v2, s[0:1], s18, v1
	s_cmp_lg_u64 s[0:1], 0
	s_subb_u32 s0, s21, 0
	s_cmp_ge_u32 s0, s19
	v_readfirstlane_b32 s21, v2
	s_cselect_b32 s1, -1, 0
	s_cmp_ge_u32 s21, s18
	s_cselect_b32 s21, -1, 0
	s_cmp_eq_u32 s0, s19
	s_cselect_b32 s0, s21, s1
	s_add_u32 s1, s15, 1
	s_addc_u32 s21, s7, 0
	s_add_u32 s22, s15, 2
	s_addc_u32 s23, s7, 0
	s_cmp_lg_u32 s0, 0
	s_cselect_b32 s0, s22, s1
	s_cselect_b32 s1, s23, s21
	s_cmp_lg_u64 vcc, 0
	s_subb_u32 s20, s9, s20
	s_cmp_ge_u32 s20, s19
	v_readfirstlane_b32 s22, v1
	s_cselect_b32 s21, -1, 0
	s_cmp_ge_u32 s22, s18
	s_cselect_b32 s22, -1, 0
	s_cmp_eq_u32 s20, s19
	s_cselect_b32 s20, s22, s21
	s_cmp_lg_u32 s20, 0
	s_cselect_b32 s21, s1, s7
	s_cselect_b32 s20, s0, s15
	s_cbranch_execnz .LBB127_22
.LBB127_21:                             ;   in Loop: Header=BB127_19 Depth=1
	v_cvt_f32_u32_e32 v1, s18
	s_sub_i32 s0, 0, s18
	s_mov_b32 s21, s14
	v_rcp_iflag_f32_e32 v1, v1
	v_mul_f32_e32 v1, 0x4f7ffffe, v1
	v_cvt_u32_f32_e32 v1, v1
	v_readfirstlane_b32 s1, v1
	s_mul_i32 s0, s0, s1
	s_mul_hi_u32 s0, s1, s0
	s_add_i32 s1, s1, s0
	s_mul_hi_u32 s0, s8, s1
	s_mul_i32 s7, s0, s18
	s_sub_i32 s7, s8, s7
	s_add_i32 s1, s0, 1
	s_sub_i32 s15, s7, s18
	s_cmp_ge_u32 s7, s18
	s_cselect_b32 s0, s1, s0
	s_cselect_b32 s7, s15, s7
	s_add_i32 s1, s0, 1
	s_cmp_ge_u32 s7, s18
	s_cselect_b32 s20, s1, s0
.LBB127_22:                             ;   in Loop: Header=BB127_19 Depth=1
	s_mul_i32 s0, s20, s19
	s_mul_hi_u32 s1, s20, s18
	s_add_i32 s7, s1, s0
	s_load_dwordx2 s[0:1], s[16:17], 0xc8
	s_mul_i32 s15, s21, s18
	s_add_i32 s7, s7, s15
	s_mul_i32 s15, s20, s18
	s_sub_u32 s8, s8, s15
	s_subb_u32 s7, s9, s7
	s_waitcnt lgkmcnt(0)
	s_mul_i32 s7, s0, s7
	s_mul_hi_u32 s9, s0, s8
	s_add_i32 s7, s9, s7
	s_mul_i32 s1, s1, s8
	s_add_i32 s7, s7, s1
	s_mul_i32 s0, s0, s8
	s_add_u32 s12, s0, s12
	s_addc_u32 s13, s7, s13
	s_add_i32 s3, s3, -1
	s_add_u32 s16, s16, -8
	s_addc_u32 s17, s17, -1
	s_cmp_gt_u32 s3, 2
	s_cbranch_scc0 .LBB127_26
; %bb.23:                               ;   in Loop: Header=BB127_19 Depth=1
	s_mov_b64 s[8:9], s[20:21]
	s_branch .LBB127_19
.LBB127_24:                             ;   in Loop: Header=BB127_19 Depth=1
                                        ; implicit-def: $sgpr20_sgpr21
	s_branch .LBB127_21
.LBB127_25:
	s_mov_b64 s[20:21], s[8:9]
.LBB127_26:
	s_load_dwordx2 s[8:9], s[4:5], 0x410
	s_load_dwordx2 s[0:1], s[4:5], 0x0
	v_mov_b32_e32 v1, 0
	v_cmp_gt_u64_e64 s[60:61], s[52:53], v[0:1]
	v_pk_mov_b32 v[2:3], 0, 0
	s_waitcnt lgkmcnt(0)
	s_mul_i32 s3, s8, s21
	v_writelane_b32 v52, s0, 6
	v_writelane_b32 v52, s1, 7
	s_load_dwordx2 s[0:1], s[4:5], 0x1a0
	s_mul_hi_u32 s7, s8, s20
	s_add_i32 s3, s7, s3
	s_mul_i32 s7, s9, s20
	s_add_i32 s9, s3, s7
	s_waitcnt lgkmcnt(0)
	v_writelane_b32 v52, s0, 8
	v_writelane_b32 v52, s1, 9
	s_load_dwordx2 s[0:1], s[4:5], 0x340
	s_mul_i32 s8, s8, s20
	s_and_saveexec_b64 s[14:15], s[60:61]
	s_cbranch_execz .LBB127_30
; %bb.27:
	s_load_dword s3, s[10:11], 0xc
	v_mad_u64_u32 v[2:3], s[18:19], s56, v0, 0
	v_mov_b32_e32 v4, v3
	v_mad_u64_u32 v[4:5], s[18:19], s57, v0, v[4:5]
	s_lshl_b64 s[16:17], s[8:9], 2
	s_waitcnt lgkmcnt(0)
	s_and_b32 s3, s3, 0xffff
	s_lshl_b64 s[18:19], s[12:13], 2
	s_add_u32 s18, s0, s18
	s_addc_u32 s19, s1, s19
	v_mov_b32_e32 v3, v4
	s_add_u32 s16, s18, s16
	v_lshlrev_b64 v[2:3], 2, v[2:3]
	s_addc_u32 s17, s19, s17
	v_mov_b32_e32 v5, s17
	v_add_co_u32_e32 v4, vcc, s16, v2
	s_mul_i32 s16, s57, s3
	s_mul_hi_u32 s17, s56, s3
	s_add_i32 s17, s17, s16
	s_mul_i32 s16, s56, s3
	s_mov_b32 s7, 0
	s_lshl_b64 s[18:19], s[16:17], 2
	v_addc_co_u32_e32 v5, vcc, v5, v3, vcc
	s_mov_b64 s[16:17], 0
	v_pk_mov_b32 v[2:3], 0, 0
	v_mov_b32_e32 v8, s7
	v_mov_b32_e32 v9, s19
	v_pk_mov_b32 v[6:7], v[0:1], v[0:1] op_sel:[0,1]
.LBB127_28:                             ; =>This Inner Loop Header: Depth=1
	global_load_dword v10, v[4:5], off
	v_add_co_u32_e32 v6, vcc, s3, v6
	v_addc_co_u32_e32 v7, vcc, v7, v8, vcc
	v_add_co_u32_e32 v4, vcc, s18, v4
	v_addc_co_u32_e32 v5, vcc, v5, v9, vcc
	v_cmp_le_u64_e32 vcc, s[52:53], v[6:7]
	s_or_b64 s[16:17], vcc, s[16:17]
	s_waitcnt vmcnt(0)
	v_cmp_u_f32_e32 vcc, v10, v10
	v_cndmask_b32_e64 v10, 0, 1, vcc
	v_add_co_u32_e32 v2, vcc, v2, v10
	v_addc_co_u32_e32 v3, vcc, 0, v3, vcc
	s_andn2_b64 exec, exec, s[16:17]
	s_cbranch_execnz .LBB127_28
; %bb.29:
	s_or_b64 exec, exec, s[16:17]
.LBB127_30:
	s_or_b64 exec, exec, s[14:15]
	v_cmp_eq_u32_e64 s[16:17], 0, v0
	s_mov_b64 s[14:15], exec
	v_writelane_b32 v52, s16, 10
	v_writelane_b32 v52, s17, 11
	s_and_b64 s[16:17], s[14:15], s[16:17]
	s_mov_b64 exec, s[16:17]
	s_cbranch_execz .LBB127_32
; %bb.31:
	v_mov_b32_e32 v4, 0
	v_mov_b32_e32 v5, v4
	ds_write_b64 v4, v[4:5] offset:5136
.LBB127_32:
	s_or_b64 exec, exec, s[14:15]
	s_mov_b64 s[16:17], 0
	v_cmp_ne_u64_e32 vcc, 0, v[2:3]
	s_waitcnt lgkmcnt(0)
	s_barrier
	s_and_saveexec_b64 s[14:15], vcc
	s_cbranch_execz .LBB127_37
; %bb.33:
	s_mov_b64 s[18:19], exec
.LBB127_34:                             ; =>This Inner Loop Header: Depth=1
	s_ff1_i32_b64 s3, s[18:19]
	v_readlane_b32 s20, v2, s3
	v_readlane_b32 s7, v3, s3
	s_add_u32 s16, s16, s20
	s_addc_u32 s17, s17, s7
	s_lshl_b64 s[20:21], 1, s3
	s_andn2_b64 s[18:19], s[18:19], s[20:21]
	s_cmp_lg_u64 s[18:19], 0
	s_cbranch_scc1 .LBB127_34
; %bb.35:
	v_mbcnt_lo_u32_b32 v2, exec_lo, 0
	v_mbcnt_hi_u32_b32 v2, exec_hi, v2
	v_cmp_eq_u32_e32 vcc, 0, v2
	s_and_saveexec_b64 s[18:19], vcc
	s_xor_b64 s[18:19], exec, s[18:19]
	s_cbranch_execz .LBB127_37
; %bb.36:
	v_mov_b32_e32 v4, 0
	v_pk_mov_b32 v[2:3], s[16:17], s[16:17] op_sel:[0,1]
	ds_add_u64 v4, v[2:3] offset:5136
.LBB127_37:
	s_or_b64 exec, exec, s[14:15]
	v_mov_b32_e32 v11, 0
	s_waitcnt lgkmcnt(0)
	s_barrier
	ds_read_b64 v[2:3], v11 offset:5136
	s_waitcnt lgkmcnt(0)
	v_readfirstlane_b32 s14, v2
	v_readfirstlane_b32 s15, v3
	s_mov_b64 s[16:17], exec
	v_readlane_b32 s18, v52, 10
	v_readlane_b32 s19, v52, 11
	s_and_b64 s[18:19], s[16:17], s[18:19]
	s_mov_b64 exec, s[18:19]
	s_cbranch_execz .LBB127_39
; %bb.38:
	v_mov_b32_e32 v2, 0
	v_mov_b32_e32 v4, s52
	;; [unrolled: 1-line block ×4, first 2 shown]
	ds_write_b32 v2, v2 offset:5144
	ds_write_b128 v2, v[2:5] offset:5120
.LBB127_39:
	s_or_b64 exec, exec, s[16:17]
	s_load_dword s3, s[4:5], 0x4f8
	v_cmp_lt_i64_e64 s[4:5], s[14:15], 1
	v_mbcnt_lo_u32_b32 v2, -1, 0
	v_mbcnt_hi_u32_b32 v44, -1, v2
	v_mov_b32_e32 v2, 0x300
	s_waitcnt lgkmcnt(0)
	s_bitcmp1_b32 s3, 0
	s_cselect_b64 s[16:17], -1, 0
	s_not_b64 s[14:15], s[14:15]
	s_or_b64 s[4:5], s[16:17], s[4:5]
	s_add_u32 s14, s14, s52
	s_addc_u32 s15, s15, s53
	s_lshr_b64 s[14:15], s[14:15], 1
	s_add_u32 s3, s14, 1
	s_addc_u32 s7, s15, 0
	s_and_b64 s[4:5], s[4:5], exec
	v_cmp_gt_u32_e64 s[4:5], 2, v0
	v_writelane_b32 v52, s4, 12
	v_mov_b32_e32 v3, 0
	s_cselect_b32 s64, s3, s52
	s_barrier
	v_writelane_b32 v52, s5, 13
	v_cmp_gt_u64_e64 s[4:5], s[52:53], v[2:3]
	s_load_dword s3, s[10:11], 0xc
	s_cselect_b32 s65, s7, s53
	s_lshl_b64 s[14:15], s[8:9], 2
	s_lshl_b64 s[74:75], s[12:13], 2
	v_writelane_b32 v52, s4, 14
	s_add_u32 s12, s0, s14
	v_writelane_b32 v52, s5, 15
	v_mad_u64_u32 v[2:3], s[4:5], v0, s56, 0
	s_addc_u32 s13, s1, s15
	v_mov_b32_e32 v4, v3
	s_add_u32 s90, s12, s74
	v_cmp_gt_u32_e32 vcc, 64, v0
	v_cmp_gt_i32_e64 s[8:9], 4, v44
	v_mad_u64_u32 v[4:5], s[4:5], v0, s57, v[4:5]
	s_addc_u32 s87, s13, s75
	s_and_b64 s[50:51], vcc, s[8:9]
	s_waitcnt lgkmcnt(0)
	s_and_b32 s33, s3, 0xffff
	s_bfe_u32 s4, s3, 0xa0006
	v_cmp_gt_u16_e64 s[8:9], s3, 63
	v_writelane_b32 v52, s8, 16
	s_add_u32 s3, s33, -1
	v_writelane_b32 v52, s9, 17
	s_addc_u32 s5, 0, -1
	v_writelane_b32 v52, s3, 18
	s_add_u32 s3, s3, s52
	s_addc_u32 s69, s5, s53
	s_cmp_lt_u32 s6, s2
	s_cselect_b32 s2, 12, 18
	v_writelane_b32 v52, s3, 19
	s_add_u32 s78, s10, s2
	v_writelane_b32 v52, s5, 20
	s_addc_u32 s79, s11, 0
	s_add_i32 s2, s4, -1
	s_bfe_u32 s5, s33, 0x30006
	s_cmp_gt_u32 s2, 6
	s_cselect_b64 s[2:3], -1, 0
	v_writelane_b32 v52, s2, 21
	s_and_b32 s91, s4, 0x3f8
	v_writelane_b32 v52, s3, 22
	s_cmp_lg_u32 s5, 0
	v_writelane_b32 v52, s5, 23
	s_cselect_b64 s[2:3], -1, 0
	v_writelane_b32 v52, s2, 24
	v_mov_b32_e32 v3, v4
	v_writelane_b32 v52, s3, 25
	s_add_u32 s2, s14, s74
	v_lshlrev_b64 v[4:5], 2, v[2:3]
	s_addc_u32 s3, s15, s75
	v_mov_b32_e32 v6, s87
	v_add_co_u32_e32 v16, vcc, s90, v4
	s_add_u32 s2, s0, s2
	v_addc_co_u32_e32 v17, vcc, v6, v5, vcc
	v_lshrrev_b32_e32 v6, 4, v0
	s_addc_u32 s3, s1, s3
	v_and_b32_e32 v46, 60, v6
	v_lshlrev_b32_e32 v6, 2, v44
	v_writelane_b32 v52, s2, 26
	v_and_b32_e32 v47, 0x100, v6
	v_lshlrev_b64 v[6:7], v44, -1
	v_writelane_b32 v52, s3, 27
	s_lshl_b64 s[2:3], s[56:57], 2
	v_lshlrev_b32_e32 v48, 4, v0
	v_not_b32_e32 v19, v7
	v_not_b32_e32 v18, v6
	v_writelane_b32 v52, s2, 28
	v_or_b32_e32 v9, 12, v48
	v_pk_mov_b32 v[6:7], s[12:13], s[12:13] op_sel:[0,1]
	v_writelane_b32 v52, s3, 29
	v_mad_u64_u32 v[20:21], s[2:3], s56, v9, v[6:7]
	v_mov_b32_e32 v8, v21
	v_mad_u64_u32 v[8:9], s[2:3], s57, v9, v[8:9]
	s_lshl_b64 s[2:3], s[56:57], 4
	v_writelane_b32 v52, s2, 30
	v_or_b32_e32 v9, 8, v48
	v_writelane_b32 v52, s3, 31
	v_mad_u64_u32 v[22:23], s[2:3], s56, v9, v[6:7]
	v_mov_b32_e32 v21, v8
	v_mov_b32_e32 v8, v23
	v_mad_u64_u32 v[8:9], s[2:3], s57, v9, v[8:9]
	v_writelane_b32 v52, s46, 32
	v_cmp_eq_u32_e64 s[48:49], 0, v44
	v_mov_b32_e32 v23, v8
	v_or_b32_e32 v8, 4, v48
	v_writelane_b32 v52, s47, 33
	v_mad_u64_u32 v[24:25], s[2:3], s56, v8, v[6:7]
	s_lshl_b32 s4, s33, 2
	v_writelane_b32 v52, s48, 34
	v_mov_b32_e32 v6, v25
	s_add_u32 s0, s0, s74
	v_writelane_b32 v52, s49, 35
	v_mad_u64_u32 v[6:7], s[2:3], s57, v8, v[6:7]
	v_lshlrev_b64 v[2:3], 4, v[2:3]
	s_addc_u32 s1, s1, s75
	v_writelane_b32 v52, s50, 36
	v_mov_b32_e32 v25, v6
	v_mov_b32_e32 v6, s13
	v_add_co_u32_e32 v26, vcc, s12, v2
	s_add_u32 s0, s0, s14
	v_writelane_b32 v52, s51, 37
	v_addc_co_u32_e32 v27, vcc, v6, v3, vcc
	v_mov_b32_e32 v2, 0xc00
	s_addc_u32 s1, s1, s15
	v_writelane_b32 v52, s78, 38
	v_lshl_or_b32 v49, v44, 3, v2
	v_mov_b32_e32 v2, s1
	v_add_co_u32_e32 v12, vcc, s0, v4
	s_mul_i32 s0, s57, s33
	s_mul_hi_u32 s1, s56, s33
	v_writelane_b32 v52, s79, 39
	s_mov_b32 s77, 0
	v_lshlrev_b32_e32 v14, 2, v0
	s_add_i32 s1, s1, s0
	s_mul_i32 s0, s56, s33
	v_writelane_b32 v52, s90, 40
	v_mov_b32_e32 v15, 0
	v_add_u32_e32 v45, 0xc00, v14
	s_mov_b32 s86, s77
	v_addc_co_u32_e32 v13, vcc, v2, v5, vcc
	s_lshl_b64 s[72:73], s[0:1], 2
	s_mov_b32 s94, 30
	s_mov_b64 s[66:67], 0
	v_mov_b32_e32 v28, 1.0
	v_bfrev_b32_e32 v50, 1
	v_mov_b32_e32 v51, 0x4f800000
	v_mov_b32_e32 v31, 0
	s_mov_b32 s92, 0
	s_mov_b32 s80, 0
	;; [unrolled: 1-line block ×3, first 2 shown]
	v_writelane_b32 v52, s91, 41
                                        ; implicit-def: $sgpr36_sgpr37
                                        ; implicit-def: $sgpr0_sgpr1
                                        ; kill: killed $sgpr0_sgpr1
                                        ; implicit-def: $sgpr30_sgpr31
                                        ; implicit-def: $sgpr40_sgpr41
                                        ; implicit-def: $sgpr34_sgpr35
                                        ; implicit-def: $sgpr84_sgpr85
	v_writelane_b32 v52, s87, 42
	s_branch .LBB127_44
.LBB127_40:                             ;   in Loop: Header=BB127_44 Depth=1
	s_xor_b32 s92, s92, 1
	s_add_i32 s10, s94, -2
	s_cmp_eq_u32 s94, 0
	s_mov_b64 s[2:3], 0
	s_cselect_b64 s[6:7], -1, 0
	s_mov_b32 s94, s10
.LBB127_41:                             ;   in Loop: Header=BB127_44 Depth=1
	s_andn2_b64 s[10:11], s[20:21], exec
	s_and_b64 s[2:3], s[2:3], exec
	s_or_b64 s[20:21], s[10:11], s[2:3]
	s_andn2_b64 s[22:23], s[22:23], exec
	s_andn2_b64 s[18:19], s[18:19], exec
	s_orn2_b64 s[14:15], s[6:7], exec
.LBB127_42:                             ;   in Loop: Header=BB127_44 Depth=1
	s_or_b64 exec, exec, s[0:1]
	s_andn2_b64 s[0:1], s[84:85], exec
	s_and_b64 s[2:3], s[20:21], exec
	s_or_b64 s[84:85], s[0:1], s[2:3]
	s_andn2_b64 s[0:1], s[34:35], exec
	s_and_b64 s[2:3], s[22:23], exec
	s_or_b64 s[34:35], s[0:1], s[2:3]
	s_andn2_b64 s[0:1], s[40:41], exec
	s_and_b64 s[2:3], s[18:19], exec
	s_or_b64 s[40:41], s[0:1], s[2:3]
	s_orn2_b64 s[14:15], s[14:15], exec
.LBB127_43:                             ;   in Loop: Header=BB127_44 Depth=1
	s_or_b64 exec, exec, s[12:13]
	s_and_b64 s[0:1], exec, s[14:15]
	s_or_b64 s[66:67], s[0:1], s[66:67]
	s_andn2_b64 s[0:1], s[30:31], exec
	s_and_b64 s[2:3], s[84:85], exec
	s_or_b64 s[30:31], s[0:1], s[2:3]
	v_readlane_b32 s0, v52, 43
	v_readlane_b32 s1, v52, 44
	s_andn2_b64 s[0:1], s[0:1], exec
	s_and_b64 s[2:3], s[34:35], exec
	s_or_b64 s[0:1], s[0:1], s[2:3]
	v_writelane_b32 v52, s0, 43
	v_writelane_b32 v52, s1, 44
	s_andn2_b64 s[0:1], s[36:37], exec
	s_and_b64 s[2:3], s[40:41], exec
	v_mov_b32_e32 v2, s80
	s_or_b64 s[36:37], s[0:1], s[2:3]
	s_andn2_b64 exec, exec, s[66:67]
	s_cbranch_execz .LBB127_313
.LBB127_44:                             ; =>This Loop Header: Depth=1
                                        ;     Child Loop BB127_52 Depth 2
                                        ;     Child Loop BB127_67 Depth 2
	;; [unrolled: 1-line block ×16, first 2 shown]
	ds_read_b128 v[2:5], v11 offset:5120
	s_waitcnt lgkmcnt(0)
	v_readfirstlane_b32 s3, v3
	v_readfirstlane_b32 s2, v2
	s_cmp_lg_u64 s[2:3], 0
	s_cbranch_scc1 .LBB127_74
; %bb.45:                               ;   in Loop: Header=BB127_44 Depth=1
	v_readlane_b32 s0, v52, 14
	v_readlane_b32 s1, v52, 15
	s_and_b64 vcc, exec, s[0:1]
	s_cbranch_vccz .LBB127_60
; %bb.46:                               ;   in Loop: Header=BB127_44 Depth=1
	s_mov_b64 s[0:1], 0x301
	v_cmp_gt_u64_e32 vcc, s[0:1], v[4:5]
	s_mov_b64 s[2:3], 0
	s_mov_b64 s[0:1], 0
	s_cbranch_vccz .LBB127_61
; %bb.47:                               ;   in Loop: Header=BB127_44 Depth=1
	v_mov_b32_e32 v6, 0
	s_and_saveexec_b64 s[0:1], s[60:61]
	s_cbranch_execz .LBB127_49
; %bb.48:                               ;   in Loop: Header=BB127_44 Depth=1
	global_load_dword v6, v[16:17], off
.LBB127_49:                             ;   in Loop: Header=BB127_44 Depth=1
	s_or_b64 exec, exec, s[0:1]
	s_and_saveexec_b64 s[0:1], s[60:61]
	s_cbranch_execz .LBB127_177
; %bb.50:                               ;   in Loop: Header=BB127_44 Depth=1
	global_load_ushort v7, v11, s[78:79]
	v_readlane_b32 s6, v52, 26
	v_readlane_b32 s7, v52, 27
	v_pk_mov_b32 v[2:3], s[6:7], s[6:7] op_sel:[0,1]
	v_readlane_b32 s14, v52, 28
	v_readlane_b32 s15, v52, 29
	s_mov_b64 s[12:13], 0
	s_waitcnt vmcnt(0)
	v_readfirstlane_b32 s6, v7
	s_and_b32 s6, 0xffff, s6
	v_add_u32_e32 v5, s6, v0
	s_mul_i32 s10, s15, s6
	s_mul_hi_u32 s11, s14, s6
	s_mul_i32 s20, s14, s6
	v_mad_u64_u32 v[2:3], s[6:7], s14, v5, v[2:3]
	v_mov_b32_e32 v4, v3
	v_mad_u64_u32 v[4:5], s[6:7], s15, v5, v[4:5]
	s_add_i32 s21, s11, s10
	v_mov_b32_e32 v3, v4
	v_pk_mov_b32 v[4:5], v[0:1], v[0:1] op_sel:[0,1]
	s_branch .LBB127_52
.LBB127_51:                             ;   in Loop: Header=BB127_52 Depth=2
	s_or_b64 exec, exec, s[6:7]
	v_mov_b32_e32 v6, s21
	v_add_co_u32_e32 v2, vcc, s20, v2
	v_addc_co_u32_e32 v3, vcc, v3, v6, vcc
	s_waitcnt vmcnt(0)
	v_mov_b32_e32 v6, v8
	s_andn2_b64 exec, exec, s[12:13]
	s_cbranch_execz .LBB127_177
.LBB127_52:                             ;   Parent Loop BB127_44 Depth=1
                                        ; =>  This Inner Loop Header: Depth=2
	v_add_co_u32_sdwa v4, vcc, v4, v7 dst_sel:DWORD dst_unused:UNUSED_PAD src0_sel:DWORD src1_sel:WORD_0
	v_addc_co_u32_e32 v5, vcc, 0, v5, vcc
	v_cmp_gt_u64_e64 s[6:7], s[52:53], v[4:5]
	v_cmp_le_u64_e32 vcc, s[52:53], v[4:5]
	s_waitcnt lgkmcnt(0)
	v_mov_b32_e32 v9, 0
	v_mov_b32_e32 v8, 0
	s_and_saveexec_b64 s[10:11], s[6:7]
	s_cbranch_execz .LBB127_54
; %bb.53:                               ;   in Loop: Header=BB127_52 Depth=2
	global_load_dword v8, v[2:3], off
.LBB127_54:                             ;   in Loop: Header=BB127_52 Depth=2
	s_or_b64 exec, exec, s[10:11]
	v_cmp_lt_i32_e64 s[6:7], -1, v6
	v_cndmask_b32_e64 v10, -1, v50, s[6:7]
	v_xor_b32_e32 v10, v10, v6
	v_cmp_o_f32_e64 s[6:7], v6, v6
	v_cndmask_b32_e64 v10, -1, v10, s[6:7]
	v_and_b32_e32 v10, s5, v10
	v_cmp_eq_u32_e64 s[10:11], s80, v10
	s_cmp_lg_u64 s[10:11], 0
	s_cselect_b64 s[6:7], -1, 0
	s_and_b64 s[6:7], s[48:49], s[6:7]
	s_and_saveexec_b64 s[14:15], s[6:7]
	s_cbranch_execz .LBB127_58
; %bb.55:                               ;   in Loop: Header=BB127_52 Depth=2
	s_mov_b64 s[18:19], exec
	v_mbcnt_lo_u32_b32 v9, s18, 0
	v_mbcnt_hi_u32_b32 v9, s19, v9
	s_bcnt1_i32_b64 s22, s[10:11]
	v_cmp_eq_u32_e64 s[6:7], 0, v9
                                        ; implicit-def: $vgpr10
	s_and_saveexec_b64 s[16:17], s[6:7]
	s_cbranch_execz .LBB127_57
; %bb.56:                               ;   in Loop: Header=BB127_52 Depth=2
	s_bcnt1_i32_b64 s6, s[18:19]
	s_mul_i32 s6, s22, s6
	v_mov_b32_e32 v10, s6
	ds_add_rtn_u32 v10, v11, v10 offset:5144
.LBB127_57:                             ;   in Loop: Header=BB127_52 Depth=2
	s_or_b64 exec, exec, s[16:17]
	s_waitcnt lgkmcnt(0)
	v_readfirstlane_b32 s6, v10
	v_mov_b32_e32 v10, s6
	v_mad_u32_u24 v9, s22, v9, v10
.LBB127_58:                             ;   in Loop: Header=BB127_52 Depth=2
	s_or_b64 exec, exec, s[14:15]
	ds_bpermute_b32 v9, v47, v9
	s_and_b64 s[6:7], exec, vcc
	s_or_b64 s[12:13], s[6:7], s[12:13]
	s_and_saveexec_b64 s[6:7], s[10:11]
	s_cbranch_execz .LBB127_51
; %bb.59:                               ;   in Loop: Header=BB127_52 Depth=2
	v_and_b32_e32 v29, s10, v18
	v_and_b32_e32 v10, s11, v19
	v_bcnt_u32_b32 v29, v29, 0
	v_bcnt_u32_b32 v10, v10, v29
	v_lshlrev_b32_e32 v10, 2, v10
	s_waitcnt lgkmcnt(0)
	v_lshl_add_u32 v9, v9, 2, v10
	ds_write_b32 v9, v6
	s_branch .LBB127_51
.LBB127_60:                             ;   in Loop: Header=BB127_44 Depth=1
	s_mov_b64 s[2:3], -1
	s_mov_b64 s[0:1], 0
.LBB127_61:                             ;   in Loop: Header=BB127_44 Depth=1
	s_and_b64 vcc, exec, s[2:3]
	s_cbranch_vccz .LBB127_72
.LBB127_62:                             ;   in Loop: Header=BB127_44 Depth=1
	s_waitcnt vmcnt(0)
	v_mov_b32_e32 v6, 0
	s_and_saveexec_b64 s[0:1], s[60:61]
	s_cbranch_execz .LBB127_64
; %bb.63:                               ;   in Loop: Header=BB127_44 Depth=1
	global_load_dword v6, v[16:17], off
.LBB127_64:                             ;   in Loop: Header=BB127_44 Depth=1
	s_or_b64 exec, exec, s[0:1]
	s_and_saveexec_b64 s[0:1], s[60:61]
	s_cbranch_execz .LBB127_69
; %bb.65:                               ;   in Loop: Header=BB127_44 Depth=1
	global_load_ushort v7, v11, s[78:79]
	v_readlane_b32 s2, v52, 26
	v_readlane_b32 s3, v52, 27
	;; [unrolled: 1-line block ×3, first 2 shown]
	v_pk_mov_b32 v[2:3], s[2:3], s[2:3] op_sel:[0,1]
	v_readlane_b32 s15, v52, 29
	s_mov_b64 s[2:3], 0
	v_mov_b32_e32 v8, v14
	s_waitcnt vmcnt(0)
	v_readfirstlane_b32 s6, v7
	s_and_b32 s6, 0xffff, s6
	v_add_u32_e32 v5, s6, v0
	s_lshl_b32 s12, s6, 2
	s_mul_i32 s10, s15, s6
	s_mul_hi_u32 s11, s14, s6
	s_mul_i32 s13, s14, s6
	v_mad_u64_u32 v[2:3], s[6:7], s14, v5, v[2:3]
	v_mov_b32_e32 v4, v3
	v_mad_u64_u32 v[4:5], s[6:7], s15, v5, v[4:5]
	s_add_i32 s14, s11, s10
	v_mov_b32_e32 v3, v4
	v_pk_mov_b32 v[4:5], v[0:1], v[0:1] op_sel:[0,1]
	s_branch .LBB127_67
.LBB127_66:                             ;   in Loop: Header=BB127_67 Depth=2
	s_or_b64 exec, exec, s[10:11]
	s_and_b64 s[6:7], exec, vcc
	ds_write_b32 v8, v6
	v_mov_b32_e32 v6, s14
	v_add_co_u32_e32 v2, vcc, s13, v2
	s_or_b64 s[2:3], s[6:7], s[2:3]
	v_add_u32_e32 v8, s12, v8
	v_addc_co_u32_e32 v3, vcc, v3, v6, vcc
	s_waitcnt vmcnt(0)
	v_mov_b32_e32 v6, v9
	s_andn2_b64 exec, exec, s[2:3]
	s_cbranch_execz .LBB127_69
.LBB127_67:                             ;   Parent Loop BB127_44 Depth=1
                                        ; =>  This Inner Loop Header: Depth=2
	v_add_co_u32_sdwa v4, vcc, v4, v7 dst_sel:DWORD dst_unused:UNUSED_PAD src0_sel:DWORD src1_sel:WORD_0
	v_addc_co_u32_e32 v5, vcc, 0, v5, vcc
	v_cmp_gt_u64_e64 s[6:7], s[52:53], v[4:5]
	v_cmp_le_u64_e32 vcc, s[52:53], v[4:5]
	v_mov_b32_e32 v9, 0
	s_and_saveexec_b64 s[10:11], s[6:7]
	s_cbranch_execz .LBB127_66
; %bb.68:                               ;   in Loop: Header=BB127_67 Depth=2
	global_load_dword v9, v[2:3], off
	s_branch .LBB127_66
.LBB127_69:                             ;   in Loop: Header=BB127_44 Depth=1
	s_or_b64 exec, exec, s[0:1]
	s_waitcnt lgkmcnt(0)
	s_barrier
	s_mov_b64 s[0:1], exec
	v_readlane_b32 s2, v52, 10
	v_readlane_b32 s3, v52, 11
	s_and_b64 s[2:3], s[0:1], s[2:3]
	s_mov_b64 exec, s[2:3]
	s_cbranch_execz .LBB127_71
; %bb.70:                               ;   in Loop: Header=BB127_44 Depth=1
	v_pk_mov_b32 v[2:3], s[52:53], s[52:53] op_sel:[0,1]
	ds_write_b64 v11, v[2:3] offset:5120
.LBB127_71:                             ;   in Loop: Header=BB127_44 Depth=1
	s_or_b64 exec, exec, s[0:1]
	s_mov_b64 s[0:1], -1
	s_waitcnt lgkmcnt(0)
	s_barrier
                                        ; implicit-def: $sgpr2_sgpr3
.LBB127_72:                             ;   in Loop: Header=BB127_44 Depth=1
	s_and_b64 vcc, exec, s[0:1]
	s_cbranch_vccz .LBB127_74
; %bb.73:                               ;   in Loop: Header=BB127_44 Depth=1
	ds_read_b64 v[2:3], v11 offset:5120
	s_waitcnt lgkmcnt(0)
	v_readfirstlane_b32 s2, v2
.LBB127_74:                             ;   in Loop: Header=BB127_44 Depth=1
	s_cmp_lt_i32 s2, 1
	s_cbranch_scc0 .LBB127_89
; %bb.75:                               ;   in Loop: Header=BB127_44 Depth=1
	global_load_ushort v2, v11, s[78:79]
	s_mov_b32 s0, s77
	s_waitcnt vmcnt(0)
	v_readfirstlane_b32 s1, v2
	s_and_b32 s3, s1, 0xffff
	s_lshl_b32 s76, s3, 2
	s_mov_b32 s1, s53
	s_cmp_lg_u64 s[0:1], 0
	s_cbranch_scc0 .LBB127_109
; %bb.76:                               ;   in Loop: Header=BB127_44 Depth=1
	v_cvt_f32_u32_e32 v2, s76
	s_sub_u32 s0, 0, s76
	s_subb_u32 s1, 0, 0
	v_mac_f32_e32 v2, 0, v51
	v_rcp_f32_e32 v2, v2
	v_mul_f32_e32 v2, 0x5f7ffffc, v2
	v_mul_f32_e32 v3, 0x2f800000, v2
	v_trunc_f32_e32 v3, v3
	v_mac_f32_e32 v2, 0xcf800000, v3
	v_cvt_u32_f32_e32 v3, v3
	v_cvt_u32_f32_e32 v2, v2
	v_readfirstlane_b32 s6, v3
	v_readfirstlane_b32 s7, v2
	s_mul_i32 s10, s0, s6
	s_mul_hi_u32 s12, s0, s7
	s_mul_i32 s11, s1, s7
	s_add_i32 s10, s12, s10
	s_mul_i32 s13, s0, s7
	s_add_i32 s10, s10, s11
	s_mul_hi_u32 s12, s7, s13
	s_mul_hi_u32 s11, s7, s10
	s_mul_i32 s7, s7, s10
	s_add_u32 s7, s12, s7
	s_addc_u32 s11, 0, s11
	s_mul_hi_u32 s14, s6, s13
	s_mul_i32 s13, s6, s13
	s_add_u32 s7, s7, s13
	s_mul_hi_u32 s12, s6, s10
	s_addc_u32 s7, s11, s14
	s_addc_u32 s11, s12, 0
	s_mul_i32 s10, s6, s10
	s_add_u32 s7, s7, s10
	s_addc_u32 s10, 0, s11
	v_add_co_u32_e32 v2, vcc, s7, v2
	s_cmp_lg_u64 vcc, 0
	s_addc_u32 s6, s6, s10
	v_readfirstlane_b32 s10, v2
	s_mul_i32 s7, s0, s6
	s_mul_hi_u32 s11, s0, s10
	s_add_i32 s7, s11, s7
	s_mul_i32 s1, s1, s10
	s_add_i32 s7, s7, s1
	s_mul_i32 s0, s0, s10
	s_mul_hi_u32 s11, s6, s0
	s_mul_i32 s12, s6, s0
	s_mul_i32 s14, s10, s7
	s_mul_hi_u32 s0, s10, s0
	s_mul_hi_u32 s13, s10, s7
	s_add_u32 s0, s0, s14
	s_addc_u32 s10, 0, s13
	s_add_u32 s0, s0, s12
	s_mul_hi_u32 s1, s6, s7
	s_addc_u32 s0, s10, s11
	s_addc_u32 s1, s1, 0
	s_mul_i32 s7, s6, s7
	s_add_u32 s0, s0, s7
	s_addc_u32 s1, 0, s1
	v_add_co_u32_e32 v2, vcc, s0, v2
	s_cmp_lg_u64 vcc, 0
	s_addc_u32 s0, s6, s1
	v_readfirstlane_b32 s7, v2
	s_mul_i32 s6, s52, s0
	s_mul_hi_u32 s10, s52, s7
	s_mul_hi_u32 s1, s52, s0
	s_add_u32 s6, s10, s6
	s_addc_u32 s1, 0, s1
	s_mul_hi_u32 s11, s53, s7
	s_mul_i32 s7, s53, s7
	s_add_u32 s6, s6, s7
	s_mul_hi_u32 s10, s53, s0
	s_addc_u32 s1, s1, s11
	s_addc_u32 s6, s10, 0
	s_mul_i32 s0, s53, s0
	s_add_u32 s0, s1, s0
	s_addc_u32 s1, 0, s6
	s_mul_hi_u32 s6, s76, s0
	s_mul_i32 s0, s76, s0
	s_mul_i32 s1, s76, s1
	v_mov_b32_e32 v2, s0
	s_add_i32 s6, s6, s1
	v_sub_co_u32_e32 v2, vcc, s52, v2
	s_cmp_lg_u64 vcc, 0
	s_subb_u32 s0, s53, s6
	v_subrev_co_u32_e32 v3, vcc, s76, v2
	s_cmp_lg_u64 vcc, 0
	s_subb_u32 s1, s0, 0
	v_subrev_co_u32_e32 v4, vcc, s76, v3
	s_cmp_lg_u64 vcc, 0
	s_subb_u32 s6, s1, 0
	v_cmp_le_u32_e32 vcc, s76, v3
	s_cmp_eq_u32 s1, 0
	v_cndmask_b32_e64 v5, 0, -1, vcc
	s_cselect_b64 vcc, -1, 0
	v_cndmask_b32_e32 v5, -1, v5, vcc
	v_mov_b32_e32 v6, s1
	v_mov_b32_e32 v7, s6
	v_cmp_ne_u32_e32 vcc, 0, v5
	v_cndmask_b32_e32 v5, v6, v7, vcc
	v_cndmask_b32_e32 v4, v3, v4, vcc
	v_cmp_le_u32_e32 vcc, s76, v2
	s_cmp_eq_u32 s0, 0
	v_cndmask_b32_e64 v3, 0, -1, vcc
	s_cselect_b64 vcc, -1, 0
	v_cndmask_b32_e32 v3, -1, v3, vcc
	v_mov_b32_e32 v6, s0
	v_cmp_ne_u32_e32 vcc, 0, v3
	v_cndmask_b32_e32 v3, v6, v5, vcc
	v_cndmask_b32_e32 v2, v2, v4, vcc
	s_cbranch_execnz .LBB127_78
.LBB127_77:                             ;   in Loop: Header=BB127_44 Depth=1
	v_cvt_f32_u32_e32 v2, s76
	s_sub_i32 s0, 0, s76
	v_rcp_iflag_f32_e32 v2, v2
	v_mul_f32_e32 v2, 0x4f7ffffe, v2
	v_cvt_u32_f32_e32 v2, v2
	v_mul_lo_u32 v3, s0, v2
	v_mul_hi_u32 v3, v2, v3
	v_add_u32_e32 v2, v2, v3
	v_mul_hi_u32 v2, s52, v2
	v_mul_lo_u32 v2, v2, s76
	v_sub_u32_e32 v2, s52, v2
	v_subrev_u32_e32 v3, s76, v2
	v_cmp_le_u32_e32 vcc, s76, v2
	v_cndmask_b32_e32 v2, v2, v3, vcc
	v_subrev_u32_e32 v3, s76, v2
	v_cmp_le_u32_e32 vcc, s76, v2
	v_cndmask_b32_e32 v10, v2, v3, vcc
	v_pk_mov_b32 v[2:3], v[10:11], v[10:11] op_sel:[0,1]
.LBB127_78:                             ;   in Loop: Header=BB127_44 Depth=1
	v_mov_b32_e32 v4, s53
	v_sub_co_u32_e32 v32, vcc, s52, v2
	v_subb_co_u32_e32 v33, vcc, v4, v3, vcc
	v_pk_mov_b32 v[2:3], 0, 0
	v_cmp_gt_u64_e32 vcc, v[32:33], v[14:15]
	s_mov_b64 s[0:1], 0
	v_pk_mov_b32 v[4:5], v[2:3], v[2:3] op_sel:[0,1]
	v_pk_mov_b32 v[6:7], v[2:3], v[2:3] op_sel:[0,1]
	;; [unrolled: 1-line block ×3, first 2 shown]
	s_and_saveexec_b64 s[82:83], vcc
	s_cbranch_execz .LBB127_82
; %bb.79:                               ;   in Loop: Header=BB127_44 Depth=1
	v_readlane_b32 s10, v52, 30
	v_readlane_b32 s11, v52, 31
	s_mul_i32 s6, s11, s3
	s_mul_hi_u32 s7, s10, s3
	s_mov_b32 s87, s92
	s_mov_b64 s[92:93], s[30:31]
	s_mov_b64 s[70:71], s[36:37]
	;; [unrolled: 1-line block ×4, first 2 shown]
	s_mov_b32 s91, s69
	s_mov_b64 s[88:89], s[64:65]
	s_mov_b64 s[64:65], s[60:61]
	s_mov_b32 s90, s94
	s_and_b32 s81, s94, 0xfe
	s_add_i32 s60, s7, s6
	s_mul_i32 s61, s10, s3
	v_pk_mov_b32 v[34:35], v[26:27], v[26:27] op_sel:[0,1]
	v_pk_mov_b32 v[36:37], v[24:25], v[24:25] op_sel:[0,1]
	v_pk_mov_b32 v[38:39], v[22:23], v[22:23] op_sel:[0,1]
	v_pk_mov_b32 v[40:41], v[20:21], v[20:21] op_sel:[0,1]
	s_mov_b64 s[26:27], 0
	s_mov_b64 s[94:95], 0
	;; [unrolled: 1-line block ×4, first 2 shown]
	v_pk_mov_b32 v[42:43], v[14:15], v[14:15] op_sel:[0,1]
.LBB127_80:                             ;   Parent Loop BB127_44 Depth=1
                                        ; =>  This Inner Loop Header: Depth=2
	v_mov_b32_e32 v7, s75
	v_add_co_u32_e32 v2, vcc, s74, v36
	v_add_co_u32_e64 v8, s[18:19], s74, v34
	v_add_co_u32_e64 v4, s[10:11], s74, v38
	;; [unrolled: 1-line block ×3, first 2 shown]
	v_addc_co_u32_e64 v9, s[18:19], v35, v7, s[18:19]
	v_addc_co_u32_e32 v3, vcc, v37, v7, vcc
	v_addc_co_u32_e64 v5, vcc, v39, v7, s[10:11]
	v_addc_co_u32_e64 v7, vcc, v41, v7, s[12:13]
	global_load_dword v8, v[8:9], off
	s_nop 0
	global_load_dword v2, v[2:3], off
	s_nop 0
	global_load_dword v3, v[4:5], off
	s_nop 0
	global_load_dword v4, v[6:7], off
	v_mov_b32_e32 v10, s60
	v_add_co_u32_e64 v40, s[6:7], s61, v40
	v_addc_co_u32_e64 v41, vcc, v41, v10, s[6:7]
	v_add_co_u32_e64 v38, s[14:15], s61, v38
	v_addc_co_u32_e64 v39, vcc, v39, v10, s[14:15]
	;; [unrolled: 2-line block ×4, first 2 shown]
	v_add_co_u32_e64 v42, s[22:23], s76, v42
	v_addc_co_u32_e64 v43, s[22:23], 0, v43, s[22:23]
	v_cmp_ge_u64_e32 vcc, v[42:43], v[32:33]
	s_waitcnt vmcnt(3)
	v_cmp_lt_i32_e64 s[6:7], -1, v8
	v_cndmask_b32_e64 v5, -1, v50, s[6:7]
	s_waitcnt vmcnt(2)
	v_cmp_lt_i32_e64 s[6:7], -1, v2
	v_cndmask_b32_e64 v6, -1, v50, s[6:7]
	;; [unrolled: 3-line block ×4, first 2 shown]
	v_xor_b32_e32 v6, v6, v2
	v_cmp_o_f32_e64 s[6:7], v2, v2
	v_xor_b32_e32 v2, v7, v3
	v_cmp_o_f32_e64 s[10:11], v3, v3
	;; [unrolled: 2-line block ×4, first 2 shown]
	v_cndmask_b32_e64 v4, -1, v4, s[14:15]
	v_cndmask_b32_e64 v5, -1, v6, s[6:7]
	v_and_b32_e32 v6, s5, v4
	v_bfe_u32 v4, v4, s81, 2
	v_cndmask_b32_e64 v2, -1, v2, s[10:11]
	v_and_b32_e32 v7, s5, v5
	v_bfe_u32 v5, v5, s81, 2
	v_cmp_eq_u32_e64 s[16:17], s80, v6
	v_cmp_eq_u32_e64 s[6:7], 0, v4
	v_cndmask_b32_e64 v3, -1, v3, s[12:13]
	v_and_b32_e32 v8, s5, v2
	v_bfe_u32 v2, v2, s81, 2
	v_cmp_eq_u32_e64 s[14:15], s80, v7
	v_cmp_eq_u32_e64 s[28:29], 0, v5
	s_and_b64 s[6:7], s[16:17], s[6:7]
	v_and_b32_e32 v9, s5, v3
	v_bfe_u32 v3, v3, s81, 2
	v_cmp_eq_u32_e64 s[12:13], s80, v8
	v_cmp_eq_u32_e64 s[30:31], 0, v2
	;; [unrolled: 1-line block ×5, first 2 shown]
	v_cndmask_b32_e64 v2, 0, 1, s[6:7]
	s_and_b64 s[6:7], s[14:15], s[28:29]
	v_cmp_eq_u32_e64 s[10:11], s80, v9
	v_cmp_eq_u32_e64 s[34:35], 0, v3
	;; [unrolled: 1-line block ×5, first 2 shown]
	v_cndmask_b32_e64 v3, 0, 1, s[6:7]
	s_and_b64 s[6:7], s[12:13], s[30:31]
	v_cmp_eq_u32_e64 s[36:37], 1, v4
	v_cmp_eq_u32_e64 s[44:45], 2, v4
	;; [unrolled: 1-line block ×3, first 2 shown]
	v_cndmask_b32_e64 v4, 0, 1, s[6:7]
	s_and_b64 s[6:7], s[10:11], s[34:35]
	v_cmp_eq_u32_e64 s[38:39], 1, v5
	v_cmp_eq_u32_e64 s[46:47], 2, v5
	;; [unrolled: 1-line block ×3, first 2 shown]
	v_cndmask_b32_e64 v5, 0, 1, s[6:7]
	v_cmp_ne_u32_e64 s[6:7], 0, v2
	v_cmp_ne_u32_e64 s[28:29], 0, v3
	v_cmp_ne_u32_e64 s[30:31], 0, v4
	v_cmp_ne_u32_e64 s[34:35], 0, v5
	s_bcnt1_i32_b64 s6, s[6:7]
	s_bcnt1_i32_b64 s7, s[28:29]
	s_bcnt1_i32_b64 s28, s[30:31]
	s_bcnt1_i32_b64 s29, s[34:35]
	s_add_u32 s6, s6, s78
	s_addc_u32 s30, 0, s79
	s_add_u32 s6, s6, s7
	s_addc_u32 s7, s30, 0
	s_add_u32 s6, s6, s28
	s_addc_u32 s7, s7, 0
	s_add_u32 s78, s6, s29
	s_addc_u32 s79, s7, 0
	s_and_b64 s[6:7], s[16:17], s[36:37]
	v_cndmask_b32_e64 v4, 0, 1, s[6:7]
	s_and_b64 s[6:7], s[14:15], s[38:39]
	v_cndmask_b32_e64 v5, 0, 1, s[6:7]
	s_and_b64 s[6:7], s[12:13], s[40:41]
	v_cndmask_b32_e64 v6, 0, 1, s[6:7]
	s_and_b64 s[6:7], s[10:11], s[42:43]
	v_cndmask_b32_e64 v7, 0, 1, s[6:7]
	v_cmp_ne_u32_e64 s[6:7], 0, v4
	v_cmp_ne_u32_e64 s[28:29], 0, v5
	v_cmp_ne_u32_e64 s[30:31], 0, v6
	v_cmp_ne_u32_e64 s[34:35], 0, v7
	s_bcnt1_i32_b64 s6, s[6:7]
	s_bcnt1_i32_b64 s7, s[28:29]
	s_bcnt1_i32_b64 s28, s[30:31]
	s_bcnt1_i32_b64 s29, s[34:35]
	s_add_u32 s6, s6, s68
	s_addc_u32 s30, 0, s69
	s_add_u32 s6, s6, s7
	s_addc_u32 s7, s30, 0
	s_add_u32 s6, s6, s28
	s_addc_u32 s7, s7, 0
	s_add_u32 s68, s6, s29
	s_addc_u32 s69, s7, 0
	s_and_b64 s[6:7], s[16:17], s[44:45]
	v_cndmask_b32_e64 v6, 0, 1, s[6:7]
	s_and_b64 s[6:7], s[14:15], s[46:47]
	v_cndmask_b32_e64 v7, 0, 1, s[6:7]
	s_and_b64 s[6:7], s[12:13], s[48:49]
	v_cndmask_b32_e64 v8, 0, 1, s[6:7]
	s_and_b64 s[6:7], s[10:11], s[50:51]
	;; [unrolled: 24-line block ×3, first 2 shown]
	v_cndmask_b32_e64 v29, 0, 1, s[6:7]
	v_cmp_ne_u32_e64 s[6:7], 0, v8
	v_cmp_ne_u32_e64 s[10:11], 0, v9
	;; [unrolled: 1-line block ×4, first 2 shown]
	s_bcnt1_i32_b64 s6, s[6:7]
	s_bcnt1_i32_b64 s7, s[10:11]
	;; [unrolled: 1-line block ×4, first 2 shown]
	s_add_u32 s6, s6, s26
	s_addc_u32 s12, 0, s27
	s_add_u32 s6, s6, s7
	s_addc_u32 s7, s12, 0
	;; [unrolled: 2-line block ×4, first 2 shown]
	v_pk_mov_b32 v[2:3], s[78:79], s[78:79] op_sel:[0,1]
	v_pk_mov_b32 v[4:5], s[68:69], s[68:69] op_sel:[0,1]
	;; [unrolled: 1-line block ×3, first 2 shown]
	s_or_b64 s[0:1], vcc, s[0:1]
	v_pk_mov_b32 v[8:9], s[26:27], s[26:27] op_sel:[0,1]
	s_andn2_b64 exec, exec, s[0:1]
	s_cbranch_execnz .LBB127_80
; %bb.81:                               ;   in Loop: Header=BB127_44 Depth=1
	s_or_b64 exec, exec, s[0:1]
	v_readlane_b32 s46, v52, 32
	v_readlane_b32 s48, v52, 34
	v_readlane_b32 s50, v52, 36
	v_readlane_b32 s78, v52, 38
	s_mov_b64 s[60:61], s[64:65]
	v_readlane_b32 s47, v52, 33
	v_readlane_b32 s49, v52, 35
	;; [unrolled: 1-line block ×3, first 2 shown]
	s_mov_b64 s[64:65], s[88:89]
	s_mov_b32 s69, s91
	v_readlane_b32 s79, v52, 39
	s_mov_b32 s94, s90
	s_mov_b64 s[40:41], s[8:9]
	s_mov_b64 s[34:35], s[62:63]
	;; [unrolled: 1-line block ×4, first 2 shown]
	v_readlane_b32 s90, v52, 40
	v_readlane_b32 s91, v52, 41
	s_mov_b32 s92, s87
	v_readlane_b32 s87, v52, 42
.LBB127_82:                             ;   in Loop: Header=BB127_44 Depth=1
	s_or_b64 exec, exec, s[82:83]
	v_add_co_u32_e32 v32, vcc, v32, v0
	v_addc_co_u32_e32 v33, vcc, 0, v33, vcc
	v_cmp_gt_u64_e32 vcc, s[52:53], v[32:33]
	v_mov_b32_e32 v10, 0
	s_and_saveexec_b64 s[0:1], vcc
	s_cbranch_execz .LBB127_84
; %bb.83:                               ;   in Loop: Header=BB127_44 Depth=1
	v_mul_lo_u32 v10, v33, s56
	v_mul_lo_u32 v29, v32, s57
	v_mad_u64_u32 v[34:35], s[6:7], v32, s56, 0
	v_add3_u32 v35, v35, v29, v10
	v_lshlrev_b64 v[34:35], 2, v[34:35]
	v_mov_b32_e32 v10, s87
	v_add_co_u32_e64 v34, s[6:7], s90, v34
	v_addc_co_u32_e64 v35, s[6:7], v10, v35, s[6:7]
	global_load_dword v10, v[34:35], off
.LBB127_84:                             ;   in Loop: Header=BB127_44 Depth=1
	s_or_b64 exec, exec, s[0:1]
	s_and_saveexec_b64 s[0:1], vcc
	s_cbranch_execz .LBB127_91
; %bb.85:                               ;   in Loop: Header=BB127_44 Depth=1
	s_and_b32 s14, s94, 0xfe
	s_mov_b64 s[10:11], 0
	s_branch .LBB127_87
.LBB127_86:                             ;   in Loop: Header=BB127_87 Depth=2
	s_or_b64 exec, exec, s[12:13]
	s_and_b64 s[6:7], exec, vcc
	s_waitcnt vmcnt(0)
	v_cmp_lt_i32_e32 vcc, -1, v10
	v_cndmask_b32_e32 v30, -1, v50, vcc
	v_xor_b32_e32 v30, v30, v10
	v_cmp_o_f32_e32 vcc, v10, v10
	v_cndmask_b32_e32 v10, -1, v30, vcc
	v_and_b32_e32 v30, s5, v10
	v_bfe_u32 v10, v10, s14, 2
	s_or_b64 s[10:11], s[6:7], s[10:11]
	v_cmp_eq_u32_e32 vcc, s80, v30
	v_cmp_eq_u32_e64 s[6:7], 0, v10
	s_and_b64 s[6:7], vcc, s[6:7]
	v_cndmask_b32_e64 v30, 0, 1, s[6:7]
	v_cmp_ne_u32_e64 s[6:7], 0, v30
	s_bcnt1_i32_b64 s6, s[6:7]
	v_add_co_u32_e64 v2, s[6:7], s6, v2
	v_addc_co_u32_e64 v3, s[6:7], 0, v3, s[6:7]
	v_cmp_eq_u32_e64 s[6:7], 1, v10
	s_and_b64 s[6:7], vcc, s[6:7]
	v_cndmask_b32_e64 v30, 0, 1, s[6:7]
	v_cmp_ne_u32_e64 s[6:7], 0, v30
	s_bcnt1_i32_b64 s6, s[6:7]
	v_add_co_u32_e64 v4, s[6:7], s6, v4
	v_addc_co_u32_e64 v5, s[6:7], 0, v5, s[6:7]
	;; [unrolled: 7-line block ×3, first 2 shown]
	v_cmp_eq_u32_e64 s[6:7], 3, v10
	s_and_b64 s[6:7], vcc, s[6:7]
	v_cndmask_b32_e64 v10, 0, 1, s[6:7]
	v_cmp_ne_u32_e32 vcc, 0, v10
	s_bcnt1_i32_b64 s6, vcc
	v_add_co_u32_e32 v8, vcc, s6, v8
	v_addc_co_u32_e32 v9, vcc, 0, v9, vcc
	v_mov_b32_e32 v10, v29
	s_andn2_b64 exec, exec, s[10:11]
	s_cbranch_execz .LBB127_90
.LBB127_87:                             ;   Parent Loop BB127_44 Depth=1
                                        ; =>  This Inner Loop Header: Depth=2
	v_mov_b32_e32 v29, s77
	v_add_co_u32_e32 v32, vcc, s3, v32
	v_addc_co_u32_e32 v33, vcc, v33, v29, vcc
	v_cmp_gt_u64_e64 s[6:7], s[52:53], v[32:33]
	v_cmp_le_u64_e32 vcc, s[52:53], v[32:33]
	v_mov_b32_e32 v29, 0
	s_and_saveexec_b64 s[12:13], s[6:7]
	s_cbranch_execz .LBB127_86
; %bb.88:                               ;   in Loop: Header=BB127_87 Depth=2
	v_mul_lo_u32 v29, v33, s56
	v_mul_lo_u32 v30, v32, s57
	v_mad_u64_u32 v[34:35], s[6:7], v32, s56, 0
	v_add3_u32 v35, v35, v30, v29
	v_lshlrev_b64 v[34:35], 2, v[34:35]
	v_mov_b32_e32 v29, s87
	v_add_co_u32_e64 v34, s[6:7], s90, v34
	v_addc_co_u32_e64 v35, s[6:7], v29, v35, s[6:7]
	global_load_dword v29, v[34:35], off
	s_branch .LBB127_86
.LBB127_89:                             ;   in Loop: Header=BB127_44 Depth=1
                                        ; implicit-def: $vgpr8_vgpr9
                                        ; implicit-def: $vgpr4_vgpr5
	s_cbranch_execnz .LBB127_92
	s_branch .LBB127_101
.LBB127_90:                             ;   in Loop: Header=BB127_44 Depth=1
	s_or_b64 exec, exec, s[10:11]
.LBB127_91:                             ;   in Loop: Header=BB127_44 Depth=1
	s_or_b64 exec, exec, s[0:1]
	s_branch .LBB127_101
.LBB127_92:                             ;   in Loop: Header=BB127_44 Depth=1
	global_load_ushort v8, v11, s[78:79]
	s_waitcnt vmcnt(0)
	v_readfirstlane_b32 s0, v8
	s_and_b32 s0, 0xffff, s0
	s_lshl_b32 s81, s0, 2
	v_cvt_f32_u32_e32 v2, s81
	s_sub_i32 s3, 0, s81
	s_mov_b64 s[0:1], 0
	v_and_b32_e32 v29, 0xffff, v8
	v_rcp_iflag_f32_e32 v6, v2
	v_pk_mov_b32 v[2:3], 0, 0
	v_pk_mov_b32 v[4:5], v[2:3], v[2:3] op_sel:[0,1]
	v_mul_f32_e32 v6, 0x4f7ffffe, v6
	v_cvt_u32_f32_e32 v9, v6
	v_pk_mov_b32 v[6:7], v[2:3], v[2:3] op_sel:[0,1]
	v_readfirstlane_b32 s6, v9
	s_mul_i32 s3, s3, s6
	s_mul_hi_u32 s3, s6, s3
	s_add_i32 s6, s6, s3
	s_mul_hi_u32 s3, s2, s6
	s_mul_i32 s3, s3, s81
	s_sub_i32 s3, s2, s3
	s_sub_i32 s6, s3, s81
	s_cmp_ge_u32 s3, s81
	s_cselect_b32 s3, s6, s3
	s_sub_i32 s6, s3, s81
	s_cmp_ge_u32 s3, s81
	s_cselect_b32 s3, s6, s3
	s_sub_i32 s76, s2, s3
	v_cmp_gt_u32_e32 vcc, s76, v14
	v_pk_mov_b32 v[8:9], v[2:3], v[2:3] op_sel:[0,1]
	s_and_saveexec_b64 s[26:27], vcc
	s_cbranch_execz .LBB127_96
; %bb.93:                               ;   in Loop: Header=BB127_44 Depth=1
	s_mov_b64 s[90:91], s[30:31]
	s_mov_b64 s[70:71], s[36:37]
	;; [unrolled: 1-line block ×4, first 2 shown]
	s_mov_b32 s89, s69
	s_mov_b32 s88, s94
	s_and_b32 s3, s94, 0xfe
	v_lshlrev_b32_e32 v10, 4, v29
	v_mov_b32_e32 v30, v48
	s_mov_b64 s[68:69], 0
	s_mov_b64 s[78:79], 0
	;; [unrolled: 1-line block ×4, first 2 shown]
	v_pk_mov_b32 v[32:33], v[14:15], v[14:15] op_sel:[0,1]
.LBB127_94:                             ;   Parent Loop BB127_44 Depth=1
                                        ; =>  This Inner Loop Header: Depth=2
	ds_read_b128 v[2:5], v30
	v_add_co_u32_e32 v32, vcc, s81, v32
	v_addc_co_u32_e32 v33, vcc, 0, v33, vcc
	s_waitcnt lgkmcnt(0)
	v_cmp_lt_i32_e64 s[6:7], -1, v2
	v_cndmask_b32_e64 v6, -1, v50, s[6:7]
	v_cmp_lt_i32_e64 s[6:7], -1, v3
	v_cndmask_b32_e64 v7, -1, v50, s[6:7]
	;; [unrolled: 2-line block ×4, first 2 shown]
	v_xor_b32_e32 v7, v7, v3
	v_cmp_o_f32_e64 s[6:7], v3, v3
	v_xor_b32_e32 v3, v8, v4
	v_cmp_o_f32_e64 s[10:11], v4, v4
	;; [unrolled: 2-line block ×4, first 2 shown]
	v_cndmask_b32_e64 v2, -1, v5, s[14:15]
	v_cndmask_b32_e64 v5, -1, v7, s[6:7]
	v_and_b32_e32 v6, s5, v2
	v_bfe_u32 v2, v2, s3, 2
	v_cndmask_b32_e64 v3, -1, v3, s[10:11]
	v_and_b32_e32 v7, s5, v5
	v_bfe_u32 v5, v5, s3, 2
	v_cmp_eq_u32_e64 s[16:17], s80, v6
	v_cmp_eq_u32_e64 s[6:7], 0, v2
	v_cndmask_b32_e64 v4, -1, v4, s[12:13]
	v_and_b32_e32 v8, s5, v3
	v_bfe_u32 v3, v3, s3, 2
	v_cmp_eq_u32_e64 s[14:15], s80, v7
	v_cmp_eq_u32_e64 s[28:29], 0, v5
	s_and_b64 s[6:7], s[16:17], s[6:7]
	v_and_b32_e32 v9, s5, v4
	v_bfe_u32 v4, v4, s3, 2
	v_cmp_eq_u32_e64 s[12:13], s80, v8
	v_cmp_eq_u32_e64 s[30:31], 0, v3
	;; [unrolled: 1-line block ×5, first 2 shown]
	v_cndmask_b32_e64 v2, 0, 1, s[6:7]
	s_and_b64 s[6:7], s[14:15], s[28:29]
	v_cmp_eq_u32_e64 s[10:11], s80, v9
	v_cmp_eq_u32_e64 s[34:35], 0, v4
	;; [unrolled: 1-line block ×5, first 2 shown]
	v_cndmask_b32_e64 v3, 0, 1, s[6:7]
	s_and_b64 s[6:7], s[12:13], s[30:31]
	v_cmp_eq_u32_e64 s[42:43], 1, v4
	v_cmp_eq_u32_e64 s[50:51], 2, v4
	;; [unrolled: 1-line block ×3, first 2 shown]
	v_cndmask_b32_e64 v4, 0, 1, s[6:7]
	s_and_b64 s[6:7], s[10:11], s[34:35]
	v_cmp_eq_u32_e64 s[38:39], 1, v5
	v_cmp_eq_u32_e64 s[46:47], 2, v5
	;; [unrolled: 1-line block ×3, first 2 shown]
	v_cndmask_b32_e64 v5, 0, 1, s[6:7]
	v_cmp_ne_u32_e64 s[6:7], 0, v2
	v_cmp_ne_u32_e64 s[28:29], 0, v3
	v_cmp_ne_u32_e64 s[30:31], 0, v4
	v_cmp_ne_u32_e64 s[34:35], 0, v5
	s_bcnt1_i32_b64 s6, s[6:7]
	s_bcnt1_i32_b64 s7, s[28:29]
	s_bcnt1_i32_b64 s28, s[30:31]
	s_bcnt1_i32_b64 s29, s[34:35]
	s_add_u32 s6, s6, s94
	s_addc_u32 s30, 0, s95
	s_add_u32 s6, s6, s7
	s_addc_u32 s7, s30, 0
	s_add_u32 s6, s6, s28
	s_addc_u32 s7, s7, 0
	s_add_u32 s94, s6, s29
	s_addc_u32 s95, s7, 0
	s_and_b64 s[6:7], s[16:17], s[36:37]
	v_cndmask_b32_e64 v4, 0, 1, s[6:7]
	s_and_b64 s[6:7], s[14:15], s[38:39]
	v_cndmask_b32_e64 v5, 0, 1, s[6:7]
	s_and_b64 s[6:7], s[12:13], s[40:41]
	v_cndmask_b32_e64 v6, 0, 1, s[6:7]
	s_and_b64 s[6:7], s[10:11], s[42:43]
	v_cndmask_b32_e64 v7, 0, 1, s[6:7]
	v_cmp_ne_u32_e64 s[6:7], 0, v4
	v_cmp_ne_u32_e64 s[28:29], 0, v5
	v_cmp_ne_u32_e64 s[30:31], 0, v6
	v_cmp_ne_u32_e64 s[34:35], 0, v7
	s_bcnt1_i32_b64 s6, s[6:7]
	s_bcnt1_i32_b64 s7, s[28:29]
	s_bcnt1_i32_b64 s28, s[30:31]
	s_bcnt1_i32_b64 s29, s[34:35]
	s_add_u32 s6, s6, s82
	s_addc_u32 s30, 0, s83
	s_add_u32 s6, s6, s7
	s_addc_u32 s7, s30, 0
	s_add_u32 s6, s6, s28
	s_addc_u32 s7, s7, 0
	s_add_u32 s82, s6, s29
	s_addc_u32 s83, s7, 0
	s_and_b64 s[6:7], s[16:17], s[44:45]
	v_cndmask_b32_e64 v6, 0, 1, s[6:7]
	s_and_b64 s[6:7], s[14:15], s[46:47]
	v_cndmask_b32_e64 v7, 0, 1, s[6:7]
	s_and_b64 s[6:7], s[12:13], s[48:49]
	v_cndmask_b32_e64 v8, 0, 1, s[6:7]
	s_and_b64 s[6:7], s[10:11], s[50:51]
	;; [unrolled: 24-line block ×3, first 2 shown]
	v_cndmask_b32_e64 v35, 0, 1, s[6:7]
	v_cmp_ne_u32_e64 s[6:7], 0, v8
	v_cmp_ne_u32_e64 s[10:11], 0, v9
	v_cmp_ne_u32_e64 s[12:13], 0, v34
	v_cmp_ne_u32_e64 s[14:15], 0, v35
	s_bcnt1_i32_b64 s6, s[6:7]
	s_bcnt1_i32_b64 s7, s[10:11]
	;; [unrolled: 1-line block ×4, first 2 shown]
	s_add_u32 s6, s6, s68
	s_addc_u32 s12, 0, s69
	s_add_u32 s6, s6, s7
	s_addc_u32 s7, s12, 0
	;; [unrolled: 2-line block ×3, first 2 shown]
	s_add_u32 s68, s6, s11
	v_cmp_le_u64_e32 vcc, s[76:77], v[32:33]
	s_addc_u32 s69, s7, 0
	v_add_u32_e32 v30, v30, v10
	v_pk_mov_b32 v[2:3], s[94:95], s[94:95] op_sel:[0,1]
	v_pk_mov_b32 v[4:5], s[82:83], s[82:83] op_sel:[0,1]
	;; [unrolled: 1-line block ×3, first 2 shown]
	s_or_b64 s[0:1], vcc, s[0:1]
	v_pk_mov_b32 v[8:9], s[68:69], s[68:69] op_sel:[0,1]
	s_andn2_b64 exec, exec, s[0:1]
	s_cbranch_execnz .LBB127_94
; %bb.95:                               ;   in Loop: Header=BB127_44 Depth=1
	s_or_b64 exec, exec, s[0:1]
	v_readlane_b32 s46, v52, 32
	v_readlane_b32 s48, v52, 34
	;; [unrolled: 1-line block ×7, first 2 shown]
	s_mov_b32 s69, s89
	v_readlane_b32 s79, v52, 39
	s_mov_b32 s94, s88
	s_mov_b64 s[40:41], s[8:9]
	s_mov_b64 s[34:35], s[62:63]
	;; [unrolled: 1-line block ×4, first 2 shown]
	v_readlane_b32 s90, v52, 40
	v_readlane_b32 s91, v52, 41
	;; [unrolled: 1-line block ×3, first 2 shown]
.LBB127_96:                             ;   in Loop: Header=BB127_44 Depth=1
	s_or_b64 exec, exec, s[26:27]
	v_add_u32_e32 v10, s76, v0
	v_cmp_gt_u32_e32 vcc, s2, v10
	s_and_saveexec_b64 s[0:1], vcc
	s_cbranch_execz .LBB127_100
; %bb.97:                               ;   in Loop: Header=BB127_44 Depth=1
	s_and_b32 s76, s2, 0x7fffffff
	s_and_b32 s18, s94, 0xfe
	v_lshlrev_b32_e32 v30, 2, v10
	s_mov_b64 s[2:3], 0
	v_pk_mov_b32 v[32:33], v[10:11], v[10:11] op_sel:[0,1]
.LBB127_98:                             ;   Parent Loop BB127_44 Depth=1
                                        ; =>  This Inner Loop Header: Depth=2
	ds_read_b32 v10, v30
	v_add_co_u32_e32 v32, vcc, v32, v29
	v_addc_co_u32_e32 v33, vcc, 0, v33, vcc
	s_waitcnt lgkmcnt(0)
	v_cmp_lt_i32_e64 s[6:7], -1, v10
	v_cndmask_b32_e64 v34, -1, v50, s[6:7]
	v_xor_b32_e32 v34, v34, v10
	v_cmp_o_f32_e64 s[6:7], v10, v10
	v_cndmask_b32_e64 v10, -1, v34, s[6:7]
	v_and_b32_e32 v34, s5, v10
	v_bfe_u32 v10, v10, s18, 2
	v_cmp_eq_u32_e64 s[6:7], s80, v34
	v_cmp_eq_u32_e64 s[10:11], 0, v10
	;; [unrolled: 1-line block ×3, first 2 shown]
	s_and_b64 s[10:11], s[6:7], s[10:11]
	v_cmp_eq_u32_e64 s[14:15], 2, v10
	v_cmp_eq_u32_e64 s[16:17], 3, v10
	v_cndmask_b32_e64 v10, 0, 1, s[10:11]
	s_and_b64 s[10:11], s[6:7], s[12:13]
	v_cndmask_b32_e64 v34, 0, 1, s[10:11]
	s_and_b64 s[10:11], s[6:7], s[14:15]
	s_and_b64 s[6:7], s[6:7], s[16:17]
	v_cndmask_b32_e64 v35, 0, 1, s[10:11]
	v_cndmask_b32_e64 v36, 0, 1, s[6:7]
	v_cmp_ne_u32_e64 s[6:7], 0, v10
	v_cmp_ne_u32_e64 s[10:11], 0, v34
	;; [unrolled: 1-line block ×4, first 2 shown]
	v_cmp_le_u64_e32 vcc, s[76:77], v[32:33]
	s_bcnt1_i32_b64 s6, s[6:7]
	s_bcnt1_i32_b64 s7, s[10:11]
	;; [unrolled: 1-line block ×4, first 2 shown]
	s_or_b64 s[2:3], vcc, s[2:3]
	v_add_co_u32_e32 v2, vcc, s6, v2
	v_addc_co_u32_e32 v3, vcc, 0, v3, vcc
	v_add_co_u32_e32 v4, vcc, s7, v4
	v_addc_co_u32_e32 v5, vcc, 0, v5, vcc
	;; [unrolled: 2-line block ×3, first 2 shown]
	v_add_co_u32_e32 v8, vcc, s11, v8
	v_add_u32_e32 v30, s81, v30
	v_addc_co_u32_e32 v9, vcc, 0, v9, vcc
	s_andn2_b64 exec, exec, s[2:3]
	s_cbranch_execnz .LBB127_98
; %bb.99:                               ;   in Loop: Header=BB127_44 Depth=1
	s_or_b64 exec, exec, s[2:3]
.LBB127_100:                            ;   in Loop: Header=BB127_44 Depth=1
	s_or_b64 exec, exec, s[0:1]
.LBB127_101:                            ;   in Loop: Header=BB127_44 Depth=1
	s_lshl_b32 s2, s92, 6
	s_and_saveexec_b64 s[0:1], s[48:49]
	s_cbranch_execz .LBB127_103
; %bb.102:                              ;   in Loop: Header=BB127_44 Depth=1
	s_waitcnt vmcnt(0)
	v_or_b32_e32 v10, s2, v46
	v_lshlrev_b32_e32 v10, 3, v10
	ds_write_b128 v10, v[2:5] offset:3072
	ds_write_b128 v10, v[6:9] offset:3088
.LBB127_103:                            ;   in Loop: Header=BB127_44 Depth=1
	s_or_b64 exec, exec, s[0:1]
	s_waitcnt lgkmcnt(0)
	s_barrier
	s_and_saveexec_b64 s[0:1], s[50:51]
	s_cbranch_execz .LBB127_115
; %bb.104:                              ;   in Loop: Header=BB127_44 Depth=1
	v_readlane_b32 s6, v52, 16
	v_readlane_b32 s7, v52, 17
	s_andn2_b64 vcc, exec, s[6:7]
	v_pk_mov_b32 v[2:3], 0, 0
	s_cbranch_vccnz .LBB127_114
; %bb.105:                              ;   in Loop: Header=BB127_44 Depth=1
	v_readlane_b32 s6, v52, 21
	v_readlane_b32 s7, v52, 22
	s_andn2_b64 vcc, exec, s[6:7]
	s_cbranch_vccnz .LBB127_110
; %bb.106:                              ;   in Loop: Header=BB127_44 Depth=1
	v_lshl_add_u32 v4, s92, 9, v49
	s_mov_b32 s3, 0
	v_pk_mov_b32 v[2:3], 0, 0
.LBB127_107:                            ;   Parent Loop BB127_44 Depth=1
                                        ; =>  This Inner Loop Header: Depth=2
	s_waitcnt vmcnt(0)
	ds_read2_b64 v[6:9], v4 offset1:4
	ds_read2_b64 v[32:35], v4 offset0:8 offset1:12
	ds_read2_b64 v[36:39], v4 offset0:16 offset1:20
	;; [unrolled: 1-line block ×3, first 2 shown]
	s_add_i32 s3, s3, 8
	s_waitcnt lgkmcnt(3)
	v_add_co_u32_e32 v2, vcc, v6, v2
	v_addc_co_u32_e32 v3, vcc, v7, v3, vcc
	v_add_co_u32_e32 v2, vcc, v8, v2
	v_addc_co_u32_e32 v3, vcc, v9, v3, vcc
	s_waitcnt lgkmcnt(2)
	v_add_co_u32_e32 v2, vcc, v32, v2
	v_addc_co_u32_e32 v3, vcc, v33, v3, vcc
	v_add_co_u32_e32 v2, vcc, v34, v2
	v_addc_co_u32_e32 v3, vcc, v35, v3, vcc
	;; [unrolled: 5-line block ×3, first 2 shown]
	s_waitcnt lgkmcnt(0)
	v_add_co_u32_e32 v2, vcc, v40, v2
	v_addc_co_u32_e32 v3, vcc, v41, v3, vcc
	v_add_co_u32_e32 v2, vcc, v42, v2
	v_add_u32_e32 v4, 0x100, v4
	s_cmp_eq_u32 s91, s3
	v_addc_co_u32_e32 v3, vcc, v43, v3, vcc
	s_cbranch_scc0 .LBB127_107
; %bb.108:                              ;   in Loop: Header=BB127_44 Depth=1
	s_mov_b32 s3, s91
	s_branch .LBB127_111
.LBB127_109:                            ;   in Loop: Header=BB127_44 Depth=1
                                        ; implicit-def: $vgpr2_vgpr3
	s_branch .LBB127_77
.LBB127_110:                            ;   in Loop: Header=BB127_44 Depth=1
	s_mov_b32 s3, 0
	v_pk_mov_b32 v[2:3], 0, 0
.LBB127_111:                            ;   in Loop: Header=BB127_44 Depth=1
	v_readlane_b32 s6, v52, 24
	v_readlane_b32 s7, v52, 25
	s_andn2_b64 vcc, exec, s[6:7]
	s_cbranch_vccnz .LBB127_114
; %bb.112:                              ;   in Loop: Header=BB127_44 Depth=1
	s_lshl_b32 s6, s92, 9
	s_lshl_b32 s3, s3, 5
	s_add_i32 s6, s6, s3
	v_add_u32_e32 v4, s6, v49
	v_readlane_b32 s3, v52, 23
.LBB127_113:                            ;   Parent Loop BB127_44 Depth=1
                                        ; =>  This Inner Loop Header: Depth=2
	s_waitcnt vmcnt(0)
	ds_read_b64 v[6:7], v4
	s_add_i32 s3, s3, -1
	v_add_u32_e32 v4, 32, v4
	s_cmp_lg_u32 s3, 0
	s_waitcnt lgkmcnt(0)
	v_add_co_u32_e32 v2, vcc, v6, v2
	v_addc_co_u32_e32 v3, vcc, v7, v3, vcc
	s_cbranch_scc1 .LBB127_113
.LBB127_114:                            ;   in Loop: Header=BB127_44 Depth=1
	v_add_lshl_u32 v4, s2, v44, 3
	ds_write_b64 v4, v[2:3] offset:3072
.LBB127_115:                            ;   in Loop: Header=BB127_44 Depth=1
	s_or_b64 exec, exec, s[0:1]
	s_lshl_b32 s0, s2, 3
	s_waitcnt vmcnt(0)
	v_mov_b32_e32 v6, s0
	s_waitcnt lgkmcnt(0)
	s_barrier
	ds_read_b128 v[2:5], v6 offset:3072
	ds_read_b128 v[6:9], v6 offset:3088
	s_and_b32 s38, s94, 0xfe
	s_lshl_b32 s44, 3, s38
	s_not_b32 s39, s44
	s_waitcnt lgkmcnt(1)
	v_readfirstlane_b32 s3, v3
	v_readfirstlane_b32 s2, v2
	s_cmp_eq_u64 s[2:3], 1
	s_cselect_b64 s[0:1], -1, 0
	s_cmp_eq_u64 s[64:65], 1
	s_cselect_b64 s[6:7], -1, 0
	s_and_b64 s[18:19], s[0:1], s[6:7]
	v_readfirstlane_b32 s28, v4
	v_readfirstlane_b32 s29, v5
	s_waitcnt lgkmcnt(0)
	v_readfirstlane_b32 s16, v6
	v_readfirstlane_b32 s17, v7
	;; [unrolled: 1-line block ×4, first 2 shown]
	s_mov_b64 s[14:15], -1
	s_and_b64 vcc, exec, s[18:19]
	s_cbranch_vccz .LBB127_130
; %bb.116:                              ;   in Loop: Header=BB127_44 Depth=1
	ds_read_b64 v[2:3], v11 offset:5120
	s_waitcnt lgkmcnt(0)
	s_barrier
	v_readfirstlane_b32 s0, v2
	v_readfirstlane_b32 s1, v3
	s_mov_b64 s[6:7], exec
	v_readlane_b32 s12, v52, 12
	v_readlane_b32 s13, v52, 13
	s_and_b64 s[12:13], s[6:7], s[12:13]
	s_mov_b64 exec, s[12:13]
	s_cbranch_execz .LBB127_118
; %bb.117:                              ;   in Loop: Header=BB127_44 Depth=1
	ds_write_b32 v45, v11
.LBB127_118:                            ;   in Loop: Header=BB127_44 Depth=1
	s_or_b64 exec, exec, s[6:7]
	s_and_b32 s80, s80, s39
	s_or_b32 s5, s5, s44
	s_cmp_eq_u64 s[0:1], 0
	s_waitcnt lgkmcnt(0)
	s_barrier
	s_cbranch_scc1 .LBB127_131
; %bb.119:                              ;   in Loop: Header=BB127_44 Depth=1
	v_readlane_b32 s6, v52, 18
	s_add_u32 s20, s6, s0
	v_readlane_b32 s6, v52, 20
	s_addc_u32 s7, s6, s1
	s_mov_b32 s6, s77
	s_cmp_lg_u64 s[6:7], 0
	s_cbranch_scc0 .LBB127_176
; %bb.120:                              ;   in Loop: Header=BB127_44 Depth=1
	v_cvt_f32_u32_e32 v2, s33
	s_sub_u32 s6, 0, s33
	s_subb_u32 s12, 0, 0
	v_mac_f32_e32 v2, 0, v51
	v_rcp_f32_e32 v2, v2
	v_mul_f32_e32 v2, 0x5f7ffffc, v2
	v_mul_f32_e32 v3, 0x2f800000, v2
	v_trunc_f32_e32 v3, v3
	v_mac_f32_e32 v2, 0xcf800000, v3
	v_cvt_u32_f32_e32 v3, v3
	v_cvt_u32_f32_e32 v2, v2
	v_readfirstlane_b32 s13, v3
	v_readfirstlane_b32 s21, v2
	s_mul_i32 s22, s6, s13
	s_mul_hi_u32 s24, s6, s21
	s_mul_i32 s23, s12, s21
	s_add_i32 s22, s24, s22
	s_mul_i32 s25, s6, s21
	s_add_i32 s22, s22, s23
	s_mul_hi_u32 s24, s21, s25
	s_mul_hi_u32 s23, s21, s22
	s_mul_i32 s21, s21, s22
	s_add_u32 s21, s24, s21
	s_addc_u32 s23, 0, s23
	s_mul_hi_u32 s26, s13, s25
	s_mul_i32 s25, s13, s25
	s_add_u32 s21, s21, s25
	s_mul_hi_u32 s24, s13, s22
	s_addc_u32 s21, s23, s26
	s_addc_u32 s23, s24, 0
	s_mul_i32 s22, s13, s22
	s_add_u32 s21, s21, s22
	s_addc_u32 s22, 0, s23
	v_add_co_u32_e32 v2, vcc, s21, v2
	s_cmp_lg_u64 vcc, 0
	s_addc_u32 s13, s13, s22
	v_readfirstlane_b32 s22, v2
	s_mul_i32 s21, s6, s13
	s_mul_hi_u32 s23, s6, s22
	s_add_i32 s21, s23, s21
	s_mul_i32 s12, s12, s22
	s_add_i32 s21, s21, s12
	s_mul_i32 s6, s6, s22
	s_mul_hi_u32 s23, s13, s6
	s_mul_i32 s24, s13, s6
	s_mul_i32 s26, s22, s21
	s_mul_hi_u32 s6, s22, s6
	s_mul_hi_u32 s25, s22, s21
	s_add_u32 s6, s6, s26
	s_addc_u32 s22, 0, s25
	s_add_u32 s6, s6, s24
	s_mul_hi_u32 s12, s13, s21
	s_addc_u32 s6, s22, s23
	s_addc_u32 s12, s12, 0
	s_mul_i32 s21, s13, s21
	s_add_u32 s6, s6, s21
	s_addc_u32 s12, 0, s12
	v_add_co_u32_e32 v2, vcc, s6, v2
	s_cmp_lg_u64 vcc, 0
	s_addc_u32 s6, s13, s12
	v_readfirstlane_b32 s21, v2
	s_mul_i32 s13, s20, s6
	s_mul_hi_u32 s22, s20, s21
	s_mul_hi_u32 s12, s20, s6
	s_add_u32 s13, s22, s13
	s_addc_u32 s12, 0, s12
	s_mul_hi_u32 s23, s7, s21
	s_mul_i32 s21, s7, s21
	s_add_u32 s13, s13, s21
	s_mul_hi_u32 s22, s7, s6
	s_addc_u32 s12, s12, s23
	s_addc_u32 s13, s22, 0
	s_mul_i32 s6, s7, s6
	s_add_u32 s6, s12, s6
	s_addc_u32 s12, 0, s13
	s_mul_hi_u32 s13, s33, s6
	s_mul_i32 s6, s33, s6
	s_mul_i32 s12, s33, s12
	v_mov_b32_e32 v2, s6
	s_add_i32 s13, s13, s12
	v_sub_co_u32_e32 v2, vcc, s20, v2
	s_cmp_lg_u64 vcc, 0
	s_subb_u32 s6, s7, s13
	v_subrev_co_u32_e32 v3, vcc, s33, v2
	s_cmp_lg_u64 vcc, 0
	s_subb_u32 s12, s6, 0
	v_subrev_co_u32_e32 v4, vcc, s33, v3
	s_cmp_lg_u64 vcc, 0
	s_subb_u32 s13, s12, 0
	v_cmp_le_u32_e32 vcc, s33, v3
	s_cmp_eq_u32 s12, 0
	v_cndmask_b32_e64 v5, 0, -1, vcc
	s_cselect_b64 vcc, -1, 0
	v_cndmask_b32_e32 v5, -1, v5, vcc
	v_mov_b32_e32 v6, s12
	v_mov_b32_e32 v7, s13
	v_cmp_ne_u32_e32 vcc, 0, v5
	v_cndmask_b32_e32 v5, v6, v7, vcc
	v_cndmask_b32_e32 v4, v3, v4, vcc
	v_cmp_le_u32_e32 vcc, s33, v2
	s_cmp_eq_u32 s6, 0
	v_cndmask_b32_e64 v3, 0, -1, vcc
	s_cselect_b64 vcc, -1, 0
	v_cndmask_b32_e32 v3, -1, v3, vcc
	v_mov_b32_e32 v6, s6
	v_cmp_ne_u32_e32 vcc, 0, v3
	v_cndmask_b32_e32 v3, v6, v5, vcc
	v_cndmask_b32_e32 v2, v2, v4, vcc
	s_cbranch_execnz .LBB127_122
.LBB127_121:                            ;   in Loop: Header=BB127_44 Depth=1
	v_cvt_f32_u32_e32 v2, s33
	s_sub_i32 s6, 0, s33
	v_rcp_iflag_f32_e32 v2, v2
	v_mul_f32_e32 v2, 0x4f7ffffe, v2
	v_cvt_u32_f32_e32 v2, v2
	v_mul_lo_u32 v3, s6, v2
	v_mul_hi_u32 v3, v2, v3
	v_add_u32_e32 v2, v2, v3
	v_mul_hi_u32 v2, s20, v2
	v_mul_lo_u32 v2, v2, s33
	v_sub_u32_e32 v2, s20, v2
	v_subrev_u32_e32 v3, s33, v2
	v_cmp_le_u32_e32 vcc, s33, v2
	v_cndmask_b32_e32 v2, v2, v3, vcc
	v_subrev_u32_e32 v3, s33, v2
	v_cmp_le_u32_e32 vcc, s33, v2
	v_cndmask_b32_e32 v10, v2, v3, vcc
	v_pk_mov_b32 v[2:3], v[10:11], v[10:11] op_sel:[0,1]
.LBB127_122:                            ;   in Loop: Header=BB127_44 Depth=1
	v_mov_b32_e32 v4, s7
	v_sub_co_u32_e32 v2, vcc, s20, v2
	v_subb_co_u32_e32 v3, vcc, v4, v3, vcc
	v_cmp_gt_u64_e32 vcc, v[2:3], v[0:1]
	s_mov_b64 s[6:7], 0
                                        ; implicit-def: $vgpr31
	s_and_saveexec_b64 s[12:13], vcc
	s_cbranch_execz .LBB127_133
; %bb.123:                              ;   in Loop: Header=BB127_44 Depth=1
	s_mov_b64 s[20:21], 0
	v_mov_b32_e32 v6, v14
	v_pk_mov_b32 v[4:5], v[0:1], v[0:1] op_sel:[0,1]
                                        ; implicit-def: $sgpr22_sgpr23
	s_branch .LBB127_125
.LBB127_124:                            ;   in Loop: Header=BB127_125 Depth=2
	s_or_b64 exec, exec, s[6:7]
	s_waitcnt lgkmcnt(0)
	s_barrier
	ds_read_b64 v[30:31], v11 offset:3072
	v_mov_b32_e32 v7, s86
	v_add_co_u32_e64 v4, s[6:7], s33, v4
	v_addc_co_u32_e64 v5, s[6:7], v5, v7, s[6:7]
	s_waitcnt lgkmcnt(0)
	v_cmp_neq_f32_e32 vcc, 0, v30
	v_cmp_ge_u64_e64 s[6:7], v[4:5], v[2:3]
	s_or_b64 s[6:7], s[6:7], vcc
	s_and_b64 s[6:7], exec, s[6:7]
	s_or_b64 s[20:21], s[6:7], s[20:21]
	s_andn2_b64 s[6:7], s[22:23], exec
	s_and_b64 s[22:23], vcc, exec
	v_add_u32_e32 v6, s4, v6
	s_or_b64 s[22:23], s[6:7], s[22:23]
	s_barrier
	s_andn2_b64 exec, exec, s[20:21]
	s_cbranch_execz .LBB127_132
.LBB127_125:                            ;   Parent Loop BB127_44 Depth=1
                                        ; =>  This Inner Loop Header: Depth=2
	v_cmp_gt_u64_e32 vcc, s[0:1], v[4:5]
	v_mov_b32_e32 v29, 0
	s_and_saveexec_b64 s[6:7], vcc
	s_cbranch_execz .LBB127_127
; %bb.126:                              ;   in Loop: Header=BB127_125 Depth=2
	ds_read_b32 v29, v6
.LBB127_127:                            ;   in Loop: Header=BB127_125 Depth=2
	s_or_b64 exec, exec, s[6:7]
	s_and_saveexec_b64 s[6:7], vcc
	s_cbranch_execz .LBB127_124
; %bb.128:                              ;   in Loop: Header=BB127_125 Depth=2
	s_waitcnt lgkmcnt(0)
	v_cmp_lt_i32_e32 vcc, -1, v29
	v_cndmask_b32_e32 v7, -1, v50, vcc
	v_xor_b32_e32 v7, v7, v29
	v_cmp_o_f32_e32 vcc, v29, v29
	v_cndmask_b32_e32 v7, -1, v7, vcc
	v_and_b32_e32 v7, s5, v7
	v_cmp_eq_u32_e32 vcc, s80, v7
	s_and_b64 exec, exec, vcc
	s_cbranch_execz .LBB127_124
; %bb.129:                              ;   in Loop: Header=BB127_125 Depth=2
	ds_write_b64 v11, v[28:29] offset:3072
	s_branch .LBB127_124
.LBB127_130:                            ;   in Loop: Header=BB127_44 Depth=1
	s_mov_b64 s[6:7], -1
                                        ; implicit-def: $sgpr0_sgpr1
                                        ; implicit-def: $sgpr20_sgpr21
                                        ; implicit-def: $sgpr12_sgpr13
	s_branch .LBB127_147
.LBB127_131:                            ;   in Loop: Header=BB127_44 Depth=1
	s_mov_b64 s[0:1], -1
	s_mov_b64 s[6:7], 0
                                        ; implicit-def: $sgpr12_sgpr13
                                        ; implicit-def: $vgpr31
	s_mov_b64 s[20:21], s[0:1]
	s_cbranch_execnz .LBB127_134
	s_branch .LBB127_147
.LBB127_132:                            ;   in Loop: Header=BB127_44 Depth=1
	s_or_b64 exec, exec, s[20:21]
	s_and_b64 s[6:7], s[22:23], exec
.LBB127_133:                            ;   in Loop: Header=BB127_44 Depth=1
	s_or_b64 exec, exec, s[12:13]
	s_mov_b64 s[12:13], -1
	s_mov_b64 s[0:1], 0
	s_mov_b64 s[20:21], s[0:1]
	s_branch .LBB127_147
.LBB127_134:                            ;   in Loop: Header=BB127_44 Depth=1
	s_mov_b32 s68, s77
	s_cmp_lg_u64 s[68:69], 0
	s_cbranch_scc0 .LBB127_180
; %bb.135:                              ;   in Loop: Header=BB127_44 Depth=1
	v_cvt_f32_u32_e32 v2, s33
	s_sub_u32 s0, 0, s33
	s_subb_u32 s1, 0, 0
	v_mac_f32_e32 v2, 0, v51
	v_rcp_f32_e32 v2, v2
	v_mul_f32_e32 v2, 0x5f7ffffc, v2
	v_mul_f32_e32 v3, 0x2f800000, v2
	v_trunc_f32_e32 v3, v3
	v_mac_f32_e32 v2, 0xcf800000, v3
	v_cvt_u32_f32_e32 v3, v3
	v_cvt_u32_f32_e32 v2, v2
	v_readfirstlane_b32 s6, v3
	v_readfirstlane_b32 s7, v2
	s_mul_i32 s12, s0, s6
	s_mul_hi_u32 s20, s0, s7
	s_mul_i32 s13, s1, s7
	s_add_i32 s12, s20, s12
	s_mul_i32 s21, s0, s7
	s_add_i32 s12, s12, s13
	s_mul_hi_u32 s20, s7, s21
	s_mul_hi_u32 s13, s7, s12
	s_mul_i32 s7, s7, s12
	s_add_u32 s7, s20, s7
	s_addc_u32 s13, 0, s13
	s_mul_hi_u32 s22, s6, s21
	s_mul_i32 s21, s6, s21
	s_add_u32 s7, s7, s21
	s_mul_hi_u32 s20, s6, s12
	s_addc_u32 s7, s13, s22
	s_addc_u32 s13, s20, 0
	s_mul_i32 s12, s6, s12
	s_add_u32 s7, s7, s12
	s_addc_u32 s12, 0, s13
	v_add_co_u32_e32 v2, vcc, s7, v2
	s_cmp_lg_u64 vcc, 0
	s_addc_u32 s6, s6, s12
	v_readfirstlane_b32 s12, v2
	s_mul_i32 s7, s0, s6
	s_mul_hi_u32 s13, s0, s12
	s_add_i32 s7, s13, s7
	s_mul_i32 s1, s1, s12
	s_add_i32 s7, s7, s1
	s_mul_i32 s0, s0, s12
	s_mul_hi_u32 s13, s6, s0
	s_mul_i32 s20, s6, s0
	s_mul_i32 s22, s12, s7
	s_mul_hi_u32 s0, s12, s0
	s_mul_hi_u32 s21, s12, s7
	s_add_u32 s0, s0, s22
	s_addc_u32 s12, 0, s21
	s_add_u32 s0, s0, s20
	s_mul_hi_u32 s1, s6, s7
	s_addc_u32 s0, s12, s13
	s_addc_u32 s1, s1, 0
	s_mul_i32 s7, s6, s7
	s_add_u32 s0, s0, s7
	s_addc_u32 s1, 0, s1
	v_add_co_u32_e32 v2, vcc, s0, v2
	s_cmp_lg_u64 vcc, 0
	s_addc_u32 s0, s6, s1
	v_readlane_b32 s20, v52, 19
	v_readfirstlane_b32 s7, v2
	s_mul_i32 s6, s20, s0
	s_mul_hi_u32 s12, s20, s7
	s_mul_hi_u32 s1, s20, s0
	s_add_u32 s6, s12, s6
	s_addc_u32 s1, 0, s1
	s_mul_hi_u32 s13, s69, s7
	s_mul_i32 s7, s69, s7
	s_add_u32 s6, s6, s7
	s_mul_hi_u32 s12, s69, s0
	s_addc_u32 s1, s1, s13
	s_addc_u32 s6, s12, 0
	s_mul_i32 s0, s69, s0
	s_add_u32 s0, s1, s0
	s_addc_u32 s1, 0, s6
	s_mul_hi_u32 s6, s33, s0
	s_mul_i32 s0, s33, s0
	s_mul_i32 s1, s33, s1
	v_mov_b32_e32 v2, s0
	s_add_i32 s6, s6, s1
	v_sub_co_u32_e32 v2, vcc, s20, v2
	s_cmp_lg_u64 vcc, 0
	s_subb_u32 s0, s69, s6
	v_subrev_co_u32_e32 v3, vcc, s33, v2
	s_cmp_lg_u64 vcc, 0
	s_subb_u32 s1, s0, 0
	v_subrev_co_u32_e32 v4, vcc, s33, v3
	s_cmp_lg_u64 vcc, 0
	s_subb_u32 s6, s1, 0
	v_cmp_le_u32_e32 vcc, s33, v3
	s_cmp_eq_u32 s1, 0
	v_cndmask_b32_e64 v5, 0, -1, vcc
	s_cselect_b64 vcc, -1, 0
	v_cndmask_b32_e32 v5, -1, v5, vcc
	v_mov_b32_e32 v6, s1
	v_mov_b32_e32 v7, s6
	v_cmp_ne_u32_e32 vcc, 0, v5
	v_cndmask_b32_e32 v5, v6, v7, vcc
	v_cndmask_b32_e32 v4, v3, v4, vcc
	v_cmp_le_u32_e32 vcc, s33, v2
	s_cmp_eq_u32 s0, 0
	v_cndmask_b32_e64 v3, 0, -1, vcc
	s_cselect_b64 vcc, -1, 0
	v_cndmask_b32_e32 v3, -1, v3, vcc
	v_mov_b32_e32 v6, s0
	v_cmp_ne_u32_e32 vcc, 0, v3
	v_cndmask_b32_e32 v3, v6, v5, vcc
	v_cndmask_b32_e32 v2, v2, v4, vcc
	s_cbranch_execnz .LBB127_137
.LBB127_136:                            ;   in Loop: Header=BB127_44 Depth=1
	v_cvt_f32_u32_e32 v2, s33
	s_sub_i32 s0, 0, s33
	v_rcp_iflag_f32_e32 v2, v2
	v_mul_f32_e32 v2, 0x4f7ffffe, v2
	v_cvt_u32_f32_e32 v2, v2
	v_mul_lo_u32 v3, s0, v2
	v_mul_hi_u32 v3, v2, v3
	v_add_u32_e32 v2, v2, v3
	v_readlane_b32 s0, v52, 19
	v_mul_hi_u32 v2, s0, v2
	v_mul_lo_u32 v2, v2, s33
	v_sub_u32_e32 v2, s0, v2
	v_subrev_u32_e32 v3, s33, v2
	v_cmp_le_u32_e32 vcc, s33, v2
	v_cndmask_b32_e32 v2, v2, v3, vcc
	v_subrev_u32_e32 v3, s33, v2
	v_cmp_le_u32_e32 vcc, s33, v2
	v_cndmask_b32_e32 v10, v2, v3, vcc
	v_pk_mov_b32 v[2:3], v[10:11], v[10:11] op_sel:[0,1]
.LBB127_137:                            ;   in Loop: Header=BB127_44 Depth=1
	v_readlane_b32 s0, v52, 19
	v_mov_b32_e32 v4, s69
	v_sub_co_u32_e32 v2, vcc, s0, v2
	v_subb_co_u32_e32 v3, vcc, v4, v3, vcc
	v_cmp_gt_u64_e32 vcc, v[2:3], v[0:1]
	s_mov_b64 s[6:7], 0
                                        ; implicit-def: $vgpr31
	s_and_saveexec_b64 s[0:1], vcc
	s_cbranch_execz .LBB127_146
; %bb.138:                              ;   in Loop: Header=BB127_44 Depth=1
	s_mov_b64 s[12:13], 0
	v_pk_mov_b32 v[4:5], v[12:13], v[12:13] op_sel:[0,1]
	v_pk_mov_b32 v[6:7], v[0:1], v[0:1] op_sel:[0,1]
                                        ; implicit-def: $sgpr20_sgpr21
	s_branch .LBB127_140
.LBB127_139:                            ;   in Loop: Header=BB127_140 Depth=2
	s_or_b64 exec, exec, s[6:7]
	s_waitcnt lgkmcnt(0)
	s_barrier
	ds_read_b64 v[30:31], v11 offset:3072
	v_mov_b32_e32 v8, s86
	v_add_co_u32_e64 v6, s[6:7], s33, v6
	v_addc_co_u32_e64 v7, s[6:7], v7, v8, s[6:7]
	s_waitcnt lgkmcnt(0)
	v_cmp_neq_f32_e32 vcc, 0, v30
	v_cmp_ge_u64_e64 s[6:7], v[6:7], v[2:3]
	s_or_b64 s[22:23], s[6:7], vcc
	v_mov_b32_e32 v8, s73
	v_add_co_u32_e64 v4, s[6:7], s72, v4
	v_addc_co_u32_e64 v5, s[6:7], v5, v8, s[6:7]
	s_and_b64 s[6:7], exec, s[22:23]
	s_or_b64 s[12:13], s[6:7], s[12:13]
	s_andn2_b64 s[6:7], s[20:21], exec
	s_and_b64 s[20:21], vcc, exec
	s_or_b64 s[20:21], s[6:7], s[20:21]
	s_barrier
	s_andn2_b64 exec, exec, s[12:13]
	s_cbranch_execz .LBB127_145
.LBB127_140:                            ;   Parent Loop BB127_44 Depth=1
                                        ; =>  This Inner Loop Header: Depth=2
	v_cmp_gt_u64_e32 vcc, s[52:53], v[6:7]
	s_waitcnt vmcnt(0)
	v_mov_b32_e32 v29, 0
	s_and_saveexec_b64 s[6:7], vcc
	s_cbranch_execz .LBB127_142
; %bb.141:                              ;   in Loop: Header=BB127_140 Depth=2
	global_load_dword v29, v[4:5], off
.LBB127_142:                            ;   in Loop: Header=BB127_140 Depth=2
	s_or_b64 exec, exec, s[6:7]
	s_and_saveexec_b64 s[6:7], vcc
	s_cbranch_execz .LBB127_139
; %bb.143:                              ;   in Loop: Header=BB127_140 Depth=2
	s_waitcnt vmcnt(0)
	v_cmp_lt_i32_e32 vcc, -1, v29
	v_cndmask_b32_e32 v8, -1, v50, vcc
	v_xor_b32_e32 v8, v8, v29
	v_cmp_o_f32_e32 vcc, v29, v29
	v_cndmask_b32_e32 v8, -1, v8, vcc
	v_and_b32_e32 v8, s5, v8
	v_cmp_eq_u32_e32 vcc, s80, v8
	s_and_b64 exec, exec, vcc
	s_cbranch_execz .LBB127_139
; %bb.144:                              ;   in Loop: Header=BB127_140 Depth=2
	ds_write_b64 v11, v[28:29] offset:3072
	s_branch .LBB127_139
.LBB127_145:                            ;   in Loop: Header=BB127_44 Depth=1
	s_or_b64 exec, exec, s[12:13]
	s_and_b64 s[6:7], s[20:21], exec
.LBB127_146:                            ;   in Loop: Header=BB127_44 Depth=1
	s_or_b64 exec, exec, s[0:1]
	s_mov_b64 s[20:21], -1
	s_mov_b64 s[0:1], 0
	s_mov_b64 s[12:13], 0
.LBB127_147:                            ;   in Loop: Header=BB127_44 Depth=1
	s_andn2_b64 s[8:9], s[84:85], exec
	s_and_b64 s[0:1], s[0:1], exec
	s_or_b64 s[84:85], s[8:9], s[0:1]
	s_andn2_b64 s[0:1], s[34:35], exec
	s_and_b64 s[20:21], s[20:21], exec
	s_or_b64 s[34:35], s[0:1], s[20:21]
	s_andn2_b64 s[0:1], s[40:41], exec
	s_and_b64 s[12:13], s[12:13], exec
	s_or_b64 s[40:41], s[0:1], s[12:13]
	s_and_saveexec_b64 s[12:13], s[6:7]
	s_cbranch_execz .LBB127_43
; %bb.148:                              ;   in Loop: Header=BB127_44 Depth=1
	s_xor_b64 s[0:1], s[18:19], -1
	s_andn2_b64 vcc, exec, s[0:1]
	s_mov_b32 s45, 1
	s_cbranch_vccnz .LBB127_159
; %bb.149:                              ;   in Loop: Header=BB127_44 Depth=1
	v_pk_mov_b32 v[2:3], s[2:3], s[2:3] op_sel:[0,1]
	v_cmp_gt_u64_e32 vcc, s[64:65], v[2:3]
	s_mov_b64 s[0:1], -1
                                        ; implicit-def: $sgpr45
                                        ; implicit-def: $sgpr6
                                        ; implicit-def: $sgpr7
	s_cbranch_vccnz .LBB127_155
; %bb.150:                              ;   in Loop: Header=BB127_44 Depth=1
	ds_read_b64 v[2:3], v11 offset:5120
	s_waitcnt lgkmcnt(0)
	v_cmp_ne_u64_e32 vcc, 0, v[2:3]
	s_cbranch_vccnz .LBB127_154
; %bb.151:                              ;   in Loop: Header=BB127_44 Depth=1
	s_mov_b64 s[0:1], exec
	v_readlane_b32 s6, v52, 10
	v_readlane_b32 s7, v52, 11
	s_and_b64 s[6:7], s[0:1], s[6:7]
	s_mov_b64 exec, s[6:7]
	s_cbranch_execz .LBB127_153
; %bb.152:                              ;   in Loop: Header=BB127_44 Depth=1
	v_pk_mov_b32 v[2:3], s[2:3], s[2:3] op_sel:[0,1]
	ds_write_b64 v11, v[2:3] offset:5128
.LBB127_153:                            ;   in Loop: Header=BB127_44 Depth=1
	s_or_b64 exec, exec, s[0:1]
	s_waitcnt lgkmcnt(0)
	s_barrier
.LBB127_154:                            ;   in Loop: Header=BB127_44 Depth=1
	s_and_b32 s6, s80, s39
	s_or_b32 s7, s5, s44
	s_mov_b64 s[0:1], 0
	s_mov_b32 s45, 8
.LBB127_155:                            ;   in Loop: Header=BB127_44 Depth=1
	s_andn2_b64 vcc, exec, s[0:1]
	s_cbranch_vccnz .LBB127_157
; %bb.156:                              ;   in Loop: Header=BB127_44 Depth=1
	s_sub_u32 s64, s64, s2
	s_subb_u32 s65, s65, s3
	s_mov_b64 s[0:1], -1
	s_mov_b32 s45, 0
	s_mov_b32 s6, s80
	;; [unrolled: 1-line block ×3, first 2 shown]
.LBB127_157:                            ;   in Loop: Header=BB127_44 Depth=1
	s_mov_b32 s5, s7
	s_mov_b32 s80, s6
	s_mov_b64 s[14:15], -1
	s_and_b64 vcc, exec, s[0:1]
	s_cbranch_vccnz .LBB127_160
.LBB127_158:                            ;   in Loop: Header=BB127_44 Depth=1
	s_mov_b64 s[0:1], -1
                                        ; implicit-def: $sgpr18_sgpr19
                                        ; implicit-def: $sgpr22_sgpr23
                                        ; implicit-def: $sgpr20_sgpr21
	s_and_saveexec_b64 s[2:3], s[0:1]
	s_xor_b64 s[0:1], exec, s[2:3]
	s_cbranch_execz .LBB127_42
	s_branch .LBB127_309
.LBB127_159:                            ;   in Loop: Header=BB127_44 Depth=1
	s_mov_b64 s[64:65], 1
	s_mov_b64 s[14:15], -1
	s_branch .LBB127_158
.LBB127_160:                            ;   in Loop: Header=BB127_44 Depth=1
	s_cmp_eq_u64 s[28:29], 1
	s_cselect_b64 s[0:1], -1, 0
	s_cmp_eq_u64 s[64:65], 1
	s_cselect_b64 s[2:3], -1, 0
	s_and_b64 s[2:3], s[0:1], s[2:3]
	s_mov_b64 s[6:7], -1
	s_and_b64 vcc, exec, s[2:3]
	s_cbranch_vccz .LBB127_175
; %bb.161:                              ;   in Loop: Header=BB127_44 Depth=1
	ds_read_b64 v[2:3], v11 offset:5120
	s_waitcnt lgkmcnt(0)
	s_barrier
	v_readfirstlane_b32 s0, v2
	v_readfirstlane_b32 s1, v3
	s_mov_b64 s[6:7], exec
	v_readlane_b32 s18, v52, 12
	v_readlane_b32 s19, v52, 13
	s_and_b64 s[18:19], s[6:7], s[18:19]
	s_mov_b64 exec, s[18:19]
	s_cbranch_execz .LBB127_163
; %bb.162:                              ;   in Loop: Header=BB127_44 Depth=1
	ds_write_b32 v45, v11
.LBB127_163:                            ;   in Loop: Header=BB127_44 Depth=1
	s_or_b64 exec, exec, s[6:7]
	s_lshl_b32 s6, 1, s38
	s_and_b32 s7, s80, s39
	s_or_b32 s80, s7, s6
	s_or_b32 s5, s5, s44
	s_cmp_eq_u64 s[0:1], 0
	s_waitcnt lgkmcnt(0)
	s_barrier
	s_cbranch_scc1 .LBB127_181
; %bb.164:                              ;   in Loop: Header=BB127_44 Depth=1
	v_readlane_b32 s6, v52, 18
	s_add_u32 s20, s6, s0
	v_readlane_b32 s6, v52, 20
	s_addc_u32 s7, s6, s1
	s_mov_b32 s6, s77
	s_cmp_lg_u64 s[6:7], 0
	s_cbranch_scc0 .LBB127_226
; %bb.165:                              ;   in Loop: Header=BB127_44 Depth=1
	v_cvt_f32_u32_e32 v2, s33
	s_sub_u32 s6, 0, s33
	s_subb_u32 s18, 0, 0
	v_mac_f32_e32 v2, 0, v51
	v_rcp_f32_e32 v2, v2
	v_mul_f32_e32 v2, 0x5f7ffffc, v2
	v_mul_f32_e32 v3, 0x2f800000, v2
	v_trunc_f32_e32 v3, v3
	v_mac_f32_e32 v2, 0xcf800000, v3
	v_cvt_u32_f32_e32 v3, v3
	v_cvt_u32_f32_e32 v2, v2
	v_readfirstlane_b32 s19, v3
	v_readfirstlane_b32 s21, v2
	s_mul_i32 s22, s6, s19
	s_mul_hi_u32 s24, s6, s21
	s_mul_i32 s23, s18, s21
	s_add_i32 s22, s24, s22
	s_mul_i32 s25, s6, s21
	s_add_i32 s22, s22, s23
	s_mul_hi_u32 s24, s21, s25
	s_mul_hi_u32 s23, s21, s22
	s_mul_i32 s21, s21, s22
	s_add_u32 s21, s24, s21
	s_addc_u32 s23, 0, s23
	s_mul_hi_u32 s26, s19, s25
	s_mul_i32 s25, s19, s25
	s_add_u32 s21, s21, s25
	s_mul_hi_u32 s24, s19, s22
	s_addc_u32 s21, s23, s26
	s_addc_u32 s23, s24, 0
	s_mul_i32 s22, s19, s22
	s_add_u32 s21, s21, s22
	s_addc_u32 s22, 0, s23
	v_add_co_u32_e32 v2, vcc, s21, v2
	s_cmp_lg_u64 vcc, 0
	s_addc_u32 s19, s19, s22
	v_readfirstlane_b32 s22, v2
	s_mul_i32 s21, s6, s19
	s_mul_hi_u32 s23, s6, s22
	s_add_i32 s21, s23, s21
	s_mul_i32 s18, s18, s22
	s_add_i32 s21, s21, s18
	s_mul_i32 s6, s6, s22
	s_mul_hi_u32 s23, s19, s6
	s_mul_i32 s24, s19, s6
	s_mul_i32 s26, s22, s21
	s_mul_hi_u32 s6, s22, s6
	s_mul_hi_u32 s25, s22, s21
	s_add_u32 s6, s6, s26
	s_addc_u32 s22, 0, s25
	s_add_u32 s6, s6, s24
	s_mul_hi_u32 s18, s19, s21
	s_addc_u32 s6, s22, s23
	s_addc_u32 s18, s18, 0
	s_mul_i32 s21, s19, s21
	s_add_u32 s6, s6, s21
	s_addc_u32 s18, 0, s18
	v_add_co_u32_e32 v2, vcc, s6, v2
	s_cmp_lg_u64 vcc, 0
	s_addc_u32 s6, s19, s18
	v_readfirstlane_b32 s21, v2
	s_mul_i32 s19, s20, s6
	s_mul_hi_u32 s22, s20, s21
	s_mul_hi_u32 s18, s20, s6
	s_add_u32 s19, s22, s19
	s_addc_u32 s18, 0, s18
	s_mul_hi_u32 s23, s7, s21
	s_mul_i32 s21, s7, s21
	s_add_u32 s19, s19, s21
	s_mul_hi_u32 s22, s7, s6
	s_addc_u32 s18, s18, s23
	s_addc_u32 s19, s22, 0
	s_mul_i32 s6, s7, s6
	s_add_u32 s6, s18, s6
	s_addc_u32 s18, 0, s19
	s_mul_hi_u32 s19, s33, s6
	s_mul_i32 s6, s33, s6
	s_mul_i32 s18, s33, s18
	v_mov_b32_e32 v2, s6
	s_add_i32 s19, s19, s18
	v_sub_co_u32_e32 v2, vcc, s20, v2
	s_cmp_lg_u64 vcc, 0
	s_subb_u32 s6, s7, s19
	v_subrev_co_u32_e32 v3, vcc, s33, v2
	s_cmp_lg_u64 vcc, 0
	s_subb_u32 s18, s6, 0
	v_subrev_co_u32_e32 v4, vcc, s33, v3
	s_cmp_lg_u64 vcc, 0
	s_subb_u32 s19, s18, 0
	v_cmp_le_u32_e32 vcc, s33, v3
	s_cmp_eq_u32 s18, 0
	v_cndmask_b32_e64 v5, 0, -1, vcc
	s_cselect_b64 vcc, -1, 0
	v_cndmask_b32_e32 v5, -1, v5, vcc
	v_mov_b32_e32 v6, s18
	v_mov_b32_e32 v7, s19
	v_cmp_ne_u32_e32 vcc, 0, v5
	v_cndmask_b32_e32 v5, v6, v7, vcc
	v_cndmask_b32_e32 v4, v3, v4, vcc
	v_cmp_le_u32_e32 vcc, s33, v2
	s_cmp_eq_u32 s6, 0
	v_cndmask_b32_e64 v3, 0, -1, vcc
	s_cselect_b64 vcc, -1, 0
	v_cndmask_b32_e32 v3, -1, v3, vcc
	v_mov_b32_e32 v6, s6
	v_cmp_ne_u32_e32 vcc, 0, v3
	v_cndmask_b32_e32 v3, v6, v5, vcc
	v_cndmask_b32_e32 v2, v2, v4, vcc
	s_cbranch_execnz .LBB127_167
.LBB127_166:                            ;   in Loop: Header=BB127_44 Depth=1
	v_cvt_f32_u32_e32 v2, s33
	s_sub_i32 s6, 0, s33
	v_rcp_iflag_f32_e32 v2, v2
	v_mul_f32_e32 v2, 0x4f7ffffe, v2
	v_cvt_u32_f32_e32 v2, v2
	v_mul_lo_u32 v3, s6, v2
	v_mul_hi_u32 v3, v2, v3
	v_add_u32_e32 v2, v2, v3
	v_mul_hi_u32 v2, s20, v2
	v_mul_lo_u32 v2, v2, s33
	v_sub_u32_e32 v2, s20, v2
	v_subrev_u32_e32 v3, s33, v2
	v_cmp_le_u32_e32 vcc, s33, v2
	v_cndmask_b32_e32 v2, v2, v3, vcc
	v_subrev_u32_e32 v3, s33, v2
	v_cmp_le_u32_e32 vcc, s33, v2
	v_cndmask_b32_e32 v10, v2, v3, vcc
	v_pk_mov_b32 v[2:3], v[10:11], v[10:11] op_sel:[0,1]
.LBB127_167:                            ;   in Loop: Header=BB127_44 Depth=1
	v_mov_b32_e32 v4, s7
	v_sub_co_u32_e32 v2, vcc, s20, v2
	v_subb_co_u32_e32 v3, vcc, v4, v3, vcc
	v_cmp_gt_u64_e32 vcc, v[2:3], v[0:1]
	s_mov_b64 s[6:7], 0
                                        ; implicit-def: $vgpr31
	s_and_saveexec_b64 s[18:19], vcc
	s_cbranch_execz .LBB127_183
; %bb.168:                              ;   in Loop: Header=BB127_44 Depth=1
	s_mov_b64 s[20:21], 0
	v_mov_b32_e32 v6, v14
	v_pk_mov_b32 v[4:5], v[0:1], v[0:1] op_sel:[0,1]
                                        ; implicit-def: $sgpr22_sgpr23
	s_branch .LBB127_170
.LBB127_169:                            ;   in Loop: Header=BB127_170 Depth=2
	s_or_b64 exec, exec, s[6:7]
	s_waitcnt lgkmcnt(0)
	s_barrier
	ds_read_b64 v[30:31], v11 offset:3072
	v_mov_b32_e32 v7, s86
	v_add_co_u32_e64 v4, s[6:7], s33, v4
	v_addc_co_u32_e64 v5, s[6:7], v5, v7, s[6:7]
	s_waitcnt lgkmcnt(0)
	v_cmp_neq_f32_e32 vcc, 0, v30
	v_cmp_ge_u64_e64 s[6:7], v[4:5], v[2:3]
	s_or_b64 s[6:7], s[6:7], vcc
	s_and_b64 s[6:7], exec, s[6:7]
	s_or_b64 s[20:21], s[6:7], s[20:21]
	s_andn2_b64 s[6:7], s[22:23], exec
	s_and_b64 s[22:23], vcc, exec
	v_add_u32_e32 v6, s4, v6
	s_or_b64 s[22:23], s[6:7], s[22:23]
	s_barrier
	s_andn2_b64 exec, exec, s[20:21]
	s_cbranch_execz .LBB127_182
.LBB127_170:                            ;   Parent Loop BB127_44 Depth=1
                                        ; =>  This Inner Loop Header: Depth=2
	v_cmp_gt_u64_e32 vcc, s[0:1], v[4:5]
	s_waitcnt vmcnt(0)
	v_mov_b32_e32 v29, 0
	s_and_saveexec_b64 s[6:7], vcc
	s_cbranch_execz .LBB127_172
; %bb.171:                              ;   in Loop: Header=BB127_170 Depth=2
	ds_read_b32 v29, v6
.LBB127_172:                            ;   in Loop: Header=BB127_170 Depth=2
	s_or_b64 exec, exec, s[6:7]
	s_and_saveexec_b64 s[6:7], vcc
	s_cbranch_execz .LBB127_169
; %bb.173:                              ;   in Loop: Header=BB127_170 Depth=2
	s_waitcnt lgkmcnt(0)
	v_cmp_lt_i32_e32 vcc, -1, v29
	v_cndmask_b32_e32 v7, -1, v50, vcc
	v_xor_b32_e32 v7, v7, v29
	v_cmp_o_f32_e32 vcc, v29, v29
	v_cndmask_b32_e32 v7, -1, v7, vcc
	v_and_b32_e32 v7, s5, v7
	v_cmp_eq_u32_e32 vcc, s80, v7
	s_and_b64 exec, exec, vcc
	s_cbranch_execz .LBB127_169
; %bb.174:                              ;   in Loop: Header=BB127_170 Depth=2
	ds_write_b64 v11, v[28:29] offset:3072
	s_branch .LBB127_169
.LBB127_175:                            ;   in Loop: Header=BB127_44 Depth=1
                                        ; implicit-def: $sgpr20_sgpr21
                                        ; implicit-def: $sgpr22_sgpr23
                                        ; implicit-def: $sgpr18_sgpr19
	s_branch .LBB127_197
.LBB127_176:                            ;   in Loop: Header=BB127_44 Depth=1
                                        ; implicit-def: $vgpr2_vgpr3
	s_branch .LBB127_121
.LBB127_177:                            ;   in Loop: Header=BB127_44 Depth=1
	s_or_b64 exec, exec, s[0:1]
	s_waitcnt lgkmcnt(0)
	s_barrier
	s_mov_b64 s[0:1], exec
	v_readlane_b32 s6, v52, 10
	v_readlane_b32 s7, v52, 11
	s_and_b64 s[6:7], s[0:1], s[6:7]
	s_mov_b64 exec, s[6:7]
	s_cbranch_execz .LBB127_179
; %bb.178:                              ;   in Loop: Header=BB127_44 Depth=1
	ds_read_b32 v2, v11 offset:5144
	s_waitcnt lgkmcnt(0)
	v_ashrrev_i32_e32 v3, 31, v2
	ds_write_b64 v11, v[2:3] offset:5120
.LBB127_179:                            ;   in Loop: Header=BB127_44 Depth=1
	s_or_b64 exec, exec, s[0:1]
	s_waitcnt lgkmcnt(0)
	s_barrier
	s_mov_b64 s[0:1], -1
	s_and_b64 vcc, exec, s[2:3]
	s_cbranch_vccnz .LBB127_62
	s_branch .LBB127_72
.LBB127_180:                            ;   in Loop: Header=BB127_44 Depth=1
                                        ; implicit-def: $vgpr2_vgpr3
	s_branch .LBB127_136
.LBB127_181:                            ;   in Loop: Header=BB127_44 Depth=1
	s_mov_b64 s[20:21], -1
	s_mov_b64 s[6:7], 0
                                        ; implicit-def: $sgpr18_sgpr19
                                        ; implicit-def: $vgpr31
	s_mov_b64 s[22:23], s[20:21]
	s_cbranch_execnz .LBB127_184
	s_branch .LBB127_197
.LBB127_182:                            ;   in Loop: Header=BB127_44 Depth=1
	s_or_b64 exec, exec, s[20:21]
	s_and_b64 s[6:7], s[22:23], exec
.LBB127_183:                            ;   in Loop: Header=BB127_44 Depth=1
	s_or_b64 exec, exec, s[18:19]
	s_mov_b64 s[18:19], -1
	s_mov_b64 s[20:21], 0
	s_mov_b64 s[22:23], s[20:21]
	s_branch .LBB127_197
.LBB127_184:                            ;   in Loop: Header=BB127_44 Depth=1
	s_mov_b32 s68, s77
	s_cmp_lg_u64 s[68:69], 0
	s_cbranch_scc0 .LBB127_227
; %bb.185:                              ;   in Loop: Header=BB127_44 Depth=1
	v_cvt_f32_u32_e32 v2, s33
	s_sub_u32 s0, 0, s33
	s_subb_u32 s1, 0, 0
	v_mac_f32_e32 v2, 0, v51
	v_rcp_f32_e32 v2, v2
	v_mul_f32_e32 v2, 0x5f7ffffc, v2
	v_mul_f32_e32 v3, 0x2f800000, v2
	v_trunc_f32_e32 v3, v3
	v_mac_f32_e32 v2, 0xcf800000, v3
	v_cvt_u32_f32_e32 v3, v3
	v_cvt_u32_f32_e32 v2, v2
	v_readfirstlane_b32 s6, v3
	v_readfirstlane_b32 s7, v2
	s_mul_i32 s18, s0, s6
	s_mul_hi_u32 s20, s0, s7
	s_mul_i32 s19, s1, s7
	s_add_i32 s18, s20, s18
	s_mul_i32 s21, s0, s7
	s_add_i32 s18, s18, s19
	s_mul_hi_u32 s20, s7, s21
	s_mul_hi_u32 s19, s7, s18
	s_mul_i32 s7, s7, s18
	s_add_u32 s7, s20, s7
	s_addc_u32 s19, 0, s19
	s_mul_hi_u32 s22, s6, s21
	s_mul_i32 s21, s6, s21
	s_add_u32 s7, s7, s21
	s_mul_hi_u32 s20, s6, s18
	s_addc_u32 s7, s19, s22
	s_addc_u32 s19, s20, 0
	s_mul_i32 s18, s6, s18
	s_add_u32 s7, s7, s18
	s_addc_u32 s18, 0, s19
	v_add_co_u32_e32 v2, vcc, s7, v2
	s_cmp_lg_u64 vcc, 0
	s_addc_u32 s6, s6, s18
	v_readfirstlane_b32 s18, v2
	s_mul_i32 s7, s0, s6
	s_mul_hi_u32 s19, s0, s18
	s_add_i32 s7, s19, s7
	s_mul_i32 s1, s1, s18
	s_add_i32 s7, s7, s1
	s_mul_i32 s0, s0, s18
	s_mul_hi_u32 s19, s6, s0
	s_mul_i32 s20, s6, s0
	s_mul_i32 s22, s18, s7
	s_mul_hi_u32 s0, s18, s0
	s_mul_hi_u32 s21, s18, s7
	s_add_u32 s0, s0, s22
	s_addc_u32 s18, 0, s21
	s_add_u32 s0, s0, s20
	s_mul_hi_u32 s1, s6, s7
	s_addc_u32 s0, s18, s19
	s_addc_u32 s1, s1, 0
	s_mul_i32 s7, s6, s7
	s_add_u32 s0, s0, s7
	s_addc_u32 s1, 0, s1
	v_add_co_u32_e32 v2, vcc, s0, v2
	s_cmp_lg_u64 vcc, 0
	s_addc_u32 s0, s6, s1
	v_readlane_b32 s20, v52, 19
	v_readfirstlane_b32 s7, v2
	s_mul_i32 s6, s20, s0
	s_mul_hi_u32 s18, s20, s7
	s_mul_hi_u32 s1, s20, s0
	s_add_u32 s6, s18, s6
	s_addc_u32 s1, 0, s1
	s_mul_hi_u32 s19, s69, s7
	s_mul_i32 s7, s69, s7
	s_add_u32 s6, s6, s7
	s_mul_hi_u32 s18, s69, s0
	s_addc_u32 s1, s1, s19
	s_addc_u32 s6, s18, 0
	s_mul_i32 s0, s69, s0
	s_add_u32 s0, s1, s0
	s_addc_u32 s1, 0, s6
	s_mul_hi_u32 s6, s33, s0
	s_mul_i32 s0, s33, s0
	s_mul_i32 s1, s33, s1
	v_mov_b32_e32 v2, s0
	s_add_i32 s6, s6, s1
	v_sub_co_u32_e32 v2, vcc, s20, v2
	s_cmp_lg_u64 vcc, 0
	s_subb_u32 s0, s69, s6
	v_subrev_co_u32_e32 v3, vcc, s33, v2
	s_cmp_lg_u64 vcc, 0
	s_subb_u32 s1, s0, 0
	v_subrev_co_u32_e32 v4, vcc, s33, v3
	s_cmp_lg_u64 vcc, 0
	s_subb_u32 s6, s1, 0
	v_cmp_le_u32_e32 vcc, s33, v3
	s_cmp_eq_u32 s1, 0
	v_cndmask_b32_e64 v5, 0, -1, vcc
	s_cselect_b64 vcc, -1, 0
	v_cndmask_b32_e32 v5, -1, v5, vcc
	v_mov_b32_e32 v6, s1
	v_mov_b32_e32 v7, s6
	v_cmp_ne_u32_e32 vcc, 0, v5
	v_cndmask_b32_e32 v5, v6, v7, vcc
	v_cndmask_b32_e32 v4, v3, v4, vcc
	v_cmp_le_u32_e32 vcc, s33, v2
	s_cmp_eq_u32 s0, 0
	v_cndmask_b32_e64 v3, 0, -1, vcc
	s_cselect_b64 vcc, -1, 0
	v_cndmask_b32_e32 v3, -1, v3, vcc
	v_mov_b32_e32 v6, s0
	v_cmp_ne_u32_e32 vcc, 0, v3
	v_cndmask_b32_e32 v3, v6, v5, vcc
	v_cndmask_b32_e32 v2, v2, v4, vcc
	s_cbranch_execnz .LBB127_187
.LBB127_186:                            ;   in Loop: Header=BB127_44 Depth=1
	v_cvt_f32_u32_e32 v2, s33
	s_sub_i32 s0, 0, s33
	v_rcp_iflag_f32_e32 v2, v2
	v_mul_f32_e32 v2, 0x4f7ffffe, v2
	v_cvt_u32_f32_e32 v2, v2
	v_mul_lo_u32 v3, s0, v2
	v_mul_hi_u32 v3, v2, v3
	v_add_u32_e32 v2, v2, v3
	v_readlane_b32 s0, v52, 19
	v_mul_hi_u32 v2, s0, v2
	v_mul_lo_u32 v2, v2, s33
	v_sub_u32_e32 v2, s0, v2
	v_subrev_u32_e32 v3, s33, v2
	v_cmp_le_u32_e32 vcc, s33, v2
	v_cndmask_b32_e32 v2, v2, v3, vcc
	v_subrev_u32_e32 v3, s33, v2
	v_cmp_le_u32_e32 vcc, s33, v2
	v_cndmask_b32_e32 v10, v2, v3, vcc
	v_pk_mov_b32 v[2:3], v[10:11], v[10:11] op_sel:[0,1]
.LBB127_187:                            ;   in Loop: Header=BB127_44 Depth=1
	v_readlane_b32 s0, v52, 19
	v_mov_b32_e32 v4, s69
	v_sub_co_u32_e32 v2, vcc, s0, v2
	v_subb_co_u32_e32 v3, vcc, v4, v3, vcc
	v_cmp_gt_u64_e32 vcc, v[2:3], v[0:1]
	s_mov_b64 s[6:7], 0
                                        ; implicit-def: $vgpr31
	s_and_saveexec_b64 s[0:1], vcc
	s_cbranch_execz .LBB127_196
; %bb.188:                              ;   in Loop: Header=BB127_44 Depth=1
	s_mov_b64 s[18:19], 0
	v_pk_mov_b32 v[4:5], v[12:13], v[12:13] op_sel:[0,1]
	v_pk_mov_b32 v[6:7], v[0:1], v[0:1] op_sel:[0,1]
                                        ; implicit-def: $sgpr20_sgpr21
	s_branch .LBB127_190
.LBB127_189:                            ;   in Loop: Header=BB127_190 Depth=2
	s_or_b64 exec, exec, s[6:7]
	s_waitcnt lgkmcnt(0)
	s_barrier
	ds_read_b64 v[30:31], v11 offset:3072
	v_mov_b32_e32 v8, s86
	v_add_co_u32_e64 v6, s[6:7], s33, v6
	v_addc_co_u32_e64 v7, s[6:7], v7, v8, s[6:7]
	s_waitcnt lgkmcnt(0)
	v_cmp_neq_f32_e32 vcc, 0, v30
	v_cmp_ge_u64_e64 s[6:7], v[6:7], v[2:3]
	s_or_b64 s[22:23], s[6:7], vcc
	v_mov_b32_e32 v8, s73
	v_add_co_u32_e64 v4, s[6:7], s72, v4
	v_addc_co_u32_e64 v5, s[6:7], v5, v8, s[6:7]
	s_and_b64 s[6:7], exec, s[22:23]
	s_or_b64 s[18:19], s[6:7], s[18:19]
	s_andn2_b64 s[6:7], s[20:21], exec
	s_and_b64 s[20:21], vcc, exec
	s_or_b64 s[20:21], s[6:7], s[20:21]
	s_barrier
	s_andn2_b64 exec, exec, s[18:19]
	s_cbranch_execz .LBB127_195
.LBB127_190:                            ;   Parent Loop BB127_44 Depth=1
                                        ; =>  This Inner Loop Header: Depth=2
	v_cmp_gt_u64_e32 vcc, s[52:53], v[6:7]
	s_waitcnt vmcnt(0)
	v_mov_b32_e32 v29, 0
	s_and_saveexec_b64 s[6:7], vcc
	s_cbranch_execz .LBB127_192
; %bb.191:                              ;   in Loop: Header=BB127_190 Depth=2
	global_load_dword v29, v[4:5], off
.LBB127_192:                            ;   in Loop: Header=BB127_190 Depth=2
	s_or_b64 exec, exec, s[6:7]
	s_and_saveexec_b64 s[6:7], vcc
	s_cbranch_execz .LBB127_189
; %bb.193:                              ;   in Loop: Header=BB127_190 Depth=2
	s_waitcnt vmcnt(0)
	v_cmp_lt_i32_e32 vcc, -1, v29
	v_cndmask_b32_e32 v8, -1, v50, vcc
	v_xor_b32_e32 v8, v8, v29
	v_cmp_o_f32_e32 vcc, v29, v29
	v_cndmask_b32_e32 v8, -1, v8, vcc
	v_and_b32_e32 v8, s5, v8
	v_cmp_eq_u32_e32 vcc, s80, v8
	s_and_b64 exec, exec, vcc
	s_cbranch_execz .LBB127_189
; %bb.194:                              ;   in Loop: Header=BB127_190 Depth=2
	ds_write_b64 v11, v[28:29] offset:3072
	s_branch .LBB127_189
.LBB127_195:                            ;   in Loop: Header=BB127_44 Depth=1
	s_or_b64 exec, exec, s[18:19]
	s_and_b64 s[6:7], s[20:21], exec
.LBB127_196:                            ;   in Loop: Header=BB127_44 Depth=1
	s_or_b64 exec, exec, s[0:1]
	s_mov_b64 s[22:23], -1
	s_mov_b64 s[20:21], 0
	s_mov_b64 s[18:19], 0
.LBB127_197:                            ;   in Loop: Header=BB127_44 Depth=1
	s_mov_b64 s[0:1], 0
                                        ; implicit-def: $sgpr45
	s_and_saveexec_b64 s[24:25], s[6:7]
	s_cbranch_execz .LBB127_308
; %bb.198:                              ;   in Loop: Header=BB127_44 Depth=1
	s_xor_b64 s[0:1], s[2:3], -1
	s_andn2_b64 vcc, exec, s[0:1]
	s_mov_b32 s45, 1
	s_cbranch_vccnz .LBB127_209
; %bb.199:                              ;   in Loop: Header=BB127_44 Depth=1
	v_pk_mov_b32 v[2:3], s[28:29], s[28:29] op_sel:[0,1]
	v_cmp_gt_u64_e32 vcc, s[64:65], v[2:3]
	s_mov_b64 s[0:1], -1
                                        ; implicit-def: $sgpr45
                                        ; implicit-def: $sgpr2
                                        ; implicit-def: $sgpr3
	s_cbranch_vccnz .LBB127_205
; %bb.200:                              ;   in Loop: Header=BB127_44 Depth=1
	ds_read_b64 v[2:3], v11 offset:5120
	s_waitcnt lgkmcnt(0)
	v_cmp_ne_u64_e32 vcc, 0, v[2:3]
	s_cbranch_vccnz .LBB127_204
; %bb.201:                              ;   in Loop: Header=BB127_44 Depth=1
	s_mov_b64 s[0:1], exec
	v_readlane_b32 s2, v52, 10
	v_readlane_b32 s3, v52, 11
	s_and_b64 s[2:3], s[0:1], s[2:3]
	s_mov_b64 exec, s[2:3]
	s_cbranch_execz .LBB127_203
; %bb.202:                              ;   in Loop: Header=BB127_44 Depth=1
	v_pk_mov_b32 v[2:3], s[28:29], s[28:29] op_sel:[0,1]
	ds_write_b64 v11, v[2:3] offset:5128
.LBB127_203:                            ;   in Loop: Header=BB127_44 Depth=1
	s_or_b64 exec, exec, s[0:1]
	s_waitcnt lgkmcnt(0)
	s_barrier
.LBB127_204:                            ;   in Loop: Header=BB127_44 Depth=1
	s_lshl_b32 s0, 1, s38
	s_and_b32 s1, s80, s39
	s_or_b32 s2, s1, s0
	s_or_b32 s3, s5, s44
	s_mov_b64 s[0:1], 0
	s_mov_b32 s45, 8
.LBB127_205:                            ;   in Loop: Header=BB127_44 Depth=1
	s_andn2_b64 vcc, exec, s[0:1]
	s_cbranch_vccnz .LBB127_207
; %bb.206:                              ;   in Loop: Header=BB127_44 Depth=1
	s_sub_u32 s64, s64, s28
	s_subb_u32 s65, s65, s29
	s_mov_b64 s[0:1], -1
	s_mov_b32 s45, 0
	s_mov_b32 s2, s80
	s_mov_b32 s3, s5
.LBB127_207:                            ;   in Loop: Header=BB127_44 Depth=1
	s_mov_b32 s5, s3
	s_mov_b32 s80, s2
	s_andn2_b64 vcc, exec, s[0:1]
	s_mov_b64 s[0:1], -1
	s_cbranch_vccz .LBB127_210
.LBB127_208:                            ;   in Loop: Header=BB127_44 Depth=1
	s_mov_b64 s[70:71], s[30:31]
                                        ; implicit-def: $sgpr28_sgpr29
                                        ; implicit-def: $sgpr30_sgpr31
                                        ; implicit-def: $sgpr2_sgpr3
	s_branch .LBB127_307
.LBB127_209:                            ;   in Loop: Header=BB127_44 Depth=1
	s_mov_b64 s[64:65], 1
	s_mov_b64 s[0:1], -1
	s_cbranch_execnz .LBB127_208
.LBB127_210:                            ;   in Loop: Header=BB127_44 Depth=1
	s_cmp_eq_u64 s[16:17], 1
	s_cselect_b64 s[0:1], -1, 0
	s_cmp_eq_u64 s[64:65], 1
	s_cselect_b64 s[2:3], -1, 0
	s_mov_b64 s[62:63], s[36:37]
	s_and_b64 s[36:37], s[0:1], s[2:3]
	s_mov_b64 s[8:9], s[34:35]
	s_mov_b64 s[6:7], -1
	s_and_b64 vcc, exec, s[36:37]
	s_cbranch_vccz .LBB127_225
; %bb.211:                              ;   in Loop: Header=BB127_44 Depth=1
	ds_read_b64 v[2:3], v11 offset:5120
	s_waitcnt lgkmcnt(0)
	s_barrier
	v_readfirstlane_b32 s0, v2
	v_readfirstlane_b32 s1, v3
	s_mov_b64 s[2:3], exec
	v_readlane_b32 s6, v52, 12
	v_readlane_b32 s7, v52, 13
	s_and_b64 s[6:7], s[2:3], s[6:7]
	s_mov_b64 exec, s[6:7]
	s_cbranch_execz .LBB127_213
; %bb.212:                              ;   in Loop: Header=BB127_44 Depth=1
	ds_write_b32 v45, v11
.LBB127_213:                            ;   in Loop: Header=BB127_44 Depth=1
	s_or_b64 exec, exec, s[2:3]
	s_lshl_b32 s2, 2, s38
	s_and_b32 s3, s80, s39
	s_or_b32 s80, s3, s2
	s_or_b32 s5, s5, s44
	s_cmp_eq_u64 s[0:1], 0
	s_mov_b64 s[70:71], s[30:31]
	s_waitcnt lgkmcnt(0)
	s_barrier
	s_cbranch_scc1 .LBB127_228
; %bb.214:                              ;   in Loop: Header=BB127_44 Depth=1
	v_readlane_b32 s2, v52, 18
	s_add_u32 s26, s2, s0
	v_readlane_b32 s2, v52, 20
	s_addc_u32 s3, s2, s1
	s_mov_b32 s2, s77
	s_cmp_lg_u64 s[2:3], 0
	s_cbranch_scc0 .LBB127_273
; %bb.215:                              ;   in Loop: Header=BB127_44 Depth=1
	v_cvt_f32_u32_e32 v2, s33
	s_sub_u32 s2, 0, s33
	s_subb_u32 s6, 0, 0
	v_mac_f32_e32 v2, 0, v51
	v_rcp_f32_e32 v2, v2
	v_mul_f32_e32 v2, 0x5f7ffffc, v2
	v_mul_f32_e32 v3, 0x2f800000, v2
	v_trunc_f32_e32 v3, v3
	v_mac_f32_e32 v2, 0xcf800000, v3
	v_cvt_u32_f32_e32 v3, v3
	v_cvt_u32_f32_e32 v2, v2
	v_readfirstlane_b32 s7, v3
	v_readfirstlane_b32 s27, v2
	s_mul_i32 s28, s2, s7
	s_mul_hi_u32 s30, s2, s27
	s_mul_i32 s29, s6, s27
	s_add_i32 s28, s30, s28
	s_mul_i32 s31, s2, s27
	s_add_i32 s28, s28, s29
	s_mul_hi_u32 s30, s27, s31
	s_mul_hi_u32 s29, s27, s28
	s_mul_i32 s27, s27, s28
	s_add_u32 s27, s30, s27
	s_addc_u32 s29, 0, s29
	s_mul_hi_u32 s34, s7, s31
	s_mul_i32 s31, s7, s31
	s_add_u32 s27, s27, s31
	s_mul_hi_u32 s30, s7, s28
	s_addc_u32 s27, s29, s34
	s_addc_u32 s29, s30, 0
	s_mul_i32 s28, s7, s28
	s_add_u32 s27, s27, s28
	s_addc_u32 s28, 0, s29
	v_add_co_u32_e32 v2, vcc, s27, v2
	s_cmp_lg_u64 vcc, 0
	s_addc_u32 s7, s7, s28
	v_readfirstlane_b32 s28, v2
	s_mul_i32 s27, s2, s7
	s_mul_hi_u32 s29, s2, s28
	s_add_i32 s27, s29, s27
	s_mul_i32 s6, s6, s28
	s_add_i32 s27, s27, s6
	s_mul_i32 s2, s2, s28
	s_mul_hi_u32 s29, s7, s2
	s_mul_i32 s30, s7, s2
	s_mul_i32 s34, s28, s27
	s_mul_hi_u32 s2, s28, s2
	s_mul_hi_u32 s31, s28, s27
	s_add_u32 s2, s2, s34
	s_addc_u32 s28, 0, s31
	s_add_u32 s2, s2, s30
	s_mul_hi_u32 s6, s7, s27
	s_addc_u32 s2, s28, s29
	s_addc_u32 s6, s6, 0
	s_mul_i32 s27, s7, s27
	s_add_u32 s2, s2, s27
	s_addc_u32 s6, 0, s6
	v_add_co_u32_e32 v2, vcc, s2, v2
	s_cmp_lg_u64 vcc, 0
	s_addc_u32 s2, s7, s6
	v_readfirstlane_b32 s27, v2
	s_mul_i32 s7, s26, s2
	s_mul_hi_u32 s28, s26, s27
	s_mul_hi_u32 s6, s26, s2
	s_add_u32 s7, s28, s7
	s_addc_u32 s6, 0, s6
	s_mul_hi_u32 s29, s3, s27
	s_mul_i32 s27, s3, s27
	s_add_u32 s7, s7, s27
	s_mul_hi_u32 s28, s3, s2
	s_addc_u32 s6, s6, s29
	s_addc_u32 s7, s28, 0
	s_mul_i32 s2, s3, s2
	s_add_u32 s2, s6, s2
	s_addc_u32 s6, 0, s7
	s_mul_hi_u32 s7, s33, s2
	s_mul_i32 s2, s33, s2
	s_mul_i32 s6, s33, s6
	v_mov_b32_e32 v2, s2
	s_add_i32 s7, s7, s6
	v_sub_co_u32_e32 v2, vcc, s26, v2
	s_cmp_lg_u64 vcc, 0
	s_subb_u32 s2, s3, s7
	v_subrev_co_u32_e32 v3, vcc, s33, v2
	s_cmp_lg_u64 vcc, 0
	s_subb_u32 s6, s2, 0
	v_subrev_co_u32_e32 v4, vcc, s33, v3
	s_cmp_lg_u64 vcc, 0
	s_subb_u32 s7, s6, 0
	v_cmp_le_u32_e32 vcc, s33, v3
	s_cmp_eq_u32 s6, 0
	v_cndmask_b32_e64 v5, 0, -1, vcc
	s_cselect_b64 vcc, -1, 0
	v_cndmask_b32_e32 v5, -1, v5, vcc
	v_mov_b32_e32 v6, s6
	v_mov_b32_e32 v7, s7
	v_cmp_ne_u32_e32 vcc, 0, v5
	v_cndmask_b32_e32 v5, v6, v7, vcc
	v_cndmask_b32_e32 v4, v3, v4, vcc
	v_cmp_le_u32_e32 vcc, s33, v2
	s_cmp_eq_u32 s2, 0
	v_cndmask_b32_e64 v3, 0, -1, vcc
	s_cselect_b64 vcc, -1, 0
	v_cndmask_b32_e32 v3, -1, v3, vcc
	v_mov_b32_e32 v6, s2
	v_cmp_ne_u32_e32 vcc, 0, v3
	v_cndmask_b32_e32 v3, v6, v5, vcc
	v_cndmask_b32_e32 v2, v2, v4, vcc
	s_cbranch_execnz .LBB127_217
.LBB127_216:                            ;   in Loop: Header=BB127_44 Depth=1
	v_cvt_f32_u32_e32 v2, s33
	s_sub_i32 s2, 0, s33
	v_rcp_iflag_f32_e32 v2, v2
	v_mul_f32_e32 v2, 0x4f7ffffe, v2
	v_cvt_u32_f32_e32 v2, v2
	v_mul_lo_u32 v3, s2, v2
	v_mul_hi_u32 v3, v2, v3
	v_add_u32_e32 v2, v2, v3
	v_mul_hi_u32 v2, s26, v2
	v_mul_lo_u32 v2, v2, s33
	v_sub_u32_e32 v2, s26, v2
	v_subrev_u32_e32 v3, s33, v2
	v_cmp_le_u32_e32 vcc, s33, v2
	v_cndmask_b32_e32 v2, v2, v3, vcc
	v_subrev_u32_e32 v3, s33, v2
	v_cmp_le_u32_e32 vcc, s33, v2
	v_cndmask_b32_e32 v10, v2, v3, vcc
	v_pk_mov_b32 v[2:3], v[10:11], v[10:11] op_sel:[0,1]
.LBB127_217:                            ;   in Loop: Header=BB127_44 Depth=1
	v_mov_b32_e32 v4, s3
	v_sub_co_u32_e32 v2, vcc, s26, v2
	v_subb_co_u32_e32 v3, vcc, v4, v3, vcc
	v_cmp_gt_u64_e32 vcc, v[2:3], v[0:1]
	s_mov_b64 s[6:7], 0
                                        ; implicit-def: $vgpr31
	s_and_saveexec_b64 s[2:3], vcc
	s_cbranch_execz .LBB127_230
; %bb.218:                              ;   in Loop: Header=BB127_44 Depth=1
	s_mov_b64 s[26:27], 0
	v_mov_b32_e32 v6, v14
	v_pk_mov_b32 v[4:5], v[0:1], v[0:1] op_sel:[0,1]
                                        ; implicit-def: $sgpr28_sgpr29
	s_branch .LBB127_220
.LBB127_219:                            ;   in Loop: Header=BB127_220 Depth=2
	s_or_b64 exec, exec, s[6:7]
	s_waitcnt lgkmcnt(0)
	s_barrier
	ds_read_b64 v[30:31], v11 offset:3072
	v_mov_b32_e32 v7, s86
	v_add_co_u32_e64 v4, s[6:7], s33, v4
	v_addc_co_u32_e64 v5, s[6:7], v5, v7, s[6:7]
	s_waitcnt lgkmcnt(0)
	v_cmp_neq_f32_e32 vcc, 0, v30
	v_cmp_ge_u64_e64 s[6:7], v[4:5], v[2:3]
	s_or_b64 s[6:7], s[6:7], vcc
	s_and_b64 s[6:7], exec, s[6:7]
	s_or_b64 s[26:27], s[6:7], s[26:27]
	s_andn2_b64 s[6:7], s[28:29], exec
	s_and_b64 s[28:29], vcc, exec
	v_add_u32_e32 v6, s4, v6
	s_or_b64 s[28:29], s[6:7], s[28:29]
	s_barrier
	s_andn2_b64 exec, exec, s[26:27]
	s_cbranch_execz .LBB127_229
.LBB127_220:                            ;   Parent Loop BB127_44 Depth=1
                                        ; =>  This Inner Loop Header: Depth=2
	v_cmp_gt_u64_e32 vcc, s[0:1], v[4:5]
	s_waitcnt vmcnt(0)
	v_mov_b32_e32 v29, 0
	s_and_saveexec_b64 s[6:7], vcc
	s_cbranch_execz .LBB127_222
; %bb.221:                              ;   in Loop: Header=BB127_220 Depth=2
	ds_read_b32 v29, v6
.LBB127_222:                            ;   in Loop: Header=BB127_220 Depth=2
	s_or_b64 exec, exec, s[6:7]
	s_and_saveexec_b64 s[6:7], vcc
	s_cbranch_execz .LBB127_219
; %bb.223:                              ;   in Loop: Header=BB127_220 Depth=2
	s_waitcnt lgkmcnt(0)
	v_cmp_lt_i32_e32 vcc, -1, v29
	v_cndmask_b32_e32 v7, -1, v50, vcc
	v_xor_b32_e32 v7, v7, v29
	v_cmp_o_f32_e32 vcc, v29, v29
	v_cndmask_b32_e32 v7, -1, v7, vcc
	v_and_b32_e32 v7, s5, v7
	v_cmp_eq_u32_e32 vcc, s80, v7
	s_and_b64 exec, exec, vcc
	s_cbranch_execz .LBB127_219
; %bb.224:                              ;   in Loop: Header=BB127_220 Depth=2
	ds_write_b64 v11, v[28:29] offset:3072
	s_branch .LBB127_219
.LBB127_225:                            ;   in Loop: Header=BB127_44 Depth=1
	s_mov_b64 s[70:71], s[30:31]
                                        ; implicit-def: $sgpr2_sgpr3
                                        ; implicit-def: $sgpr30_sgpr31
                                        ; implicit-def: $sgpr28_sgpr29
	s_branch .LBB127_244
.LBB127_226:                            ;   in Loop: Header=BB127_44 Depth=1
                                        ; implicit-def: $vgpr2_vgpr3
	s_branch .LBB127_166
.LBB127_227:                            ;   in Loop: Header=BB127_44 Depth=1
                                        ; implicit-def: $vgpr2_vgpr3
	s_branch .LBB127_186
.LBB127_228:                            ;   in Loop: Header=BB127_44 Depth=1
	s_mov_b64 s[2:3], -1
	s_mov_b64 s[6:7], 0
                                        ; implicit-def: $sgpr28_sgpr29
                                        ; implicit-def: $vgpr31
	s_mov_b64 s[30:31], s[2:3]
	s_cbranch_execnz .LBB127_231
	s_branch .LBB127_244
.LBB127_229:                            ;   in Loop: Header=BB127_44 Depth=1
	s_or_b64 exec, exec, s[26:27]
	s_and_b64 s[6:7], s[28:29], exec
.LBB127_230:                            ;   in Loop: Header=BB127_44 Depth=1
	s_or_b64 exec, exec, s[2:3]
	s_mov_b64 s[28:29], -1
	s_mov_b64 s[2:3], 0
	s_mov_b64 s[30:31], s[2:3]
	s_branch .LBB127_244
.LBB127_231:                            ;   in Loop: Header=BB127_44 Depth=1
	s_mov_b32 s68, s77
	s_cmp_lg_u64 s[68:69], 0
	s_cbranch_scc0 .LBB127_274
; %bb.232:                              ;   in Loop: Header=BB127_44 Depth=1
	v_cvt_f32_u32_e32 v2, s33
	s_sub_u32 s0, 0, s33
	s_subb_u32 s1, 0, 0
	v_mac_f32_e32 v2, 0, v51
	v_rcp_f32_e32 v2, v2
	v_mul_f32_e32 v2, 0x5f7ffffc, v2
	v_mul_f32_e32 v3, 0x2f800000, v2
	v_trunc_f32_e32 v3, v3
	v_mac_f32_e32 v2, 0xcf800000, v3
	v_cvt_u32_f32_e32 v3, v3
	v_cvt_u32_f32_e32 v2, v2
	v_readfirstlane_b32 s2, v3
	v_readfirstlane_b32 s3, v2
	s_mul_i32 s6, s0, s2
	s_mul_hi_u32 s26, s0, s3
	s_mul_i32 s7, s1, s3
	s_add_i32 s6, s26, s6
	s_mul_i32 s27, s0, s3
	s_add_i32 s6, s6, s7
	s_mul_hi_u32 s26, s3, s27
	s_mul_hi_u32 s7, s3, s6
	s_mul_i32 s3, s3, s6
	s_add_u32 s3, s26, s3
	s_addc_u32 s7, 0, s7
	s_mul_hi_u32 s28, s2, s27
	s_mul_i32 s27, s2, s27
	s_add_u32 s3, s3, s27
	s_mul_hi_u32 s26, s2, s6
	s_addc_u32 s3, s7, s28
	s_addc_u32 s7, s26, 0
	s_mul_i32 s6, s2, s6
	s_add_u32 s3, s3, s6
	s_addc_u32 s6, 0, s7
	v_add_co_u32_e32 v2, vcc, s3, v2
	s_cmp_lg_u64 vcc, 0
	s_addc_u32 s2, s2, s6
	v_readfirstlane_b32 s6, v2
	s_mul_i32 s3, s0, s2
	s_mul_hi_u32 s7, s0, s6
	s_add_i32 s3, s7, s3
	s_mul_i32 s1, s1, s6
	s_add_i32 s3, s3, s1
	s_mul_i32 s0, s0, s6
	s_mul_hi_u32 s7, s2, s0
	s_mul_i32 s26, s2, s0
	s_mul_i32 s28, s6, s3
	s_mul_hi_u32 s0, s6, s0
	s_mul_hi_u32 s27, s6, s3
	s_add_u32 s0, s0, s28
	s_addc_u32 s6, 0, s27
	s_add_u32 s0, s0, s26
	s_mul_hi_u32 s1, s2, s3
	s_addc_u32 s0, s6, s7
	s_addc_u32 s1, s1, 0
	s_mul_i32 s3, s2, s3
	s_add_u32 s0, s0, s3
	s_addc_u32 s1, 0, s1
	v_add_co_u32_e32 v2, vcc, s0, v2
	s_cmp_lg_u64 vcc, 0
	s_addc_u32 s0, s2, s1
	v_readlane_b32 s26, v52, 19
	v_readfirstlane_b32 s3, v2
	s_mul_i32 s2, s26, s0
	s_mul_hi_u32 s6, s26, s3
	s_mul_hi_u32 s1, s26, s0
	s_add_u32 s2, s6, s2
	s_addc_u32 s1, 0, s1
	s_mul_hi_u32 s7, s69, s3
	s_mul_i32 s3, s69, s3
	s_add_u32 s2, s2, s3
	s_mul_hi_u32 s6, s69, s0
	s_addc_u32 s1, s1, s7
	s_addc_u32 s2, s6, 0
	s_mul_i32 s0, s69, s0
	s_add_u32 s0, s1, s0
	s_addc_u32 s1, 0, s2
	s_mul_hi_u32 s2, s33, s0
	s_mul_i32 s0, s33, s0
	s_mul_i32 s1, s33, s1
	v_mov_b32_e32 v2, s0
	s_add_i32 s2, s2, s1
	v_sub_co_u32_e32 v2, vcc, s26, v2
	s_cmp_lg_u64 vcc, 0
	s_subb_u32 s0, s69, s2
	v_subrev_co_u32_e32 v3, vcc, s33, v2
	s_cmp_lg_u64 vcc, 0
	s_subb_u32 s1, s0, 0
	v_subrev_co_u32_e32 v4, vcc, s33, v3
	s_cmp_lg_u64 vcc, 0
	s_subb_u32 s2, s1, 0
	v_cmp_le_u32_e32 vcc, s33, v3
	s_cmp_eq_u32 s1, 0
	v_cndmask_b32_e64 v5, 0, -1, vcc
	s_cselect_b64 vcc, -1, 0
	v_cndmask_b32_e32 v5, -1, v5, vcc
	v_mov_b32_e32 v6, s1
	v_mov_b32_e32 v7, s2
	v_cmp_ne_u32_e32 vcc, 0, v5
	v_cndmask_b32_e32 v5, v6, v7, vcc
	v_cndmask_b32_e32 v4, v3, v4, vcc
	v_cmp_le_u32_e32 vcc, s33, v2
	s_cmp_eq_u32 s0, 0
	v_cndmask_b32_e64 v3, 0, -1, vcc
	s_cselect_b64 vcc, -1, 0
	v_cndmask_b32_e32 v3, -1, v3, vcc
	v_mov_b32_e32 v6, s0
	v_cmp_ne_u32_e32 vcc, 0, v3
	v_cndmask_b32_e32 v3, v6, v5, vcc
	v_cndmask_b32_e32 v2, v2, v4, vcc
	s_cbranch_execnz .LBB127_234
.LBB127_233:                            ;   in Loop: Header=BB127_44 Depth=1
	v_cvt_f32_u32_e32 v2, s33
	s_sub_i32 s0, 0, s33
	v_rcp_iflag_f32_e32 v2, v2
	v_mul_f32_e32 v2, 0x4f7ffffe, v2
	v_cvt_u32_f32_e32 v2, v2
	v_mul_lo_u32 v3, s0, v2
	v_mul_hi_u32 v3, v2, v3
	v_add_u32_e32 v2, v2, v3
	v_readlane_b32 s0, v52, 19
	v_mul_hi_u32 v2, s0, v2
	v_mul_lo_u32 v2, v2, s33
	v_sub_u32_e32 v2, s0, v2
	v_subrev_u32_e32 v3, s33, v2
	v_cmp_le_u32_e32 vcc, s33, v2
	v_cndmask_b32_e32 v2, v2, v3, vcc
	v_subrev_u32_e32 v3, s33, v2
	v_cmp_le_u32_e32 vcc, s33, v2
	v_cndmask_b32_e32 v10, v2, v3, vcc
	v_pk_mov_b32 v[2:3], v[10:11], v[10:11] op_sel:[0,1]
.LBB127_234:                            ;   in Loop: Header=BB127_44 Depth=1
	v_readlane_b32 s0, v52, 19
	v_mov_b32_e32 v4, s69
	v_sub_co_u32_e32 v2, vcc, s0, v2
	v_subb_co_u32_e32 v3, vcc, v4, v3, vcc
	v_cmp_gt_u64_e32 vcc, v[2:3], v[0:1]
	s_mov_b64 s[6:7], 0
                                        ; implicit-def: $vgpr31
	s_and_saveexec_b64 s[0:1], vcc
	s_cbranch_execz .LBB127_243
; %bb.235:                              ;   in Loop: Header=BB127_44 Depth=1
	s_mov_b64 s[2:3], 0
	v_pk_mov_b32 v[4:5], v[12:13], v[12:13] op_sel:[0,1]
	v_pk_mov_b32 v[6:7], v[0:1], v[0:1] op_sel:[0,1]
                                        ; implicit-def: $sgpr26_sgpr27
	s_branch .LBB127_237
.LBB127_236:                            ;   in Loop: Header=BB127_237 Depth=2
	s_or_b64 exec, exec, s[6:7]
	s_waitcnt lgkmcnt(0)
	s_barrier
	ds_read_b64 v[30:31], v11 offset:3072
	v_mov_b32_e32 v8, s86
	v_add_co_u32_e64 v6, s[6:7], s33, v6
	v_addc_co_u32_e64 v7, s[6:7], v7, v8, s[6:7]
	s_waitcnt lgkmcnt(0)
	v_cmp_neq_f32_e32 vcc, 0, v30
	v_cmp_ge_u64_e64 s[6:7], v[6:7], v[2:3]
	s_or_b64 s[28:29], s[6:7], vcc
	v_mov_b32_e32 v8, s73
	v_add_co_u32_e64 v4, s[6:7], s72, v4
	v_addc_co_u32_e64 v5, s[6:7], v5, v8, s[6:7]
	s_and_b64 s[6:7], exec, s[28:29]
	s_or_b64 s[2:3], s[6:7], s[2:3]
	s_andn2_b64 s[6:7], s[26:27], exec
	s_and_b64 s[26:27], vcc, exec
	s_or_b64 s[26:27], s[6:7], s[26:27]
	s_barrier
	s_andn2_b64 exec, exec, s[2:3]
	s_cbranch_execz .LBB127_242
.LBB127_237:                            ;   Parent Loop BB127_44 Depth=1
                                        ; =>  This Inner Loop Header: Depth=2
	v_cmp_gt_u64_e32 vcc, s[52:53], v[6:7]
	s_waitcnt vmcnt(0)
	v_mov_b32_e32 v29, 0
	s_and_saveexec_b64 s[6:7], vcc
	s_cbranch_execz .LBB127_239
; %bb.238:                              ;   in Loop: Header=BB127_237 Depth=2
	global_load_dword v29, v[4:5], off
.LBB127_239:                            ;   in Loop: Header=BB127_237 Depth=2
	s_or_b64 exec, exec, s[6:7]
	s_and_saveexec_b64 s[6:7], vcc
	s_cbranch_execz .LBB127_236
; %bb.240:                              ;   in Loop: Header=BB127_237 Depth=2
	s_waitcnt vmcnt(0)
	v_cmp_lt_i32_e32 vcc, -1, v29
	v_cndmask_b32_e32 v8, -1, v50, vcc
	v_xor_b32_e32 v8, v8, v29
	v_cmp_o_f32_e32 vcc, v29, v29
	v_cndmask_b32_e32 v8, -1, v8, vcc
	v_and_b32_e32 v8, s5, v8
	v_cmp_eq_u32_e32 vcc, s80, v8
	s_and_b64 exec, exec, vcc
	s_cbranch_execz .LBB127_236
; %bb.241:                              ;   in Loop: Header=BB127_237 Depth=2
	ds_write_b64 v11, v[28:29] offset:3072
	s_branch .LBB127_236
.LBB127_242:                            ;   in Loop: Header=BB127_44 Depth=1
	s_or_b64 exec, exec, s[2:3]
	s_and_b64 s[6:7], s[26:27], exec
.LBB127_243:                            ;   in Loop: Header=BB127_44 Depth=1
	s_or_b64 exec, exec, s[0:1]
	s_mov_b64 s[30:31], -1
	s_mov_b64 s[2:3], 0
	s_mov_b64 s[28:29], 0
.LBB127_244:                            ;   in Loop: Header=BB127_44 Depth=1
	s_mov_b64 s[0:1], 0
                                        ; implicit-def: $sgpr45
	s_and_saveexec_b64 s[34:35], s[6:7]
	s_cbranch_execz .LBB127_306
; %bb.245:                              ;   in Loop: Header=BB127_44 Depth=1
	s_xor_b64 s[0:1], s[36:37], -1
	s_andn2_b64 vcc, exec, s[0:1]
	s_mov_b32 s45, 1
	s_cbranch_vccnz .LBB127_256
; %bb.246:                              ;   in Loop: Header=BB127_44 Depth=1
	v_pk_mov_b32 v[2:3], s[16:17], s[16:17] op_sel:[0,1]
	v_cmp_gt_u64_e32 vcc, s[64:65], v[2:3]
	s_mov_b64 s[0:1], -1
                                        ; implicit-def: $sgpr45
                                        ; implicit-def: $sgpr6
                                        ; implicit-def: $sgpr7
	s_cbranch_vccnz .LBB127_252
; %bb.247:                              ;   in Loop: Header=BB127_44 Depth=1
	ds_read_b64 v[2:3], v11 offset:5120
	s_waitcnt lgkmcnt(0)
	v_cmp_ne_u64_e32 vcc, 0, v[2:3]
	s_cbranch_vccnz .LBB127_251
; %bb.248:                              ;   in Loop: Header=BB127_44 Depth=1
	s_mov_b64 s[0:1], exec
	v_readlane_b32 s6, v52, 10
	v_readlane_b32 s7, v52, 11
	s_and_b64 s[6:7], s[0:1], s[6:7]
	s_mov_b64 exec, s[6:7]
	s_cbranch_execz .LBB127_250
; %bb.249:                              ;   in Loop: Header=BB127_44 Depth=1
	v_pk_mov_b32 v[2:3], s[16:17], s[16:17] op_sel:[0,1]
	ds_write_b64 v11, v[2:3] offset:5128
.LBB127_250:                            ;   in Loop: Header=BB127_44 Depth=1
	s_or_b64 exec, exec, s[0:1]
	s_waitcnt lgkmcnt(0)
	s_barrier
.LBB127_251:                            ;   in Loop: Header=BB127_44 Depth=1
	s_lshl_b32 s0, 2, s38
	s_and_b32 s1, s80, s39
	s_or_b32 s6, s1, s0
	s_or_b32 s7, s5, s44
	s_mov_b64 s[0:1], 0
	s_mov_b32 s45, 8
.LBB127_252:                            ;   in Loop: Header=BB127_44 Depth=1
	s_mov_b64 s[82:83], s[40:41]
	s_andn2_b64 vcc, exec, s[0:1]
	s_cbranch_vccnz .LBB127_254
; %bb.253:                              ;   in Loop: Header=BB127_44 Depth=1
	s_sub_u32 s64, s64, s16
	s_subb_u32 s65, s65, s17
	s_mov_b64 s[0:1], -1
	s_mov_b32 s45, 0
	s_mov_b32 s6, s80
	;; [unrolled: 1-line block ×3, first 2 shown]
.LBB127_254:                            ;   in Loop: Header=BB127_44 Depth=1
	s_mov_b32 s5, s7
	s_mov_b32 s80, s6
	s_andn2_b64 vcc, exec, s[0:1]
	s_mov_b64 s[40:41], -1
	s_cbranch_vccz .LBB127_257
.LBB127_255:                            ;   in Loop: Header=BB127_44 Depth=1
                                        ; implicit-def: $sgpr0_sgpr1
                                        ; implicit-def: $sgpr26_sgpr27
                                        ; implicit-def: $sgpr6_sgpr7
	s_branch .LBB127_305
.LBB127_256:                            ;   in Loop: Header=BB127_44 Depth=1
	s_mov_b64 s[82:83], s[40:41]
	s_mov_b64 s[64:65], 1
	s_mov_b64 s[40:41], -1
	s_cbranch_execnz .LBB127_255
.LBB127_257:                            ;   in Loop: Header=BB127_44 Depth=1
	s_cmp_eq_u64 s[10:11], 1
	s_cselect_b64 s[0:1], -1, 0
	s_cmp_eq_u64 s[64:65], 1
	s_cselect_b64 s[6:7], -1, 0
	s_and_b64 s[16:17], s[0:1], s[6:7]
	s_mov_b64 s[36:37], -1
	s_and_b64 vcc, exec, s[16:17]
	s_cbranch_vccz .LBB127_272
; %bb.258:                              ;   in Loop: Header=BB127_44 Depth=1
	ds_read_b64 v[2:3], v11 offset:5120
	s_waitcnt lgkmcnt(0)
	s_barrier
	v_readfirstlane_b32 s0, v2
	v_readfirstlane_b32 s1, v3
	s_mov_b64 s[6:7], exec
	v_readlane_b32 s26, v52, 12
	v_readlane_b32 s27, v52, 13
	s_and_b64 s[26:27], s[6:7], s[26:27]
	s_mov_b64 exec, s[26:27]
	s_cbranch_execz .LBB127_260
; %bb.259:                              ;   in Loop: Header=BB127_44 Depth=1
	ds_write_b32 v45, v11
.LBB127_260:                            ;   in Loop: Header=BB127_44 Depth=1
	s_or_b64 exec, exec, s[6:7]
	s_or_b32 s80, s80, s44
	s_or_b32 s5, s5, s44
	s_cmp_eq_u64 s[0:1], 0
	s_waitcnt lgkmcnt(0)
	s_barrier
	s_cbranch_scc1 .LBB127_275
; %bb.261:                              ;   in Loop: Header=BB127_44 Depth=1
	v_readlane_b32 s6, v52, 18
	s_add_u32 s36, s6, s0
	v_readlane_b32 s6, v52, 20
	s_addc_u32 s7, s6, s1
	s_mov_b32 s6, s77
	s_cmp_lg_u64 s[6:7], 0
	s_cbranch_scc0 .LBB127_311
; %bb.262:                              ;   in Loop: Header=BB127_44 Depth=1
	v_cvt_f32_u32_e32 v2, s33
	s_sub_u32 s6, 0, s33
	s_subb_u32 s26, 0, 0
	v_mac_f32_e32 v2, 0, v51
	v_rcp_f32_e32 v2, v2
	v_mul_f32_e32 v2, 0x5f7ffffc, v2
	v_mul_f32_e32 v3, 0x2f800000, v2
	v_trunc_f32_e32 v3, v3
	v_mac_f32_e32 v2, 0xcf800000, v3
	v_cvt_u32_f32_e32 v3, v3
	v_cvt_u32_f32_e32 v2, v2
	v_readfirstlane_b32 s27, v3
	v_readfirstlane_b32 s37, v2
	s_mul_i32 s38, s6, s27
	s_mul_hi_u32 s40, s6, s37
	s_mul_i32 s39, s26, s37
	s_add_i32 s38, s40, s38
	s_mul_i32 s41, s6, s37
	s_add_i32 s38, s38, s39
	s_mul_hi_u32 s40, s37, s41
	s_mul_hi_u32 s39, s37, s38
	s_mul_i32 s37, s37, s38
	s_add_u32 s37, s40, s37
	s_addc_u32 s39, 0, s39
	s_mul_hi_u32 s42, s27, s41
	s_mul_i32 s41, s27, s41
	s_add_u32 s37, s37, s41
	s_mul_hi_u32 s40, s27, s38
	s_addc_u32 s37, s39, s42
	s_addc_u32 s39, s40, 0
	s_mul_i32 s38, s27, s38
	s_add_u32 s37, s37, s38
	s_addc_u32 s38, 0, s39
	v_add_co_u32_e32 v2, vcc, s37, v2
	s_cmp_lg_u64 vcc, 0
	s_addc_u32 s27, s27, s38
	v_readfirstlane_b32 s38, v2
	s_mul_i32 s37, s6, s27
	s_mul_hi_u32 s39, s6, s38
	s_add_i32 s37, s39, s37
	s_mul_i32 s26, s26, s38
	s_add_i32 s37, s37, s26
	s_mul_i32 s6, s6, s38
	s_mul_hi_u32 s39, s27, s6
	s_mul_i32 s40, s27, s6
	s_mul_i32 s42, s38, s37
	s_mul_hi_u32 s6, s38, s6
	s_mul_hi_u32 s41, s38, s37
	s_add_u32 s6, s6, s42
	s_addc_u32 s38, 0, s41
	s_add_u32 s6, s6, s40
	s_mul_hi_u32 s26, s27, s37
	s_addc_u32 s6, s38, s39
	s_addc_u32 s26, s26, 0
	s_mul_i32 s37, s27, s37
	s_add_u32 s6, s6, s37
	s_addc_u32 s26, 0, s26
	v_add_co_u32_e32 v2, vcc, s6, v2
	s_cmp_lg_u64 vcc, 0
	s_addc_u32 s6, s27, s26
	v_readfirstlane_b32 s37, v2
	s_mul_i32 s27, s36, s6
	s_mul_hi_u32 s38, s36, s37
	s_mul_hi_u32 s26, s36, s6
	s_add_u32 s27, s38, s27
	s_addc_u32 s26, 0, s26
	s_mul_hi_u32 s39, s7, s37
	s_mul_i32 s37, s7, s37
	s_add_u32 s27, s27, s37
	s_mul_hi_u32 s38, s7, s6
	s_addc_u32 s26, s26, s39
	s_addc_u32 s27, s38, 0
	s_mul_i32 s6, s7, s6
	s_add_u32 s6, s26, s6
	s_addc_u32 s26, 0, s27
	s_mul_hi_u32 s27, s33, s6
	s_mul_i32 s6, s33, s6
	s_mul_i32 s26, s33, s26
	v_mov_b32_e32 v2, s6
	s_add_i32 s27, s27, s26
	v_sub_co_u32_e32 v2, vcc, s36, v2
	s_cmp_lg_u64 vcc, 0
	s_subb_u32 s6, s7, s27
	v_subrev_co_u32_e32 v3, vcc, s33, v2
	s_cmp_lg_u64 vcc, 0
	s_subb_u32 s26, s6, 0
	v_subrev_co_u32_e32 v4, vcc, s33, v3
	s_cmp_lg_u64 vcc, 0
	s_subb_u32 s27, s26, 0
	v_cmp_le_u32_e32 vcc, s33, v3
	s_cmp_eq_u32 s26, 0
	v_cndmask_b32_e64 v5, 0, -1, vcc
	s_cselect_b64 vcc, -1, 0
	v_cndmask_b32_e32 v5, -1, v5, vcc
	v_mov_b32_e32 v6, s26
	v_mov_b32_e32 v7, s27
	v_cmp_ne_u32_e32 vcc, 0, v5
	v_cndmask_b32_e32 v5, v6, v7, vcc
	v_cndmask_b32_e32 v4, v3, v4, vcc
	v_cmp_le_u32_e32 vcc, s33, v2
	s_cmp_eq_u32 s6, 0
	v_cndmask_b32_e64 v3, 0, -1, vcc
	s_cselect_b64 vcc, -1, 0
	v_cndmask_b32_e32 v3, -1, v3, vcc
	v_mov_b32_e32 v6, s6
	v_cmp_ne_u32_e32 vcc, 0, v3
	v_cndmask_b32_e32 v3, v6, v5, vcc
	v_cndmask_b32_e32 v2, v2, v4, vcc
	s_cbranch_execnz .LBB127_264
.LBB127_263:                            ;   in Loop: Header=BB127_44 Depth=1
	v_cvt_f32_u32_e32 v2, s33
	s_sub_i32 s6, 0, s33
	v_rcp_iflag_f32_e32 v2, v2
	v_mul_f32_e32 v2, 0x4f7ffffe, v2
	v_cvt_u32_f32_e32 v2, v2
	v_mul_lo_u32 v3, s6, v2
	v_mul_hi_u32 v3, v2, v3
	v_add_u32_e32 v2, v2, v3
	v_mul_hi_u32 v2, s36, v2
	v_mul_lo_u32 v2, v2, s33
	v_sub_u32_e32 v2, s36, v2
	v_subrev_u32_e32 v3, s33, v2
	v_cmp_le_u32_e32 vcc, s33, v2
	v_cndmask_b32_e32 v2, v2, v3, vcc
	v_subrev_u32_e32 v3, s33, v2
	v_cmp_le_u32_e32 vcc, s33, v2
	v_cndmask_b32_e32 v10, v2, v3, vcc
	v_pk_mov_b32 v[2:3], v[10:11], v[10:11] op_sel:[0,1]
.LBB127_264:                            ;   in Loop: Header=BB127_44 Depth=1
	v_mov_b32_e32 v4, s7
	v_sub_co_u32_e32 v2, vcc, s36, v2
	v_subb_co_u32_e32 v3, vcc, v4, v3, vcc
	v_cmp_gt_u64_e32 vcc, v[2:3], v[0:1]
	s_mov_b64 s[36:37], 0
                                        ; implicit-def: $vgpr31
	s_and_saveexec_b64 s[26:27], vcc
	s_cbranch_execz .LBB127_277
; %bb.265:                              ;   in Loop: Header=BB127_44 Depth=1
	v_mov_b32_e32 v6, v14
	v_pk_mov_b32 v[4:5], v[0:1], v[0:1] op_sel:[0,1]
                                        ; implicit-def: $sgpr38_sgpr39
	s_branch .LBB127_267
.LBB127_266:                            ;   in Loop: Header=BB127_267 Depth=2
	s_or_b64 exec, exec, s[6:7]
	s_waitcnt lgkmcnt(0)
	s_barrier
	ds_read_b64 v[30:31], v11 offset:3072
	v_mov_b32_e32 v7, s86
	v_add_co_u32_e64 v4, s[6:7], s33, v4
	v_addc_co_u32_e64 v5, s[6:7], v5, v7, s[6:7]
	s_waitcnt lgkmcnt(0)
	v_cmp_neq_f32_e32 vcc, 0, v30
	v_cmp_ge_u64_e64 s[6:7], v[4:5], v[2:3]
	s_or_b64 s[6:7], s[6:7], vcc
	s_and_b64 s[6:7], exec, s[6:7]
	s_or_b64 s[36:37], s[6:7], s[36:37]
	s_andn2_b64 s[6:7], s[38:39], exec
	s_and_b64 s[38:39], vcc, exec
	v_add_u32_e32 v6, s4, v6
	s_or_b64 s[38:39], s[6:7], s[38:39]
	s_barrier
	s_andn2_b64 exec, exec, s[36:37]
	s_cbranch_execz .LBB127_276
.LBB127_267:                            ;   Parent Loop BB127_44 Depth=1
                                        ; =>  This Inner Loop Header: Depth=2
	v_cmp_gt_u64_e32 vcc, s[0:1], v[4:5]
	s_waitcnt vmcnt(0)
	v_mov_b32_e32 v29, 0
	s_and_saveexec_b64 s[6:7], vcc
	s_cbranch_execz .LBB127_269
; %bb.268:                              ;   in Loop: Header=BB127_267 Depth=2
	ds_read_b32 v29, v6
.LBB127_269:                            ;   in Loop: Header=BB127_267 Depth=2
	s_or_b64 exec, exec, s[6:7]
	s_and_saveexec_b64 s[6:7], vcc
	s_cbranch_execz .LBB127_266
; %bb.270:                              ;   in Loop: Header=BB127_267 Depth=2
	s_waitcnt lgkmcnt(0)
	v_cmp_lt_i32_e32 vcc, -1, v29
	v_cndmask_b32_e32 v7, -1, v50, vcc
	v_xor_b32_e32 v7, v7, v29
	v_cmp_o_f32_e32 vcc, v29, v29
	v_cndmask_b32_e32 v7, -1, v7, vcc
	v_and_b32_e32 v7, s5, v7
	v_cmp_eq_u32_e32 vcc, s80, v7
	s_and_b64 exec, exec, vcc
	s_cbranch_execz .LBB127_266
; %bb.271:                              ;   in Loop: Header=BB127_267 Depth=2
	ds_write_b64 v11, v[28:29] offset:3072
	s_branch .LBB127_266
.LBB127_272:                            ;   in Loop: Header=BB127_44 Depth=1
                                        ; implicit-def: $sgpr0_sgpr1
                                        ; implicit-def: $sgpr26_sgpr27
                                        ; implicit-def: $sgpr6_sgpr7
	s_branch .LBB127_291
.LBB127_273:                            ;   in Loop: Header=BB127_44 Depth=1
                                        ; implicit-def: $vgpr2_vgpr3
	s_branch .LBB127_216
.LBB127_274:                            ;   in Loop: Header=BB127_44 Depth=1
                                        ; implicit-def: $vgpr2_vgpr3
	s_branch .LBB127_233
.LBB127_275:                            ;   in Loop: Header=BB127_44 Depth=1
	s_mov_b64 s[0:1], -1
	s_mov_b64 s[36:37], 0
                                        ; implicit-def: $sgpr6_sgpr7
                                        ; implicit-def: $vgpr31
	s_mov_b64 s[26:27], s[0:1]
	s_cbranch_execnz .LBB127_278
	s_branch .LBB127_291
.LBB127_276:                            ;   in Loop: Header=BB127_44 Depth=1
	s_or_b64 exec, exec, s[36:37]
	s_and_b64 s[36:37], s[38:39], exec
.LBB127_277:                            ;   in Loop: Header=BB127_44 Depth=1
	s_or_b64 exec, exec, s[26:27]
	s_mov_b64 s[6:7], -1
	s_mov_b64 s[0:1], 0
	s_mov_b64 s[26:27], s[0:1]
	s_branch .LBB127_291
.LBB127_278:                            ;   in Loop: Header=BB127_44 Depth=1
	s_mov_b32 s68, s77
	s_cmp_lg_u64 s[68:69], 0
	s_cbranch_scc0 .LBB127_312
; %bb.279:                              ;   in Loop: Header=BB127_44 Depth=1
	v_cvt_f32_u32_e32 v2, s33
	s_sub_u32 s0, 0, s33
	s_subb_u32 s1, 0, 0
	v_mac_f32_e32 v2, 0, v51
	v_rcp_f32_e32 v2, v2
	v_mul_f32_e32 v2, 0x5f7ffffc, v2
	v_mul_f32_e32 v3, 0x2f800000, v2
	v_trunc_f32_e32 v3, v3
	v_mac_f32_e32 v2, 0xcf800000, v3
	v_cvt_u32_f32_e32 v3, v3
	v_cvt_u32_f32_e32 v2, v2
	v_readfirstlane_b32 s6, v3
	v_readfirstlane_b32 s7, v2
	s_mul_i32 s26, s0, s6
	s_mul_hi_u32 s36, s0, s7
	s_mul_i32 s27, s1, s7
	s_add_i32 s26, s36, s26
	s_mul_i32 s37, s0, s7
	s_add_i32 s26, s26, s27
	s_mul_hi_u32 s36, s7, s37
	s_mul_hi_u32 s27, s7, s26
	s_mul_i32 s7, s7, s26
	s_add_u32 s7, s36, s7
	s_addc_u32 s27, 0, s27
	s_mul_hi_u32 s38, s6, s37
	s_mul_i32 s37, s6, s37
	s_add_u32 s7, s7, s37
	s_mul_hi_u32 s36, s6, s26
	s_addc_u32 s7, s27, s38
	s_addc_u32 s27, s36, 0
	s_mul_i32 s26, s6, s26
	s_add_u32 s7, s7, s26
	s_addc_u32 s26, 0, s27
	v_add_co_u32_e32 v2, vcc, s7, v2
	s_cmp_lg_u64 vcc, 0
	s_addc_u32 s6, s6, s26
	v_readfirstlane_b32 s26, v2
	s_mul_i32 s7, s0, s6
	s_mul_hi_u32 s27, s0, s26
	s_add_i32 s7, s27, s7
	s_mul_i32 s1, s1, s26
	s_add_i32 s7, s7, s1
	s_mul_i32 s0, s0, s26
	s_mul_hi_u32 s27, s6, s0
	s_mul_i32 s36, s6, s0
	s_mul_i32 s38, s26, s7
	s_mul_hi_u32 s0, s26, s0
	s_mul_hi_u32 s37, s26, s7
	s_add_u32 s0, s0, s38
	s_addc_u32 s26, 0, s37
	s_add_u32 s0, s0, s36
	s_mul_hi_u32 s1, s6, s7
	s_addc_u32 s0, s26, s27
	s_addc_u32 s1, s1, 0
	s_mul_i32 s7, s6, s7
	s_add_u32 s0, s0, s7
	s_addc_u32 s1, 0, s1
	v_add_co_u32_e32 v2, vcc, s0, v2
	s_cmp_lg_u64 vcc, 0
	s_addc_u32 s0, s6, s1
	v_readlane_b32 s36, v52, 19
	v_readfirstlane_b32 s7, v2
	s_mul_i32 s6, s36, s0
	s_mul_hi_u32 s26, s36, s7
	s_mul_hi_u32 s1, s36, s0
	s_add_u32 s6, s26, s6
	s_addc_u32 s1, 0, s1
	s_mul_hi_u32 s27, s69, s7
	s_mul_i32 s7, s69, s7
	s_add_u32 s6, s6, s7
	s_mul_hi_u32 s26, s69, s0
	s_addc_u32 s1, s1, s27
	s_addc_u32 s6, s26, 0
	s_mul_i32 s0, s69, s0
	s_add_u32 s0, s1, s0
	s_addc_u32 s1, 0, s6
	s_mul_hi_u32 s6, s33, s0
	s_mul_i32 s0, s33, s0
	s_mul_i32 s1, s33, s1
	v_mov_b32_e32 v2, s0
	s_add_i32 s6, s6, s1
	v_sub_co_u32_e32 v2, vcc, s36, v2
	s_cmp_lg_u64 vcc, 0
	s_subb_u32 s0, s69, s6
	v_subrev_co_u32_e32 v3, vcc, s33, v2
	s_cmp_lg_u64 vcc, 0
	s_subb_u32 s1, s0, 0
	v_subrev_co_u32_e32 v4, vcc, s33, v3
	s_cmp_lg_u64 vcc, 0
	s_subb_u32 s6, s1, 0
	v_cmp_le_u32_e32 vcc, s33, v3
	s_cmp_eq_u32 s1, 0
	v_cndmask_b32_e64 v5, 0, -1, vcc
	s_cselect_b64 vcc, -1, 0
	v_cndmask_b32_e32 v5, -1, v5, vcc
	v_mov_b32_e32 v6, s1
	v_mov_b32_e32 v7, s6
	v_cmp_ne_u32_e32 vcc, 0, v5
	v_cndmask_b32_e32 v5, v6, v7, vcc
	v_cndmask_b32_e32 v4, v3, v4, vcc
	v_cmp_le_u32_e32 vcc, s33, v2
	s_cmp_eq_u32 s0, 0
	v_cndmask_b32_e64 v3, 0, -1, vcc
	s_cselect_b64 vcc, -1, 0
	v_cndmask_b32_e32 v3, -1, v3, vcc
	v_mov_b32_e32 v6, s0
	v_cmp_ne_u32_e32 vcc, 0, v3
	v_cndmask_b32_e32 v3, v6, v5, vcc
	v_cndmask_b32_e32 v2, v2, v4, vcc
	s_cbranch_execnz .LBB127_281
.LBB127_280:                            ;   in Loop: Header=BB127_44 Depth=1
	v_cvt_f32_u32_e32 v2, s33
	s_sub_i32 s0, 0, s33
	v_rcp_iflag_f32_e32 v2, v2
	v_mul_f32_e32 v2, 0x4f7ffffe, v2
	v_cvt_u32_f32_e32 v2, v2
	v_mul_lo_u32 v3, s0, v2
	v_mul_hi_u32 v3, v2, v3
	v_add_u32_e32 v2, v2, v3
	v_readlane_b32 s0, v52, 19
	v_mul_hi_u32 v2, s0, v2
	v_mul_lo_u32 v2, v2, s33
	v_sub_u32_e32 v2, s0, v2
	v_subrev_u32_e32 v3, s33, v2
	v_cmp_le_u32_e32 vcc, s33, v2
	v_cndmask_b32_e32 v2, v2, v3, vcc
	v_subrev_u32_e32 v3, s33, v2
	v_cmp_le_u32_e32 vcc, s33, v2
	v_cndmask_b32_e32 v10, v2, v3, vcc
	v_pk_mov_b32 v[2:3], v[10:11], v[10:11] op_sel:[0,1]
.LBB127_281:                            ;   in Loop: Header=BB127_44 Depth=1
	v_readlane_b32 s0, v52, 19
	v_mov_b32_e32 v4, s69
	v_sub_co_u32_e32 v2, vcc, s0, v2
	v_subb_co_u32_e32 v3, vcc, v4, v3, vcc
	v_cmp_gt_u64_e32 vcc, v[2:3], v[0:1]
	s_mov_b64 s[36:37], 0
                                        ; implicit-def: $vgpr31
	s_and_saveexec_b64 s[0:1], vcc
	s_cbranch_execz .LBB127_290
; %bb.282:                              ;   in Loop: Header=BB127_44 Depth=1
	s_mov_b64 s[26:27], 0
	v_pk_mov_b32 v[4:5], v[12:13], v[12:13] op_sel:[0,1]
	v_pk_mov_b32 v[6:7], v[0:1], v[0:1] op_sel:[0,1]
                                        ; implicit-def: $sgpr36_sgpr37
	s_branch .LBB127_284
.LBB127_283:                            ;   in Loop: Header=BB127_284 Depth=2
	s_or_b64 exec, exec, s[6:7]
	s_waitcnt lgkmcnt(0)
	s_barrier
	ds_read_b64 v[30:31], v11 offset:3072
	v_mov_b32_e32 v8, s86
	v_add_co_u32_e64 v6, s[6:7], s33, v6
	v_addc_co_u32_e64 v7, s[6:7], v7, v8, s[6:7]
	s_waitcnt lgkmcnt(0)
	v_cmp_neq_f32_e32 vcc, 0, v30
	v_cmp_ge_u64_e64 s[6:7], v[6:7], v[2:3]
	s_or_b64 s[38:39], s[6:7], vcc
	v_mov_b32_e32 v8, s73
	v_add_co_u32_e64 v4, s[6:7], s72, v4
	v_addc_co_u32_e64 v5, s[6:7], v5, v8, s[6:7]
	s_and_b64 s[6:7], exec, s[38:39]
	s_or_b64 s[26:27], s[6:7], s[26:27]
	s_andn2_b64 s[6:7], s[36:37], exec
	s_and_b64 s[36:37], vcc, exec
	s_or_b64 s[36:37], s[6:7], s[36:37]
	s_barrier
	s_andn2_b64 exec, exec, s[26:27]
	s_cbranch_execz .LBB127_289
.LBB127_284:                            ;   Parent Loop BB127_44 Depth=1
                                        ; =>  This Inner Loop Header: Depth=2
	v_cmp_gt_u64_e32 vcc, s[52:53], v[6:7]
	s_waitcnt vmcnt(0)
	v_mov_b32_e32 v29, 0
	s_and_saveexec_b64 s[6:7], vcc
	s_cbranch_execz .LBB127_286
; %bb.285:                              ;   in Loop: Header=BB127_284 Depth=2
	global_load_dword v29, v[4:5], off
.LBB127_286:                            ;   in Loop: Header=BB127_284 Depth=2
	s_or_b64 exec, exec, s[6:7]
	s_and_saveexec_b64 s[6:7], vcc
	s_cbranch_execz .LBB127_283
; %bb.287:                              ;   in Loop: Header=BB127_284 Depth=2
	s_waitcnt vmcnt(0)
	v_cmp_lt_i32_e32 vcc, -1, v29
	v_cndmask_b32_e32 v8, -1, v50, vcc
	v_xor_b32_e32 v8, v8, v29
	v_cmp_o_f32_e32 vcc, v29, v29
	v_cndmask_b32_e32 v8, -1, v8, vcc
	v_and_b32_e32 v8, s5, v8
	v_cmp_eq_u32_e32 vcc, s80, v8
	s_and_b64 exec, exec, vcc
	s_cbranch_execz .LBB127_283
; %bb.288:                              ;   in Loop: Header=BB127_284 Depth=2
	ds_write_b64 v11, v[28:29] offset:3072
	s_branch .LBB127_283
.LBB127_289:                            ;   in Loop: Header=BB127_44 Depth=1
	s_or_b64 exec, exec, s[26:27]
	s_and_b64 s[36:37], s[36:37], exec
.LBB127_290:                            ;   in Loop: Header=BB127_44 Depth=1
	s_or_b64 exec, exec, s[0:1]
	s_mov_b64 s[26:27], -1
	s_mov_b64 s[0:1], 0
	s_mov_b64 s[6:7], 0
.LBB127_291:                            ;   in Loop: Header=BB127_44 Depth=1
	s_mov_b64 s[40:41], 0
                                        ; implicit-def: $sgpr45
                                        ; implicit-def: $sgpr42_sgpr43
	s_and_saveexec_b64 s[38:39], s[36:37]
	s_cbranch_execz .LBB127_304
; %bb.292:                              ;   in Loop: Header=BB127_44 Depth=1
	s_xor_b64 s[16:17], s[16:17], -1
	s_mov_b64 s[42:43], 1
	s_andn2_b64 vcc, exec, s[16:17]
	s_mov_b32 s45, 1
	s_cbranch_vccnz .LBB127_303
; %bb.293:                              ;   in Loop: Header=BB127_44 Depth=1
	v_pk_mov_b32 v[2:3], s[10:11], s[10:11] op_sel:[0,1]
	v_cmp_gt_u64_e32 vcc, s[64:65], v[2:3]
	s_cbranch_vccnz .LBB127_299
; %bb.294:                              ;   in Loop: Header=BB127_44 Depth=1
	ds_read_b64 v[2:3], v11 offset:5120
	s_waitcnt lgkmcnt(0)
	v_cmp_ne_u64_e32 vcc, 0, v[2:3]
	s_cbranch_vccnz .LBB127_298
; %bb.295:                              ;   in Loop: Header=BB127_44 Depth=1
	s_mov_b64 s[16:17], exec
	v_readlane_b32 s36, v52, 10
	v_readlane_b32 s37, v52, 11
	s_and_b64 s[36:37], s[16:17], s[36:37]
	s_mov_b64 exec, s[36:37]
	s_cbranch_execz .LBB127_297
; %bb.296:                              ;   in Loop: Header=BB127_44 Depth=1
	v_pk_mov_b32 v[2:3], s[10:11], s[10:11] op_sel:[0,1]
	ds_write_b64 v11, v[2:3] offset:5128
.LBB127_297:                            ;   in Loop: Header=BB127_44 Depth=1
	s_or_b64 exec, exec, s[16:17]
	s_waitcnt lgkmcnt(0)
	s_barrier
.LBB127_298:                            ;   in Loop: Header=BB127_44 Depth=1
	s_or_b32 s36, s80, s44
	s_or_b32 s37, s5, s44
	s_mov_b64 s[16:17], 0
	s_mov_b32 s45, 8
	s_branch .LBB127_300
.LBB127_299:                            ;   in Loop: Header=BB127_44 Depth=1
	s_mov_b64 s[16:17], -1
                                        ; implicit-def: $sgpr45
                                        ; implicit-def: $sgpr36
                                        ; implicit-def: $sgpr37
.LBB127_300:                            ;   in Loop: Header=BB127_44 Depth=1
	s_andn2_b64 vcc, exec, s[16:17]
	s_cbranch_vccnz .LBB127_302
; %bb.301:                              ;   in Loop: Header=BB127_44 Depth=1
	s_sub_u32 s64, s64, s10
	s_subb_u32 s65, s65, s11
	s_mov_b32 s45, 8
	s_mov_b32 s36, s80
	;; [unrolled: 1-line block ×3, first 2 shown]
.LBB127_302:                            ;   in Loop: Header=BB127_44 Depth=1
	s_mov_b64 s[42:43], s[64:65]
	s_mov_b32 s80, s36
	s_mov_b32 s5, s37
.LBB127_303:                            ;   in Loop: Header=BB127_44 Depth=1
	s_mov_b64 s[40:41], exec
.LBB127_304:                            ;   in Loop: Header=BB127_44 Depth=1
	s_or_b64 exec, exec, s[38:39]
	s_mov_b64 s[64:65], s[42:43]
.LBB127_305:                            ;   in Loop: Header=BB127_44 Depth=1
	s_andn2_b64 s[2:3], s[2:3], exec
	s_and_b64 s[0:1], s[0:1], exec
	s_or_b64 s[2:3], s[2:3], s[0:1]
	s_andn2_b64 s[0:1], s[30:31], exec
	s_and_b64 s[10:11], s[26:27], exec
	s_or_b64 s[30:31], s[0:1], s[10:11]
	;; [unrolled: 3-line block ×3, first 2 shown]
	s_and_b64 s[0:1], s[40:41], exec
	s_mov_b64 s[40:41], s[82:83]
.LBB127_306:                            ;   in Loop: Header=BB127_44 Depth=1
	s_or_b64 exec, exec, s[34:35]
	s_mov_b64 s[34:35], s[8:9]
	s_mov_b64 s[36:37], s[62:63]
.LBB127_307:                            ;   in Loop: Header=BB127_44 Depth=1
	s_andn2_b64 s[6:7], s[20:21], exec
	s_and_b64 s[2:3], s[2:3], exec
	s_or_b64 s[20:21], s[6:7], s[2:3]
	s_andn2_b64 s[2:3], s[22:23], exec
	s_and_b64 s[6:7], s[30:31], exec
	s_or_b64 s[22:23], s[2:3], s[6:7]
	;; [unrolled: 3-line block ×3, first 2 shown]
	s_and_b64 s[0:1], s[0:1], exec
	s_mov_b64 s[30:31], s[70:71]
.LBB127_308:                            ;   in Loop: Header=BB127_44 Depth=1
	s_or_b64 exec, exec, s[24:25]
	s_and_saveexec_b64 s[2:3], s[0:1]
	s_xor_b64 s[0:1], exec, s[2:3]
	s_cbranch_execz .LBB127_42
.LBB127_309:                            ;   in Loop: Header=BB127_44 Depth=1
	s_and_b32 s2, s45, -9
	s_cmp_eq_u32 s2, 0
	s_cbranch_scc1 .LBB127_40
; %bb.310:                              ;   in Loop: Header=BB127_44 Depth=1
	s_mov_b64 s[2:3], -1
                                        ; implicit-def: $sgpr5
                                        ; implicit-def: $sgpr64_sgpr65
                                        ; implicit-def: $sgpr94
                                        ; implicit-def: $sgpr92
	s_mov_b64 s[6:7], -1
	s_branch .LBB127_41
.LBB127_311:                            ;   in Loop: Header=BB127_44 Depth=1
                                        ; implicit-def: $vgpr2_vgpr3
	s_branch .LBB127_263
.LBB127_312:                            ;   in Loop: Header=BB127_44 Depth=1
                                        ; implicit-def: $vgpr2_vgpr3
	s_branch .LBB127_280
.LBB127_313:
	s_or_b64 exec, exec, s[66:67]
	v_readlane_b32 s0, v52, 43
	v_readlane_b32 s1, v52, 44
	s_xor_b64 s[4:5], s[0:1], -1
	s_xor_b64 s[2:3], s[36:37], -1
	;; [unrolled: 1-line block ×3, first 2 shown]
	s_mov_b64 s[0:1], 0
	s_and_saveexec_b64 s[8:9], s[2:3]
	s_xor_b64 s[2:3], exec, s[8:9]
	s_cbranch_execnz .LBB127_318
; %bb.314:
	s_andn2_saveexec_b64 s[2:3], s[2:3]
	s_cbranch_execnz .LBB127_331
.LBB127_315:
	s_or_b64 exec, exec, s[2:3]
	s_and_saveexec_b64 s[2:3], s[0:1]
.LBB127_316:
	; divergent unreachable
.LBB127_317:
	s_endpgm
.LBB127_318:
	s_and_saveexec_b64 s[0:1], s[4:5]
	s_xor_b64 s[4:5], exec, s[0:1]
	s_cbranch_execz .LBB127_329
; %bb.319:
	s_and_saveexec_b64 s[0:1], s[6:7]
	s_xor_b64 s[0:1], exec, s[0:1]
; %bb.320:
	v_bfrev_b32_e32 v3, 1
	v_cmp_lt_i32_e32 vcc, -1, v2
	v_cndmask_b32_e64 v3, v3, -1, vcc
	v_xor_b32_e32 v31, v3, v2
; %bb.321:
	s_or_b64 exec, exec, s[0:1]
	v_readlane_b32 s6, v52, 0
	v_readlane_b32 s7, v52, 1
	;; [unrolled: 1-line block ×4, first 2 shown]
	s_mul_i32 s0, s8, s7
	s_mul_hi_u32 s1, s8, s6
	s_add_i32 s0, s1, s0
	s_mul_i32 s1, s9, s6
	s_add_i32 s1, s0, s1
	s_mul_i32 s0, s8, s6
	s_lshl_b64 s[0:1], s[0:1], 2
	v_readlane_b32 s6, v52, 6
	v_readlane_b32 s7, v52, 7
	s_add_u32 s6, s6, s0
	s_addc_u32 s7, s7, s1
	s_lshl_b64 s[0:1], s[54:55], 2
	s_add_u32 s0, s6, s0
	s_addc_u32 s1, s7, s1
	v_mov_b32_e32 v2, 0
	global_store_dword v2, v31, s[0:1]
	s_and_saveexec_b64 s[6:7], s[60:61]
	s_cbranch_execz .LBB127_328
; %bb.322:
	v_cmp_u_f32_e32 vcc, v31, v31
	s_mov_b64 s[8:9], 0
	s_xor_b64 s[12:13], vcc, -1
                                        ; implicit-def: $sgpr10_sgpr11
                                        ; implicit-def: $sgpr16_sgpr17
                                        ; implicit-def: $sgpr14_sgpr15
	s_branch .LBB127_324
.LBB127_323:                            ;   in Loop: Header=BB127_324 Depth=1
	s_or_b64 exec, exec, s[0:1]
	s_and_b64 s[0:1], exec, s[16:17]
	s_or_b64 s[8:9], s[0:1], s[8:9]
	s_andn2_b64 s[0:1], s[10:11], exec
	s_and_b64 s[10:11], s[14:15], exec
	s_or_b64 s[10:11], s[0:1], s[10:11]
	s_andn2_b64 exec, exec, s[8:9]
	s_cbranch_execz .LBB127_326
.LBB127_324:                            ; =>This Inner Loop Header: Depth=1
	global_load_dword v4, v[12:13], off
	v_pk_mov_b32 v[2:3], v[0:1], v[0:1] op_sel:[0,1]
	s_or_b64 s[14:15], s[14:15], exec
	s_or_b64 s[16:17], s[16:17], exec
                                        ; implicit-def: $vgpr0_vgpr1
	s_waitcnt vmcnt(0)
	v_cmp_o_f32_e64 s[0:1], v4, v4
	v_cmp_neq_f32_e32 vcc, v4, v31
	s_or_b64 s[0:1], s[0:1], s[12:13]
	s_and_b64 s[18:19], vcc, s[0:1]
	s_and_saveexec_b64 s[0:1], s[18:19]
	s_cbranch_execz .LBB127_323
; %bb.325:                              ;   in Loop: Header=BB127_324 Depth=1
	v_mov_b32_e32 v1, s86
	v_add_co_u32_e32 v0, vcc, s33, v2
	v_addc_co_u32_e32 v1, vcc, v3, v1, vcc
	v_mov_b32_e32 v4, s73
	v_add_co_u32_e32 v12, vcc, s72, v12
	v_addc_co_u32_e32 v13, vcc, v13, v4, vcc
	v_cmp_le_u64_e32 vcc, s[52:53], v[0:1]
	s_andn2_b64 s[16:17], s[16:17], exec
	s_and_b64 s[18:19], vcc, exec
	s_andn2_b64 s[14:15], s[14:15], exec
	s_or_b64 s[16:17], s[16:17], s[18:19]
	s_branch .LBB127_323
.LBB127_326:
	s_or_b64 exec, exec, s[8:9]
	s_and_saveexec_b64 s[0:1], s[10:11]
	s_xor_b64 s[0:1], exec, s[0:1]
	s_cbranch_execz .LBB127_328
; %bb.327:
	v_readlane_b32 s8, v52, 4
	v_readlane_b32 s9, v52, 5
	s_mul_i32 s0, s8, s47
	s_mul_hi_u32 s1, s8, s46
	s_add_i32 s0, s1, s0
	s_mul_i32 s1, s9, s46
	s_add_i32 s1, s0, s1
	s_mul_i32 s0, s8, s46
	s_lshl_b64 s[0:1], s[0:1], 3
	v_readlane_b32 s8, v52, 8
	v_readlane_b32 s9, v52, 9
	s_add_u32 s8, s8, s0
	s_addc_u32 s9, s9, s1
	s_lshl_b64 s[0:1], s[58:59], 3
	s_add_u32 s0, s8, s0
	s_addc_u32 s1, s9, s1
	v_mov_b32_e32 v0, 0
	global_store_dwordx2 v0, v[2:3], s[0:1]
.LBB127_328:
	s_or_b64 exec, exec, s[6:7]
.LBB127_329:
	s_or_saveexec_b64 s[0:1], s[4:5]
	s_mov_b64 s[4:5], 0
	s_xor_b64 exec, exec, s[0:1]
	s_cbranch_execnz .LBB127_332
.LBB127_330:
	s_or_b64 exec, exec, s[0:1]
	s_and_b64 s[0:1], s[4:5], exec
	s_andn2_saveexec_b64 s[2:3], s[2:3]
	s_cbranch_execz .LBB127_315
.LBB127_331:
	s_or_b64 s[0:1], s[0:1], exec
	s_trap 2
	s_or_b64 exec, exec, s[2:3]
	s_and_saveexec_b64 s[2:3], s[0:1]
	s_cbranch_execnz .LBB127_316
	s_branch .LBB127_317
.LBB127_332:
	s_mov_b64 s[4:5], exec
	s_trap 2
	s_branch .LBB127_330
	.section	.rodata,"a",@progbits
	.p2align	6, 0x0
	.amdhsa_kernel _ZN2at6native12_GLOBAL__N_112gatherMedianIfmLin1EEEvNS_4cuda6detail10TensorInfoIT_T0_EENS5_IlS7_EENS5_IKS6_S7_EES7_S7_S7_b
		.amdhsa_group_segment_fixed_size 5152
		.amdhsa_private_segment_fixed_size 0
		.amdhsa_kernarg_size 1536
		.amdhsa_user_sgpr_count 6
		.amdhsa_user_sgpr_private_segment_buffer 1
		.amdhsa_user_sgpr_dispatch_ptr 0
		.amdhsa_user_sgpr_queue_ptr 0
		.amdhsa_user_sgpr_kernarg_segment_ptr 1
		.amdhsa_user_sgpr_dispatch_id 0
		.amdhsa_user_sgpr_flat_scratch_init 0
		.amdhsa_user_sgpr_kernarg_preload_length 0
		.amdhsa_user_sgpr_kernarg_preload_offset 0
		.amdhsa_user_sgpr_private_segment_size 0
		.amdhsa_uses_dynamic_stack 0
		.amdhsa_system_sgpr_private_segment_wavefront_offset 0
		.amdhsa_system_sgpr_workgroup_id_x 1
		.amdhsa_system_sgpr_workgroup_id_y 1
		.amdhsa_system_sgpr_workgroup_id_z 1
		.amdhsa_system_sgpr_workgroup_info 0
		.amdhsa_system_vgpr_workitem_id 0
		.amdhsa_next_free_vgpr 53
		.amdhsa_next_free_sgpr 96
		.amdhsa_accum_offset 56
		.amdhsa_reserve_vcc 1
		.amdhsa_reserve_flat_scratch 0
		.amdhsa_float_round_mode_32 0
		.amdhsa_float_round_mode_16_64 0
		.amdhsa_float_denorm_mode_32 3
		.amdhsa_float_denorm_mode_16_64 3
		.amdhsa_dx10_clamp 1
		.amdhsa_ieee_mode 1
		.amdhsa_fp16_overflow 0
		.amdhsa_tg_split 0
		.amdhsa_exception_fp_ieee_invalid_op 0
		.amdhsa_exception_fp_denorm_src 0
		.amdhsa_exception_fp_ieee_div_zero 0
		.amdhsa_exception_fp_ieee_overflow 0
		.amdhsa_exception_fp_ieee_underflow 0
		.amdhsa_exception_fp_ieee_inexact 0
		.amdhsa_exception_int_div_zero 0
	.end_amdhsa_kernel
	.section	.text._ZN2at6native12_GLOBAL__N_112gatherMedianIfmLin1EEEvNS_4cuda6detail10TensorInfoIT_T0_EENS5_IlS7_EENS5_IKS6_S7_EES7_S7_S7_b,"axG",@progbits,_ZN2at6native12_GLOBAL__N_112gatherMedianIfmLin1EEEvNS_4cuda6detail10TensorInfoIT_T0_EENS5_IlS7_EENS5_IKS6_S7_EES7_S7_S7_b,comdat
.Lfunc_end127:
	.size	_ZN2at6native12_GLOBAL__N_112gatherMedianIfmLin1EEEvNS_4cuda6detail10TensorInfoIT_T0_EENS5_IlS7_EENS5_IKS6_S7_EES7_S7_S7_b, .Lfunc_end127-_ZN2at6native12_GLOBAL__N_112gatherMedianIfmLin1EEEvNS_4cuda6detail10TensorInfoIT_T0_EENS5_IlS7_EENS5_IKS6_S7_EES7_S7_S7_b
                                        ; -- End function
	.section	.AMDGPU.csdata,"",@progbits
; Kernel info:
; codeLenInByte = 18992
; NumSgprs: 100
; NumVgprs: 53
; NumAgprs: 0
; TotalNumVgprs: 53
; ScratchSize: 0
; MemoryBound: 0
; FloatMode: 240
; IeeeMode: 1
; LDSByteSize: 5152 bytes/workgroup (compile time only)
; SGPRBlocks: 12
; VGPRBlocks: 6
; NumSGPRsForWavesPerEU: 100
; NumVGPRsForWavesPerEU: 53
; AccumOffset: 56
; Occupancy: 8
; WaveLimiterHint : 1
; COMPUTE_PGM_RSRC2:SCRATCH_EN: 0
; COMPUTE_PGM_RSRC2:USER_SGPR: 6
; COMPUTE_PGM_RSRC2:TRAP_HANDLER: 0
; COMPUTE_PGM_RSRC2:TGID_X_EN: 1
; COMPUTE_PGM_RSRC2:TGID_Y_EN: 1
; COMPUTE_PGM_RSRC2:TGID_Z_EN: 1
; COMPUTE_PGM_RSRC2:TIDIG_COMP_CNT: 0
; COMPUTE_PGM_RSRC3_GFX90A:ACCUM_OFFSET: 13
; COMPUTE_PGM_RSRC3_GFX90A:TG_SPLIT: 0
	.section	.text._ZN2at6native12_GLOBAL__N_112gatherMedianIN3c104HalfEjLi1EEEvNS_4cuda6detail10TensorInfoIT_T0_EENS7_IlS9_EENS7_IKS8_S9_EES9_S9_S9_b,"axG",@progbits,_ZN2at6native12_GLOBAL__N_112gatherMedianIN3c104HalfEjLi1EEEvNS_4cuda6detail10TensorInfoIT_T0_EENS7_IlS9_EENS7_IKS8_S9_EES9_S9_S9_b,comdat
	.globl	_ZN2at6native12_GLOBAL__N_112gatherMedianIN3c104HalfEjLi1EEEvNS_4cuda6detail10TensorInfoIT_T0_EENS7_IlS9_EENS7_IKS8_S9_EES9_S9_S9_b ; -- Begin function _ZN2at6native12_GLOBAL__N_112gatherMedianIN3c104HalfEjLi1EEEvNS_4cuda6detail10TensorInfoIT_T0_EENS7_IlS9_EENS7_IKS8_S9_EES9_S9_S9_b
	.p2align	8
	.type	_ZN2at6native12_GLOBAL__N_112gatherMedianIN3c104HalfEjLi1EEEvNS_4cuda6detail10TensorInfoIT_T0_EENS7_IlS9_EENS7_IKS8_S9_EES9_S9_S9_b,@function
_ZN2at6native12_GLOBAL__N_112gatherMedianIN3c104HalfEjLi1EEEvNS_4cuda6detail10TensorInfoIT_T0_EENS7_IlS9_EENS7_IKS8_S9_EES9_S9_S9_b: ; @_ZN2at6native12_GLOBAL__N_112gatherMedianIN3c104HalfEjLi1EEEvNS_4cuda6detail10TensorInfoIT_T0_EENS7_IlS9_EENS7_IKS8_S9_EES9_S9_S9_b
; %bb.0:
	s_load_dwordx2 s[12:13], s[4:5], 0x298
	s_load_dwordx4 s[56:59], s[4:5], 0x288
	s_add_u32 s10, s4, 0x298
	s_addc_u32 s11, s5, 0
	s_waitcnt lgkmcnt(0)
	s_mul_i32 s0, s13, s8
	s_add_i32 s0, s0, s7
	s_mul_i32 s0, s0, s12
	s_add_i32 s7, s0, s6
	s_cmp_ge_u32 s7, s57
	s_cbranch_scc1 .LBB128_259
; %bb.1:
	s_load_dword s2, s[4:5], 0x21c
	s_load_dwordx2 s[0:1], s[4:5], 0x1b0
	s_load_dwordx2 s[8:9], s[4:5], 0xd8
                                        ; implicit-def: $vgpr52 : SGPR spill to VGPR lane
	s_mov_b32 s3, 0
	v_mov_b32_e32 v2, 0
	s_waitcnt lgkmcnt(0)
	s_mul_i32 s2, s2, s7
	s_lshl_b64 s[2:3], s[2:3], 1
	v_writelane_b32 v52, s8, 0
	v_writelane_b32 v52, s9, 1
	s_load_dwordx2 s[8:9], s[4:5], 0x0
	s_add_u32 s57, s0, s2
	s_addc_u32 s33, s1, s3
	v_mul_lo_u32 v6, v0, s58
	v_cmp_gt_u32_e64 s[0:1], s56, v0
	s_waitcnt lgkmcnt(0)
	v_writelane_b32 v52, s8, 2
	v_writelane_b32 v52, s9, 3
	;; [unrolled: 1-line block ×3, first 2 shown]
	s_mov_b64 s[2:3], exec
	v_writelane_b32 v52, s0, 5
	v_writelane_b32 v52, s1, 6
	s_and_b64 s[0:1], s[2:3], s[0:1]
	s_mov_b64 exec, s[0:1]
	s_cbranch_execz .LBB128_5
; %bb.2:
	s_load_dword s0, s[10:11], 0xc
	v_mov_b32_e32 v5, 0
	v_mul_lo_u32 v4, v0, s58
	s_mov_b64 s[8:9], 0
	v_mov_b32_e32 v1, s33
	s_waitcnt lgkmcnt(0)
	s_and_b32 s0, s0, 0xffff
	s_mul_i32 s1, s58, s0
	v_mov_b32_e32 v2, v5
	v_mov_b32_e32 v3, v0
.LBB128_3:                              ; =>This Inner Loop Header: Depth=1
	v_lshlrev_b64 v[8:9], 1, v[4:5]
	v_add_co_u32_e32 v8, vcc, s57, v8
	v_addc_co_u32_e32 v9, vcc, v1, v9, vcc
	global_load_ushort v7, v[8:9], off
	v_add_u32_e32 v3, s0, v3
	v_cmp_le_u32_e32 vcc, s56, v3
	s_or_b64 s[8:9], vcc, s[8:9]
	v_add_u32_e32 v4, s1, v4
	s_waitcnt vmcnt(0)
	v_cmp_u_f16_e32 vcc, v7, v7
	v_addc_co_u32_e32 v2, vcc, 0, v2, vcc
	s_andn2_b64 exec, exec, s[8:9]
	s_cbranch_execnz .LBB128_3
; %bb.4:
	s_or_b64 exec, exec, s[8:9]
.LBB128_5:
	s_or_b64 exec, exec, s[2:3]
	s_load_dword s0, s[4:5], 0x144
                                        ; kill: killed $sgpr4 killed $sgpr5
	s_waitcnt lgkmcnt(0)
	v_writelane_b32 v52, s0, 9
	s_load_dword s0, s[4:5], 0x6c
	s_waitcnt lgkmcnt(0)
	v_writelane_b32 v52, s0, 10
	v_cmp_eq_u32_e64 s[0:1], 0, v0
	s_mov_b64 s[4:5], exec
	v_writelane_b32 v52, s0, 7
	v_writelane_b32 v52, s1, 8
	s_and_b64 s[0:1], s[4:5], s[0:1]
	s_mov_b64 exec, s[0:1]
	s_cbranch_execz .LBB128_7
; %bb.6:
	v_mov_b32_e32 v4, 0
	v_mov_b32_e32 v5, v4
	ds_write_b64 v4, v[4:5] offset:4096
.LBB128_7:
	s_or_b64 exec, exec, s[4:5]
	v_cmp_ne_u32_e32 vcc, 0, v2
	s_waitcnt lgkmcnt(0)
	s_barrier
	s_and_saveexec_b64 s[4:5], vcc
	s_cbranch_execz .LBB128_12
; %bb.8:
	s_mov_b64 s[14:15], exec
	v_mov_b32_e32 v1, 0
	s_mov_b64 s[8:9], 0
.LBB128_9:                              ; =>This Inner Loop Header: Depth=1
	s_ff1_i32_b64 s0, s[14:15]
	v_readlane_b32 s2, v2, s0
	v_readlane_b32 s1, v1, s0
	s_add_u32 s8, s8, s2
	s_addc_u32 s9, s9, s1
	s_lshl_b64 s[0:1], 1, s0
	s_andn2_b64 s[14:15], s[14:15], s[0:1]
	s_cmp_lg_u64 s[14:15], 0
	s_cbranch_scc1 .LBB128_9
; %bb.10:
	v_mbcnt_lo_u32_b32 v1, exec_lo, 0
	v_mbcnt_hi_u32_b32 v1, exec_hi, v1
	v_cmp_eq_u32_e32 vcc, 0, v1
	s_and_saveexec_b64 s[0:1], vcc
	s_xor_b64 s[0:1], exec, s[0:1]
	s_cbranch_execz .LBB128_12
; %bb.11:
	v_mov_b32_e32 v1, 0
	v_pk_mov_b32 v[2:3], s[8:9], s[8:9] op_sel:[0,1]
	ds_add_u64 v1, v[2:3] offset:4096
.LBB128_12:
	s_or_b64 exec, exec, s[4:5]
	v_mov_b32_e32 v1, 0
	s_waitcnt lgkmcnt(0)
	s_barrier
	ds_read_b64 v[2:3], v1 offset:4096
	s_bitcmp1_b32 s59, 0
	s_cselect_b64 s[0:1], -1, 0
	s_mov_b32 s3, s56
	s_waitcnt lgkmcnt(0)
	v_cmp_gt_i64_e32 vcc, 1, v[2:3]
	s_or_b64 s[0:1], s[0:1], vcc
	s_andn2_b64 vcc, exec, s[0:1]
	s_cbranch_vccnz .LBB128_14
; %bb.13:
	v_not_b32_e32 v1, v2
	v_not_b32_e32 v2, v3
	v_add_co_u32_e32 v1, vcc, s56, v1
	v_addc_co_u32_e32 v2, vcc, 0, v2, vcc
	v_lshrrev_b32_e32 v3, 31, v2
	v_add_co_u32_e32 v1, vcc, v1, v3
	v_addc_co_u32_e32 v2, vcc, 0, v2, vcc
	v_alignbit_b32 v1, v2, v1, 1
	v_readfirstlane_b32 s0, v1
	s_add_i32 s3, s0, 1
.LBB128_14:
	s_mov_b64 s[4:5], exec
	v_readlane_b32 s0, v52, 7
	v_readlane_b32 s1, v52, 8
	s_and_b64 s[0:1], s[4:5], s[0:1]
	s_mov_b64 exec, s[0:1]
	s_cbranch_execz .LBB128_16
; %bb.15:
	v_mov_b32_e32 v2, 0
	v_mov_b32_e32 v3, s56
	ds_write_b32 v2, v2 offset:4112
	ds_write_b64 v2, v[2:3] offset:4104
.LBB128_16:
	s_or_b64 exec, exec, s[4:5]
	s_waitcnt lgkmcnt(0)
	s_barrier
	s_load_dword s0, s[10:11], 0xc
	v_mbcnt_lo_u32_b32 v1, -1, 0
	v_mbcnt_hi_u32_b32 v13, -1, v1
	v_cmp_gt_u32_e32 vcc, 64, v0
	v_cmp_gt_i32_e64 s[4:5], 4, v13
	s_waitcnt lgkmcnt(0)
	s_and_b32 s59, s0, 0xffff
	s_bfe_u32 s8, s0, 0xa0006
	s_add_i32 s0, s59, -1
	s_lshl_b32 s80, s59, 2
	s_and_b64 s[66:67], vcc, s[4:5]
	v_writelane_b32 v52, s0, 11
	s_add_i32 s0, s0, s56
	s_cmpk_gt_u32 s56, 0x600
	s_cselect_b64 s[4:5], -1, 0
	v_mov_b32_e32 v9, 0
	v_writelane_b32 v52, s4, 12
	s_cmp_gt_u32 s59, 63
	v_writelane_b32 v52, s5, 13
	s_cselect_b64 s[4:5], -1, 0
	s_cmp_lt_u32 s6, s12
	v_mov_b32_e32 v7, v9
	v_writelane_b32 v52, s4, 14
	s_cselect_b32 s1, 12, 18
	v_lshlrev_b64 v[2:3], 1, v[6:7]
	v_writelane_b32 v52, s5, 15
	s_add_u32 s4, s10, s1
	v_mov_b32_e32 v7, s33
	v_add_co_u32_e32 v10, vcc, s57, v2
	s_addc_u32 s5, s11, 0
	s_add_i32 s1, s8, -2
	v_addc_co_u32_e32 v11, vcc, v7, v3, vcc
	v_lshlrev_b64 v[2:3], v13, -1
	s_lshr_b32 s2, s1, 1
	v_not_b32_e32 v12, v2
	v_cvt_f32_u32_e32 v2, s80
	s_add_i32 s2, s2, 1
	v_writelane_b32 v52, s4, 16
	s_cmpk_gt_u32 s59, 0x7f
	v_writelane_b32 v52, s5, 17
	s_cselect_b64 s[4:5], -1, 0
	s_and_b32 s9, s8, 0x3fe
	s_and_b32 s10, s2, 7
	v_writelane_b32 v52, s4, 18
	s_cmp_gt_u32 s1, 13
	v_rcp_iflag_f32_e32 v2, v2
	v_writelane_b32 v52, s5, 19
	s_cselect_b64 s[12:13], -1, 0
	v_writelane_b32 v52, s12, 20
	v_writelane_b32 v52, s13, 21
	s_and_b32 s1, s2, -8
	v_writelane_b32 v52, s1, 22
	s_cmp_lg_u32 s10, 0
	v_mul_f32_e32 v2, 0x4f7ffffe, v2
	v_writelane_b32 v52, s10, 23
	s_cselect_b64 s[10:11], -1, 0
	v_cvt_u32_f32_e32 v2, v2
	v_writelane_b32 v52, s10, 24
	v_writelane_b32 v52, s11, 25
	;; [unrolled: 1-line block ×3, first 2 shown]
	s_cmp_lg_u32 s9, s8
	v_writelane_b32 v52, s9, 27
	s_cselect_b64 s[8:9], -1, 0
	s_sub_i32 s1, 0, s80
	v_readfirstlane_b32 s2, v2
	s_mul_i32 s1, s1, s2
	s_mul_hi_u32 s1, s2, s1
	s_add_i32 s79, s2, s1
	v_cvt_f32_u32_e32 v2, s59
	s_mul_hi_u32 s1, s56, s79
	s_mul_i32 s1, s1, s80
	s_sub_i32 s1, s56, s1
	s_sub_i32 s2, s1, s80
	v_rcp_iflag_f32_e32 v5, v2
	s_cmp_ge_u32 s1, s80
	s_cselect_b32 s1, s2, s1
	s_sub_i32 s2, s1, s80
	s_cmp_ge_u32 s1, s80
	v_mul_f32_e32 v5, 0x4f7ffffe, v5
	s_cselect_b32 s1, s2, s1
	v_cvt_u32_f32_e32 v5, v5
	v_lshlrev_b32_e32 v16, 2, v0
	v_writelane_b32 v52, s8, 28
	s_sub_i32 s72, s56, s1
	v_writelane_b32 v52, s9, 29
	v_cmp_gt_u32_e64 s[8:9], s72, v16
	v_writelane_b32 v52, s8, 30
	v_writelane_b32 v52, s9, 31
	s_sub_i32 s2, 0, s59
	v_readfirstlane_b32 s8, v5
	s_mul_i32 s2, s2, s8
	s_mul_hi_u32 s2, s8, s2
	s_add_i32 s2, s8, s2
	v_writelane_b32 v52, s2, 32
	s_mul_hi_u32 s2, s0, s2
	s_mul_i32 s2, s2, s59
	s_sub_i32 s2, s0, s2
	s_sub_i32 s8, s2, s59
	v_add_u32_e32 v21, s72, v0
	s_cmp_ge_u32 s2, s59
	v_lshrrev_b32_e32 v1, 4, v0
	v_mul_lo_u32 v8, v21, s58
	s_cselect_b32 s2, s8, s2
	v_and_b32_e32 v19, 60, v1
	v_not_b32_e32 v1, v3
	v_lshlrev_b64 v[2:3], 1, v[8:9]
	s_sub_i32 s8, s2, s59
	v_add_co_u32_e32 v14, vcc, s57, v2
	s_cmp_ge_u32 s2, s59
	v_mul_lo_u32 v2, s58, v16
	s_cselect_b32 s2, s8, s2
	v_add_u32_e32 v22, s58, v2
	v_or_b32_e32 v2, 2, v16
	s_sub_i32 s74, s0, s2
	v_mul_lo_u32 v23, s58, v2
	v_or_b32_e32 v2, 3, v16
	s_add_i32 s0, s59, s56
	v_mul_lo_u32 v24, s58, v2
	v_add_u32_e32 v2, s0, v0
	v_lshlrev_b32_e32 v17, 1, v0
	v_lshlrev_b32_e32 v4, 2, v13
	v_mov_b32_e32 v8, s33
	v_cmp_gt_u32_e64 s[8:9], s74, v0
	s_mul_i32 s78, s58, s59
	v_subrev_u32_e32 v2, s1, v2
	s_mov_b32 s64, 0
	v_cmp_eq_u32_e64 s[4:5], 0, v13
	v_cmp_gt_u32_e64 s[6:7], 2, v0
	v_add_u32_e32 v18, 0xc00, v17
	v_and_b32_e32 v20, 0x100, v4
	v_cmp_gt_u32_e64 s[10:11], s56, v21
	v_addc_co_u32_e32 v15, vcc, v8, v3, vcc
	v_writelane_b32 v52, s8, 33
	s_lshl_b32 s75, s78, 2
	v_lshlrev_b32_e32 v25, 2, v6
	v_mul_lo_u32 v26, s58, v2
	v_lshlrev_b32_e32 v27, 3, v0
	s_lshl_b32 s12, s59, 3
	s_lshl_b32 s13, s59, 1
	v_or_b32_e32 v28, 0xc00, v4
	s_mov_b32 s69, 14
	s_mov_b64 s[82:83], 0
	s_movk_i32 s68, 0x3c00
	v_mov_b32_e32 v29, 0xffff
	v_mov_b32_e32 v30, 0x8000
	v_mov_b32_e32 v31, -1
	v_mov_b32_e32 v32, 0xc00
	v_mov_b32_e32 v33, 0x5040100
	;; [unrolled: 1-line block ×3, first 2 shown]
	s_mov_b32 s0, 0
	s_mov_b32 s2, 0
	;; [unrolled: 1-line block ×3, first 2 shown]
	v_writelane_b32 v52, s9, 34
                                        ; implicit-def: $sgpr84_sgpr85
                                        ; implicit-def: $sgpr88_sgpr89
                                        ; implicit-def: $sgpr86_sgpr87
                                        ; implicit-def: $sgpr90_sgpr91
                                        ; implicit-def: $sgpr92_sgpr93
                                        ; implicit-def: $sgpr94_sgpr95
	s_branch .LBB128_21
.LBB128_17:                             ;   in Loop: Header=BB128_21 Depth=1
	s_xor_b32 s0, s0, 1
	s_add_i32 s3, s69, -2
	s_cmp_eq_u32 s69, 0
	s_mov_b64 s[18:19], 0
	s_cselect_b64 s[26:27], -1, 0
	s_mov_b32 s69, s3
.LBB128_18:                             ;   in Loop: Header=BB128_21 Depth=1
	s_andn2_b64 s[8:9], s[22:23], exec
	s_and_b64 s[18:19], s[18:19], exec
	s_or_b64 s[22:23], s[8:9], s[18:19]
	s_andn2_b64 s[24:25], s[24:25], exec
	s_andn2_b64 s[20:21], s[20:21], exec
	s_orn2_b64 s[18:19], s[26:27], exec
	s_mov_b32 s3, s35
.LBB128_19:                             ;   in Loop: Header=BB128_21 Depth=1
	s_or_b64 exec, exec, s[14:15]
	s_andn2_b64 s[8:9], s[94:95], exec
	s_and_b64 s[14:15], s[22:23], exec
	s_or_b64 s[94:95], s[8:9], s[14:15]
	s_andn2_b64 s[8:9], s[92:93], exec
	s_and_b64 s[14:15], s[24:25], exec
	s_or_b64 s[92:93], s[8:9], s[14:15]
	;; [unrolled: 3-line block ×3, first 2 shown]
	s_orn2_b64 s[18:19], s[18:19], exec
.LBB128_20:                             ;   in Loop: Header=BB128_21 Depth=1
	s_or_b64 exec, exec, s[16:17]
	s_and_b64 s[8:9], exec, s[18:19]
	s_or_b64 s[82:83], s[8:9], s[82:83]
	s_andn2_b64 s[8:9], s[86:87], exec
	s_and_b64 s[14:15], s[94:95], exec
	s_or_b64 s[86:87], s[8:9], s[14:15]
	s_andn2_b64 s[8:9], s[88:89], exec
	s_and_b64 s[14:15], s[92:93], exec
	;; [unrolled: 3-line block ×3, first 2 shown]
	v_mov_b32_e32 v2, s2
	s_or_b64 s[84:85], s[8:9], s[14:15]
	s_andn2_b64 exec, exec, s[82:83]
	s_cbranch_execz .LBB128_255
.LBB128_21:                             ; =>This Loop Header: Depth=1
                                        ;     Child Loop BB128_26 Depth 2
                                        ;     Child Loop BB128_44 Depth 2
	;; [unrolled: 1-line block ×17, first 2 shown]
	ds_read_b64 v[2:3], v9 offset:4104
	s_waitcnt lgkmcnt(0)
	v_readfirstlane_b32 s65, v2
	s_cmp_lg_u32 s65, 0
	s_cbranch_scc1 .LBB128_51
; %bb.22:                               ;   in Loop: Header=BB128_21 Depth=1
	v_readlane_b32 s8, v52, 12
	v_readlane_b32 s9, v52, 13
	s_and_b64 vcc, exec, s[8:9]
	s_cbranch_vccz .LBB128_34
; %bb.23:                               ;   in Loop: Header=BB128_21 Depth=1
	s_movk_i32 s8, 0x601
	v_cmp_gt_u32_e32 vcc, s8, v3
	s_mov_b64 s[18:19], 0
	s_mov_b64 s[14:15], 0
	s_cbranch_vccz .LBB128_35
; %bb.24:                               ;   in Loop: Header=BB128_21 Depth=1
	v_readlane_b32 s8, v52, 16
	v_readlane_b32 s9, v52, 17
	s_nop 4
	global_load_ushort v2, v9, s[8:9]
	global_load_ushort v4, v[10:11], off
	s_mov_b64 s[20:21], 0
	s_waitcnt vmcnt(1)
	v_add_u32_e32 v5, v0, v2
	v_mul_lo_u32 v3, s58, v2
	v_mul_lo_u32 v8, s58, v5
	v_mov_b32_e32 v5, v0
	s_branch .LBB128_26
.LBB128_25:                             ;   in Loop: Header=BB128_26 Depth=2
	s_or_b64 exec, exec, s[16:17]
	v_add_u32_e32 v8, v8, v3
	v_mov_b32_e32 v4, v35
	s_andn2_b64 exec, exec, s[20:21]
	s_cbranch_execz .LBB128_36
.LBB128_26:                             ;   Parent Loop BB128_21 Depth=1
                                        ; =>  This Inner Loop Header: Depth=2
	v_add_u32_e32 v5, v5, v2
	v_cmp_gt_u32_e64 s[14:15], s56, v5
	v_cmp_le_u32_e32 vcc, s56, v5
	s_waitcnt lgkmcnt(0)
	v_mov_b32_e32 v36, 0
	v_mov_b32_e32 v35, 0
	s_and_saveexec_b64 s[16:17], s[14:15]
	s_cbranch_execz .LBB128_28
; %bb.27:                               ;   in Loop: Header=BB128_26 Depth=2
	v_lshlrev_b64 v[38:39], 1, v[8:9]
	v_add_co_u32_e64 v38, s[14:15], s57, v38
	v_addc_co_u32_e64 v39, s[14:15], v7, v39, s[14:15]
	global_load_ushort v35, v[38:39], off
.LBB128_28:                             ;   in Loop: Header=BB128_26 Depth=2
	s_or_b64 exec, exec, s[16:17]
	s_waitcnt vmcnt(0)
	v_cmp_lt_i16_e64 s[14:15], -1, v4
	v_cndmask_b32_e64 v37, v29, v30, s[14:15]
	v_xor_b32_sdwa v37, v37, v4 dst_sel:DWORD dst_unused:UNUSED_PAD src0_sel:DWORD src1_sel:WORD_0
	v_cmp_o_f16_e64 s[14:15], v4, v4
	v_cndmask_b32_e64 v37, v29, v37, s[14:15]
	v_and_b32_e32 v37, s1, v37
	v_cmp_eq_u32_e64 s[14:15], s2, v37
	s_cmp_lg_u64 s[14:15], 0
	s_cselect_b64 s[8:9], -1, 0
	s_and_b64 s[8:9], s[4:5], s[8:9]
	s_and_saveexec_b64 s[22:23], s[8:9]
	s_cbranch_execz .LBB128_32
; %bb.29:                               ;   in Loop: Header=BB128_26 Depth=2
	s_mov_b64 s[26:27], exec
	v_mbcnt_lo_u32_b32 v36, s26, 0
	v_mbcnt_hi_u32_b32 v36, s27, v36
	s_bcnt1_i32_b64 s8, s[14:15]
	v_cmp_eq_u32_e64 s[16:17], 0, v36
                                        ; implicit-def: $vgpr37
	s_and_saveexec_b64 s[24:25], s[16:17]
	s_cbranch_execz .LBB128_31
; %bb.30:                               ;   in Loop: Header=BB128_26 Depth=2
	s_bcnt1_i32_b64 s9, s[26:27]
	s_mul_i32 s9, s8, s9
	v_mov_b32_e32 v37, s9
	ds_add_rtn_u32 v37, v9, v37 offset:4112
.LBB128_31:                             ;   in Loop: Header=BB128_26 Depth=2
	s_or_b64 exec, exec, s[24:25]
	s_waitcnt lgkmcnt(0)
	v_readfirstlane_b32 s9, v37
	v_mov_b32_e32 v37, s9
	v_mad_u32_u24 v36, s8, v36, v37
.LBB128_32:                             ;   in Loop: Header=BB128_26 Depth=2
	s_or_b64 exec, exec, s[22:23]
	ds_bpermute_b32 v36, v20, v36
	s_and_b64 s[8:9], exec, vcc
	s_or_b64 s[20:21], s[8:9], s[20:21]
	s_and_saveexec_b64 s[16:17], s[14:15]
	s_cbranch_execz .LBB128_25
; %bb.33:                               ;   in Loop: Header=BB128_26 Depth=2
	v_and_b32_e32 v38, s14, v12
	v_and_b32_e32 v37, s15, v1
	v_bcnt_u32_b32 v38, v38, 0
	v_bcnt_u32_b32 v37, v37, v38
	v_lshlrev_b32_e32 v37, 1, v37
	s_waitcnt lgkmcnt(0)
	v_lshl_add_u32 v36, v36, 1, v37
	ds_write_b16 v36, v4
	s_branch .LBB128_25
.LBB128_34:                             ;   in Loop: Header=BB128_21 Depth=1
	s_mov_b64 s[14:15], 0
                                        ; implicit-def: $sgpr65
	s_cbranch_execnz .LBB128_39
	s_branch .LBB128_49
.LBB128_35:                             ;   in Loop: Header=BB128_21 Depth=1
	s_mov_b32 s65, 0
	s_and_b64 vcc, exec, s[18:19]
	s_cbranch_vccnz .LBB128_39
	s_branch .LBB128_49
.LBB128_36:                             ;   in Loop: Header=BB128_21 Depth=1
	s_or_b64 exec, exec, s[20:21]
	s_waitcnt lgkmcnt(0)
	s_barrier
	s_mov_b64 s[14:15], exec
	v_readlane_b32 s8, v52, 7
	v_readlane_b32 s9, v52, 8
	s_and_b64 s[8:9], s[14:15], s[8:9]
	s_mov_b64 exec, s[8:9]
	s_cbranch_execz .LBB128_38
; %bb.37:                               ;   in Loop: Header=BB128_21 Depth=1
	ds_read_b32 v2, v9 offset:4112
	s_waitcnt lgkmcnt(0)
	ds_write_b32 v9, v2 offset:4104
.LBB128_38:                             ;   in Loop: Header=BB128_21 Depth=1
	s_or_b64 exec, exec, s[14:15]
	s_waitcnt lgkmcnt(0)
	s_barrier
	s_mov_b64 s[14:15], -1
	s_mov_b32 s65, 0
	s_and_b64 vcc, exec, s[18:19]
	s_cbranch_vccz .LBB128_49
.LBB128_39:                             ;   in Loop: Header=BB128_21 Depth=1
	v_mov_b32_e32 v2, 0
	s_mov_b64 s[14:15], exec
	v_readlane_b32 s8, v52, 5
	v_readlane_b32 s9, v52, 6
	s_and_b64 s[8:9], s[14:15], s[8:9]
	s_mov_b64 exec, s[8:9]
	s_cbranch_execz .LBB128_41
; %bb.40:                               ;   in Loop: Header=BB128_21 Depth=1
	global_load_ushort v2, v[10:11], off
.LBB128_41:                             ;   in Loop: Header=BB128_21 Depth=1
	s_or_b64 exec, exec, s[14:15]
	s_mov_b64 s[16:17], exec
	v_readlane_b32 s8, v52, 5
	v_readlane_b32 s9, v52, 6
	s_and_b64 s[8:9], s[16:17], s[8:9]
	s_mov_b64 exec, s[8:9]
	s_cbranch_execz .LBB128_46
; %bb.42:                               ;   in Loop: Header=BB128_21 Depth=1
	v_readlane_b32 s8, v52, 16
	v_readlane_b32 s9, v52, 17
	s_mov_b64 s[18:19], 0
	v_mov_b32_e32 v4, v17
	v_mov_b32_e32 v36, v0
	s_nop 1
	global_load_ushort v3, v9, s[8:9]
	s_waitcnt vmcnt(0)
	v_add_u32_e32 v8, v0, v3
	v_lshlrev_b32_e32 v5, 1, v3
	v_mul_lo_u32 v35, s58, v3
	v_mul_lo_u32 v8, s58, v8
	s_branch .LBB128_44
.LBB128_43:                             ;   in Loop: Header=BB128_44 Depth=2
	s_or_b64 exec, exec, s[20:21]
	s_and_b64 s[8:9], exec, vcc
	s_or_b64 s[18:19], s[8:9], s[18:19]
	ds_write_b16 v4, v2
	v_add_u32_e32 v4, v4, v5
	v_add_u32_e32 v8, v8, v35
	s_waitcnt vmcnt(0)
	v_mov_b32_e32 v2, v37
	s_andn2_b64 exec, exec, s[18:19]
	s_cbranch_execz .LBB128_46
.LBB128_44:                             ;   Parent Loop BB128_21 Depth=1
                                        ; =>  This Inner Loop Header: Depth=2
	v_add_u32_e32 v36, v36, v3
	v_cmp_gt_u32_e64 s[14:15], s56, v36
	v_cmp_le_u32_e32 vcc, s56, v36
	v_mov_b32_e32 v37, 0
	s_and_saveexec_b64 s[20:21], s[14:15]
	s_cbranch_execz .LBB128_43
; %bb.45:                               ;   in Loop: Header=BB128_44 Depth=2
	v_lshlrev_b64 v[38:39], 1, v[8:9]
	v_mov_b32_e32 v37, s33
	v_add_co_u32_e64 v38, s[14:15], s57, v38
	v_addc_co_u32_e64 v39, s[14:15], v37, v39, s[14:15]
	global_load_ushort v37, v[38:39], off
	s_branch .LBB128_43
.LBB128_46:                             ;   in Loop: Header=BB128_21 Depth=1
	s_or_b64 exec, exec, s[16:17]
	s_waitcnt lgkmcnt(0)
	s_barrier
	s_mov_b64 s[14:15], exec
	v_readlane_b32 s8, v52, 7
	v_readlane_b32 s9, v52, 8
	s_and_b64 s[8:9], s[14:15], s[8:9]
	s_mov_b64 exec, s[8:9]
	s_cbranch_execz .LBB128_48
; %bb.47:                               ;   in Loop: Header=BB128_21 Depth=1
	s_waitcnt vmcnt(0)
	v_mov_b32_e32 v2, s56
	ds_write_b32 v9, v2 offset:4104
.LBB128_48:                             ;   in Loop: Header=BB128_21 Depth=1
	s_or_b64 exec, exec, s[14:15]
	s_mov_b64 s[14:15], -1
	s_waitcnt lgkmcnt(0)
	s_barrier
                                        ; implicit-def: $sgpr65
.LBB128_49:                             ;   in Loop: Header=BB128_21 Depth=1
	s_and_b64 vcc, exec, s[14:15]
	s_cbranch_vccz .LBB128_51
; %bb.50:                               ;   in Loop: Header=BB128_21 Depth=1
	s_waitcnt vmcnt(0)
	ds_read_b32 v2, v9 offset:4104
	s_waitcnt lgkmcnt(0)
	v_readfirstlane_b32 s65, v2
.LBB128_51:                             ;   in Loop: Header=BB128_21 Depth=1
	s_cmp_lt_i32 s65, 1
	s_cbranch_scc0 .LBB128_63
; %bb.52:                               ;   in Loop: Header=BB128_21 Depth=1
	s_waitcnt vmcnt(0)
	v_mov_b32_e32 v2, 0
	s_mov_b32 s48, 0
	v_mov_b32_e32 v3, 0
	v_mov_b32_e32 v4, v2
	;; [unrolled: 1-line block ×3, first 2 shown]
	s_mov_b64 s[44:45], exec
	v_readlane_b32 s8, v52, 30
	v_readlane_b32 s9, v52, 31
	s_and_b64 s[8:9], s[44:45], s[8:9]
	s_mov_b64 exec, s[8:9]
	s_cbranch_execz .LBB128_56
; %bb.53:                               ;   in Loop: Header=BB128_21 Depth=1
	s_and_b32 s49, s69, 0xfe
	s_mov_b64 s[46:47], 0
	s_mov_b32 s50, 0
	s_mov_b32 s51, 0
	;; [unrolled: 1-line block ×4, first 2 shown]
	v_mov_b32_e32 v35, v16
.LBB128_54:                             ;   Parent Loop BB128_21 Depth=1
                                        ; =>  This Inner Loop Header: Depth=2
	v_add_u32_e32 v8, s48, v25
	v_lshlrev_b64 v[2:3], 1, v[8:9]
	v_mov_b32_e32 v38, s33
	v_add_u32_e32 v8, s48, v22
	v_add_co_u32_e64 v2, s[14:15], s57, v2
	v_lshlrev_b64 v[4:5], 1, v[8:9]
	v_addc_co_u32_e64 v3, s[14:15], v38, v3, s[14:15]
	v_add_u32_e32 v8, s48, v23
	global_load_ushort v39, v[2:3], off
	v_add_co_u32_e64 v2, s[14:15], s57, v4
	v_lshlrev_b64 v[36:37], 1, v[8:9]
	v_add_u32_e32 v8, s48, v24
	v_addc_co_u32_e64 v3, s[14:15], v38, v5, s[14:15]
	v_lshlrev_b64 v[4:5], 1, v[8:9]
	global_load_ushort v8, v[2:3], off
	v_add_co_u32_e64 v2, s[14:15], s57, v36
	v_addc_co_u32_e64 v3, s[14:15], v38, v37, s[14:15]
	global_load_ushort v36, v[2:3], off
	v_add_co_u32_e64 v2, s[14:15], s57, v4
	v_addc_co_u32_e64 v3, s[14:15], v38, v5, s[14:15]
	global_load_ushort v2, v[2:3], off
	v_add_u32_e32 v35, s80, v35
	v_cmp_le_u32_e32 vcc, s72, v35
	s_add_i32 s48, s48, s75
	s_waitcnt vmcnt(3)
	v_cmp_lt_i16_e64 s[14:15], -1, v39
	v_cndmask_b32_e64 v3, v29, v30, s[14:15]
	v_xor_b32_sdwa v3, v3, v39 dst_sel:DWORD dst_unused:UNUSED_PAD src0_sel:DWORD src1_sel:WORD_0
	s_waitcnt vmcnt(2)
	v_cmp_lt_i16_e64 s[14:15], -1, v8
	v_cndmask_b32_e64 v4, v29, v30, s[14:15]
	v_cmp_o_f16_e64 s[14:15], v39, v39
	v_cndmask_b32_e64 v3, v29, v3, s[14:15]
	v_xor_b32_sdwa v4, v4, v8 dst_sel:DWORD dst_unused:UNUSED_PAD src0_sel:DWORD src1_sel:WORD_0
	s_waitcnt vmcnt(1)
	v_cmp_lt_i16_e64 s[14:15], -1, v36
	v_cndmask_b32_e64 v5, v29, v30, s[14:15]
	v_cmp_o_f16_e64 s[14:15], v8, v8
	v_cndmask_b32_e64 v4, v29, v4, s[14:15]
	v_xor_b32_sdwa v5, v5, v36 dst_sel:DWORD dst_unused:UNUSED_PAD src0_sel:DWORD src1_sel:WORD_0
	s_waitcnt vmcnt(0)
	v_cmp_lt_i16_e64 s[14:15], -1, v2
	v_cndmask_b32_e64 v8, v29, v30, s[14:15]
	v_and_b32_e32 v37, s1, v3
	v_bfe_u32 v3, v3, s49, 2
	v_cmp_o_f16_e64 s[14:15], v36, v36
	v_cndmask_b32_e64 v5, v29, v5, s[14:15]
	v_cmp_eq_u32_e64 s[14:15], s2, v37
	v_cmp_eq_u32_e64 s[16:17], 0, v3
	v_and_b32_e32 v36, s1, v4
	v_bfe_u32 v4, v4, s49, 2
	v_cmp_eq_u32_e64 s[18:19], 1, v3
	s_and_b64 s[8:9], s[14:15], s[16:17]
	v_xor_b32_sdwa v8, v8, v2 dst_sel:DWORD dst_unused:UNUSED_PAD src0_sel:DWORD src1_sel:WORD_0
	v_cmp_eq_u32_e64 s[20:21], 2, v3
	v_cmp_o_f16_e64 s[24:25], v2, v2
	v_cmp_eq_u32_e64 s[26:27], 0, v4
	v_cmp_eq_u32_e64 s[28:29], 1, v4
	;; [unrolled: 1-line block ×4, first 2 shown]
	v_cndmask_b32_e64 v4, 0, 1, s[8:9]
	s_and_b64 s[8:9], s[14:15], s[18:19]
	v_cmp_eq_u32_e64 s[22:23], 3, v3
	v_cndmask_b32_e64 v2, v29, v8, s[24:25]
	v_cndmask_b32_e64 v8, 0, 1, s[8:9]
	s_and_b64 s[8:9], s[14:15], s[20:21]
	v_cmp_eq_u32_e64 s[24:25], s2, v36
	v_cndmask_b32_e64 v36, 0, 1, s[8:9]
	s_and_b64 s[8:9], s[14:15], s[22:23]
	v_cndmask_b32_e64 v37, 0, 1, s[8:9]
	s_and_b64 s[8:9], s[24:25], s[26:27]
	v_and_b32_e32 v3, s1, v5
	v_bfe_u32 v5, v5, s49, 2
	v_cmp_ne_u32_e64 s[36:37], 0, v4
	v_cndmask_b32_e64 v4, 0, 1, s[8:9]
	s_and_b64 s[8:9], s[24:25], s[28:29]
	v_cmp_eq_u32_e64 s[16:17], 0, v5
	v_cmp_eq_u32_e64 s[18:19], 1, v5
	;; [unrolled: 1-line block ×4, first 2 shown]
	v_cndmask_b32_e64 v5, 0, 1, s[8:9]
	s_and_b64 s[8:9], s[24:25], s[30:31]
	v_cmp_eq_u32_e64 s[14:15], s2, v3
	v_cmp_ne_u32_e64 s[26:27], 0, v8
	v_cndmask_b32_e64 v8, 0, 1, s[8:9]
	s_and_b64 s[8:9], s[24:25], s[34:35]
	v_and_b32_e32 v3, s1, v2
	v_bfe_u32 v2, v2, s49, 2
	v_cmp_ne_u32_e64 s[28:29], 0, v36
	v_cndmask_b32_e64 v36, 0, 1, s[8:9]
	s_and_b64 s[8:9], s[14:15], s[16:17]
	v_cmp_eq_u32_e64 s[34:35], 0, v2
	v_cmp_eq_u32_e64 s[38:39], 1, v2
	;; [unrolled: 1-line block ×4, first 2 shown]
	v_cndmask_b32_e64 v2, 0, 1, s[8:9]
	s_and_b64 s[8:9], s[14:15], s[18:19]
	v_cmp_eq_u32_e64 s[24:25], s2, v3
	v_cndmask_b32_e64 v3, 0, 1, s[8:9]
	s_and_b64 s[8:9], s[14:15], s[20:21]
	s_bcnt1_i32_b64 s54, s[36:37]
	v_cmp_ne_u32_e64 s[36:37], 0, v4
	v_cndmask_b32_e64 v4, 0, 1, s[8:9]
	s_and_b64 s[8:9], s[14:15], s[22:23]
	v_cmp_ne_u32_e64 s[16:17], 0, v5
	v_cndmask_b32_e64 v5, 0, 1, s[8:9]
	s_and_b64 s[8:9], s[24:25], s[34:35]
	;; [unrolled: 3-line block ×3, first 2 shown]
	v_cmp_ne_u32_e64 s[30:31], 0, v37
	s_bcnt1_i32_b64 s26, s[26:27]
	s_bcnt1_i32_b64 s27, s[28:29]
	v_cmp_ne_u32_e64 s[18:19], 0, v8
	s_bcnt1_i32_b64 s29, s[16:17]
	v_cmp_ne_u32_e64 s[16:17], 0, v3
	v_cndmask_b32_e64 v3, 0, 1, s[8:9]
	s_and_b64 s[8:9], s[24:25], s[40:41]
	s_bcnt1_i32_b64 s28, s[30:31]
	v_cmp_ne_u32_e64 s[20:21], 0, v36
	s_bcnt1_i32_b64 s30, s[18:19]
	v_cmp_ne_u32_e64 s[18:19], 0, v4
	v_cndmask_b32_e64 v4, 0, 1, s[8:9]
	s_and_b64 s[8:9], s[24:25], s[42:43]
	s_bcnt1_i32_b64 s22, s[36:37]
	s_add_i32 s23, s53, s54
	s_add_i32 s26, s52, s26
	;; [unrolled: 1-line block ×3, first 2 shown]
	s_bcnt1_i32_b64 s31, s[20:21]
	v_cmp_ne_u32_e64 s[20:21], 0, v5
	v_cndmask_b32_e64 v5, 0, 1, s[8:9]
	s_add_i32 s8, s50, s28
	s_bcnt1_i32_b64 s9, s[14:15]
	v_cmp_ne_u32_e64 s[14:15], 0, v2
	s_add_i32 s22, s23, s22
	s_bcnt1_i32_b64 s23, s[16:17]
	v_cmp_ne_u32_e64 s[16:17], 0, v3
	;; [unrolled: 3-line block ×4, first 2 shown]
	s_add_i32 s8, s8, s31
	s_bcnt1_i32_b64 s14, s[14:15]
	s_add_i32 s9, s22, s9
	s_bcnt1_i32_b64 s15, s[16:17]
	;; [unrolled: 2-line block ×4, first 2 shown]
	s_add_i32 s8, s8, s27
	s_add_i32 s53, s9, s14
	;; [unrolled: 1-line block ×5, first 2 shown]
	s_or_b64 s[46:47], vcc, s[46:47]
	v_mov_b32_e32 v2, s53
	v_mov_b32_e32 v3, s52
	;; [unrolled: 1-line block ×4, first 2 shown]
	s_andn2_b64 exec, exec, s[46:47]
	s_cbranch_execnz .LBB128_54
; %bb.55:                               ;   in Loop: Header=BB128_21 Depth=1
	s_or_b64 exec, exec, s[46:47]
.LBB128_56:                             ;   in Loop: Header=BB128_21 Depth=1
	s_or_b64 exec, exec, s[44:45]
	v_mov_b32_e32 v35, 0
	s_and_saveexec_b64 s[14:15], s[10:11]
	s_cbranch_execz .LBB128_58
; %bb.57:                               ;   in Loop: Header=BB128_21 Depth=1
	global_load_ushort v35, v[14:15], off
.LBB128_58:                             ;   in Loop: Header=BB128_21 Depth=1
	s_or_b64 exec, exec, s[14:15]
	s_mov_b64 s[16:17], 0
	s_mov_b64 s[60:61], 0
	s_and_saveexec_b64 s[18:19], s[10:11]
	s_cbranch_execz .LBB128_65
; %bb.59:                               ;   in Loop: Header=BB128_21 Depth=1
	s_and_b32 s8, s69, 0xfe
	s_mov_b64 s[20:21], 0
	v_mov_b32_e32 v8, v26
	v_mov_b32_e32 v36, v21
	s_branch .LBB128_61
.LBB128_60:                             ;   in Loop: Header=BB128_61 Depth=2
	s_or_b64 exec, exec, s[22:23]
	s_and_b64 s[14:15], exec, vcc
	s_waitcnt vmcnt(0)
	v_cmp_lt_i16_e32 vcc, -1, v35
	v_cndmask_b32_e32 v38, v29, v30, vcc
	v_xor_b32_sdwa v38, v38, v35 dst_sel:DWORD dst_unused:UNUSED_PAD src0_sel:DWORD src1_sel:WORD_0
	v_cmp_o_f16_e32 vcc, v35, v35
	v_cndmask_b32_e32 v35, v29, v38, vcc
	v_and_b32_e32 v38, s1, v35
	v_bfe_u32 v35, v35, s8, 2
	s_or_b64 s[20:21], s[14:15], s[20:21]
	v_cmp_eq_u32_e32 vcc, s2, v38
	v_cmp_eq_u32_e64 s[14:15], 0, v35
	s_and_b64 s[14:15], vcc, s[14:15]
	v_cndmask_b32_e64 v38, 0, 1, s[14:15]
	v_cmp_ne_u32_e64 s[14:15], 0, v38
	s_bcnt1_i32_b64 s9, s[14:15]
	v_cmp_eq_u32_e64 s[14:15], 1, v35
	s_and_b64 s[14:15], vcc, s[14:15]
	v_cndmask_b32_e64 v38, 0, 1, s[14:15]
	v_cmp_ne_u32_e64 s[14:15], 0, v38
	v_add_u32_e32 v2, s9, v2
	s_bcnt1_i32_b64 s9, s[14:15]
	v_cmp_eq_u32_e64 s[14:15], 2, v35
	s_and_b64 s[14:15], vcc, s[14:15]
	v_cndmask_b32_e64 v38, 0, 1, s[14:15]
	v_cmp_ne_u32_e64 s[14:15], 0, v38
	v_add_u32_e32 v3, s9, v3
	s_bcnt1_i32_b64 s9, s[14:15]
	v_cmp_eq_u32_e64 s[14:15], 3, v35
	s_and_b64 s[14:15], vcc, s[14:15]
	v_cndmask_b32_e64 v35, 0, 1, s[14:15]
	v_cmp_ne_u32_e32 vcc, 0, v35
	v_add_u32_e32 v4, s9, v4
	s_bcnt1_i32_b64 s9, vcc
	v_add_u32_e32 v5, s9, v5
	v_add_u32_e32 v8, s78, v8
	v_mov_b32_e32 v35, v37
	s_andn2_b64 exec, exec, s[20:21]
	s_cbranch_execz .LBB128_64
.LBB128_61:                             ;   Parent Loop BB128_21 Depth=1
                                        ; =>  This Inner Loop Header: Depth=2
	v_add_u32_e32 v36, s59, v36
	v_cmp_gt_u32_e64 s[14:15], s56, v36
	v_cmp_le_u32_e32 vcc, s56, v36
	v_mov_b32_e32 v37, 0
	s_and_saveexec_b64 s[22:23], s[14:15]
	s_cbranch_execz .LBB128_60
; %bb.62:                               ;   in Loop: Header=BB128_61 Depth=2
	v_lshlrev_b64 v[38:39], 1, v[8:9]
	v_mov_b32_e32 v37, s33
	v_add_co_u32_e64 v38, s[14:15], s57, v38
	v_addc_co_u32_e64 v39, s[14:15], v37, v39, s[14:15]
	global_load_ushort v37, v[38:39], off
	s_branch .LBB128_60
.LBB128_63:                             ;   in Loop: Header=BB128_21 Depth=1
	s_mov_b64 s[60:61], 0
                                        ; implicit-def: $vgpr5
	s_cbranch_execnz .LBB128_66
	s_branch .LBB128_75
.LBB128_64:                             ;   in Loop: Header=BB128_21 Depth=1
	s_or_b64 exec, exec, s[20:21]
	s_mov_b64 s[60:61], exec
.LBB128_65:                             ;   in Loop: Header=BB128_21 Depth=1
	s_or_b64 exec, exec, s[18:19]
	s_and_b64 vcc, exec, s[16:17]
	s_cbranch_vccz .LBB128_75
.LBB128_66:                             ;   in Loop: Header=BB128_21 Depth=1
	s_mul_hi_u32 s8, s65, s79
	s_mul_i32 s8, s8, s80
	s_sub_i32 s8, s65, s8
	s_sub_i32 s9, s8, s80
	s_cmp_ge_u32 s8, s80
	s_cselect_b32 s8, s9, s8
	s_sub_i32 s9, s8, s80
	s_cmp_ge_u32 s8, s80
	s_cselect_b32 s8, s9, s8
	s_sub_i32 s81, s65, s8
	v_cmp_gt_u32_e32 vcc, s81, v16
	s_mov_b32 s70, 0
	s_waitcnt vmcnt(0)
	v_mov_b32_e32 v2, 0
	v_mov_b32_e32 v3, 0
	v_mov_b32_e32 v4, 0
	v_mov_b32_e32 v5, 0
	s_and_saveexec_b64 s[62:63], vcc
	s_cbranch_execz .LBB128_70
; %bb.67:                               ;   in Loop: Header=BB128_21 Depth=1
	s_and_b32 s73, s69, 0xfe
	s_mov_b64 s[76:77], 0
	v_mov_b32_e32 v8, v27
	s_mov_b32 s71, 0
	s_mov_b32 s8, 0
	;; [unrolled: 1-line block ×3, first 2 shown]
	v_mov_b32_e32 v35, v16
.LBB128_68:                             ;   Parent Loop BB128_21 Depth=1
                                        ; =>  This Inner Loop Header: Depth=2
	ds_read_b64 v[2:3], v8
	v_add_u32_e32 v35, s80, v35
	v_cmp_le_u32_e32 vcc, s81, v35
	v_add_u32_e32 v8, s12, v8
	s_waitcnt lgkmcnt(0)
	v_cmp_lt_i16_e64 s[14:15], -1, v2
	v_cndmask_b32_e64 v4, v29, v30, s[14:15]
	v_cmp_gt_i16_sdwa s[14:15], v2, v31 src0_sel:WORD_1 src1_sel:DWORD
	v_cndmask_b32_e64 v5, v29, v30, s[14:15]
	v_cmp_lt_i16_e64 s[14:15], -1, v3
	v_cndmask_b32_e64 v36, v29, v30, s[14:15]
	v_cmp_gt_i16_sdwa s[14:15], v3, v31 src0_sel:WORD_1 src1_sel:DWORD
	v_cndmask_b32_e64 v37, v29, v30, s[14:15]
	v_xor_b32_sdwa v36, v36, v3 dst_sel:DWORD dst_unused:UNUSED_PAD src0_sel:DWORD src1_sel:WORD_0
	v_cmp_o_f16_e64 s[16:17], v3, v3
	v_xor_b32_sdwa v37, v37, v3 dst_sel:DWORD dst_unused:UNUSED_PAD src0_sel:DWORD src1_sel:WORD_1
	v_cmp_o_f16_sdwa s[18:19], v3, v3 src0_sel:WORD_1 src1_sel:WORD_1
	v_xor_b32_sdwa v3, v4, v2 dst_sel:DWORD dst_unused:UNUSED_PAD src0_sel:DWORD src1_sel:WORD_0
	v_cmp_o_f16_e64 s[20:21], v2, v2
	v_xor_b32_sdwa v5, v5, v2 dst_sel:DWORD dst_unused:UNUSED_PAD src0_sel:DWORD src1_sel:WORD_1
	v_cmp_o_f16_sdwa s[14:15], v2, v2 src0_sel:WORD_1 src1_sel:WORD_1
	v_cndmask_b32_e64 v2, v29, v3, s[20:21]
	v_cndmask_b32_e64 v3, v29, v5, s[14:15]
	;; [unrolled: 1-line block ×3, first 2 shown]
	v_and_b32_e32 v36, s1, v2
	v_bfe_u32 v2, v2, s73, 2
	v_cndmask_b32_e64 v5, v29, v37, s[18:19]
	v_and_b32_e32 v37, s1, v3
	v_bfe_u32 v3, v3, s73, 2
	v_cmp_eq_u32_e64 s[14:15], s2, v36
	v_cmp_eq_u32_e64 s[22:23], 0, v2
	v_and_b32_e32 v38, s1, v4
	v_bfe_u32 v4, v4, s73, 2
	v_cmp_eq_u32_e64 s[16:17], s2, v37
	v_cmp_eq_u32_e64 s[24:25], 0, v3
	s_and_b64 s[22:23], s[14:15], s[22:23]
	v_and_b32_e32 v39, s1, v5
	v_bfe_u32 v5, v5, s73, 2
	v_cmp_eq_u32_e64 s[18:19], s2, v38
	v_cmp_eq_u32_e64 s[26:27], 0, v4
	;; [unrolled: 1-line block ×5, first 2 shown]
	v_cndmask_b32_e64 v2, 0, 1, s[22:23]
	s_and_b64 s[22:23], s[16:17], s[24:25]
	v_cmp_eq_u32_e64 s[20:21], s2, v39
	v_cmp_eq_u32_e64 s[28:29], 0, v5
	;; [unrolled: 1-line block ×5, first 2 shown]
	v_cndmask_b32_e64 v3, 0, 1, s[22:23]
	s_and_b64 s[22:23], s[18:19], s[26:27]
	v_cmp_eq_u32_e64 s[36:37], 1, v4
	v_cmp_eq_u32_e64 s[44:45], 2, v4
	;; [unrolled: 1-line block ×3, first 2 shown]
	v_cndmask_b32_e64 v4, 0, 1, s[22:23]
	s_and_b64 s[22:23], s[20:21], s[28:29]
	v_cmp_eq_u32_e64 s[38:39], 1, v5
	v_cmp_eq_u32_e64 s[46:47], 2, v5
	;; [unrolled: 1-line block ×3, first 2 shown]
	v_cndmask_b32_e64 v5, 0, 1, s[22:23]
	s_and_b64 s[22:23], s[14:15], s[30:31]
	v_cndmask_b32_e64 v36, 0, 1, s[22:23]
	s_and_b64 s[22:23], s[16:17], s[34:35]
	;; [unrolled: 2-line block ×5, first 2 shown]
	s_and_b64 s[14:15], s[14:15], s[48:49]
	v_cndmask_b32_e64 v40, 0, 1, s[22:23]
	s_and_b64 s[22:23], s[16:17], s[42:43]
	v_cndmask_b32_e64 v44, 0, 1, s[14:15]
	;; [unrolled: 2-line block ×7, first 2 shown]
	v_cndmask_b32_e64 v47, 0, 1, s[14:15]
	v_cmp_ne_u32_e64 s[14:15], 0, v2
	v_cmp_ne_u32_e64 s[16:17], 0, v3
	;; [unrolled: 1-line block ×11, first 2 shown]
	s_bcnt1_i32_b64 s14, s[14:15]
	s_bcnt1_i32_b64 s15, s[16:17]
	;; [unrolled: 1-line block ×8, first 2 shown]
	v_cmp_ne_u32_e64 s[28:29], 0, v39
	v_cmp_ne_u32_e64 s[36:37], 0, v42
	v_cmp_ne_u32_e64 s[44:45], 0, v46
	s_bcnt1_i32_b64 s19, s[24:25]
	s_bcnt1_i32_b64 s23, s[34:35]
	;; [unrolled: 1-line block ×3, first 2 shown]
	s_add_i32 s9, s9, s14
	s_add_i32 s8, s8, s18
	;; [unrolled: 1-line block ×4, first 2 shown]
	v_cmp_ne_u32_e64 s[38:39], 0, v43
	v_cmp_ne_u32_e64 s[46:47], 0, v47
	s_bcnt1_i32_b64 s21, s[28:29]
	s_bcnt1_i32_b64 s24, s[36:37]
	;; [unrolled: 1-line block ×3, first 2 shown]
	s_add_i32 s9, s9, s15
	s_add_i32 s8, s8, s19
	s_add_i32 s14, s14, s23
	s_add_i32 s15, s18, s27
	s_bcnt1_i32_b64 s25, s[38:39]
	s_bcnt1_i32_b64 s29, s[46:47]
	s_add_i32 s9, s9, s16
	s_add_i32 s8, s8, s20
	;; [unrolled: 1-line block ×8, first 2 shown]
	s_or_b64 s[76:77], vcc, s[76:77]
	v_mov_b32_e32 v2, s9
	v_mov_b32_e32 v3, s8
	;; [unrolled: 1-line block ×4, first 2 shown]
	s_andn2_b64 exec, exec, s[76:77]
	s_cbranch_execnz .LBB128_68
; %bb.69:                               ;   in Loop: Header=BB128_21 Depth=1
	s_or_b64 exec, exec, s[76:77]
.LBB128_70:                             ;   in Loop: Header=BB128_21 Depth=1
	s_or_b64 exec, exec, s[62:63]
	v_add_u32_e32 v8, s81, v0
	v_cmp_gt_u32_e32 vcc, s65, v8
	s_and_saveexec_b64 s[24:25], vcc
	s_cbranch_execz .LBB128_74
; %bb.71:                               ;   in Loop: Header=BB128_21 Depth=1
	s_and_b32 s8, s69, 0xfe
	v_lshlrev_b32_e32 v35, 1, v8
	s_mov_b64 s[26:27], 0
.LBB128_72:                             ;   Parent Loop BB128_21 Depth=1
                                        ; =>  This Inner Loop Header: Depth=2
	ds_read_u16 v36, v35
	v_add_u32_e32 v8, s59, v8
	v_cmp_le_u32_e32 vcc, s65, v8
	v_add_u32_e32 v35, s13, v35
	s_waitcnt lgkmcnt(0)
	v_cmp_lt_i16_e64 s[14:15], -1, v36
	v_cndmask_b32_e64 v37, v29, v30, s[14:15]
	v_xor_b32_sdwa v37, v37, v36 dst_sel:DWORD dst_unused:UNUSED_PAD src0_sel:DWORD src1_sel:WORD_0
	v_cmp_o_f16_e64 s[14:15], v36, v36
	v_cndmask_b32_e64 v36, v29, v37, s[14:15]
	v_and_b32_e32 v37, s1, v36
	v_bfe_u32 v36, v36, s8, 2
	v_cmp_eq_u32_e64 s[14:15], s2, v37
	v_cmp_eq_u32_e64 s[16:17], 0, v36
	;; [unrolled: 1-line block ×3, first 2 shown]
	s_and_b64 s[16:17], s[14:15], s[16:17]
	v_cmp_eq_u32_e64 s[20:21], 2, v36
	v_cmp_eq_u32_e64 s[22:23], 3, v36
	v_cndmask_b32_e64 v36, 0, 1, s[16:17]
	s_and_b64 s[16:17], s[14:15], s[18:19]
	v_cndmask_b32_e64 v37, 0, 1, s[16:17]
	s_and_b64 s[16:17], s[14:15], s[20:21]
	s_and_b64 s[14:15], s[14:15], s[22:23]
	v_cndmask_b32_e64 v38, 0, 1, s[16:17]
	v_cndmask_b32_e64 v39, 0, 1, s[14:15]
	v_cmp_ne_u32_e64 s[14:15], 0, v36
	v_cmp_ne_u32_e64 s[16:17], 0, v37
	;; [unrolled: 1-line block ×4, first 2 shown]
	s_bcnt1_i32_b64 s9, s[14:15]
	s_bcnt1_i32_b64 s14, s[16:17]
	;; [unrolled: 1-line block ×4, first 2 shown]
	v_add_u32_e32 v2, s9, v2
	v_add_u32_e32 v3, s14, v3
	;; [unrolled: 1-line block ×3, first 2 shown]
	s_or_b64 s[26:27], vcc, s[26:27]
	v_add_u32_e32 v5, s16, v5
	s_andn2_b64 exec, exec, s[26:27]
	s_cbranch_execnz .LBB128_72
; %bb.73:                               ;   in Loop: Header=BB128_21 Depth=1
	s_or_b64 exec, exec, s[26:27]
	s_or_b64 s[60:61], s[60:61], exec
.LBB128_74:                             ;   in Loop: Header=BB128_21 Depth=1
	s_or_b64 exec, exec, s[24:25]
.LBB128_75:                             ;   in Loop: Header=BB128_21 Depth=1
	s_and_saveexec_b64 s[14:15], s[60:61]
	s_or_b64 exec, exec, s[14:15]
	s_lshl_b32 s8, s0, 6
	s_and_saveexec_b64 s[14:15], s[4:5]
	s_cbranch_execz .LBB128_77
; %bb.76:                               ;   in Loop: Header=BB128_21 Depth=1
	v_or_b32_e32 v8, s8, v19
	v_lshlrev_b32_e32 v8, 2, v8
	s_waitcnt vmcnt(0)
	ds_write_b128 v8, v[2:5] offset:3072
.LBB128_77:                             ;   in Loop: Header=BB128_21 Depth=1
	s_or_b64 exec, exec, s[14:15]
	s_waitcnt lgkmcnt(0)
	s_barrier
	s_and_saveexec_b64 s[14:15], s[66:67]
	s_cbranch_execz .LBB128_91
; %bb.78:                               ;   in Loop: Header=BB128_21 Depth=1
	v_readlane_b32 s16, v52, 14
	v_readlane_b32 s17, v52, 15
	v_add_u32_e32 v4, s8, v13
	s_andn2_b64 vcc, exec, s[16:17]
	s_waitcnt vmcnt(0)
	v_mov_b32_e32 v2, 0
	s_cbranch_vccnz .LBB128_90
; %bb.79:                               ;   in Loop: Header=BB128_21 Depth=1
	v_readlane_b32 s16, v52, 18
	v_readlane_b32 s17, v52, 19
	s_mov_b32 s9, 0
	s_and_b64 vcc, exec, s[16:17]
	v_mov_b32_e32 v2, 0
	s_cbranch_vccz .LBB128_83
; %bb.80:                               ;   in Loop: Header=BB128_21 Depth=1
	v_readlane_b32 s16, v52, 20
	v_readlane_b32 s17, v52, 21
	v_lshl_add_u32 v5, v4, 2, v32
	s_andn2_b64 vcc, exec, s[16:17]
	s_cbranch_vccnz .LBB128_84
; %bb.81:                               ;   in Loop: Header=BB128_21 Depth=1
	s_mov_b32 s17, 1
	s_mov_b32 s16, 0
	v_mov_b32_e32 v2, 0
	v_readlane_b32 s9, v52, 22
	v_mov_b32_e32 v3, 0
.LBB128_82:                             ;   Parent Loop BB128_21 Depth=1
                                        ; =>  This Inner Loop Header: Depth=2
	v_lshl_add_u32 v8, s16, 4, v5
	v_lshl_add_u32 v35, s17, 4, v5
	ds_read2_b32 v[36:37], v8 offset1:8
	ds_read2_b32 v[38:39], v35 offset1:8
	ds_read2_b32 v[40:41], v8 offset0:16 offset1:24
	ds_read2_b32 v[42:43], v35 offset0:16 offset1:24
	;; [unrolled: 1-line block ×6, first 2 shown]
	s_waitcnt lgkmcnt(7)
	v_add3_u32 v2, v36, v2, v37
	s_waitcnt lgkmcnt(6)
	v_add3_u32 v3, v38, v3, v39
	;; [unrolled: 2-line block ×3, first 2 shown]
	v_add3_u32 v2, v40, v2, v41
	s_add_i32 s17, s17, 16
	s_add_i32 s16, s16, 16
	s_add_i32 s9, s9, -8
	s_waitcnt lgkmcnt(3)
	v_add3_u32 v2, v44, v2, v45
	s_waitcnt lgkmcnt(2)
	v_add3_u32 v3, v46, v3, v47
	s_cmp_lg_u32 s9, 0
	s_waitcnt lgkmcnt(0)
	v_add3_u32 v3, v50, v3, v51
	v_add3_u32 v2, v48, v2, v49
	s_cbranch_scc1 .LBB128_82
	s_branch .LBB128_85
.LBB128_83:                             ;   in Loop: Header=BB128_21 Depth=1
	s_cbranch_execnz .LBB128_88
	s_branch .LBB128_90
.LBB128_84:                             ;   in Loop: Header=BB128_21 Depth=1
	s_mov_b32 s65, s64
	v_pk_mov_b32 v[2:3], s[64:65], s[64:65] op_sel:[0,1]
	s_mov_b32 s65, 1
	s_mov_b64 s[16:17], s[64:65]
.LBB128_85:                             ;   in Loop: Header=BB128_21 Depth=1
	v_readlane_b32 s18, v52, 24
	v_readlane_b32 s19, v52, 25
	s_andn2_b64 vcc, exec, s[18:19]
	v_readlane_b32 s9, v52, 23
	s_cbranch_vccnz .LBB128_87
.LBB128_86:                             ;   Parent Loop BB128_21 Depth=1
                                        ; =>  This Inner Loop Header: Depth=2
	v_lshl_add_u32 v8, s16, 4, v5
	v_lshl_add_u32 v35, s17, 4, v5
	ds_read_b32 v35, v35
	ds_read_b32 v8, v8
	s_add_i32 s17, s17, 2
	s_add_i32 s16, s16, 2
	s_add_i32 s9, s9, -1
	s_cmp_lg_u32 s9, 0
	s_waitcnt lgkmcnt(1)
	v_add_u32_e32 v3, v35, v3
	s_waitcnt lgkmcnt(0)
	v_add_u32_e32 v2, v8, v2
	s_cbranch_scc1 .LBB128_86
.LBB128_87:                             ;   in Loop: Header=BB128_21 Depth=1
	v_readlane_b32 s16, v52, 28
	v_add_u32_e32 v2, v2, v3
	v_readlane_b32 s9, v52, 27
	v_readlane_b32 s17, v52, 29
	s_and_b64 vcc, exec, s[16:17]
	s_cbranch_vccz .LBB128_90
.LBB128_88:                             ;   in Loop: Header=BB128_21 Depth=1
	s_lshl_b32 s16, s0, 8
	s_lshl_b32 s17, s9, 4
	s_add_i32 s16, s16, s17
	v_add_u32_e32 v3, s16, v28
	v_readlane_b32 s16, v52, 26
	s_sub_i32 s9, s16, s9
.LBB128_89:                             ;   Parent Loop BB128_21 Depth=1
                                        ; =>  This Inner Loop Header: Depth=2
	ds_read_b32 v5, v3
	s_add_i32 s9, s9, -1
	v_add_u32_e32 v3, 16, v3
	s_cmp_eq_u32 s9, 0
	s_waitcnt lgkmcnt(0)
	v_add_u32_e32 v2, v5, v2
	s_cbranch_scc0 .LBB128_89
.LBB128_90:                             ;   in Loop: Header=BB128_21 Depth=1
	v_lshlrev_b32_e32 v3, 2, v4
	ds_write_b32 v3, v2 offset:3072
.LBB128_91:                             ;   in Loop: Header=BB128_21 Depth=1
	s_or_b64 exec, exec, s[14:15]
	s_lshl_b32 s8, s8, 2
	s_waitcnt vmcnt(0)
	v_mov_b32_e32 v2, s8
	s_waitcnt lgkmcnt(0)
	s_barrier
	ds_read_b128 v[2:5], v2 offset:3072
	s_and_b32 s43, s69, 0xfe
	s_lshl_b32 s51, 3, s43
	s_not_b32 s44, s51
	s_mov_b64 s[18:19], -1
	s_waitcnt lgkmcnt(0)
	v_readfirstlane_b32 s28, v2
	s_cmp_eq_u32 s28, 1
	s_cselect_b64 s[8:9], -1, 0
	s_cmp_eq_u32 s3, 1
	s_cselect_b64 s[14:15], -1, 0
	s_and_b64 s[20:21], s[8:9], s[14:15]
	v_readfirstlane_b32 s34, v3
	v_readfirstlane_b32 s42, v4
	;; [unrolled: 1-line block ×3, first 2 shown]
	s_and_b64 vcc, exec, s[20:21]
	s_cbranch_vccz .LBB128_103
; %bb.92:                               ;   in Loop: Header=BB128_21 Depth=1
	ds_read_b32 v2, v9 offset:4104
	s_waitcnt lgkmcnt(0)
	s_barrier
	v_readfirstlane_b32 s8, v2
	s_and_saveexec_b64 s[14:15], s[6:7]
	s_cbranch_execz .LBB128_94
; %bb.93:                               ;   in Loop: Header=BB128_21 Depth=1
	ds_write_b16 v18, v9
.LBB128_94:                             ;   in Loop: Header=BB128_21 Depth=1
	s_or_b64 exec, exec, s[14:15]
	s_and_b32 s2, s2, s44
	s_or_b32 s1, s1, s51
	s_cmp_eq_u32 s8, 0
	s_waitcnt lgkmcnt(0)
	s_barrier
	s_cbranch_scc1 .LBB128_104
; %bb.95:                               ;   in Loop: Header=BB128_21 Depth=1
	v_readlane_b32 s9, v52, 11
	s_add_i32 s9, s8, s9
	v_readlane_b32 s14, v52, 32
	s_mul_hi_u32 s14, s9, s14
	s_mul_i32 s14, s14, s59
	s_sub_i32 s14, s9, s14
	s_sub_i32 s15, s14, s59
	s_cmp_ge_u32 s14, s59
	s_cselect_b32 s14, s15, s14
	s_sub_i32 s15, s14, s59
	s_cmp_ge_u32 s14, s59
	s_cselect_b32 s14, s15, s14
	s_sub_i32 s9, s9, s14
	v_cmp_gt_u32_e32 vcc, s9, v0
	s_mov_b64 s[14:15], 0
                                        ; implicit-def: $vgpr34
	s_and_saveexec_b64 s[16:17], vcc
	s_cbranch_execz .LBB128_106
; %bb.96:                               ;   in Loop: Header=BB128_21 Depth=1
	s_mov_b64 s[22:23], 0
	v_mov_b32_e32 v2, v17
	v_mov_b32_e32 v3, v0
                                        ; implicit-def: $sgpr24_sgpr25
	s_branch .LBB128_98
.LBB128_97:                             ;   in Loop: Header=BB128_98 Depth=2
	s_or_b64 exec, exec, s[14:15]
	s_waitcnt lgkmcnt(0)
	s_barrier
	ds_read_b32 v4, v9 offset:3072
	v_add_u32_e32 v3, s59, v3
	v_cmp_le_u32_e64 s[14:15], s9, v3
	v_add_u32_e32 v2, s13, v2
	s_waitcnt lgkmcnt(0)
	v_cmp_neq_f16_e32 vcc, 0, v4
	s_or_b64 s[14:15], s[14:15], vcc
	s_and_b64 s[14:15], exec, s[14:15]
	s_or_b64 s[22:23], s[14:15], s[22:23]
	s_andn2_b64 s[14:15], s[24:25], exec
	s_and_b64 s[24:25], vcc, exec
	s_or_b64 s[24:25], s[14:15], s[24:25]
	s_barrier
	s_andn2_b64 exec, exec, s[22:23]
	s_cbranch_execz .LBB128_105
.LBB128_98:                             ;   Parent Loop BB128_21 Depth=1
                                        ; =>  This Inner Loop Header: Depth=2
	v_cmp_gt_u32_e32 vcc, s8, v3
	v_mov_b32_e32 v4, 0
	s_and_saveexec_b64 s[14:15], vcc
	s_cbranch_execz .LBB128_100
; %bb.99:                               ;   in Loop: Header=BB128_98 Depth=2
	ds_read_u16 v4, v2
.LBB128_100:                            ;   in Loop: Header=BB128_98 Depth=2
	s_or_b64 exec, exec, s[14:15]
	s_and_saveexec_b64 s[14:15], vcc
	s_cbranch_execz .LBB128_97
; %bb.101:                              ;   in Loop: Header=BB128_98 Depth=2
	s_waitcnt lgkmcnt(0)
	v_cmp_lt_i16_e32 vcc, -1, v4
	v_cndmask_b32_e32 v5, v29, v30, vcc
	v_xor_b32_sdwa v5, v5, v4 dst_sel:DWORD dst_unused:UNUSED_PAD src0_sel:DWORD src1_sel:WORD_0
	v_cmp_o_f16_e32 vcc, v4, v4
	v_cndmask_b32_e32 v5, v29, v5, vcc
	v_and_b32_e32 v5, s1, v5
	v_cmp_eq_u32_e32 vcc, s2, v5
	s_and_b64 exec, exec, vcc
	s_cbranch_execz .LBB128_97
; %bb.102:                              ;   in Loop: Header=BB128_98 Depth=2
	v_perm_b32 v4, v4, s68, v33
	ds_write_b32 v9, v4 offset:3072
	s_branch .LBB128_97
.LBB128_103:                            ;   in Loop: Header=BB128_21 Depth=1
	s_mov_b64 s[14:15], -1
                                        ; implicit-def: $sgpr16_sgpr17
                                        ; implicit-def: $sgpr24_sgpr25
                                        ; implicit-def: $sgpr22_sgpr23
	s_branch .LBB128_117
.LBB128_104:                            ;   in Loop: Header=BB128_21 Depth=1
	s_mov_b64 s[16:17], -1
	s_mov_b64 s[14:15], 0
                                        ; implicit-def: $sgpr22_sgpr23
                                        ; implicit-def: $vgpr34
	s_mov_b64 s[24:25], s[16:17]
	s_cbranch_execnz .LBB128_107
	s_branch .LBB128_117
.LBB128_105:                            ;   in Loop: Header=BB128_21 Depth=1
	s_or_b64 exec, exec, s[22:23]
	v_lshrrev_b32_e32 v34, 16, v4
	s_and_b64 s[14:15], s[24:25], exec
.LBB128_106:                            ;   in Loop: Header=BB128_21 Depth=1
	s_or_b64 exec, exec, s[16:17]
	s_mov_b64 s[22:23], -1
	s_mov_b64 s[16:17], 0
	s_mov_b64 s[24:25], s[16:17]
	s_branch .LBB128_117
.LBB128_107:                            ;   in Loop: Header=BB128_21 Depth=1
	s_mov_b64 s[14:15], 0
                                        ; implicit-def: $vgpr34
	s_mov_b64 s[16:17], exec
	v_readlane_b32 s8, v52, 33
	v_readlane_b32 s9, v52, 34
	s_and_b64 s[8:9], s[16:17], s[8:9]
	s_mov_b64 exec, s[8:9]
	s_cbranch_execz .LBB128_116
; %bb.108:                              ;   in Loop: Header=BB128_21 Depth=1
	s_mov_b64 s[22:23], 0
	v_mov_b32_e32 v8, v6
	v_mov_b32_e32 v2, v0
                                        ; implicit-def: $sgpr24_sgpr25
	s_branch .LBB128_110
.LBB128_109:                            ;   in Loop: Header=BB128_110 Depth=2
	s_or_b64 exec, exec, s[14:15]
	s_waitcnt lgkmcnt(0)
	s_barrier
	s_waitcnt vmcnt(0)
	ds_read_b32 v3, v9 offset:3072
	v_add_u32_e32 v2, s59, v2
	v_cmp_le_u32_e64 s[14:15], s74, v2
	v_add_u32_e32 v8, s78, v8
	s_waitcnt lgkmcnt(0)
	v_cmp_neq_f16_e32 vcc, 0, v3
	s_or_b64 s[8:9], s[14:15], vcc
	s_and_b64 s[8:9], exec, s[8:9]
	s_or_b64 s[22:23], s[8:9], s[22:23]
	s_andn2_b64 s[8:9], s[24:25], exec
	s_and_b64 s[14:15], vcc, exec
	s_or_b64 s[24:25], s[8:9], s[14:15]
	s_barrier
	s_andn2_b64 exec, exec, s[22:23]
	s_cbranch_execz .LBB128_115
.LBB128_110:                            ;   Parent Loop BB128_21 Depth=1
                                        ; =>  This Inner Loop Header: Depth=2
	v_cmp_gt_u32_e32 vcc, s56, v2
	v_mov_b32_e32 v3, 0
	s_and_saveexec_b64 s[26:27], vcc
	s_cbranch_execz .LBB128_112
; %bb.111:                              ;   in Loop: Header=BB128_110 Depth=2
	v_lshlrev_b64 v[4:5], 1, v[8:9]
	v_mov_b32_e32 v3, s33
	v_add_co_u32_e64 v4, s[14:15], s57, v4
	v_addc_co_u32_e64 v5, s[14:15], v3, v5, s[14:15]
	global_load_ushort v3, v[4:5], off
.LBB128_112:                            ;   in Loop: Header=BB128_110 Depth=2
	s_or_b64 exec, exec, s[26:27]
	s_and_saveexec_b64 s[14:15], vcc
	s_cbranch_execz .LBB128_109
; %bb.113:                              ;   in Loop: Header=BB128_110 Depth=2
	s_waitcnt vmcnt(0)
	v_cmp_lt_i16_e32 vcc, -1, v3
	v_cndmask_b32_e32 v4, v29, v30, vcc
	v_xor_b32_sdwa v4, v4, v3 dst_sel:DWORD dst_unused:UNUSED_PAD src0_sel:DWORD src1_sel:WORD_0
	v_cmp_o_f16_e32 vcc, v3, v3
	v_cndmask_b32_e32 v4, v29, v4, vcc
	v_and_b32_e32 v4, s1, v4
	v_cmp_eq_u32_e32 vcc, s2, v4
	s_and_b64 exec, exec, vcc
	s_cbranch_execz .LBB128_109
; %bb.114:                              ;   in Loop: Header=BB128_110 Depth=2
	v_perm_b32 v3, v3, s68, v33
	ds_write_b32 v9, v3 offset:3072
	s_branch .LBB128_109
.LBB128_115:                            ;   in Loop: Header=BB128_21 Depth=1
	s_or_b64 exec, exec, s[22:23]
	v_lshrrev_b32_e32 v34, 16, v3
	s_and_b64 s[14:15], s[24:25], exec
.LBB128_116:                            ;   in Loop: Header=BB128_21 Depth=1
	s_or_b64 exec, exec, s[16:17]
	s_mov_b64 s[24:25], -1
	s_mov_b64 s[16:17], 0
	s_mov_b64 s[22:23], 0
.LBB128_117:                            ;   in Loop: Header=BB128_21 Depth=1
	s_andn2_b64 s[8:9], s[94:95], exec
	s_and_b64 s[16:17], s[16:17], exec
	s_or_b64 s[94:95], s[8:9], s[16:17]
	s_andn2_b64 s[8:9], s[92:93], exec
	s_and_b64 s[16:17], s[24:25], exec
	s_or_b64 s[92:93], s[8:9], s[16:17]
	;; [unrolled: 3-line block ×3, first 2 shown]
	s_and_saveexec_b64 s[16:17], s[14:15]
	s_cbranch_execz .LBB128_20
; %bb.118:                              ;   in Loop: Header=BB128_21 Depth=1
	s_xor_b64 s[8:9], s[20:21], -1
	s_mov_b64 s[14:15], 0
	s_andn2_b64 vcc, exec, s[8:9]
	s_mov_b32 s35, 1
	s_cbranch_vccnz .LBB128_129
; %bb.119:                              ;   in Loop: Header=BB128_21 Depth=1
	s_cmp_gt_u32 s3, s28
	s_mov_b64 s[14:15], -1
                                        ; implicit-def: $sgpr52
                                        ; implicit-def: $sgpr8
                                        ; implicit-def: $sgpr9
	s_cbranch_scc1 .LBB128_125
; %bb.120:                              ;   in Loop: Header=BB128_21 Depth=1
	ds_read_b32 v2, v9 offset:4104
	s_waitcnt lgkmcnt(0)
	v_cmp_ne_u32_e32 vcc, 0, v2
	s_cbranch_vccnz .LBB128_124
; %bb.121:                              ;   in Loop: Header=BB128_21 Depth=1
	s_mov_b64 s[14:15], exec
	v_readlane_b32 s8, v52, 7
	v_readlane_b32 s9, v52, 8
	s_and_b64 s[8:9], s[14:15], s[8:9]
	s_mov_b64 exec, s[8:9]
	s_cbranch_execz .LBB128_123
; %bb.122:                              ;   in Loop: Header=BB128_21 Depth=1
	v_mov_b32_e32 v2, s28
	ds_write_b32 v9, v2 offset:4108
.LBB128_123:                            ;   in Loop: Header=BB128_21 Depth=1
	s_or_b64 exec, exec, s[14:15]
	s_waitcnt lgkmcnt(0)
	s_barrier
.LBB128_124:                            ;   in Loop: Header=BB128_21 Depth=1
	s_and_b32 s8, s2, s44
	s_or_b32 s9, s1, s51
	s_mov_b64 s[14:15], 0
	s_mov_b32 s52, 8
.LBB128_125:                            ;   in Loop: Header=BB128_21 Depth=1
	s_andn2_b64 vcc, exec, s[14:15]
	s_cbranch_vccnz .LBB128_127
; %bb.126:                              ;   in Loop: Header=BB128_21 Depth=1
	s_sub_i32 s3, s3, s28
	s_mov_b64 s[14:15], -1
	s_mov_b32 s52, 0
	s_mov_b32 s8, s2
	;; [unrolled: 1-line block ×3, first 2 shown]
.LBB128_127:                            ;   in Loop: Header=BB128_21 Depth=1
	s_mov_b32 s1, s9
	s_mov_b32 s2, s8
	;; [unrolled: 1-line block ×3, first 2 shown]
	s_mov_b64 s[18:19], -1
	s_and_b64 vcc, exec, s[14:15]
	s_cbranch_vccnz .LBB128_130
.LBB128_128:                            ;   in Loop: Header=BB128_21 Depth=1
	s_mov_b64 s[30:31], -1
                                        ; implicit-def: $sgpr20_sgpr21
                                        ; implicit-def: $sgpr24_sgpr25
                                        ; implicit-def: $sgpr22_sgpr23
                                        ; implicit-def: $sgpr3
	s_and_saveexec_b64 s[8:9], s[30:31]
	s_xor_b64 s[14:15], exec, s[8:9]
	s_cbranch_execz .LBB128_19
	s_branch .LBB128_253
.LBB128_129:                            ;   in Loop: Header=BB128_21 Depth=1
	s_mov_b32 s52, 1
	s_mov_b64 s[18:19], -1
	s_and_b64 vcc, exec, s[14:15]
	s_cbranch_vccz .LBB128_128
.LBB128_130:                            ;   in Loop: Header=BB128_21 Depth=1
	s_cmp_eq_u32 s34, 1
	s_cselect_b64 s[8:9], -1, 0
	s_cmp_eq_u32 s35, 1
	s_cselect_b64 s[14:15], -1, 0
	s_and_b64 s[28:29], s[8:9], s[14:15]
	s_mov_b64 s[14:15], -1
	s_and_b64 vcc, exec, s[28:29]
	s_cbranch_vccz .LBB128_142
; %bb.131:                              ;   in Loop: Header=BB128_21 Depth=1
	ds_read_b32 v2, v9 offset:4104
	s_waitcnt lgkmcnt(0)
	s_barrier
	v_readfirstlane_b32 s3, v2
	s_and_saveexec_b64 s[14:15], s[6:7]
	s_cbranch_execz .LBB128_133
; %bb.132:                              ;   in Loop: Header=BB128_21 Depth=1
	ds_write_b16 v18, v9
.LBB128_133:                            ;   in Loop: Header=BB128_21 Depth=1
	s_or_b64 exec, exec, s[14:15]
	s_lshl_b32 s8, 1, s43
	s_and_b32 s2, s2, s44
	s_or_b32 s2, s2, s8
	s_or_b32 s1, s1, s51
	s_cmp_eq_u32 s3, 0
	s_waitcnt lgkmcnt(0)
	s_barrier
	s_cbranch_scc1 .LBB128_143
; %bb.134:                              ;   in Loop: Header=BB128_21 Depth=1
	v_readlane_b32 s8, v52, 11
	s_add_i32 s8, s3, s8
	v_readlane_b32 s9, v52, 32
	s_mul_hi_u32 s9, s8, s9
	s_mul_i32 s9, s9, s59
	s_sub_i32 s9, s8, s9
	s_sub_i32 s14, s9, s59
	s_cmp_ge_u32 s9, s59
	s_cselect_b32 s9, s14, s9
	s_sub_i32 s14, s9, s59
	s_cmp_ge_u32 s9, s59
	s_cselect_b32 s9, s14, s9
	s_sub_i32 s8, s8, s9
	v_cmp_gt_u32_e32 vcc, s8, v0
	s_mov_b64 s[14:15], 0
                                        ; implicit-def: $vgpr34
	s_and_saveexec_b64 s[20:21], vcc
	s_cbranch_execz .LBB128_145
; %bb.135:                              ;   in Loop: Header=BB128_21 Depth=1
	s_mov_b64 s[22:23], 0
	v_mov_b32_e32 v2, v17
	v_mov_b32_e32 v3, v0
                                        ; implicit-def: $sgpr24_sgpr25
	s_branch .LBB128_137
.LBB128_136:                            ;   in Loop: Header=BB128_137 Depth=2
	s_or_b64 exec, exec, s[14:15]
	s_waitcnt lgkmcnt(0)
	s_barrier
	ds_read_b32 v4, v9 offset:3072
	v_add_u32_e32 v3, s59, v3
	v_cmp_le_u32_e64 s[14:15], s8, v3
	v_add_u32_e32 v2, s13, v2
	s_waitcnt lgkmcnt(0)
	v_cmp_neq_f16_e32 vcc, 0, v4
	s_or_b64 s[14:15], s[14:15], vcc
	s_and_b64 s[14:15], exec, s[14:15]
	s_or_b64 s[22:23], s[14:15], s[22:23]
	s_andn2_b64 s[14:15], s[24:25], exec
	s_and_b64 s[24:25], vcc, exec
	s_or_b64 s[24:25], s[14:15], s[24:25]
	s_barrier
	s_andn2_b64 exec, exec, s[22:23]
	s_cbranch_execz .LBB128_144
.LBB128_137:                            ;   Parent Loop BB128_21 Depth=1
                                        ; =>  This Inner Loop Header: Depth=2
	v_cmp_gt_u32_e32 vcc, s3, v3
	v_mov_b32_e32 v4, 0
	s_and_saveexec_b64 s[14:15], vcc
	s_cbranch_execz .LBB128_139
; %bb.138:                              ;   in Loop: Header=BB128_137 Depth=2
	ds_read_u16 v4, v2
.LBB128_139:                            ;   in Loop: Header=BB128_137 Depth=2
	s_or_b64 exec, exec, s[14:15]
	s_and_saveexec_b64 s[14:15], vcc
	s_cbranch_execz .LBB128_136
; %bb.140:                              ;   in Loop: Header=BB128_137 Depth=2
	s_waitcnt lgkmcnt(0)
	v_cmp_lt_i16_e32 vcc, -1, v4
	v_cndmask_b32_e32 v5, v29, v30, vcc
	v_xor_b32_sdwa v5, v5, v4 dst_sel:DWORD dst_unused:UNUSED_PAD src0_sel:DWORD src1_sel:WORD_0
	v_cmp_o_f16_e32 vcc, v4, v4
	v_cndmask_b32_e32 v5, v29, v5, vcc
	v_and_b32_e32 v5, s1, v5
	v_cmp_eq_u32_e32 vcc, s2, v5
	s_and_b64 exec, exec, vcc
	s_cbranch_execz .LBB128_136
; %bb.141:                              ;   in Loop: Header=BB128_137 Depth=2
	v_perm_b32 v4, v4, s68, v33
	ds_write_b32 v9, v4 offset:3072
	s_branch .LBB128_136
.LBB128_142:                            ;   in Loop: Header=BB128_21 Depth=1
                                        ; implicit-def: $sgpr22_sgpr23
                                        ; implicit-def: $sgpr24_sgpr25
                                        ; implicit-def: $sgpr20_sgpr21
	s_branch .LBB128_156
.LBB128_143:                            ;   in Loop: Header=BB128_21 Depth=1
	s_mov_b64 s[22:23], -1
	s_mov_b64 s[14:15], 0
                                        ; implicit-def: $sgpr20_sgpr21
                                        ; implicit-def: $vgpr34
	s_mov_b64 s[24:25], s[22:23]
	s_cbranch_execnz .LBB128_146
	s_branch .LBB128_156
.LBB128_144:                            ;   in Loop: Header=BB128_21 Depth=1
	s_or_b64 exec, exec, s[22:23]
	v_lshrrev_b32_e32 v34, 16, v4
	s_and_b64 s[14:15], s[24:25], exec
.LBB128_145:                            ;   in Loop: Header=BB128_21 Depth=1
	s_or_b64 exec, exec, s[20:21]
	s_mov_b64 s[20:21], -1
	s_mov_b64 s[22:23], 0
	s_mov_b64 s[24:25], s[22:23]
	s_branch .LBB128_156
.LBB128_146:                            ;   in Loop: Header=BB128_21 Depth=1
	s_mov_b64 s[14:15], 0
                                        ; implicit-def: $vgpr34
	s_mov_b64 s[20:21], exec
	v_readlane_b32 s8, v52, 33
	v_readlane_b32 s9, v52, 34
	s_and_b64 s[8:9], s[20:21], s[8:9]
	s_mov_b64 exec, s[8:9]
	s_cbranch_execz .LBB128_155
; %bb.147:                              ;   in Loop: Header=BB128_21 Depth=1
	s_mov_b64 s[22:23], 0
	v_mov_b32_e32 v8, v6
	v_mov_b32_e32 v2, v0
                                        ; implicit-def: $sgpr24_sgpr25
	s_branch .LBB128_149
.LBB128_148:                            ;   in Loop: Header=BB128_149 Depth=2
	s_or_b64 exec, exec, s[14:15]
	s_waitcnt lgkmcnt(0)
	s_barrier
	s_waitcnt vmcnt(0)
	ds_read_b32 v3, v9 offset:3072
	v_add_u32_e32 v2, s59, v2
	v_cmp_le_u32_e64 s[14:15], s74, v2
	v_add_u32_e32 v8, s78, v8
	s_waitcnt lgkmcnt(0)
	v_cmp_neq_f16_e32 vcc, 0, v3
	s_or_b64 s[8:9], s[14:15], vcc
	s_and_b64 s[8:9], exec, s[8:9]
	s_or_b64 s[22:23], s[8:9], s[22:23]
	s_andn2_b64 s[8:9], s[24:25], exec
	s_and_b64 s[14:15], vcc, exec
	s_or_b64 s[24:25], s[8:9], s[14:15]
	s_barrier
	s_andn2_b64 exec, exec, s[22:23]
	s_cbranch_execz .LBB128_154
.LBB128_149:                            ;   Parent Loop BB128_21 Depth=1
                                        ; =>  This Inner Loop Header: Depth=2
	v_cmp_gt_u32_e32 vcc, s56, v2
	v_mov_b32_e32 v3, 0
	s_and_saveexec_b64 s[26:27], vcc
	s_cbranch_execz .LBB128_151
; %bb.150:                              ;   in Loop: Header=BB128_149 Depth=2
	v_lshlrev_b64 v[4:5], 1, v[8:9]
	v_mov_b32_e32 v3, s33
	v_add_co_u32_e64 v4, s[14:15], s57, v4
	v_addc_co_u32_e64 v5, s[14:15], v3, v5, s[14:15]
	global_load_ushort v3, v[4:5], off
.LBB128_151:                            ;   in Loop: Header=BB128_149 Depth=2
	s_or_b64 exec, exec, s[26:27]
	s_and_saveexec_b64 s[14:15], vcc
	s_cbranch_execz .LBB128_148
; %bb.152:                              ;   in Loop: Header=BB128_149 Depth=2
	s_waitcnt vmcnt(0)
	v_cmp_lt_i16_e32 vcc, -1, v3
	v_cndmask_b32_e32 v4, v29, v30, vcc
	v_xor_b32_sdwa v4, v4, v3 dst_sel:DWORD dst_unused:UNUSED_PAD src0_sel:DWORD src1_sel:WORD_0
	v_cmp_o_f16_e32 vcc, v3, v3
	v_cndmask_b32_e32 v4, v29, v4, vcc
	v_and_b32_e32 v4, s1, v4
	v_cmp_eq_u32_e32 vcc, s2, v4
	s_and_b64 exec, exec, vcc
	s_cbranch_execz .LBB128_148
; %bb.153:                              ;   in Loop: Header=BB128_149 Depth=2
	v_perm_b32 v3, v3, s68, v33
	ds_write_b32 v9, v3 offset:3072
	s_branch .LBB128_148
.LBB128_154:                            ;   in Loop: Header=BB128_21 Depth=1
	s_or_b64 exec, exec, s[22:23]
	v_lshrrev_b32_e32 v34, 16, v3
	s_and_b64 s[14:15], s[24:25], exec
.LBB128_155:                            ;   in Loop: Header=BB128_21 Depth=1
	s_or_b64 exec, exec, s[20:21]
	s_mov_b64 s[24:25], -1
	s_mov_b64 s[22:23], 0
	s_mov_b64 s[20:21], 0
.LBB128_156:                            ;   in Loop: Header=BB128_21 Depth=1
	s_mov_b64 s[30:31], 0
                                        ; implicit-def: $sgpr52
	s_and_saveexec_b64 s[26:27], s[14:15]
	s_cbranch_execz .LBB128_252
; %bb.157:                              ;   in Loop: Header=BB128_21 Depth=1
	s_xor_b64 s[8:9], s[28:29], -1
	s_mov_b64 s[14:15], 0
	s_andn2_b64 vcc, exec, s[8:9]
	s_mov_b32 s45, 1
	s_cbranch_vccnz .LBB128_168
; %bb.158:                              ;   in Loop: Header=BB128_21 Depth=1
	s_cmp_gt_u32 s35, s34
	s_mov_b64 s[14:15], -1
                                        ; implicit-def: $sgpr52
                                        ; implicit-def: $sgpr3
                                        ; implicit-def: $sgpr8
	s_cbranch_scc1 .LBB128_164
; %bb.159:                              ;   in Loop: Header=BB128_21 Depth=1
	ds_read_b32 v2, v9 offset:4104
	s_waitcnt lgkmcnt(0)
	v_cmp_ne_u32_e32 vcc, 0, v2
	s_cbranch_vccnz .LBB128_163
; %bb.160:                              ;   in Loop: Header=BB128_21 Depth=1
	s_mov_b64 s[14:15], exec
	v_readlane_b32 s8, v52, 7
	v_readlane_b32 s9, v52, 8
	s_and_b64 s[8:9], s[14:15], s[8:9]
	s_mov_b64 exec, s[8:9]
	s_cbranch_execz .LBB128_162
; %bb.161:                              ;   in Loop: Header=BB128_21 Depth=1
	v_mov_b32_e32 v2, s34
	ds_write_b32 v9, v2 offset:4108
.LBB128_162:                            ;   in Loop: Header=BB128_21 Depth=1
	s_or_b64 exec, exec, s[14:15]
	s_waitcnt lgkmcnt(0)
	s_barrier
.LBB128_163:                            ;   in Loop: Header=BB128_21 Depth=1
	s_lshl_b32 s3, 1, s43
	s_and_b32 s8, s2, s44
	s_or_b32 s3, s8, s3
	s_or_b32 s8, s1, s51
	s_mov_b64 s[14:15], 0
	s_mov_b32 s52, 8
.LBB128_164:                            ;   in Loop: Header=BB128_21 Depth=1
	s_andn2_b64 vcc, exec, s[14:15]
	s_cbranch_vccnz .LBB128_166
; %bb.165:                              ;   in Loop: Header=BB128_21 Depth=1
	s_sub_i32 s35, s35, s34
	s_mov_b64 s[14:15], -1
	s_mov_b32 s52, 0
	s_mov_b32 s3, s2
	;; [unrolled: 1-line block ×3, first 2 shown]
.LBB128_166:                            ;   in Loop: Header=BB128_21 Depth=1
	s_mov_b32 s1, s8
	s_mov_b32 s2, s3
	;; [unrolled: 1-line block ×3, first 2 shown]
	s_andn2_b64 vcc, exec, s[14:15]
	s_mov_b64 s[40:41], -1
	s_cbranch_vccz .LBB128_169
.LBB128_167:                            ;   in Loop: Header=BB128_21 Depth=1
                                        ; implicit-def: $sgpr30_sgpr31
                                        ; implicit-def: $sgpr34_sgpr35
                                        ; implicit-def: $sgpr28_sgpr29
	s_branch .LBB128_251
.LBB128_168:                            ;   in Loop: Header=BB128_21 Depth=1
	s_mov_b32 s52, 1
	s_andn2_b64 vcc, exec, s[14:15]
	s_mov_b64 s[40:41], -1
	s_cbranch_vccnz .LBB128_167
.LBB128_169:                            ;   in Loop: Header=BB128_21 Depth=1
	s_cmp_eq_u32 s42, 1
	s_cselect_b64 s[8:9], -1, 0
	s_cmp_eq_u32 s45, 1
	s_cselect_b64 s[14:15], -1, 0
	s_and_b64 s[38:39], s[8:9], s[14:15]
	s_mov_b64 s[14:15], -1
	s_and_b64 vcc, exec, s[38:39]
	s_cbranch_vccz .LBB128_181
; %bb.170:                              ;   in Loop: Header=BB128_21 Depth=1
	ds_read_b32 v2, v9 offset:4104
	s_waitcnt lgkmcnt(0)
	s_barrier
	v_readfirstlane_b32 s3, v2
	s_and_saveexec_b64 s[14:15], s[6:7]
	s_cbranch_execz .LBB128_172
; %bb.171:                              ;   in Loop: Header=BB128_21 Depth=1
	ds_write_b16 v18, v9
.LBB128_172:                            ;   in Loop: Header=BB128_21 Depth=1
	s_or_b64 exec, exec, s[14:15]
	s_lshl_b32 s8, 2, s43
	s_and_b32 s2, s2, s44
	s_or_b32 s2, s2, s8
	s_or_b32 s1, s1, s51
	s_cmp_eq_u32 s3, 0
	s_waitcnt lgkmcnt(0)
	s_barrier
	s_cbranch_scc1 .LBB128_182
; %bb.173:                              ;   in Loop: Header=BB128_21 Depth=1
	v_readlane_b32 s8, v52, 11
	s_add_i32 s8, s3, s8
	v_readlane_b32 s9, v52, 32
	s_mul_hi_u32 s9, s8, s9
	s_mul_i32 s9, s9, s59
	s_sub_i32 s9, s8, s9
	s_sub_i32 s14, s9, s59
	s_cmp_ge_u32 s9, s59
	s_cselect_b32 s9, s14, s9
	s_sub_i32 s14, s9, s59
	s_cmp_ge_u32 s9, s59
	s_cselect_b32 s9, s14, s9
	s_sub_i32 s8, s8, s9
	v_cmp_gt_u32_e32 vcc, s8, v0
	s_mov_b64 s[14:15], 0
                                        ; implicit-def: $vgpr34
	s_and_saveexec_b64 s[28:29], vcc
	s_cbranch_execz .LBB128_184
; %bb.174:                              ;   in Loop: Header=BB128_21 Depth=1
	v_mov_b32_e32 v2, v17
	v_mov_b32_e32 v3, v0
                                        ; implicit-def: $sgpr34_sgpr35
	s_branch .LBB128_176
.LBB128_175:                            ;   in Loop: Header=BB128_176 Depth=2
	s_or_b64 exec, exec, s[14:15]
	s_waitcnt lgkmcnt(0)
	s_barrier
	ds_read_b32 v4, v9 offset:3072
	v_add_u32_e32 v3, s59, v3
	v_cmp_le_u32_e64 s[14:15], s8, v3
	v_add_u32_e32 v2, s13, v2
	s_waitcnt lgkmcnt(0)
	v_cmp_neq_f16_e32 vcc, 0, v4
	s_or_b64 s[14:15], s[14:15], vcc
	s_and_b64 s[14:15], exec, s[14:15]
	s_or_b64 s[30:31], s[14:15], s[30:31]
	s_andn2_b64 s[14:15], s[34:35], exec
	s_and_b64 s[34:35], vcc, exec
	s_or_b64 s[34:35], s[14:15], s[34:35]
	s_barrier
	s_andn2_b64 exec, exec, s[30:31]
	s_cbranch_execz .LBB128_183
.LBB128_176:                            ;   Parent Loop BB128_21 Depth=1
                                        ; =>  This Inner Loop Header: Depth=2
	v_cmp_gt_u32_e32 vcc, s3, v3
	v_mov_b32_e32 v4, 0
	s_and_saveexec_b64 s[14:15], vcc
	s_cbranch_execz .LBB128_178
; %bb.177:                              ;   in Loop: Header=BB128_176 Depth=2
	ds_read_u16 v4, v2
.LBB128_178:                            ;   in Loop: Header=BB128_176 Depth=2
	s_or_b64 exec, exec, s[14:15]
	s_and_saveexec_b64 s[14:15], vcc
	s_cbranch_execz .LBB128_175
; %bb.179:                              ;   in Loop: Header=BB128_176 Depth=2
	s_waitcnt lgkmcnt(0)
	v_cmp_lt_i16_e32 vcc, -1, v4
	v_cndmask_b32_e32 v5, v29, v30, vcc
	v_xor_b32_sdwa v5, v5, v4 dst_sel:DWORD dst_unused:UNUSED_PAD src0_sel:DWORD src1_sel:WORD_0
	v_cmp_o_f16_e32 vcc, v4, v4
	v_cndmask_b32_e32 v5, v29, v5, vcc
	v_and_b32_e32 v5, s1, v5
	v_cmp_eq_u32_e32 vcc, s2, v5
	s_and_b64 exec, exec, vcc
	s_cbranch_execz .LBB128_175
; %bb.180:                              ;   in Loop: Header=BB128_176 Depth=2
	v_perm_b32 v4, v4, s68, v33
	ds_write_b32 v9, v4 offset:3072
	s_branch .LBB128_175
.LBB128_181:                            ;   in Loop: Header=BB128_21 Depth=1
                                        ; implicit-def: $sgpr28_sgpr29
                                        ; implicit-def: $sgpr34_sgpr35
                                        ; implicit-def: $sgpr30_sgpr31
	s_branch .LBB128_195
.LBB128_182:                            ;   in Loop: Header=BB128_21 Depth=1
	s_mov_b64 s[28:29], -1
	s_mov_b64 s[14:15], 0
                                        ; implicit-def: $sgpr30_sgpr31
                                        ; implicit-def: $vgpr34
	s_mov_b64 s[34:35], s[28:29]
	s_cbranch_execnz .LBB128_185
	s_branch .LBB128_195
.LBB128_183:                            ;   in Loop: Header=BB128_21 Depth=1
	s_or_b64 exec, exec, s[30:31]
	v_lshrrev_b32_e32 v34, 16, v4
	s_and_b64 s[14:15], s[34:35], exec
.LBB128_184:                            ;   in Loop: Header=BB128_21 Depth=1
	s_or_b64 exec, exec, s[28:29]
	s_mov_b64 s[30:31], -1
	s_mov_b64 s[28:29], 0
	s_mov_b64 s[34:35], s[28:29]
	s_branch .LBB128_195
.LBB128_185:                            ;   in Loop: Header=BB128_21 Depth=1
	s_mov_b64 s[14:15], 0
                                        ; implicit-def: $vgpr34
	s_mov_b64 s[28:29], exec
	v_readlane_b32 s8, v52, 33
	v_readlane_b32 s9, v52, 34
	s_and_b64 s[8:9], s[28:29], s[8:9]
	s_mov_b64 exec, s[8:9]
	s_cbranch_execz .LBB128_194
; %bb.186:                              ;   in Loop: Header=BB128_21 Depth=1
	s_mov_b64 s[30:31], 0
	v_mov_b32_e32 v8, v6
	v_mov_b32_e32 v2, v0
                                        ; implicit-def: $sgpr34_sgpr35
	s_branch .LBB128_188
.LBB128_187:                            ;   in Loop: Header=BB128_188 Depth=2
	s_or_b64 exec, exec, s[14:15]
	s_waitcnt lgkmcnt(0)
	s_barrier
	s_waitcnt vmcnt(0)
	ds_read_b32 v3, v9 offset:3072
	v_add_u32_e32 v2, s59, v2
	v_cmp_le_u32_e64 s[14:15], s74, v2
	v_add_u32_e32 v8, s78, v8
	s_waitcnt lgkmcnt(0)
	v_cmp_neq_f16_e32 vcc, 0, v3
	s_or_b64 s[8:9], s[14:15], vcc
	s_and_b64 s[8:9], exec, s[8:9]
	s_or_b64 s[30:31], s[8:9], s[30:31]
	s_andn2_b64 s[8:9], s[34:35], exec
	s_and_b64 s[14:15], vcc, exec
	s_or_b64 s[34:35], s[8:9], s[14:15]
	s_barrier
	s_andn2_b64 exec, exec, s[30:31]
	s_cbranch_execz .LBB128_193
.LBB128_188:                            ;   Parent Loop BB128_21 Depth=1
                                        ; =>  This Inner Loop Header: Depth=2
	v_cmp_gt_u32_e32 vcc, s56, v2
	v_mov_b32_e32 v3, 0
	s_and_saveexec_b64 s[36:37], vcc
	s_cbranch_execz .LBB128_190
; %bb.189:                              ;   in Loop: Header=BB128_188 Depth=2
	v_lshlrev_b64 v[4:5], 1, v[8:9]
	v_mov_b32_e32 v3, s33
	v_add_co_u32_e64 v4, s[14:15], s57, v4
	v_addc_co_u32_e64 v5, s[14:15], v3, v5, s[14:15]
	global_load_ushort v3, v[4:5], off
.LBB128_190:                            ;   in Loop: Header=BB128_188 Depth=2
	s_or_b64 exec, exec, s[36:37]
	s_and_saveexec_b64 s[14:15], vcc
	s_cbranch_execz .LBB128_187
; %bb.191:                              ;   in Loop: Header=BB128_188 Depth=2
	s_waitcnt vmcnt(0)
	v_cmp_lt_i16_e32 vcc, -1, v3
	v_cndmask_b32_e32 v4, v29, v30, vcc
	v_xor_b32_sdwa v4, v4, v3 dst_sel:DWORD dst_unused:UNUSED_PAD src0_sel:DWORD src1_sel:WORD_0
	v_cmp_o_f16_e32 vcc, v3, v3
	v_cndmask_b32_e32 v4, v29, v4, vcc
	v_and_b32_e32 v4, s1, v4
	v_cmp_eq_u32_e32 vcc, s2, v4
	s_and_b64 exec, exec, vcc
	s_cbranch_execz .LBB128_187
; %bb.192:                              ;   in Loop: Header=BB128_188 Depth=2
	v_perm_b32 v3, v3, s68, v33
	ds_write_b32 v9, v3 offset:3072
	s_branch .LBB128_187
.LBB128_193:                            ;   in Loop: Header=BB128_21 Depth=1
	s_or_b64 exec, exec, s[30:31]
	v_lshrrev_b32_e32 v34, 16, v3
	s_and_b64 s[14:15], s[34:35], exec
.LBB128_194:                            ;   in Loop: Header=BB128_21 Depth=1
	s_or_b64 exec, exec, s[28:29]
	s_mov_b64 s[34:35], -1
	s_mov_b64 s[28:29], 0
	s_mov_b64 s[30:31], 0
.LBB128_195:                            ;   in Loop: Header=BB128_21 Depth=1
	s_mov_b64 s[40:41], 0
                                        ; implicit-def: $sgpr52
	s_and_saveexec_b64 s[36:37], s[14:15]
	s_cbranch_execz .LBB128_250
; %bb.196:                              ;   in Loop: Header=BB128_21 Depth=1
	s_xor_b64 s[8:9], s[38:39], -1
	s_mov_b64 s[14:15], 0
	s_andn2_b64 vcc, exec, s[8:9]
	s_mov_b32 s3, 1
	s_cbranch_vccnz .LBB128_207
; %bb.197:                              ;   in Loop: Header=BB128_21 Depth=1
	s_cmp_gt_u32 s45, s42
	s_mov_b64 s[14:15], -1
                                        ; implicit-def: $sgpr52
                                        ; implicit-def: $sgpr3
                                        ; implicit-def: $sgpr8
	s_cbranch_scc1 .LBB128_203
; %bb.198:                              ;   in Loop: Header=BB128_21 Depth=1
	ds_read_b32 v2, v9 offset:4104
	s_waitcnt lgkmcnt(0)
	v_cmp_ne_u32_e32 vcc, 0, v2
	s_cbranch_vccnz .LBB128_202
; %bb.199:                              ;   in Loop: Header=BB128_21 Depth=1
	s_mov_b64 s[14:15], exec
	v_readlane_b32 s8, v52, 7
	v_readlane_b32 s9, v52, 8
	s_and_b64 s[8:9], s[14:15], s[8:9]
	s_mov_b64 exec, s[8:9]
	s_cbranch_execz .LBB128_201
; %bb.200:                              ;   in Loop: Header=BB128_21 Depth=1
	v_mov_b32_e32 v2, s42
	ds_write_b32 v9, v2 offset:4108
.LBB128_201:                            ;   in Loop: Header=BB128_21 Depth=1
	s_or_b64 exec, exec, s[14:15]
	s_waitcnt lgkmcnt(0)
	s_barrier
.LBB128_202:                            ;   in Loop: Header=BB128_21 Depth=1
	s_lshl_b32 s3, 2, s43
	s_and_b32 s8, s2, s44
	s_or_b32 s3, s8, s3
	s_or_b32 s8, s1, s51
	s_mov_b64 s[14:15], 0
	s_mov_b32 s52, 8
.LBB128_203:                            ;   in Loop: Header=BB128_21 Depth=1
	s_andn2_b64 vcc, exec, s[14:15]
	s_cbranch_vccnz .LBB128_205
; %bb.204:                              ;   in Loop: Header=BB128_21 Depth=1
	s_sub_i32 s45, s45, s42
	s_mov_b64 s[14:15], -1
	s_mov_b32 s52, 0
	s_mov_b32 s3, s2
	;; [unrolled: 1-line block ×3, first 2 shown]
.LBB128_205:                            ;   in Loop: Header=BB128_21 Depth=1
	s_mov_b32 s1, s8
	s_mov_b32 s2, s3
	;; [unrolled: 1-line block ×3, first 2 shown]
	s_andn2_b64 vcc, exec, s[14:15]
	s_mov_b64 s[48:49], -1
	s_cbranch_vccz .LBB128_208
.LBB128_206:                            ;   in Loop: Header=BB128_21 Depth=1
                                        ; implicit-def: $sgpr14_sgpr15
                                        ; implicit-def: $sgpr42_sgpr43
                                        ; implicit-def: $sgpr40_sgpr41
	s_branch .LBB128_249
.LBB128_207:                            ;   in Loop: Header=BB128_21 Depth=1
	s_mov_b32 s52, 1
	s_andn2_b64 vcc, exec, s[14:15]
	s_mov_b64 s[48:49], -1
	s_cbranch_vccnz .LBB128_206
.LBB128_208:                            ;   in Loop: Header=BB128_21 Depth=1
	s_cmp_eq_u32 s50, 1
	s_cselect_b64 s[8:9], -1, 0
	s_cmp_eq_u32 s3, 1
	s_cselect_b64 s[14:15], -1, 0
	s_and_b64 s[38:39], s[8:9], s[14:15]
	s_mov_b64 s[44:45], -1
	s_and_b64 vcc, exec, s[38:39]
	s_cbranch_vccz .LBB128_220
; %bb.209:                              ;   in Loop: Header=BB128_21 Depth=1
	ds_read_b32 v2, v9 offset:4104
	s_waitcnt lgkmcnt(0)
	s_barrier
	v_readfirstlane_b32 s8, v2
	s_and_saveexec_b64 s[14:15], s[6:7]
	s_cbranch_execz .LBB128_211
; %bb.210:                              ;   in Loop: Header=BB128_21 Depth=1
	ds_write_b16 v18, v9
.LBB128_211:                            ;   in Loop: Header=BB128_21 Depth=1
	s_or_b64 exec, exec, s[14:15]
	s_or_b32 s2, s2, s51
	s_or_b32 s1, s1, s51
	s_cmp_eq_u32 s8, 0
	s_waitcnt lgkmcnt(0)
	s_barrier
	s_cbranch_scc1 .LBB128_221
; %bb.212:                              ;   in Loop: Header=BB128_21 Depth=1
	v_readlane_b32 s9, v52, 11
	s_add_i32 s9, s8, s9
	v_readlane_b32 s14, v52, 32
	s_mul_hi_u32 s14, s9, s14
	s_mul_i32 s14, s14, s59
	s_sub_i32 s14, s9, s14
	s_sub_i32 s15, s14, s59
	s_cmp_ge_u32 s14, s59
	s_cselect_b32 s14, s15, s14
	s_sub_i32 s15, s14, s59
	s_cmp_ge_u32 s14, s59
	s_cselect_b32 s14, s15, s14
	s_sub_i32 s9, s9, s14
	v_cmp_gt_u32_e32 vcc, s9, v0
	s_mov_b64 s[44:45], 0
                                        ; implicit-def: $vgpr34
	s_and_saveexec_b64 s[40:41], vcc
	s_cbranch_execz .LBB128_223
; %bb.213:                              ;   in Loop: Header=BB128_21 Depth=1
	s_mov_b64 s[42:43], 0
	v_mov_b32_e32 v2, v17
	v_mov_b32_e32 v3, v0
                                        ; implicit-def: $sgpr44_sgpr45
	s_branch .LBB128_215
.LBB128_214:                            ;   in Loop: Header=BB128_215 Depth=2
	s_or_b64 exec, exec, s[14:15]
	s_waitcnt lgkmcnt(0)
	s_barrier
	ds_read_b32 v4, v9 offset:3072
	v_add_u32_e32 v3, s59, v3
	v_cmp_le_u32_e64 s[14:15], s9, v3
	v_add_u32_e32 v2, s13, v2
	s_waitcnt lgkmcnt(0)
	v_cmp_neq_f16_e32 vcc, 0, v4
	s_or_b64 s[14:15], s[14:15], vcc
	s_and_b64 s[14:15], exec, s[14:15]
	s_or_b64 s[42:43], s[14:15], s[42:43]
	s_andn2_b64 s[14:15], s[44:45], exec
	s_and_b64 s[44:45], vcc, exec
	s_or_b64 s[44:45], s[14:15], s[44:45]
	s_barrier
	s_andn2_b64 exec, exec, s[42:43]
	s_cbranch_execz .LBB128_222
.LBB128_215:                            ;   Parent Loop BB128_21 Depth=1
                                        ; =>  This Inner Loop Header: Depth=2
	v_cmp_gt_u32_e32 vcc, s8, v3
	v_mov_b32_e32 v4, 0
	s_and_saveexec_b64 s[14:15], vcc
	s_cbranch_execz .LBB128_217
; %bb.216:                              ;   in Loop: Header=BB128_215 Depth=2
	ds_read_u16 v4, v2
.LBB128_217:                            ;   in Loop: Header=BB128_215 Depth=2
	s_or_b64 exec, exec, s[14:15]
	s_and_saveexec_b64 s[14:15], vcc
	s_cbranch_execz .LBB128_214
; %bb.218:                              ;   in Loop: Header=BB128_215 Depth=2
	s_waitcnt lgkmcnt(0)
	v_cmp_lt_i16_e32 vcc, -1, v4
	v_cndmask_b32_e32 v5, v29, v30, vcc
	v_xor_b32_sdwa v5, v5, v4 dst_sel:DWORD dst_unused:UNUSED_PAD src0_sel:DWORD src1_sel:WORD_0
	v_cmp_o_f16_e32 vcc, v4, v4
	v_cndmask_b32_e32 v5, v29, v5, vcc
	v_and_b32_e32 v5, s1, v5
	v_cmp_eq_u32_e32 vcc, s2, v5
	s_and_b64 exec, exec, vcc
	s_cbranch_execz .LBB128_214
; %bb.219:                              ;   in Loop: Header=BB128_215 Depth=2
	v_perm_b32 v4, v4, s68, v33
	ds_write_b32 v9, v4 offset:3072
	s_branch .LBB128_214
.LBB128_220:                            ;   in Loop: Header=BB128_21 Depth=1
                                        ; implicit-def: $sgpr14_sgpr15
                                        ; implicit-def: $sgpr42_sgpr43
                                        ; implicit-def: $sgpr40_sgpr41
	s_branch .LBB128_234
.LBB128_221:                            ;   in Loop: Header=BB128_21 Depth=1
	s_mov_b64 s[14:15], -1
	s_mov_b64 s[44:45], 0
                                        ; implicit-def: $sgpr40_sgpr41
                                        ; implicit-def: $vgpr34
	s_mov_b64 s[42:43], s[14:15]
	s_cbranch_execnz .LBB128_224
	s_branch .LBB128_234
.LBB128_222:                            ;   in Loop: Header=BB128_21 Depth=1
	s_or_b64 exec, exec, s[42:43]
	v_lshrrev_b32_e32 v34, 16, v4
	s_and_b64 s[44:45], s[44:45], exec
.LBB128_223:                            ;   in Loop: Header=BB128_21 Depth=1
	s_or_b64 exec, exec, s[40:41]
	s_mov_b64 s[40:41], -1
	s_mov_b64 s[14:15], 0
	s_mov_b64 s[42:43], s[14:15]
	s_branch .LBB128_234
.LBB128_224:                            ;   in Loop: Header=BB128_21 Depth=1
	s_mov_b64 s[44:45], 0
                                        ; implicit-def: $vgpr34
	s_mov_b64 s[40:41], exec
	v_readlane_b32 s8, v52, 33
	v_readlane_b32 s9, v52, 34
	s_and_b64 s[8:9], s[40:41], s[8:9]
	s_mov_b64 exec, s[8:9]
	s_cbranch_execz .LBB128_233
; %bb.225:                              ;   in Loop: Header=BB128_21 Depth=1
	s_mov_b64 s[42:43], 0
	v_mov_b32_e32 v8, v6
	v_mov_b32_e32 v2, v0
                                        ; implicit-def: $sgpr44_sgpr45
	s_branch .LBB128_227
.LBB128_226:                            ;   in Loop: Header=BB128_227 Depth=2
	s_or_b64 exec, exec, s[14:15]
	s_waitcnt lgkmcnt(0)
	s_barrier
	s_waitcnt vmcnt(0)
	ds_read_b32 v3, v9 offset:3072
	v_add_u32_e32 v2, s59, v2
	v_cmp_le_u32_e64 s[14:15], s74, v2
	v_add_u32_e32 v8, s78, v8
	s_waitcnt lgkmcnt(0)
	v_cmp_neq_f16_e32 vcc, 0, v3
	s_or_b64 s[8:9], s[14:15], vcc
	s_and_b64 s[8:9], exec, s[8:9]
	s_or_b64 s[42:43], s[8:9], s[42:43]
	s_andn2_b64 s[8:9], s[44:45], exec
	s_and_b64 s[14:15], vcc, exec
	s_or_b64 s[44:45], s[8:9], s[14:15]
	s_barrier
	s_andn2_b64 exec, exec, s[42:43]
	s_cbranch_execz .LBB128_232
.LBB128_227:                            ;   Parent Loop BB128_21 Depth=1
                                        ; =>  This Inner Loop Header: Depth=2
	v_cmp_gt_u32_e32 vcc, s56, v2
	v_mov_b32_e32 v3, 0
	s_and_saveexec_b64 s[46:47], vcc
	s_cbranch_execz .LBB128_229
; %bb.228:                              ;   in Loop: Header=BB128_227 Depth=2
	v_lshlrev_b64 v[4:5], 1, v[8:9]
	v_mov_b32_e32 v3, s33
	v_add_co_u32_e64 v4, s[14:15], s57, v4
	v_addc_co_u32_e64 v5, s[14:15], v3, v5, s[14:15]
	global_load_ushort v3, v[4:5], off
.LBB128_229:                            ;   in Loop: Header=BB128_227 Depth=2
	s_or_b64 exec, exec, s[46:47]
	s_and_saveexec_b64 s[14:15], vcc
	s_cbranch_execz .LBB128_226
; %bb.230:                              ;   in Loop: Header=BB128_227 Depth=2
	s_waitcnt vmcnt(0)
	v_cmp_lt_i16_e32 vcc, -1, v3
	v_cndmask_b32_e32 v4, v29, v30, vcc
	v_xor_b32_sdwa v4, v4, v3 dst_sel:DWORD dst_unused:UNUSED_PAD src0_sel:DWORD src1_sel:WORD_0
	v_cmp_o_f16_e32 vcc, v3, v3
	v_cndmask_b32_e32 v4, v29, v4, vcc
	v_and_b32_e32 v4, s1, v4
	v_cmp_eq_u32_e32 vcc, s2, v4
	s_and_b64 exec, exec, vcc
	s_cbranch_execz .LBB128_226
; %bb.231:                              ;   in Loop: Header=BB128_227 Depth=2
	v_perm_b32 v3, v3, s68, v33
	ds_write_b32 v9, v3 offset:3072
	s_branch .LBB128_226
.LBB128_232:                            ;   in Loop: Header=BB128_21 Depth=1
	s_or_b64 exec, exec, s[42:43]
	v_lshrrev_b32_e32 v34, 16, v3
	s_and_b64 s[44:45], s[44:45], exec
.LBB128_233:                            ;   in Loop: Header=BB128_21 Depth=1
	s_or_b64 exec, exec, s[40:41]
	s_mov_b64 s[42:43], -1
	s_mov_b64 s[14:15], 0
	s_mov_b64 s[40:41], 0
.LBB128_234:                            ;   in Loop: Header=BB128_21 Depth=1
	s_mov_b64 s[48:49], 0
                                        ; implicit-def: $sgpr52
	s_and_saveexec_b64 s[46:47], s[44:45]
	s_cbranch_execz .LBB128_248
; %bb.235:                              ;   in Loop: Header=BB128_21 Depth=1
	s_xor_b64 s[8:9], s[38:39], -1
	s_andn2_b64 vcc, exec, s[8:9]
	s_mov_b32 s52, 1
	s_cbranch_vccnz .LBB128_242
; %bb.236:                              ;   in Loop: Header=BB128_21 Depth=1
	s_cmp_gt_u32 s3, s50
	s_cbranch_scc1 .LBB128_243
; %bb.237:                              ;   in Loop: Header=BB128_21 Depth=1
	ds_read_b32 v2, v9 offset:4104
	s_waitcnt lgkmcnt(0)
	v_cmp_ne_u32_e32 vcc, 0, v2
	s_cbranch_vccnz .LBB128_241
; %bb.238:                              ;   in Loop: Header=BB128_21 Depth=1
	s_mov_b64 s[38:39], exec
	v_readlane_b32 s8, v52, 7
	v_readlane_b32 s9, v52, 8
	s_and_b64 s[8:9], s[38:39], s[8:9]
	s_mov_b64 exec, s[8:9]
	s_cbranch_execz .LBB128_240
; %bb.239:                              ;   in Loop: Header=BB128_21 Depth=1
	v_mov_b32_e32 v2, s50
	ds_write_b32 v9, v2 offset:4108
.LBB128_240:                            ;   in Loop: Header=BB128_21 Depth=1
	s_or_b64 exec, exec, s[38:39]
	s_waitcnt lgkmcnt(0)
	s_barrier
.LBB128_241:                            ;   in Loop: Header=BB128_21 Depth=1
	s_or_b32 s8, s2, s51
	s_or_b32 s9, s1, s51
	s_mov_b64 s[38:39], 0
	s_mov_b32 s52, 8
	s_branch .LBB128_244
.LBB128_242:                            ;   in Loop: Header=BB128_21 Depth=1
	s_mov_b32 s3, 1
	s_branch .LBB128_247
.LBB128_243:                            ;   in Loop: Header=BB128_21 Depth=1
	s_mov_b64 s[38:39], -1
                                        ; implicit-def: $sgpr52
                                        ; implicit-def: $sgpr8
                                        ; implicit-def: $sgpr9
.LBB128_244:                            ;   in Loop: Header=BB128_21 Depth=1
	s_andn2_b64 vcc, exec, s[38:39]
	s_cbranch_vccnz .LBB128_246
; %bb.245:                              ;   in Loop: Header=BB128_21 Depth=1
	s_sub_i32 s3, s3, s50
	s_mov_b32 s52, 8
	s_mov_b32 s8, s2
	;; [unrolled: 1-line block ×3, first 2 shown]
.LBB128_246:                            ;   in Loop: Header=BB128_21 Depth=1
	s_mov_b32 s2, s8
	s_mov_b32 s1, s9
.LBB128_247:                            ;   in Loop: Header=BB128_21 Depth=1
	s_mov_b64 s[48:49], exec
.LBB128_248:                            ;   in Loop: Header=BB128_21 Depth=1
	s_or_b64 exec, exec, s[46:47]
.LBB128_249:                            ;   in Loop: Header=BB128_21 Depth=1
	s_andn2_b64 s[8:9], s[28:29], exec
	s_and_b64 s[14:15], s[14:15], exec
	s_or_b64 s[28:29], s[8:9], s[14:15]
	s_andn2_b64 s[8:9], s[34:35], exec
	s_and_b64 s[14:15], s[42:43], exec
	s_or_b64 s[34:35], s[8:9], s[14:15]
	;; [unrolled: 3-line block ×3, first 2 shown]
	s_and_b64 s[40:41], s[48:49], exec
	s_mov_b32 s45, s3
.LBB128_250:                            ;   in Loop: Header=BB128_21 Depth=1
	s_or_b64 exec, exec, s[36:37]
.LBB128_251:                            ;   in Loop: Header=BB128_21 Depth=1
	s_andn2_b64 s[8:9], s[22:23], exec
	s_and_b64 s[14:15], s[28:29], exec
	s_or_b64 s[22:23], s[8:9], s[14:15]
	s_andn2_b64 s[8:9], s[24:25], exec
	s_and_b64 s[14:15], s[34:35], exec
	s_or_b64 s[24:25], s[8:9], s[14:15]
	;; [unrolled: 3-line block ×3, first 2 shown]
	s_and_b64 s[30:31], s[40:41], exec
	s_mov_b32 s35, s45
.LBB128_252:                            ;   in Loop: Header=BB128_21 Depth=1
	s_or_b64 exec, exec, s[26:27]
                                        ; implicit-def: $sgpr3
	s_and_saveexec_b64 s[8:9], s[30:31]
	s_xor_b64 s[14:15], exec, s[8:9]
	s_cbranch_execz .LBB128_19
.LBB128_253:                            ;   in Loop: Header=BB128_21 Depth=1
	s_and_b32 s3, s52, -9
	s_cmp_eq_u32 s3, 0
	s_cbranch_scc1 .LBB128_17
; %bb.254:                              ;   in Loop: Header=BB128_21 Depth=1
	s_mov_b64 s[18:19], -1
                                        ; implicit-def: $sgpr1
                                        ; implicit-def: $sgpr35
                                        ; implicit-def: $sgpr69
                                        ; implicit-def: $sgpr0
	s_mov_b64 s[26:27], -1
	s_branch .LBB128_18
.LBB128_255:
	s_or_b64 exec, exec, s[82:83]
	s_xor_b64 s[8:9], s[88:89], -1
	s_xor_b64 s[0:1], s[84:85], -1
	;; [unrolled: 1-line block ×3, first 2 shown]
	s_mov_b64 s[4:5], 0
	s_and_saveexec_b64 s[2:3], s[0:1]
	s_xor_b64 s[2:3], exec, s[2:3]
	s_cbranch_execnz .LBB128_260
; %bb.256:
	s_andn2_saveexec_b64 s[0:1], s[2:3]
	s_cbranch_execnz .LBB128_273
.LBB128_257:
	s_or_b64 exec, exec, s[0:1]
	s_and_saveexec_b64 s[0:1], s[4:5]
.LBB128_258:
	; divergent unreachable
.LBB128_259:
	s_endpgm
.LBB128_260:
	s_and_saveexec_b64 s[0:1], s[8:9]
	s_xor_b64 s[4:5], exec, s[0:1]
	s_cbranch_execz .LBB128_271
; %bb.261:
	s_and_saveexec_b64 s[0:1], s[6:7]
	s_xor_b64 s[6:7], exec, s[0:1]
; %bb.262:
	v_and_b32_e32 v1, 0x8000, v2
	v_mov_b32_e32 v3, 0x8000
	v_mov_b32_e32 v4, 0xffff
	v_cmp_eq_u32_e32 vcc, 0, v1
	v_cndmask_b32_e32 v1, v3, v4, vcc
	v_xor_b32_e32 v34, v1, v2
; %bb.263:
	s_or_b64 exec, exec, s[6:7]
	v_readlane_b32 s0, v52, 4
	v_readlane_b32 s1, v52, 10
	s_mul_i32 s0, s1, s0
	s_mov_b32 s1, 0
	s_lshl_b64 s[0:1], s[0:1], 1
	v_readlane_b32 s6, v52, 2
	v_readlane_b32 s7, v52, 3
	s_add_u32 s0, s6, s0
	s_addc_u32 s1, s7, s1
	v_mov_b32_e32 v7, 0
	global_store_short v7, v34, s[0:1]
	s_mov_b64 s[6:7], exec
	v_readlane_b32 s0, v52, 5
	v_readlane_b32 s1, v52, 6
	s_and_b64 s[0:1], s[6:7], s[0:1]
	s_mov_b64 exec, s[0:1]
	s_cbranch_execz .LBB128_270
; %bb.264:
	v_cmp_u_f16_e32 vcc, v34, v34
	s_mov_b64 s[8:9], 0
	v_mov_b32_e32 v1, s33
	s_xor_b64 s[12:13], vcc, -1
                                        ; implicit-def: $sgpr10_sgpr11
                                        ; implicit-def: $sgpr16_sgpr17
                                        ; implicit-def: $sgpr14_sgpr15
	s_branch .LBB128_266
.LBB128_265:                            ;   in Loop: Header=BB128_266 Depth=1
	s_or_b64 exec, exec, s[0:1]
	s_and_b64 s[0:1], exec, s[16:17]
	s_or_b64 s[8:9], s[0:1], s[8:9]
	s_andn2_b64 s[0:1], s[10:11], exec
	s_and_b64 s[10:11], s[14:15], exec
	s_or_b64 s[10:11], s[0:1], s[10:11]
	s_andn2_b64 exec, exec, s[8:9]
	s_cbranch_execz .LBB128_268
.LBB128_266:                            ; =>This Inner Loop Header: Depth=1
	v_lshlrev_b64 v[2:3], 1, v[6:7]
	v_add_co_u32_e32 v2, vcc, s57, v2
	v_addc_co_u32_e32 v3, vcc, v1, v3, vcc
	global_load_ushort v3, v[2:3], off
	v_mov_b32_e32 v2, v0
	s_or_b64 s[14:15], s[14:15], exec
	s_or_b64 s[16:17], s[16:17], exec
                                        ; implicit-def: $vgpr0
	s_waitcnt vmcnt(0)
	v_cmp_o_f16_e64 s[0:1], v3, v3
	v_cmp_neq_f16_e32 vcc, v3, v34
	s_or_b64 s[0:1], s[12:13], s[0:1]
	s_and_b64 s[18:19], vcc, s[0:1]
	s_and_saveexec_b64 s[0:1], s[18:19]
	s_cbranch_execz .LBB128_265
; %bb.267:                              ;   in Loop: Header=BB128_266 Depth=1
	v_add_u32_e32 v0, s59, v2
	v_cmp_le_u32_e32 vcc, s56, v0
	s_andn2_b64 s[16:17], s[16:17], exec
	s_and_b64 s[18:19], vcc, exec
	v_add_u32_e32 v6, s78, v6
	s_andn2_b64 s[14:15], s[14:15], exec
	s_or_b64 s[16:17], s[16:17], s[18:19]
	s_branch .LBB128_265
.LBB128_268:
	s_or_b64 exec, exec, s[8:9]
	s_and_saveexec_b64 s[0:1], s[10:11]
	s_xor_b64 s[0:1], exec, s[0:1]
	s_cbranch_execz .LBB128_270
; %bb.269:
	v_readlane_b32 s0, v52, 4
	v_readlane_b32 s1, v52, 9
	s_mul_i32 s0, s1, s0
	s_mov_b32 s1, 0
	s_lshl_b64 s[0:1], s[0:1], 3
	v_readlane_b32 s8, v52, 0
	v_readlane_b32 s9, v52, 1
	s_add_u32 s0, s8, s0
	s_addc_u32 s1, s9, s1
	v_mov_b32_e32 v3, 0
	global_store_dwordx2 v3, v[2:3], s[0:1]
.LBB128_270:
	s_or_b64 exec, exec, s[6:7]
.LBB128_271:
	s_or_saveexec_b64 s[0:1], s[4:5]
	s_mov_b64 s[4:5], 0
	s_xor_b64 exec, exec, s[0:1]
	s_cbranch_execnz .LBB128_274
.LBB128_272:
	s_or_b64 exec, exec, s[0:1]
	s_and_b64 s[4:5], s[4:5], exec
	s_andn2_saveexec_b64 s[0:1], s[2:3]
	s_cbranch_execz .LBB128_257
.LBB128_273:
	s_or_b64 s[4:5], s[4:5], exec
	s_trap 2
	s_or_b64 exec, exec, s[0:1]
	s_and_saveexec_b64 s[0:1], s[4:5]
	s_cbranch_execnz .LBB128_258
	s_branch .LBB128_259
.LBB128_274:
	s_mov_b64 s[4:5], exec
	s_trap 2
	s_branch .LBB128_272
	.section	.rodata,"a",@progbits
	.p2align	6, 0x0
	.amdhsa_kernel _ZN2at6native12_GLOBAL__N_112gatherMedianIN3c104HalfEjLi1EEEvNS_4cuda6detail10TensorInfoIT_T0_EENS7_IlS9_EENS7_IKS8_S9_EES9_S9_S9_b
		.amdhsa_group_segment_fixed_size 4120
		.amdhsa_private_segment_fixed_size 0
		.amdhsa_kernarg_size 920
		.amdhsa_user_sgpr_count 6
		.amdhsa_user_sgpr_private_segment_buffer 1
		.amdhsa_user_sgpr_dispatch_ptr 0
		.amdhsa_user_sgpr_queue_ptr 0
		.amdhsa_user_sgpr_kernarg_segment_ptr 1
		.amdhsa_user_sgpr_dispatch_id 0
		.amdhsa_user_sgpr_flat_scratch_init 0
		.amdhsa_user_sgpr_kernarg_preload_length 0
		.amdhsa_user_sgpr_kernarg_preload_offset 0
		.amdhsa_user_sgpr_private_segment_size 0
		.amdhsa_uses_dynamic_stack 0
		.amdhsa_system_sgpr_private_segment_wavefront_offset 0
		.amdhsa_system_sgpr_workgroup_id_x 1
		.amdhsa_system_sgpr_workgroup_id_y 1
		.amdhsa_system_sgpr_workgroup_id_z 1
		.amdhsa_system_sgpr_workgroup_info 0
		.amdhsa_system_vgpr_workitem_id 0
		.amdhsa_next_free_vgpr 53
		.amdhsa_next_free_sgpr 96
		.amdhsa_accum_offset 56
		.amdhsa_reserve_vcc 1
		.amdhsa_reserve_flat_scratch 0
		.amdhsa_float_round_mode_32 0
		.amdhsa_float_round_mode_16_64 0
		.amdhsa_float_denorm_mode_32 3
		.amdhsa_float_denorm_mode_16_64 3
		.amdhsa_dx10_clamp 1
		.amdhsa_ieee_mode 1
		.amdhsa_fp16_overflow 0
		.amdhsa_tg_split 0
		.amdhsa_exception_fp_ieee_invalid_op 0
		.amdhsa_exception_fp_denorm_src 0
		.amdhsa_exception_fp_ieee_div_zero 0
		.amdhsa_exception_fp_ieee_overflow 0
		.amdhsa_exception_fp_ieee_underflow 0
		.amdhsa_exception_fp_ieee_inexact 0
		.amdhsa_exception_int_div_zero 0
	.end_amdhsa_kernel
	.section	.text._ZN2at6native12_GLOBAL__N_112gatherMedianIN3c104HalfEjLi1EEEvNS_4cuda6detail10TensorInfoIT_T0_EENS7_IlS9_EENS7_IKS8_S9_EES9_S9_S9_b,"axG",@progbits,_ZN2at6native12_GLOBAL__N_112gatherMedianIN3c104HalfEjLi1EEEvNS_4cuda6detail10TensorInfoIT_T0_EENS7_IlS9_EENS7_IKS8_S9_EES9_S9_S9_b,comdat
.Lfunc_end128:
	.size	_ZN2at6native12_GLOBAL__N_112gatherMedianIN3c104HalfEjLi1EEEvNS_4cuda6detail10TensorInfoIT_T0_EENS7_IlS9_EENS7_IKS8_S9_EES9_S9_S9_b, .Lfunc_end128-_ZN2at6native12_GLOBAL__N_112gatherMedianIN3c104HalfEjLi1EEEvNS_4cuda6detail10TensorInfoIT_T0_EENS7_IlS9_EENS7_IKS8_S9_EES9_S9_S9_b
                                        ; -- End function
	.section	.AMDGPU.csdata,"",@progbits
; Kernel info:
; codeLenInByte = 10512
; NumSgprs: 100
; NumVgprs: 53
; NumAgprs: 0
; TotalNumVgprs: 53
; ScratchSize: 0
; MemoryBound: 0
; FloatMode: 240
; IeeeMode: 1
; LDSByteSize: 4120 bytes/workgroup (compile time only)
; SGPRBlocks: 12
; VGPRBlocks: 6
; NumSGPRsForWavesPerEU: 100
; NumVGPRsForWavesPerEU: 53
; AccumOffset: 56
; Occupancy: 8
; WaveLimiterHint : 1
; COMPUTE_PGM_RSRC2:SCRATCH_EN: 0
; COMPUTE_PGM_RSRC2:USER_SGPR: 6
; COMPUTE_PGM_RSRC2:TRAP_HANDLER: 0
; COMPUTE_PGM_RSRC2:TGID_X_EN: 1
; COMPUTE_PGM_RSRC2:TGID_Y_EN: 1
; COMPUTE_PGM_RSRC2:TGID_Z_EN: 1
; COMPUTE_PGM_RSRC2:TIDIG_COMP_CNT: 0
; COMPUTE_PGM_RSRC3_GFX90A:ACCUM_OFFSET: 13
; COMPUTE_PGM_RSRC3_GFX90A:TG_SPLIT: 0
	.section	.text._ZN2at6native12_GLOBAL__N_112gatherMedianIN3c104HalfEjLi2EEEvNS_4cuda6detail10TensorInfoIT_T0_EENS7_IlS9_EENS7_IKS8_S9_EES9_S9_S9_b,"axG",@progbits,_ZN2at6native12_GLOBAL__N_112gatherMedianIN3c104HalfEjLi2EEEvNS_4cuda6detail10TensorInfoIT_T0_EENS7_IlS9_EENS7_IKS8_S9_EES9_S9_S9_b,comdat
	.globl	_ZN2at6native12_GLOBAL__N_112gatherMedianIN3c104HalfEjLi2EEEvNS_4cuda6detail10TensorInfoIT_T0_EENS7_IlS9_EENS7_IKS8_S9_EES9_S9_S9_b ; -- Begin function _ZN2at6native12_GLOBAL__N_112gatherMedianIN3c104HalfEjLi2EEEvNS_4cuda6detail10TensorInfoIT_T0_EENS7_IlS9_EENS7_IKS8_S9_EES9_S9_S9_b
	.p2align	8
	.type	_ZN2at6native12_GLOBAL__N_112gatherMedianIN3c104HalfEjLi2EEEvNS_4cuda6detail10TensorInfoIT_T0_EENS7_IlS9_EENS7_IKS8_S9_EES9_S9_S9_b,@function
_ZN2at6native12_GLOBAL__N_112gatherMedianIN3c104HalfEjLi2EEEvNS_4cuda6detail10TensorInfoIT_T0_EENS7_IlS9_EENS7_IKS8_S9_EES9_S9_S9_b: ; @_ZN2at6native12_GLOBAL__N_112gatherMedianIN3c104HalfEjLi2EEEvNS_4cuda6detail10TensorInfoIT_T0_EENS7_IlS9_EENS7_IKS8_S9_EES9_S9_S9_b
; %bb.0:
	s_load_dwordx2 s[12:13], s[4:5], 0x298
	s_load_dwordx4 s[56:59], s[4:5], 0x288
	s_add_u32 s10, s4, 0x298
	s_addc_u32 s11, s5, 0
	s_waitcnt lgkmcnt(0)
	s_mul_i32 s0, s13, s8
	s_add_i32 s0, s0, s7
	s_mul_i32 s0, s0, s12
	s_add_i32 s14, s0, s6
	s_cmp_ge_u32 s14, s57
	s_cbranch_scc1 .LBB129_259
; %bb.1:
	s_load_dword s8, s[4:5], 0xc
	s_load_dword s9, s[4:5], 0xe4
	;; [unrolled: 1-line block ×3, first 2 shown]
	s_load_dwordx2 s[0:1], s[4:5], 0x1b0
	s_load_dwordx2 s[2:3], s[4:5], 0x144
                                        ; implicit-def: $vgpr52 : SGPR spill to VGPR lane
	s_waitcnt lgkmcnt(0)
	v_cvt_f32_u32_e32 v1, s8
	v_cvt_f32_u32_e32 v2, s9
                                        ; kill: killed $sgpr4 killed $sgpr5
	v_mul_lo_u32 v6, v0, s58
	v_writelane_b32 v52, s2, 0
	v_writelane_b32 v52, s3, 1
	s_load_dwordx2 s[2:3], s[4:5], 0xd8
	v_rcp_iflag_f32_e32 v1, v1
	v_rcp_iflag_f32_e32 v2, v2
	v_mul_f32_e32 v1, 0x4f7ffffe, v1
	s_waitcnt lgkmcnt(0)
	v_writelane_b32 v52, s2, 2
	v_writelane_b32 v52, s3, 3
	s_load_dwordx2 s[2:3], s[4:5], 0x6c
	v_cvt_u32_f32_e32 v1, v1
	v_mul_f32_e32 v2, 0x4f7ffffe, v2
	v_cvt_u32_f32_e32 v2, v2
	s_waitcnt lgkmcnt(0)
	v_writelane_b32 v52, s2, 4
	v_writelane_b32 v52, s3, 5
	s_load_dwordx2 s[2:3], s[4:5], 0x0
	s_waitcnt lgkmcnt(0)
	v_writelane_b32 v52, s2, 6
	v_writelane_b32 v52, s3, 7
	s_load_dwordx2 s[2:3], s[4:5], 0x21c
	v_writelane_b32 v52, s8, 8
	s_sub_i32 s4, 0, s8
	v_readfirstlane_b32 s8, v1
	v_cvt_f32_u32_e32 v1, s7
	s_mul_i32 s4, s4, s8
	s_mul_hi_u32 s4, s8, s4
	s_add_i32 s8, s8, s4
	v_rcp_iflag_f32_e32 v1, v1
	s_mul_hi_u32 s4, s14, s8
	v_writelane_b32 v52, s4, 9
	s_sub_i32 s4, 0, s9
	v_readfirstlane_b32 s8, v2
	v_mul_f32_e32 v1, 0x4f7ffffe, v1
	s_mul_i32 s4, s4, s8
	v_cvt_u32_f32_e32 v1, v1
	s_mul_hi_u32 s4, s8, s4
	s_add_i32 s8, s8, s4
	v_writelane_b32 v52, s9, 10
	s_mul_hi_u32 s4, s14, s8
	v_writelane_b32 v52, s4, 11
	s_sub_i32 s4, 0, s7
	v_readfirstlane_b32 s8, v1
	s_mul_i32 s4, s4, s8
	s_mul_hi_u32 s4, s8, s4
	s_add_i32 s8, s8, s4
	s_mul_hi_u32 s4, s14, s8
	s_mul_i32 s8, s4, s7
	s_sub_i32 s8, s14, s8
	s_add_i32 s9, s4, 1
	s_sub_i32 s13, s8, s7
	s_cmp_ge_u32 s8, s7
	s_cselect_b32 s4, s9, s4
	s_cselect_b32 s8, s13, s8
	s_add_i32 s9, s4, 1
	s_cmp_ge_u32 s8, s7
	s_cselect_b32 s4, s9, s4
	s_mul_i32 s7, s4, s7
	s_sub_i32 s7, s14, s7
	s_waitcnt lgkmcnt(0)
	s_mul_i32 s7, s7, s3
	s_mul_i32 s2, s4, s2
	s_mov_b32 s5, 0
	s_add_i32 s4, s2, s7
	s_lshl_b64 s[2:3], s[4:5], 1
	s_add_u32 s57, s0, s2
	s_addc_u32 s82, s1, s3
	v_mov_b32_e32 v2, 0
	v_writelane_b32 v52, s14, 12
	v_cmp_gt_u32_e64 s[0:1], s56, v0
	s_mov_b64 s[2:3], exec
	v_writelane_b32 v52, s0, 13
	v_writelane_b32 v52, s1, 14
	s_and_b64 s[0:1], s[2:3], s[0:1]
	s_mov_b64 exec, s[0:1]
	s_cbranch_execz .LBB129_5
; %bb.2:
	s_load_dword s0, s[10:11], 0xc
	v_mov_b32_e32 v5, 0
	v_mul_lo_u32 v4, v0, s58
	s_mov_b64 s[4:5], 0
	v_mov_b32_e32 v1, s82
	s_waitcnt lgkmcnt(0)
	s_and_b32 s0, s0, 0xffff
	s_mul_i32 s1, s58, s0
	v_mov_b32_e32 v2, v5
	v_mov_b32_e32 v3, v0
.LBB129_3:                              ; =>This Inner Loop Header: Depth=1
	v_lshlrev_b64 v[8:9], 1, v[4:5]
	v_add_co_u32_e32 v8, vcc, s57, v8
	v_addc_co_u32_e32 v9, vcc, v1, v9, vcc
	global_load_ushort v7, v[8:9], off
	v_add_u32_e32 v3, s0, v3
	v_cmp_le_u32_e32 vcc, s56, v3
	s_or_b64 s[4:5], vcc, s[4:5]
	v_add_u32_e32 v4, s1, v4
	s_waitcnt vmcnt(0)
	v_cmp_u_f16_e32 vcc, v7, v7
	v_addc_co_u32_e32 v2, vcc, 0, v2, vcc
	s_andn2_b64 exec, exec, s[4:5]
	s_cbranch_execnz .LBB129_3
; %bb.4:
	s_or_b64 exec, exec, s[4:5]
.LBB129_5:
	s_or_b64 exec, exec, s[2:3]
	v_cmp_eq_u32_e64 s[0:1], 0, v0
	s_mov_b64 s[4:5], exec
	v_writelane_b32 v52, s0, 15
	v_writelane_b32 v52, s1, 16
	s_and_b64 s[0:1], s[4:5], s[0:1]
	s_mov_b64 exec, s[0:1]
	s_cbranch_execz .LBB129_7
; %bb.6:
	v_mov_b32_e32 v4, 0
	v_mov_b32_e32 v5, v4
	ds_write_b64 v4, v[4:5] offset:4096
.LBB129_7:
	s_or_b64 exec, exec, s[4:5]
	v_cmp_ne_u32_e32 vcc, 0, v2
	s_waitcnt lgkmcnt(0)
	s_barrier
	s_and_saveexec_b64 s[4:5], vcc
	s_cbranch_execz .LBB129_12
; %bb.8:
	s_mov_b64 s[14:15], exec
	v_mov_b32_e32 v1, 0
	s_mov_b64 s[8:9], 0
.LBB129_9:                              ; =>This Inner Loop Header: Depth=1
	s_ff1_i32_b64 s0, s[14:15]
	v_readlane_b32 s2, v2, s0
	v_readlane_b32 s1, v1, s0
	s_add_u32 s8, s8, s2
	s_addc_u32 s9, s9, s1
	s_lshl_b64 s[0:1], 1, s0
	s_andn2_b64 s[14:15], s[14:15], s[0:1]
	s_cmp_lg_u64 s[14:15], 0
	s_cbranch_scc1 .LBB129_9
; %bb.10:
	v_mbcnt_lo_u32_b32 v1, exec_lo, 0
	v_mbcnt_hi_u32_b32 v1, exec_hi, v1
	v_cmp_eq_u32_e32 vcc, 0, v1
	s_and_saveexec_b64 s[0:1], vcc
	s_xor_b64 s[0:1], exec, s[0:1]
	s_cbranch_execz .LBB129_12
; %bb.11:
	v_mov_b32_e32 v1, 0
	v_pk_mov_b32 v[2:3], s[8:9], s[8:9] op_sel:[0,1]
	ds_add_u64 v1, v[2:3] offset:4096
.LBB129_12:
	s_or_b64 exec, exec, s[4:5]
	v_mov_b32_e32 v1, 0
	s_waitcnt lgkmcnt(0)
	s_barrier
	ds_read_b64 v[2:3], v1 offset:4096
	s_bitcmp1_b32 s59, 0
	s_cselect_b64 s[0:1], -1, 0
	s_mov_b32 s3, s56
	s_waitcnt lgkmcnt(0)
	v_cmp_gt_i64_e32 vcc, 1, v[2:3]
	s_or_b64 s[0:1], s[0:1], vcc
	s_andn2_b64 vcc, exec, s[0:1]
	s_cbranch_vccnz .LBB129_14
; %bb.13:
	v_not_b32_e32 v1, v2
	v_not_b32_e32 v2, v3
	v_add_co_u32_e32 v1, vcc, s56, v1
	v_addc_co_u32_e32 v2, vcc, 0, v2, vcc
	v_lshrrev_b32_e32 v3, 31, v2
	v_add_co_u32_e32 v1, vcc, v1, v3
	v_addc_co_u32_e32 v2, vcc, 0, v2, vcc
	v_alignbit_b32 v1, v2, v1, 1
	v_readfirstlane_b32 s0, v1
	s_add_i32 s3, s0, 1
.LBB129_14:
	s_mov_b64 s[4:5], exec
	v_readlane_b32 s0, v52, 15
	v_readlane_b32 s1, v52, 16
	s_and_b64 s[0:1], s[4:5], s[0:1]
	s_mov_b64 exec, s[0:1]
	s_cbranch_execz .LBB129_16
; %bb.15:
	v_mov_b32_e32 v2, 0
	v_mov_b32_e32 v3, s56
	ds_write_b32 v2, v2 offset:4112
	ds_write_b64 v2, v[2:3] offset:4104
.LBB129_16:
	s_or_b64 exec, exec, s[4:5]
	s_waitcnt lgkmcnt(0)
	s_barrier
	s_load_dword s0, s[10:11], 0xc
	v_mbcnt_lo_u32_b32 v1, -1, 0
	v_mbcnt_hi_u32_b32 v13, -1, v1
	v_cmp_gt_u32_e32 vcc, 64, v0
	v_cmp_gt_i32_e64 s[4:5], 4, v13
	s_waitcnt lgkmcnt(0)
	s_and_b32 s59, s0, 0xffff
	s_bfe_u32 s8, s0, 0xa0006
	s_add_i32 s0, s59, -1
	s_lshl_b32 s85, s59, 2
	s_and_b64 s[70:71], vcc, s[4:5]
	v_writelane_b32 v52, s0, 17
	s_add_i32 s0, s0, s56
	s_cmpk_gt_u32 s56, 0x600
	s_cselect_b64 s[4:5], -1, 0
	v_mov_b32_e32 v9, 0
	v_writelane_b32 v52, s4, 18
	s_cmp_gt_u32 s59, 63
	v_writelane_b32 v52, s5, 19
	s_cselect_b64 s[4:5], -1, 0
	s_cmp_lt_u32 s6, s12
	v_mov_b32_e32 v7, v9
	v_writelane_b32 v52, s4, 20
	s_cselect_b32 s1, 12, 18
	v_lshlrev_b64 v[2:3], 1, v[6:7]
	v_writelane_b32 v52, s5, 21
	s_add_u32 s4, s10, s1
	v_mov_b32_e32 v7, s82
	v_add_co_u32_e32 v10, vcc, s57, v2
	s_addc_u32 s5, s11, 0
	s_add_i32 s1, s8, -2
	v_addc_co_u32_e32 v11, vcc, v7, v3, vcc
	v_lshlrev_b64 v[2:3], v13, -1
	s_lshr_b32 s2, s1, 1
	v_not_b32_e32 v12, v2
	v_cvt_f32_u32_e32 v2, s85
	s_add_i32 s2, s2, 1
	v_writelane_b32 v52, s4, 22
	s_cmpk_gt_u32 s59, 0x7f
	v_writelane_b32 v52, s5, 23
	s_cselect_b64 s[4:5], -1, 0
	s_and_b32 s9, s8, 0x3fe
	s_and_b32 s10, s2, 7
	v_writelane_b32 v52, s4, 24
	s_cmp_gt_u32 s1, 13
	v_rcp_iflag_f32_e32 v2, v2
	v_writelane_b32 v52, s5, 25
	s_cselect_b64 s[12:13], -1, 0
	v_writelane_b32 v52, s12, 26
	v_writelane_b32 v52, s13, 27
	s_and_b32 s1, s2, -8
	v_writelane_b32 v52, s1, 28
	s_cmp_lg_u32 s10, 0
	v_mul_f32_e32 v2, 0x4f7ffffe, v2
	v_writelane_b32 v52, s10, 29
	s_cselect_b64 s[10:11], -1, 0
	v_cvt_u32_f32_e32 v2, v2
	v_writelane_b32 v52, s10, 30
	v_writelane_b32 v52, s11, 31
	;; [unrolled: 1-line block ×3, first 2 shown]
	s_cmp_lg_u32 s9, s8
	v_writelane_b32 v52, s9, 33
	s_cselect_b64 s[8:9], -1, 0
	s_sub_i32 s1, 0, s85
	v_readfirstlane_b32 s2, v2
	s_mul_i32 s1, s1, s2
	s_mul_hi_u32 s1, s2, s1
	s_add_i32 s33, s2, s1
	v_cvt_f32_u32_e32 v2, s59
	s_mul_hi_u32 s1, s56, s33
	s_mul_i32 s1, s1, s85
	s_sub_i32 s1, s56, s1
	s_sub_i32 s2, s1, s85
	v_rcp_iflag_f32_e32 v5, v2
	s_cmp_ge_u32 s1, s85
	s_cselect_b32 s1, s2, s1
	s_sub_i32 s2, s1, s85
	s_cmp_ge_u32 s1, s85
	v_mul_f32_e32 v5, 0x4f7ffffe, v5
	s_cselect_b32 s1, s2, s1
	v_cvt_u32_f32_e32 v5, v5
	v_lshlrev_b32_e32 v16, 2, v0
	v_writelane_b32 v52, s8, 34
	s_sub_i32 s76, s56, s1
	v_writelane_b32 v52, s9, 35
	v_cmp_gt_u32_e64 s[8:9], s76, v16
	v_writelane_b32 v52, s8, 36
	v_writelane_b32 v52, s9, 37
	s_sub_i32 s2, 0, s59
	v_readfirstlane_b32 s8, v5
	s_mul_i32 s2, s2, s8
	s_mul_hi_u32 s2, s8, s2
	s_add_i32 s2, s8, s2
	v_writelane_b32 v52, s2, 38
	s_mul_hi_u32 s2, s0, s2
	s_mul_i32 s2, s2, s59
	s_sub_i32 s2, s0, s2
	s_sub_i32 s8, s2, s59
	v_add_u32_e32 v21, s76, v0
	s_cmp_ge_u32 s2, s59
	v_lshrrev_b32_e32 v1, 4, v0
	v_mul_lo_u32 v8, v21, s58
	s_cselect_b32 s2, s8, s2
	v_and_b32_e32 v19, 60, v1
	v_not_b32_e32 v1, v3
	v_lshlrev_b64 v[2:3], 1, v[8:9]
	s_sub_i32 s8, s2, s59
	v_add_co_u32_e32 v14, vcc, s57, v2
	s_cmp_ge_u32 s2, s59
	v_mul_lo_u32 v2, s58, v16
	s_cselect_b32 s2, s8, s2
	v_add_u32_e32 v22, s58, v2
	v_or_b32_e32 v2, 2, v16
	s_sub_i32 s78, s0, s2
	v_mul_lo_u32 v23, s58, v2
	v_or_b32_e32 v2, 3, v16
	s_add_i32 s0, s59, s56
	v_mul_lo_u32 v24, s58, v2
	v_add_u32_e32 v2, s0, v0
	v_lshlrev_b32_e32 v17, 1, v0
	v_lshlrev_b32_e32 v4, 2, v13
	v_mov_b32_e32 v8, s82
	v_cmp_gt_u32_e64 s[8:9], s78, v0
	s_mul_i32 s83, s58, s59
	v_subrev_u32_e32 v2, s1, v2
	s_mov_b32 s68, 0
	v_cmp_eq_u32_e64 s[4:5], 0, v13
	v_cmp_gt_u32_e64 s[6:7], 2, v0
	v_add_u32_e32 v18, 0xc00, v17
	v_and_b32_e32 v20, 0x100, v4
	v_cmp_gt_u32_e64 s[10:11], s56, v21
	v_addc_co_u32_e32 v15, vcc, v8, v3, vcc
	v_writelane_b32 v52, s8, 39
	s_lshl_b32 s79, s83, 2
	v_lshlrev_b32_e32 v25, 2, v6
	v_mul_lo_u32 v26, s58, v2
	v_lshlrev_b32_e32 v27, 3, v0
	s_lshl_b32 s12, s59, 3
	s_lshl_b32 s13, s59, 1
	v_or_b32_e32 v28, 0xc00, v4
	s_mov_b32 s73, 14
	s_mov_b64 s[86:87], 0
	s_movk_i32 s72, 0x3c00
	v_mov_b32_e32 v29, 0xffff
	v_mov_b32_e32 v30, 0x8000
	v_mov_b32_e32 v31, -1
	v_mov_b32_e32 v32, 0xc00
	v_mov_b32_e32 v33, 0x5040100
	;; [unrolled: 1-line block ×3, first 2 shown]
	s_mov_b32 s0, 0
	s_mov_b32 s2, 0
	;; [unrolled: 1-line block ×3, first 2 shown]
	v_writelane_b32 v52, s9, 40
                                        ; implicit-def: $sgpr88_sgpr89
                                        ; implicit-def: $sgpr92_sgpr93
                                        ; implicit-def: $sgpr90_sgpr91
                                        ; implicit-def: $sgpr94_sgpr95
                                        ; implicit-def: $sgpr60_sgpr61
                                        ; implicit-def: $sgpr62_sgpr63
	s_branch .LBB129_21
.LBB129_17:                             ;   in Loop: Header=BB129_21 Depth=1
	s_xor_b32 s0, s0, 1
	s_add_i32 s3, s73, -2
	s_cmp_eq_u32 s73, 0
	s_mov_b64 s[18:19], 0
	s_cselect_b64 s[26:27], -1, 0
	s_mov_b32 s73, s3
.LBB129_18:                             ;   in Loop: Header=BB129_21 Depth=1
	s_andn2_b64 s[8:9], s[22:23], exec
	s_and_b64 s[18:19], s[18:19], exec
	s_or_b64 s[22:23], s[8:9], s[18:19]
	s_andn2_b64 s[24:25], s[24:25], exec
	s_andn2_b64 s[20:21], s[20:21], exec
	s_orn2_b64 s[18:19], s[26:27], exec
	s_mov_b32 s3, s35
.LBB129_19:                             ;   in Loop: Header=BB129_21 Depth=1
	s_or_b64 exec, exec, s[14:15]
	s_andn2_b64 s[8:9], s[62:63], exec
	s_and_b64 s[14:15], s[22:23], exec
	s_or_b64 s[62:63], s[8:9], s[14:15]
	s_andn2_b64 s[8:9], s[60:61], exec
	s_and_b64 s[14:15], s[24:25], exec
	s_or_b64 s[60:61], s[8:9], s[14:15]
	;; [unrolled: 3-line block ×3, first 2 shown]
	s_orn2_b64 s[18:19], s[18:19], exec
.LBB129_20:                             ;   in Loop: Header=BB129_21 Depth=1
	s_or_b64 exec, exec, s[16:17]
	s_and_b64 s[8:9], exec, s[18:19]
	s_or_b64 s[86:87], s[8:9], s[86:87]
	s_andn2_b64 s[8:9], s[90:91], exec
	s_and_b64 s[14:15], s[62:63], exec
	s_or_b64 s[90:91], s[8:9], s[14:15]
	s_andn2_b64 s[8:9], s[92:93], exec
	s_and_b64 s[14:15], s[60:61], exec
	;; [unrolled: 3-line block ×3, first 2 shown]
	v_mov_b32_e32 v2, s2
	s_or_b64 s[88:89], s[8:9], s[14:15]
	s_andn2_b64 exec, exec, s[86:87]
	s_cbranch_execz .LBB129_255
.LBB129_21:                             ; =>This Loop Header: Depth=1
                                        ;     Child Loop BB129_26 Depth 2
                                        ;     Child Loop BB129_44 Depth 2
	;; [unrolled: 1-line block ×17, first 2 shown]
	ds_read_b64 v[2:3], v9 offset:4104
	s_waitcnt lgkmcnt(0)
	v_readfirstlane_b32 s69, v2
	s_cmp_lg_u32 s69, 0
	s_cbranch_scc1 .LBB129_51
; %bb.22:                               ;   in Loop: Header=BB129_21 Depth=1
	v_readlane_b32 s8, v52, 18
	v_readlane_b32 s9, v52, 19
	s_and_b64 vcc, exec, s[8:9]
	s_cbranch_vccz .LBB129_34
; %bb.23:                               ;   in Loop: Header=BB129_21 Depth=1
	s_movk_i32 s8, 0x601
	v_cmp_gt_u32_e32 vcc, s8, v3
	s_mov_b64 s[18:19], 0
	s_mov_b64 s[14:15], 0
	s_cbranch_vccz .LBB129_35
; %bb.24:                               ;   in Loop: Header=BB129_21 Depth=1
	v_readlane_b32 s8, v52, 22
	v_readlane_b32 s9, v52, 23
	s_nop 4
	global_load_ushort v2, v9, s[8:9]
	global_load_ushort v4, v[10:11], off
	s_mov_b64 s[20:21], 0
	s_waitcnt vmcnt(1)
	v_add_u32_e32 v5, v0, v2
	v_mul_lo_u32 v3, s58, v2
	v_mul_lo_u32 v8, s58, v5
	v_mov_b32_e32 v5, v0
	s_branch .LBB129_26
.LBB129_25:                             ;   in Loop: Header=BB129_26 Depth=2
	s_or_b64 exec, exec, s[16:17]
	v_add_u32_e32 v8, v8, v3
	v_mov_b32_e32 v4, v35
	s_andn2_b64 exec, exec, s[20:21]
	s_cbranch_execz .LBB129_36
.LBB129_26:                             ;   Parent Loop BB129_21 Depth=1
                                        ; =>  This Inner Loop Header: Depth=2
	v_add_u32_e32 v5, v5, v2
	v_cmp_gt_u32_e64 s[14:15], s56, v5
	v_cmp_le_u32_e32 vcc, s56, v5
	s_waitcnt lgkmcnt(0)
	v_mov_b32_e32 v36, 0
	v_mov_b32_e32 v35, 0
	s_and_saveexec_b64 s[16:17], s[14:15]
	s_cbranch_execz .LBB129_28
; %bb.27:                               ;   in Loop: Header=BB129_26 Depth=2
	v_lshlrev_b64 v[38:39], 1, v[8:9]
	v_add_co_u32_e64 v38, s[14:15], s57, v38
	v_addc_co_u32_e64 v39, s[14:15], v7, v39, s[14:15]
	global_load_ushort v35, v[38:39], off
.LBB129_28:                             ;   in Loop: Header=BB129_26 Depth=2
	s_or_b64 exec, exec, s[16:17]
	s_waitcnt vmcnt(0)
	v_cmp_lt_i16_e64 s[14:15], -1, v4
	v_cndmask_b32_e64 v37, v29, v30, s[14:15]
	v_xor_b32_sdwa v37, v37, v4 dst_sel:DWORD dst_unused:UNUSED_PAD src0_sel:DWORD src1_sel:WORD_0
	v_cmp_o_f16_e64 s[14:15], v4, v4
	v_cndmask_b32_e64 v37, v29, v37, s[14:15]
	v_and_b32_e32 v37, s1, v37
	v_cmp_eq_u32_e64 s[14:15], s2, v37
	s_cmp_lg_u64 s[14:15], 0
	s_cselect_b64 s[8:9], -1, 0
	s_and_b64 s[8:9], s[4:5], s[8:9]
	s_and_saveexec_b64 s[22:23], s[8:9]
	s_cbranch_execz .LBB129_32
; %bb.29:                               ;   in Loop: Header=BB129_26 Depth=2
	s_mov_b64 s[26:27], exec
	v_mbcnt_lo_u32_b32 v36, s26, 0
	v_mbcnt_hi_u32_b32 v36, s27, v36
	s_bcnt1_i32_b64 s8, s[14:15]
	v_cmp_eq_u32_e64 s[16:17], 0, v36
                                        ; implicit-def: $vgpr37
	s_and_saveexec_b64 s[24:25], s[16:17]
	s_cbranch_execz .LBB129_31
; %bb.30:                               ;   in Loop: Header=BB129_26 Depth=2
	s_bcnt1_i32_b64 s9, s[26:27]
	s_mul_i32 s9, s8, s9
	v_mov_b32_e32 v37, s9
	ds_add_rtn_u32 v37, v9, v37 offset:4112
.LBB129_31:                             ;   in Loop: Header=BB129_26 Depth=2
	s_or_b64 exec, exec, s[24:25]
	s_waitcnt lgkmcnt(0)
	v_readfirstlane_b32 s9, v37
	v_mov_b32_e32 v37, s9
	v_mad_u32_u24 v36, s8, v36, v37
.LBB129_32:                             ;   in Loop: Header=BB129_26 Depth=2
	s_or_b64 exec, exec, s[22:23]
	ds_bpermute_b32 v36, v20, v36
	s_and_b64 s[8:9], exec, vcc
	s_or_b64 s[20:21], s[8:9], s[20:21]
	s_and_saveexec_b64 s[16:17], s[14:15]
	s_cbranch_execz .LBB129_25
; %bb.33:                               ;   in Loop: Header=BB129_26 Depth=2
	v_and_b32_e32 v38, s14, v12
	v_and_b32_e32 v37, s15, v1
	v_bcnt_u32_b32 v38, v38, 0
	v_bcnt_u32_b32 v37, v37, v38
	v_lshlrev_b32_e32 v37, 1, v37
	s_waitcnt lgkmcnt(0)
	v_lshl_add_u32 v36, v36, 1, v37
	ds_write_b16 v36, v4
	s_branch .LBB129_25
.LBB129_34:                             ;   in Loop: Header=BB129_21 Depth=1
	s_mov_b64 s[14:15], 0
                                        ; implicit-def: $sgpr69
	s_cbranch_execnz .LBB129_39
	s_branch .LBB129_49
.LBB129_35:                             ;   in Loop: Header=BB129_21 Depth=1
	s_mov_b32 s69, 0
	s_and_b64 vcc, exec, s[18:19]
	s_cbranch_vccnz .LBB129_39
	s_branch .LBB129_49
.LBB129_36:                             ;   in Loop: Header=BB129_21 Depth=1
	s_or_b64 exec, exec, s[20:21]
	s_waitcnt lgkmcnt(0)
	s_barrier
	s_mov_b64 s[14:15], exec
	v_readlane_b32 s8, v52, 15
	v_readlane_b32 s9, v52, 16
	s_and_b64 s[8:9], s[14:15], s[8:9]
	s_mov_b64 exec, s[8:9]
	s_cbranch_execz .LBB129_38
; %bb.37:                               ;   in Loop: Header=BB129_21 Depth=1
	ds_read_b32 v2, v9 offset:4112
	s_waitcnt lgkmcnt(0)
	ds_write_b32 v9, v2 offset:4104
.LBB129_38:                             ;   in Loop: Header=BB129_21 Depth=1
	s_or_b64 exec, exec, s[14:15]
	s_waitcnt lgkmcnt(0)
	s_barrier
	s_mov_b64 s[14:15], -1
	s_mov_b32 s69, 0
	s_and_b64 vcc, exec, s[18:19]
	s_cbranch_vccz .LBB129_49
.LBB129_39:                             ;   in Loop: Header=BB129_21 Depth=1
	v_mov_b32_e32 v2, 0
	s_mov_b64 s[14:15], exec
	v_readlane_b32 s8, v52, 13
	v_readlane_b32 s9, v52, 14
	s_and_b64 s[8:9], s[14:15], s[8:9]
	s_mov_b64 exec, s[8:9]
	s_cbranch_execz .LBB129_41
; %bb.40:                               ;   in Loop: Header=BB129_21 Depth=1
	global_load_ushort v2, v[10:11], off
.LBB129_41:                             ;   in Loop: Header=BB129_21 Depth=1
	s_or_b64 exec, exec, s[14:15]
	s_mov_b64 s[16:17], exec
	v_readlane_b32 s8, v52, 13
	v_readlane_b32 s9, v52, 14
	s_and_b64 s[8:9], s[16:17], s[8:9]
	s_mov_b64 exec, s[8:9]
	s_cbranch_execz .LBB129_46
; %bb.42:                               ;   in Loop: Header=BB129_21 Depth=1
	v_readlane_b32 s8, v52, 22
	v_readlane_b32 s9, v52, 23
	s_mov_b64 s[18:19], 0
	v_mov_b32_e32 v4, v17
	v_mov_b32_e32 v36, v0
	s_nop 1
	global_load_ushort v3, v9, s[8:9]
	s_waitcnt vmcnt(0)
	v_add_u32_e32 v8, v0, v3
	v_lshlrev_b32_e32 v5, 1, v3
	v_mul_lo_u32 v35, s58, v3
	v_mul_lo_u32 v8, s58, v8
	s_branch .LBB129_44
.LBB129_43:                             ;   in Loop: Header=BB129_44 Depth=2
	s_or_b64 exec, exec, s[20:21]
	s_and_b64 s[8:9], exec, vcc
	s_or_b64 s[18:19], s[8:9], s[18:19]
	ds_write_b16 v4, v2
	v_add_u32_e32 v4, v4, v5
	v_add_u32_e32 v8, v8, v35
	s_waitcnt vmcnt(0)
	v_mov_b32_e32 v2, v37
	s_andn2_b64 exec, exec, s[18:19]
	s_cbranch_execz .LBB129_46
.LBB129_44:                             ;   Parent Loop BB129_21 Depth=1
                                        ; =>  This Inner Loop Header: Depth=2
	v_add_u32_e32 v36, v36, v3
	v_cmp_gt_u32_e64 s[14:15], s56, v36
	v_cmp_le_u32_e32 vcc, s56, v36
	v_mov_b32_e32 v37, 0
	s_and_saveexec_b64 s[20:21], s[14:15]
	s_cbranch_execz .LBB129_43
; %bb.45:                               ;   in Loop: Header=BB129_44 Depth=2
	v_lshlrev_b64 v[38:39], 1, v[8:9]
	v_mov_b32_e32 v37, s82
	v_add_co_u32_e64 v38, s[14:15], s57, v38
	v_addc_co_u32_e64 v39, s[14:15], v37, v39, s[14:15]
	global_load_ushort v37, v[38:39], off
	s_branch .LBB129_43
.LBB129_46:                             ;   in Loop: Header=BB129_21 Depth=1
	s_or_b64 exec, exec, s[16:17]
	s_waitcnt lgkmcnt(0)
	s_barrier
	s_mov_b64 s[14:15], exec
	v_readlane_b32 s8, v52, 15
	v_readlane_b32 s9, v52, 16
	s_and_b64 s[8:9], s[14:15], s[8:9]
	s_mov_b64 exec, s[8:9]
	s_cbranch_execz .LBB129_48
; %bb.47:                               ;   in Loop: Header=BB129_21 Depth=1
	s_waitcnt vmcnt(0)
	v_mov_b32_e32 v2, s56
	ds_write_b32 v9, v2 offset:4104
.LBB129_48:                             ;   in Loop: Header=BB129_21 Depth=1
	s_or_b64 exec, exec, s[14:15]
	s_mov_b64 s[14:15], -1
	s_waitcnt lgkmcnt(0)
	s_barrier
                                        ; implicit-def: $sgpr69
.LBB129_49:                             ;   in Loop: Header=BB129_21 Depth=1
	s_and_b64 vcc, exec, s[14:15]
	s_cbranch_vccz .LBB129_51
; %bb.50:                               ;   in Loop: Header=BB129_21 Depth=1
	s_waitcnt vmcnt(0)
	ds_read_b32 v2, v9 offset:4104
	s_waitcnt lgkmcnt(0)
	v_readfirstlane_b32 s69, v2
.LBB129_51:                             ;   in Loop: Header=BB129_21 Depth=1
	s_cmp_lt_i32 s69, 1
	s_cbranch_scc0 .LBB129_63
; %bb.52:                               ;   in Loop: Header=BB129_21 Depth=1
	s_waitcnt vmcnt(0)
	v_mov_b32_e32 v2, 0
	s_mov_b32 s48, 0
	v_mov_b32_e32 v3, 0
	v_mov_b32_e32 v4, v2
	;; [unrolled: 1-line block ×3, first 2 shown]
	s_mov_b64 s[44:45], exec
	v_readlane_b32 s8, v52, 36
	v_readlane_b32 s9, v52, 37
	s_and_b64 s[8:9], s[44:45], s[8:9]
	s_mov_b64 exec, s[8:9]
	s_cbranch_execz .LBB129_56
; %bb.53:                               ;   in Loop: Header=BB129_21 Depth=1
	s_and_b32 s49, s73, 0xfe
	s_mov_b64 s[46:47], 0
	s_mov_b32 s50, 0
	s_mov_b32 s51, 0
	;; [unrolled: 1-line block ×4, first 2 shown]
	v_mov_b32_e32 v35, v16
.LBB129_54:                             ;   Parent Loop BB129_21 Depth=1
                                        ; =>  This Inner Loop Header: Depth=2
	v_add_u32_e32 v8, s48, v25
	v_lshlrev_b64 v[2:3], 1, v[8:9]
	v_mov_b32_e32 v38, s82
	v_add_u32_e32 v8, s48, v22
	v_add_co_u32_e64 v2, s[14:15], s57, v2
	v_lshlrev_b64 v[4:5], 1, v[8:9]
	v_addc_co_u32_e64 v3, s[14:15], v38, v3, s[14:15]
	v_add_u32_e32 v8, s48, v23
	global_load_ushort v39, v[2:3], off
	v_add_co_u32_e64 v2, s[14:15], s57, v4
	v_lshlrev_b64 v[36:37], 1, v[8:9]
	v_add_u32_e32 v8, s48, v24
	v_addc_co_u32_e64 v3, s[14:15], v38, v5, s[14:15]
	v_lshlrev_b64 v[4:5], 1, v[8:9]
	global_load_ushort v8, v[2:3], off
	v_add_co_u32_e64 v2, s[14:15], s57, v36
	v_addc_co_u32_e64 v3, s[14:15], v38, v37, s[14:15]
	global_load_ushort v36, v[2:3], off
	v_add_co_u32_e64 v2, s[14:15], s57, v4
	v_addc_co_u32_e64 v3, s[14:15], v38, v5, s[14:15]
	global_load_ushort v2, v[2:3], off
	v_add_u32_e32 v35, s85, v35
	v_cmp_le_u32_e32 vcc, s76, v35
	s_add_i32 s48, s48, s79
	s_waitcnt vmcnt(3)
	v_cmp_lt_i16_e64 s[14:15], -1, v39
	v_cndmask_b32_e64 v3, v29, v30, s[14:15]
	v_xor_b32_sdwa v3, v3, v39 dst_sel:DWORD dst_unused:UNUSED_PAD src0_sel:DWORD src1_sel:WORD_0
	s_waitcnt vmcnt(2)
	v_cmp_lt_i16_e64 s[14:15], -1, v8
	v_cndmask_b32_e64 v4, v29, v30, s[14:15]
	v_cmp_o_f16_e64 s[14:15], v39, v39
	v_cndmask_b32_e64 v3, v29, v3, s[14:15]
	v_xor_b32_sdwa v4, v4, v8 dst_sel:DWORD dst_unused:UNUSED_PAD src0_sel:DWORD src1_sel:WORD_0
	s_waitcnt vmcnt(1)
	v_cmp_lt_i16_e64 s[14:15], -1, v36
	v_cndmask_b32_e64 v5, v29, v30, s[14:15]
	v_cmp_o_f16_e64 s[14:15], v8, v8
	v_cndmask_b32_e64 v4, v29, v4, s[14:15]
	v_xor_b32_sdwa v5, v5, v36 dst_sel:DWORD dst_unused:UNUSED_PAD src0_sel:DWORD src1_sel:WORD_0
	s_waitcnt vmcnt(0)
	v_cmp_lt_i16_e64 s[14:15], -1, v2
	v_cndmask_b32_e64 v8, v29, v30, s[14:15]
	v_and_b32_e32 v37, s1, v3
	v_bfe_u32 v3, v3, s49, 2
	v_cmp_o_f16_e64 s[14:15], v36, v36
	v_cndmask_b32_e64 v5, v29, v5, s[14:15]
	v_cmp_eq_u32_e64 s[14:15], s2, v37
	v_cmp_eq_u32_e64 s[16:17], 0, v3
	v_and_b32_e32 v36, s1, v4
	v_bfe_u32 v4, v4, s49, 2
	v_cmp_eq_u32_e64 s[18:19], 1, v3
	s_and_b64 s[8:9], s[14:15], s[16:17]
	v_xor_b32_sdwa v8, v8, v2 dst_sel:DWORD dst_unused:UNUSED_PAD src0_sel:DWORD src1_sel:WORD_0
	v_cmp_eq_u32_e64 s[20:21], 2, v3
	v_cmp_o_f16_e64 s[24:25], v2, v2
	v_cmp_eq_u32_e64 s[26:27], 0, v4
	v_cmp_eq_u32_e64 s[28:29], 1, v4
	;; [unrolled: 1-line block ×4, first 2 shown]
	v_cndmask_b32_e64 v4, 0, 1, s[8:9]
	s_and_b64 s[8:9], s[14:15], s[18:19]
	v_cmp_eq_u32_e64 s[22:23], 3, v3
	v_cndmask_b32_e64 v2, v29, v8, s[24:25]
	v_cndmask_b32_e64 v8, 0, 1, s[8:9]
	s_and_b64 s[8:9], s[14:15], s[20:21]
	v_cmp_eq_u32_e64 s[24:25], s2, v36
	v_cndmask_b32_e64 v36, 0, 1, s[8:9]
	s_and_b64 s[8:9], s[14:15], s[22:23]
	v_cndmask_b32_e64 v37, 0, 1, s[8:9]
	s_and_b64 s[8:9], s[24:25], s[26:27]
	v_and_b32_e32 v3, s1, v5
	v_bfe_u32 v5, v5, s49, 2
	v_cmp_ne_u32_e64 s[36:37], 0, v4
	v_cndmask_b32_e64 v4, 0, 1, s[8:9]
	s_and_b64 s[8:9], s[24:25], s[28:29]
	v_cmp_eq_u32_e64 s[16:17], 0, v5
	v_cmp_eq_u32_e64 s[18:19], 1, v5
	;; [unrolled: 1-line block ×4, first 2 shown]
	v_cndmask_b32_e64 v5, 0, 1, s[8:9]
	s_and_b64 s[8:9], s[24:25], s[30:31]
	v_cmp_eq_u32_e64 s[14:15], s2, v3
	v_cmp_ne_u32_e64 s[26:27], 0, v8
	v_cndmask_b32_e64 v8, 0, 1, s[8:9]
	s_and_b64 s[8:9], s[24:25], s[34:35]
	v_and_b32_e32 v3, s1, v2
	v_bfe_u32 v2, v2, s49, 2
	v_cmp_ne_u32_e64 s[28:29], 0, v36
	v_cndmask_b32_e64 v36, 0, 1, s[8:9]
	s_and_b64 s[8:9], s[14:15], s[16:17]
	v_cmp_eq_u32_e64 s[34:35], 0, v2
	v_cmp_eq_u32_e64 s[38:39], 1, v2
	;; [unrolled: 1-line block ×4, first 2 shown]
	v_cndmask_b32_e64 v2, 0, 1, s[8:9]
	s_and_b64 s[8:9], s[14:15], s[18:19]
	v_cmp_eq_u32_e64 s[24:25], s2, v3
	v_cndmask_b32_e64 v3, 0, 1, s[8:9]
	s_and_b64 s[8:9], s[14:15], s[20:21]
	s_bcnt1_i32_b64 s54, s[36:37]
	v_cmp_ne_u32_e64 s[36:37], 0, v4
	v_cndmask_b32_e64 v4, 0, 1, s[8:9]
	s_and_b64 s[8:9], s[14:15], s[22:23]
	v_cmp_ne_u32_e64 s[16:17], 0, v5
	v_cndmask_b32_e64 v5, 0, 1, s[8:9]
	s_and_b64 s[8:9], s[24:25], s[34:35]
	v_cmp_ne_u32_e64 s[14:15], 0, v2
	v_cndmask_b32_e64 v2, 0, 1, s[8:9]
	s_and_b64 s[8:9], s[24:25], s[38:39]
	v_cmp_ne_u32_e64 s[30:31], 0, v37
	s_bcnt1_i32_b64 s26, s[26:27]
	s_bcnt1_i32_b64 s27, s[28:29]
	v_cmp_ne_u32_e64 s[18:19], 0, v8
	s_bcnt1_i32_b64 s29, s[16:17]
	v_cmp_ne_u32_e64 s[16:17], 0, v3
	v_cndmask_b32_e64 v3, 0, 1, s[8:9]
	s_and_b64 s[8:9], s[24:25], s[40:41]
	s_bcnt1_i32_b64 s28, s[30:31]
	v_cmp_ne_u32_e64 s[20:21], 0, v36
	s_bcnt1_i32_b64 s30, s[18:19]
	v_cmp_ne_u32_e64 s[18:19], 0, v4
	v_cndmask_b32_e64 v4, 0, 1, s[8:9]
	s_and_b64 s[8:9], s[24:25], s[42:43]
	s_bcnt1_i32_b64 s22, s[36:37]
	s_add_i32 s23, s53, s54
	s_add_i32 s26, s52, s26
	;; [unrolled: 1-line block ×3, first 2 shown]
	s_bcnt1_i32_b64 s31, s[20:21]
	v_cmp_ne_u32_e64 s[20:21], 0, v5
	v_cndmask_b32_e64 v5, 0, 1, s[8:9]
	s_add_i32 s8, s50, s28
	s_bcnt1_i32_b64 s9, s[14:15]
	v_cmp_ne_u32_e64 s[14:15], 0, v2
	s_add_i32 s22, s23, s22
	s_bcnt1_i32_b64 s23, s[16:17]
	v_cmp_ne_u32_e64 s[16:17], 0, v3
	;; [unrolled: 3-line block ×4, first 2 shown]
	s_add_i32 s8, s8, s31
	s_bcnt1_i32_b64 s14, s[14:15]
	s_add_i32 s9, s22, s9
	s_bcnt1_i32_b64 s15, s[16:17]
	;; [unrolled: 2-line block ×4, first 2 shown]
	s_add_i32 s8, s8, s27
	s_add_i32 s53, s9, s14
	;; [unrolled: 1-line block ×5, first 2 shown]
	s_or_b64 s[46:47], vcc, s[46:47]
	v_mov_b32_e32 v2, s53
	v_mov_b32_e32 v3, s52
	;; [unrolled: 1-line block ×4, first 2 shown]
	s_andn2_b64 exec, exec, s[46:47]
	s_cbranch_execnz .LBB129_54
; %bb.55:                               ;   in Loop: Header=BB129_21 Depth=1
	s_or_b64 exec, exec, s[46:47]
.LBB129_56:                             ;   in Loop: Header=BB129_21 Depth=1
	s_or_b64 exec, exec, s[44:45]
	v_mov_b32_e32 v35, 0
	s_and_saveexec_b64 s[14:15], s[10:11]
	s_cbranch_execz .LBB129_58
; %bb.57:                               ;   in Loop: Header=BB129_21 Depth=1
	global_load_ushort v35, v[14:15], off
.LBB129_58:                             ;   in Loop: Header=BB129_21 Depth=1
	s_or_b64 exec, exec, s[14:15]
	s_mov_b64 s[16:17], 0
	s_mov_b64 s[64:65], 0
	s_and_saveexec_b64 s[18:19], s[10:11]
	s_cbranch_execz .LBB129_65
; %bb.59:                               ;   in Loop: Header=BB129_21 Depth=1
	s_and_b32 s8, s73, 0xfe
	s_mov_b64 s[20:21], 0
	v_mov_b32_e32 v8, v26
	v_mov_b32_e32 v36, v21
	s_branch .LBB129_61
.LBB129_60:                             ;   in Loop: Header=BB129_61 Depth=2
	s_or_b64 exec, exec, s[22:23]
	s_and_b64 s[14:15], exec, vcc
	s_waitcnt vmcnt(0)
	v_cmp_lt_i16_e32 vcc, -1, v35
	v_cndmask_b32_e32 v38, v29, v30, vcc
	v_xor_b32_sdwa v38, v38, v35 dst_sel:DWORD dst_unused:UNUSED_PAD src0_sel:DWORD src1_sel:WORD_0
	v_cmp_o_f16_e32 vcc, v35, v35
	v_cndmask_b32_e32 v35, v29, v38, vcc
	v_and_b32_e32 v38, s1, v35
	v_bfe_u32 v35, v35, s8, 2
	s_or_b64 s[20:21], s[14:15], s[20:21]
	v_cmp_eq_u32_e32 vcc, s2, v38
	v_cmp_eq_u32_e64 s[14:15], 0, v35
	s_and_b64 s[14:15], vcc, s[14:15]
	v_cndmask_b32_e64 v38, 0, 1, s[14:15]
	v_cmp_ne_u32_e64 s[14:15], 0, v38
	s_bcnt1_i32_b64 s9, s[14:15]
	v_cmp_eq_u32_e64 s[14:15], 1, v35
	s_and_b64 s[14:15], vcc, s[14:15]
	v_cndmask_b32_e64 v38, 0, 1, s[14:15]
	v_cmp_ne_u32_e64 s[14:15], 0, v38
	v_add_u32_e32 v2, s9, v2
	s_bcnt1_i32_b64 s9, s[14:15]
	v_cmp_eq_u32_e64 s[14:15], 2, v35
	s_and_b64 s[14:15], vcc, s[14:15]
	v_cndmask_b32_e64 v38, 0, 1, s[14:15]
	v_cmp_ne_u32_e64 s[14:15], 0, v38
	v_add_u32_e32 v3, s9, v3
	s_bcnt1_i32_b64 s9, s[14:15]
	v_cmp_eq_u32_e64 s[14:15], 3, v35
	s_and_b64 s[14:15], vcc, s[14:15]
	v_cndmask_b32_e64 v35, 0, 1, s[14:15]
	v_cmp_ne_u32_e32 vcc, 0, v35
	v_add_u32_e32 v4, s9, v4
	s_bcnt1_i32_b64 s9, vcc
	v_add_u32_e32 v5, s9, v5
	v_add_u32_e32 v8, s83, v8
	v_mov_b32_e32 v35, v37
	s_andn2_b64 exec, exec, s[20:21]
	s_cbranch_execz .LBB129_64
.LBB129_61:                             ;   Parent Loop BB129_21 Depth=1
                                        ; =>  This Inner Loop Header: Depth=2
	v_add_u32_e32 v36, s59, v36
	v_cmp_gt_u32_e64 s[14:15], s56, v36
	v_cmp_le_u32_e32 vcc, s56, v36
	v_mov_b32_e32 v37, 0
	s_and_saveexec_b64 s[22:23], s[14:15]
	s_cbranch_execz .LBB129_60
; %bb.62:                               ;   in Loop: Header=BB129_61 Depth=2
	v_lshlrev_b64 v[38:39], 1, v[8:9]
	v_mov_b32_e32 v37, s82
	v_add_co_u32_e64 v38, s[14:15], s57, v38
	v_addc_co_u32_e64 v39, s[14:15], v37, v39, s[14:15]
	global_load_ushort v37, v[38:39], off
	s_branch .LBB129_60
.LBB129_63:                             ;   in Loop: Header=BB129_21 Depth=1
	s_mov_b64 s[64:65], 0
                                        ; implicit-def: $vgpr5
	s_cbranch_execnz .LBB129_66
	s_branch .LBB129_75
.LBB129_64:                             ;   in Loop: Header=BB129_21 Depth=1
	s_or_b64 exec, exec, s[20:21]
	s_mov_b64 s[64:65], exec
.LBB129_65:                             ;   in Loop: Header=BB129_21 Depth=1
	s_or_b64 exec, exec, s[18:19]
	s_and_b64 vcc, exec, s[16:17]
	s_cbranch_vccz .LBB129_75
.LBB129_66:                             ;   in Loop: Header=BB129_21 Depth=1
	s_mul_hi_u32 s8, s69, s33
	s_mul_i32 s8, s8, s85
	s_sub_i32 s8, s69, s8
	s_sub_i32 s9, s8, s85
	s_cmp_ge_u32 s8, s85
	s_cselect_b32 s8, s9, s8
	s_sub_i32 s9, s8, s85
	s_cmp_ge_u32 s8, s85
	s_cselect_b32 s8, s9, s8
	s_sub_i32 s84, s69, s8
	v_cmp_gt_u32_e32 vcc, s84, v16
	s_mov_b32 s74, 0
	s_waitcnt vmcnt(0)
	v_mov_b32_e32 v2, 0
	v_mov_b32_e32 v3, 0
	;; [unrolled: 1-line block ×4, first 2 shown]
	s_and_saveexec_b64 s[66:67], vcc
	s_cbranch_execz .LBB129_70
; %bb.67:                               ;   in Loop: Header=BB129_21 Depth=1
	s_and_b32 s77, s73, 0xfe
	s_mov_b64 s[80:81], 0
	v_mov_b32_e32 v8, v27
	s_mov_b32 s75, 0
	s_mov_b32 s8, 0
	;; [unrolled: 1-line block ×3, first 2 shown]
	v_mov_b32_e32 v35, v16
.LBB129_68:                             ;   Parent Loop BB129_21 Depth=1
                                        ; =>  This Inner Loop Header: Depth=2
	ds_read_b64 v[2:3], v8
	v_add_u32_e32 v35, s85, v35
	v_cmp_le_u32_e32 vcc, s84, v35
	v_add_u32_e32 v8, s12, v8
	s_waitcnt lgkmcnt(0)
	v_cmp_lt_i16_e64 s[14:15], -1, v2
	v_cndmask_b32_e64 v4, v29, v30, s[14:15]
	v_cmp_gt_i16_sdwa s[14:15], v2, v31 src0_sel:WORD_1 src1_sel:DWORD
	v_cndmask_b32_e64 v5, v29, v30, s[14:15]
	v_cmp_lt_i16_e64 s[14:15], -1, v3
	v_cndmask_b32_e64 v36, v29, v30, s[14:15]
	v_cmp_gt_i16_sdwa s[14:15], v3, v31 src0_sel:WORD_1 src1_sel:DWORD
	v_cndmask_b32_e64 v37, v29, v30, s[14:15]
	v_xor_b32_sdwa v36, v36, v3 dst_sel:DWORD dst_unused:UNUSED_PAD src0_sel:DWORD src1_sel:WORD_0
	v_cmp_o_f16_e64 s[16:17], v3, v3
	v_xor_b32_sdwa v37, v37, v3 dst_sel:DWORD dst_unused:UNUSED_PAD src0_sel:DWORD src1_sel:WORD_1
	v_cmp_o_f16_sdwa s[18:19], v3, v3 src0_sel:WORD_1 src1_sel:WORD_1
	v_xor_b32_sdwa v3, v4, v2 dst_sel:DWORD dst_unused:UNUSED_PAD src0_sel:DWORD src1_sel:WORD_0
	v_cmp_o_f16_e64 s[20:21], v2, v2
	v_xor_b32_sdwa v5, v5, v2 dst_sel:DWORD dst_unused:UNUSED_PAD src0_sel:DWORD src1_sel:WORD_1
	v_cmp_o_f16_sdwa s[14:15], v2, v2 src0_sel:WORD_1 src1_sel:WORD_1
	v_cndmask_b32_e64 v2, v29, v3, s[20:21]
	v_cndmask_b32_e64 v3, v29, v5, s[14:15]
	;; [unrolled: 1-line block ×3, first 2 shown]
	v_and_b32_e32 v36, s1, v2
	v_bfe_u32 v2, v2, s77, 2
	v_cndmask_b32_e64 v5, v29, v37, s[18:19]
	v_and_b32_e32 v37, s1, v3
	v_bfe_u32 v3, v3, s77, 2
	v_cmp_eq_u32_e64 s[14:15], s2, v36
	v_cmp_eq_u32_e64 s[22:23], 0, v2
	v_and_b32_e32 v38, s1, v4
	v_bfe_u32 v4, v4, s77, 2
	v_cmp_eq_u32_e64 s[16:17], s2, v37
	v_cmp_eq_u32_e64 s[24:25], 0, v3
	s_and_b64 s[22:23], s[14:15], s[22:23]
	v_and_b32_e32 v39, s1, v5
	v_bfe_u32 v5, v5, s77, 2
	v_cmp_eq_u32_e64 s[18:19], s2, v38
	v_cmp_eq_u32_e64 s[26:27], 0, v4
	;; [unrolled: 1-line block ×5, first 2 shown]
	v_cndmask_b32_e64 v2, 0, 1, s[22:23]
	s_and_b64 s[22:23], s[16:17], s[24:25]
	v_cmp_eq_u32_e64 s[20:21], s2, v39
	v_cmp_eq_u32_e64 s[28:29], 0, v5
	;; [unrolled: 1-line block ×5, first 2 shown]
	v_cndmask_b32_e64 v3, 0, 1, s[22:23]
	s_and_b64 s[22:23], s[18:19], s[26:27]
	v_cmp_eq_u32_e64 s[36:37], 1, v4
	v_cmp_eq_u32_e64 s[44:45], 2, v4
	v_cmp_eq_u32_e64 s[52:53], 3, v4
	v_cndmask_b32_e64 v4, 0, 1, s[22:23]
	s_and_b64 s[22:23], s[20:21], s[28:29]
	v_cmp_eq_u32_e64 s[38:39], 1, v5
	v_cmp_eq_u32_e64 s[46:47], 2, v5
	;; [unrolled: 1-line block ×3, first 2 shown]
	v_cndmask_b32_e64 v5, 0, 1, s[22:23]
	s_and_b64 s[22:23], s[14:15], s[30:31]
	v_cndmask_b32_e64 v36, 0, 1, s[22:23]
	s_and_b64 s[22:23], s[16:17], s[34:35]
	;; [unrolled: 2-line block ×5, first 2 shown]
	s_and_b64 s[14:15], s[14:15], s[48:49]
	v_cndmask_b32_e64 v40, 0, 1, s[22:23]
	s_and_b64 s[22:23], s[16:17], s[42:43]
	v_cndmask_b32_e64 v44, 0, 1, s[14:15]
	;; [unrolled: 2-line block ×7, first 2 shown]
	v_cndmask_b32_e64 v47, 0, 1, s[14:15]
	v_cmp_ne_u32_e64 s[14:15], 0, v2
	v_cmp_ne_u32_e64 s[16:17], 0, v3
	;; [unrolled: 1-line block ×11, first 2 shown]
	s_bcnt1_i32_b64 s14, s[14:15]
	s_bcnt1_i32_b64 s15, s[16:17]
	s_bcnt1_i32_b64 s16, s[18:19]
	s_bcnt1_i32_b64 s17, s[20:21]
	s_bcnt1_i32_b64 s18, s[22:23]
	s_bcnt1_i32_b64 s20, s[26:27]
	s_bcnt1_i32_b64 s22, s[30:31]
	s_bcnt1_i32_b64 s26, s[40:41]
	v_cmp_ne_u32_e64 s[28:29], 0, v39
	v_cmp_ne_u32_e64 s[36:37], 0, v42
	;; [unrolled: 1-line block ×3, first 2 shown]
	s_bcnt1_i32_b64 s19, s[24:25]
	s_bcnt1_i32_b64 s23, s[34:35]
	;; [unrolled: 1-line block ×3, first 2 shown]
	s_add_i32 s9, s9, s14
	s_add_i32 s8, s8, s18
	;; [unrolled: 1-line block ×4, first 2 shown]
	v_cmp_ne_u32_e64 s[38:39], 0, v43
	v_cmp_ne_u32_e64 s[46:47], 0, v47
	s_bcnt1_i32_b64 s21, s[28:29]
	s_bcnt1_i32_b64 s24, s[36:37]
	;; [unrolled: 1-line block ×3, first 2 shown]
	s_add_i32 s9, s9, s15
	s_add_i32 s8, s8, s19
	;; [unrolled: 1-line block ×4, first 2 shown]
	s_bcnt1_i32_b64 s25, s[38:39]
	s_bcnt1_i32_b64 s29, s[46:47]
	s_add_i32 s9, s9, s16
	s_add_i32 s8, s8, s20
	;; [unrolled: 1-line block ×8, first 2 shown]
	s_or_b64 s[80:81], vcc, s[80:81]
	v_mov_b32_e32 v2, s9
	v_mov_b32_e32 v3, s8
	;; [unrolled: 1-line block ×4, first 2 shown]
	s_andn2_b64 exec, exec, s[80:81]
	s_cbranch_execnz .LBB129_68
; %bb.69:                               ;   in Loop: Header=BB129_21 Depth=1
	s_or_b64 exec, exec, s[80:81]
.LBB129_70:                             ;   in Loop: Header=BB129_21 Depth=1
	s_or_b64 exec, exec, s[66:67]
	v_add_u32_e32 v8, s84, v0
	v_cmp_gt_u32_e32 vcc, s69, v8
	s_and_saveexec_b64 s[24:25], vcc
	s_cbranch_execz .LBB129_74
; %bb.71:                               ;   in Loop: Header=BB129_21 Depth=1
	s_and_b32 s8, s73, 0xfe
	v_lshlrev_b32_e32 v35, 1, v8
	s_mov_b64 s[26:27], 0
.LBB129_72:                             ;   Parent Loop BB129_21 Depth=1
                                        ; =>  This Inner Loop Header: Depth=2
	ds_read_u16 v36, v35
	v_add_u32_e32 v8, s59, v8
	v_cmp_le_u32_e32 vcc, s69, v8
	v_add_u32_e32 v35, s13, v35
	s_waitcnt lgkmcnt(0)
	v_cmp_lt_i16_e64 s[14:15], -1, v36
	v_cndmask_b32_e64 v37, v29, v30, s[14:15]
	v_xor_b32_sdwa v37, v37, v36 dst_sel:DWORD dst_unused:UNUSED_PAD src0_sel:DWORD src1_sel:WORD_0
	v_cmp_o_f16_e64 s[14:15], v36, v36
	v_cndmask_b32_e64 v36, v29, v37, s[14:15]
	v_and_b32_e32 v37, s1, v36
	v_bfe_u32 v36, v36, s8, 2
	v_cmp_eq_u32_e64 s[14:15], s2, v37
	v_cmp_eq_u32_e64 s[16:17], 0, v36
	v_cmp_eq_u32_e64 s[18:19], 1, v36
	s_and_b64 s[16:17], s[14:15], s[16:17]
	v_cmp_eq_u32_e64 s[20:21], 2, v36
	v_cmp_eq_u32_e64 s[22:23], 3, v36
	v_cndmask_b32_e64 v36, 0, 1, s[16:17]
	s_and_b64 s[16:17], s[14:15], s[18:19]
	v_cndmask_b32_e64 v37, 0, 1, s[16:17]
	s_and_b64 s[16:17], s[14:15], s[20:21]
	s_and_b64 s[14:15], s[14:15], s[22:23]
	v_cndmask_b32_e64 v38, 0, 1, s[16:17]
	v_cndmask_b32_e64 v39, 0, 1, s[14:15]
	v_cmp_ne_u32_e64 s[14:15], 0, v36
	v_cmp_ne_u32_e64 s[16:17], 0, v37
	;; [unrolled: 1-line block ×4, first 2 shown]
	s_bcnt1_i32_b64 s9, s[14:15]
	s_bcnt1_i32_b64 s14, s[16:17]
	;; [unrolled: 1-line block ×4, first 2 shown]
	v_add_u32_e32 v2, s9, v2
	v_add_u32_e32 v3, s14, v3
	;; [unrolled: 1-line block ×3, first 2 shown]
	s_or_b64 s[26:27], vcc, s[26:27]
	v_add_u32_e32 v5, s16, v5
	s_andn2_b64 exec, exec, s[26:27]
	s_cbranch_execnz .LBB129_72
; %bb.73:                               ;   in Loop: Header=BB129_21 Depth=1
	s_or_b64 exec, exec, s[26:27]
	s_or_b64 s[64:65], s[64:65], exec
.LBB129_74:                             ;   in Loop: Header=BB129_21 Depth=1
	s_or_b64 exec, exec, s[24:25]
.LBB129_75:                             ;   in Loop: Header=BB129_21 Depth=1
	s_and_saveexec_b64 s[14:15], s[64:65]
	s_or_b64 exec, exec, s[14:15]
	s_lshl_b32 s8, s0, 6
	s_and_saveexec_b64 s[14:15], s[4:5]
	s_cbranch_execz .LBB129_77
; %bb.76:                               ;   in Loop: Header=BB129_21 Depth=1
	v_or_b32_e32 v8, s8, v19
	v_lshlrev_b32_e32 v8, 2, v8
	s_waitcnt vmcnt(0)
	ds_write_b128 v8, v[2:5] offset:3072
.LBB129_77:                             ;   in Loop: Header=BB129_21 Depth=1
	s_or_b64 exec, exec, s[14:15]
	s_waitcnt lgkmcnt(0)
	s_barrier
	s_and_saveexec_b64 s[14:15], s[70:71]
	s_cbranch_execz .LBB129_91
; %bb.78:                               ;   in Loop: Header=BB129_21 Depth=1
	v_readlane_b32 s16, v52, 20
	v_readlane_b32 s17, v52, 21
	v_add_u32_e32 v4, s8, v13
	s_andn2_b64 vcc, exec, s[16:17]
	s_waitcnt vmcnt(0)
	v_mov_b32_e32 v2, 0
	s_cbranch_vccnz .LBB129_90
; %bb.79:                               ;   in Loop: Header=BB129_21 Depth=1
	v_readlane_b32 s16, v52, 24
	v_readlane_b32 s17, v52, 25
	s_mov_b32 s9, 0
	s_and_b64 vcc, exec, s[16:17]
	v_mov_b32_e32 v2, 0
	s_cbranch_vccz .LBB129_83
; %bb.80:                               ;   in Loop: Header=BB129_21 Depth=1
	v_readlane_b32 s16, v52, 26
	v_readlane_b32 s17, v52, 27
	v_lshl_add_u32 v5, v4, 2, v32
	s_andn2_b64 vcc, exec, s[16:17]
	s_cbranch_vccnz .LBB129_84
; %bb.81:                               ;   in Loop: Header=BB129_21 Depth=1
	s_mov_b32 s17, 1
	s_mov_b32 s16, 0
	v_mov_b32_e32 v2, 0
	v_readlane_b32 s9, v52, 28
	v_mov_b32_e32 v3, 0
.LBB129_82:                             ;   Parent Loop BB129_21 Depth=1
                                        ; =>  This Inner Loop Header: Depth=2
	v_lshl_add_u32 v8, s16, 4, v5
	v_lshl_add_u32 v35, s17, 4, v5
	ds_read2_b32 v[36:37], v8 offset1:8
	ds_read2_b32 v[38:39], v35 offset1:8
	ds_read2_b32 v[40:41], v8 offset0:16 offset1:24
	ds_read2_b32 v[42:43], v35 offset0:16 offset1:24
	;; [unrolled: 1-line block ×6, first 2 shown]
	s_waitcnt lgkmcnt(7)
	v_add3_u32 v2, v36, v2, v37
	s_waitcnt lgkmcnt(6)
	v_add3_u32 v3, v38, v3, v39
	;; [unrolled: 2-line block ×3, first 2 shown]
	v_add3_u32 v2, v40, v2, v41
	s_add_i32 s17, s17, 16
	s_add_i32 s16, s16, 16
	s_add_i32 s9, s9, -8
	s_waitcnt lgkmcnt(3)
	v_add3_u32 v2, v44, v2, v45
	s_waitcnt lgkmcnt(2)
	v_add3_u32 v3, v46, v3, v47
	s_cmp_lg_u32 s9, 0
	s_waitcnt lgkmcnt(0)
	v_add3_u32 v3, v50, v3, v51
	v_add3_u32 v2, v48, v2, v49
	s_cbranch_scc1 .LBB129_82
	s_branch .LBB129_85
.LBB129_83:                             ;   in Loop: Header=BB129_21 Depth=1
	s_cbranch_execnz .LBB129_88
	s_branch .LBB129_90
.LBB129_84:                             ;   in Loop: Header=BB129_21 Depth=1
	s_mov_b32 s69, s68
	v_pk_mov_b32 v[2:3], s[68:69], s[68:69] op_sel:[0,1]
	s_mov_b32 s69, 1
	s_mov_b64 s[16:17], s[68:69]
.LBB129_85:                             ;   in Loop: Header=BB129_21 Depth=1
	v_readlane_b32 s18, v52, 30
	v_readlane_b32 s19, v52, 31
	s_andn2_b64 vcc, exec, s[18:19]
	v_readlane_b32 s9, v52, 29
	s_cbranch_vccnz .LBB129_87
.LBB129_86:                             ;   Parent Loop BB129_21 Depth=1
                                        ; =>  This Inner Loop Header: Depth=2
	v_lshl_add_u32 v8, s16, 4, v5
	v_lshl_add_u32 v35, s17, 4, v5
	ds_read_b32 v35, v35
	ds_read_b32 v8, v8
	s_add_i32 s17, s17, 2
	s_add_i32 s16, s16, 2
	s_add_i32 s9, s9, -1
	s_cmp_lg_u32 s9, 0
	s_waitcnt lgkmcnt(1)
	v_add_u32_e32 v3, v35, v3
	s_waitcnt lgkmcnt(0)
	v_add_u32_e32 v2, v8, v2
	s_cbranch_scc1 .LBB129_86
.LBB129_87:                             ;   in Loop: Header=BB129_21 Depth=1
	v_readlane_b32 s16, v52, 34
	v_add_u32_e32 v2, v2, v3
	v_readlane_b32 s9, v52, 33
	v_readlane_b32 s17, v52, 35
	s_and_b64 vcc, exec, s[16:17]
	s_cbranch_vccz .LBB129_90
.LBB129_88:                             ;   in Loop: Header=BB129_21 Depth=1
	s_lshl_b32 s16, s0, 8
	s_lshl_b32 s17, s9, 4
	s_add_i32 s16, s16, s17
	v_add_u32_e32 v3, s16, v28
	v_readlane_b32 s16, v52, 32
	s_sub_i32 s9, s16, s9
.LBB129_89:                             ;   Parent Loop BB129_21 Depth=1
                                        ; =>  This Inner Loop Header: Depth=2
	ds_read_b32 v5, v3
	s_add_i32 s9, s9, -1
	v_add_u32_e32 v3, 16, v3
	s_cmp_eq_u32 s9, 0
	s_waitcnt lgkmcnt(0)
	v_add_u32_e32 v2, v5, v2
	s_cbranch_scc0 .LBB129_89
.LBB129_90:                             ;   in Loop: Header=BB129_21 Depth=1
	v_lshlrev_b32_e32 v3, 2, v4
	ds_write_b32 v3, v2 offset:3072
.LBB129_91:                             ;   in Loop: Header=BB129_21 Depth=1
	s_or_b64 exec, exec, s[14:15]
	s_lshl_b32 s8, s8, 2
	s_waitcnt vmcnt(0)
	v_mov_b32_e32 v2, s8
	s_waitcnt lgkmcnt(0)
	s_barrier
	ds_read_b128 v[2:5], v2 offset:3072
	s_and_b32 s43, s73, 0xfe
	s_lshl_b32 s51, 3, s43
	s_not_b32 s44, s51
	s_mov_b64 s[18:19], -1
	s_waitcnt lgkmcnt(0)
	v_readfirstlane_b32 s28, v2
	s_cmp_eq_u32 s28, 1
	s_cselect_b64 s[8:9], -1, 0
	s_cmp_eq_u32 s3, 1
	s_cselect_b64 s[14:15], -1, 0
	s_and_b64 s[20:21], s[8:9], s[14:15]
	v_readfirstlane_b32 s34, v3
	v_readfirstlane_b32 s42, v4
	;; [unrolled: 1-line block ×3, first 2 shown]
	s_and_b64 vcc, exec, s[20:21]
	s_cbranch_vccz .LBB129_103
; %bb.92:                               ;   in Loop: Header=BB129_21 Depth=1
	ds_read_b32 v2, v9 offset:4104
	s_waitcnt lgkmcnt(0)
	s_barrier
	v_readfirstlane_b32 s8, v2
	s_and_saveexec_b64 s[14:15], s[6:7]
	s_cbranch_execz .LBB129_94
; %bb.93:                               ;   in Loop: Header=BB129_21 Depth=1
	ds_write_b16 v18, v9
.LBB129_94:                             ;   in Loop: Header=BB129_21 Depth=1
	s_or_b64 exec, exec, s[14:15]
	s_and_b32 s2, s2, s44
	s_or_b32 s1, s1, s51
	s_cmp_eq_u32 s8, 0
	s_waitcnt lgkmcnt(0)
	s_barrier
	s_cbranch_scc1 .LBB129_104
; %bb.95:                               ;   in Loop: Header=BB129_21 Depth=1
	v_readlane_b32 s9, v52, 17
	s_add_i32 s9, s8, s9
	v_readlane_b32 s14, v52, 38
	s_mul_hi_u32 s14, s9, s14
	s_mul_i32 s14, s14, s59
	s_sub_i32 s14, s9, s14
	s_sub_i32 s15, s14, s59
	s_cmp_ge_u32 s14, s59
	s_cselect_b32 s14, s15, s14
	s_sub_i32 s15, s14, s59
	s_cmp_ge_u32 s14, s59
	s_cselect_b32 s14, s15, s14
	s_sub_i32 s9, s9, s14
	v_cmp_gt_u32_e32 vcc, s9, v0
	s_mov_b64 s[14:15], 0
                                        ; implicit-def: $vgpr34
	s_and_saveexec_b64 s[16:17], vcc
	s_cbranch_execz .LBB129_106
; %bb.96:                               ;   in Loop: Header=BB129_21 Depth=1
	s_mov_b64 s[22:23], 0
	v_mov_b32_e32 v2, v17
	v_mov_b32_e32 v3, v0
                                        ; implicit-def: $sgpr24_sgpr25
	s_branch .LBB129_98
.LBB129_97:                             ;   in Loop: Header=BB129_98 Depth=2
	s_or_b64 exec, exec, s[14:15]
	s_waitcnt lgkmcnt(0)
	s_barrier
	ds_read_b32 v4, v9 offset:3072
	v_add_u32_e32 v3, s59, v3
	v_cmp_le_u32_e64 s[14:15], s9, v3
	v_add_u32_e32 v2, s13, v2
	s_waitcnt lgkmcnt(0)
	v_cmp_neq_f16_e32 vcc, 0, v4
	s_or_b64 s[14:15], s[14:15], vcc
	s_and_b64 s[14:15], exec, s[14:15]
	s_or_b64 s[22:23], s[14:15], s[22:23]
	s_andn2_b64 s[14:15], s[24:25], exec
	s_and_b64 s[24:25], vcc, exec
	s_or_b64 s[24:25], s[14:15], s[24:25]
	s_barrier
	s_andn2_b64 exec, exec, s[22:23]
	s_cbranch_execz .LBB129_105
.LBB129_98:                             ;   Parent Loop BB129_21 Depth=1
                                        ; =>  This Inner Loop Header: Depth=2
	v_cmp_gt_u32_e32 vcc, s8, v3
	v_mov_b32_e32 v4, 0
	s_and_saveexec_b64 s[14:15], vcc
	s_cbranch_execz .LBB129_100
; %bb.99:                               ;   in Loop: Header=BB129_98 Depth=2
	ds_read_u16 v4, v2
.LBB129_100:                            ;   in Loop: Header=BB129_98 Depth=2
	s_or_b64 exec, exec, s[14:15]
	s_and_saveexec_b64 s[14:15], vcc
	s_cbranch_execz .LBB129_97
; %bb.101:                              ;   in Loop: Header=BB129_98 Depth=2
	s_waitcnt lgkmcnt(0)
	v_cmp_lt_i16_e32 vcc, -1, v4
	v_cndmask_b32_e32 v5, v29, v30, vcc
	v_xor_b32_sdwa v5, v5, v4 dst_sel:DWORD dst_unused:UNUSED_PAD src0_sel:DWORD src1_sel:WORD_0
	v_cmp_o_f16_e32 vcc, v4, v4
	v_cndmask_b32_e32 v5, v29, v5, vcc
	v_and_b32_e32 v5, s1, v5
	v_cmp_eq_u32_e32 vcc, s2, v5
	s_and_b64 exec, exec, vcc
	s_cbranch_execz .LBB129_97
; %bb.102:                              ;   in Loop: Header=BB129_98 Depth=2
	v_perm_b32 v4, v4, s72, v33
	ds_write_b32 v9, v4 offset:3072
	s_branch .LBB129_97
.LBB129_103:                            ;   in Loop: Header=BB129_21 Depth=1
	s_mov_b64 s[14:15], -1
                                        ; implicit-def: $sgpr16_sgpr17
                                        ; implicit-def: $sgpr24_sgpr25
                                        ; implicit-def: $sgpr22_sgpr23
	s_branch .LBB129_117
.LBB129_104:                            ;   in Loop: Header=BB129_21 Depth=1
	s_mov_b64 s[16:17], -1
	s_mov_b64 s[14:15], 0
                                        ; implicit-def: $sgpr22_sgpr23
                                        ; implicit-def: $vgpr34
	s_mov_b64 s[24:25], s[16:17]
	s_cbranch_execnz .LBB129_107
	s_branch .LBB129_117
.LBB129_105:                            ;   in Loop: Header=BB129_21 Depth=1
	s_or_b64 exec, exec, s[22:23]
	v_lshrrev_b32_e32 v34, 16, v4
	s_and_b64 s[14:15], s[24:25], exec
.LBB129_106:                            ;   in Loop: Header=BB129_21 Depth=1
	s_or_b64 exec, exec, s[16:17]
	s_mov_b64 s[22:23], -1
	s_mov_b64 s[16:17], 0
	s_mov_b64 s[24:25], s[16:17]
	s_branch .LBB129_117
.LBB129_107:                            ;   in Loop: Header=BB129_21 Depth=1
	s_mov_b64 s[14:15], 0
                                        ; implicit-def: $vgpr34
	s_mov_b64 s[16:17], exec
	v_readlane_b32 s8, v52, 39
	v_readlane_b32 s9, v52, 40
	s_and_b64 s[8:9], s[16:17], s[8:9]
	s_mov_b64 exec, s[8:9]
	s_cbranch_execz .LBB129_116
; %bb.108:                              ;   in Loop: Header=BB129_21 Depth=1
	s_mov_b64 s[22:23], 0
	v_mov_b32_e32 v8, v6
	v_mov_b32_e32 v2, v0
                                        ; implicit-def: $sgpr24_sgpr25
	s_branch .LBB129_110
.LBB129_109:                            ;   in Loop: Header=BB129_110 Depth=2
	s_or_b64 exec, exec, s[14:15]
	s_waitcnt lgkmcnt(0)
	s_barrier
	s_waitcnt vmcnt(0)
	ds_read_b32 v3, v9 offset:3072
	v_add_u32_e32 v2, s59, v2
	v_cmp_le_u32_e64 s[14:15], s78, v2
	v_add_u32_e32 v8, s83, v8
	s_waitcnt lgkmcnt(0)
	v_cmp_neq_f16_e32 vcc, 0, v3
	s_or_b64 s[8:9], s[14:15], vcc
	s_and_b64 s[8:9], exec, s[8:9]
	s_or_b64 s[22:23], s[8:9], s[22:23]
	s_andn2_b64 s[8:9], s[24:25], exec
	s_and_b64 s[14:15], vcc, exec
	s_or_b64 s[24:25], s[8:9], s[14:15]
	s_barrier
	s_andn2_b64 exec, exec, s[22:23]
	s_cbranch_execz .LBB129_115
.LBB129_110:                            ;   Parent Loop BB129_21 Depth=1
                                        ; =>  This Inner Loop Header: Depth=2
	v_cmp_gt_u32_e32 vcc, s56, v2
	v_mov_b32_e32 v3, 0
	s_and_saveexec_b64 s[26:27], vcc
	s_cbranch_execz .LBB129_112
; %bb.111:                              ;   in Loop: Header=BB129_110 Depth=2
	v_lshlrev_b64 v[4:5], 1, v[8:9]
	v_mov_b32_e32 v3, s82
	v_add_co_u32_e64 v4, s[14:15], s57, v4
	v_addc_co_u32_e64 v5, s[14:15], v3, v5, s[14:15]
	global_load_ushort v3, v[4:5], off
.LBB129_112:                            ;   in Loop: Header=BB129_110 Depth=2
	s_or_b64 exec, exec, s[26:27]
	s_and_saveexec_b64 s[14:15], vcc
	s_cbranch_execz .LBB129_109
; %bb.113:                              ;   in Loop: Header=BB129_110 Depth=2
	s_waitcnt vmcnt(0)
	v_cmp_lt_i16_e32 vcc, -1, v3
	v_cndmask_b32_e32 v4, v29, v30, vcc
	v_xor_b32_sdwa v4, v4, v3 dst_sel:DWORD dst_unused:UNUSED_PAD src0_sel:DWORD src1_sel:WORD_0
	v_cmp_o_f16_e32 vcc, v3, v3
	v_cndmask_b32_e32 v4, v29, v4, vcc
	v_and_b32_e32 v4, s1, v4
	v_cmp_eq_u32_e32 vcc, s2, v4
	s_and_b64 exec, exec, vcc
	s_cbranch_execz .LBB129_109
; %bb.114:                              ;   in Loop: Header=BB129_110 Depth=2
	v_perm_b32 v3, v3, s72, v33
	ds_write_b32 v9, v3 offset:3072
	s_branch .LBB129_109
.LBB129_115:                            ;   in Loop: Header=BB129_21 Depth=1
	s_or_b64 exec, exec, s[22:23]
	v_lshrrev_b32_e32 v34, 16, v3
	s_and_b64 s[14:15], s[24:25], exec
.LBB129_116:                            ;   in Loop: Header=BB129_21 Depth=1
	s_or_b64 exec, exec, s[16:17]
	s_mov_b64 s[24:25], -1
	s_mov_b64 s[16:17], 0
	s_mov_b64 s[22:23], 0
.LBB129_117:                            ;   in Loop: Header=BB129_21 Depth=1
	s_andn2_b64 s[8:9], s[62:63], exec
	s_and_b64 s[16:17], s[16:17], exec
	s_or_b64 s[62:63], s[8:9], s[16:17]
	s_andn2_b64 s[8:9], s[60:61], exec
	s_and_b64 s[16:17], s[24:25], exec
	s_or_b64 s[60:61], s[8:9], s[16:17]
	;; [unrolled: 3-line block ×3, first 2 shown]
	s_and_saveexec_b64 s[16:17], s[14:15]
	s_cbranch_execz .LBB129_20
; %bb.118:                              ;   in Loop: Header=BB129_21 Depth=1
	s_xor_b64 s[8:9], s[20:21], -1
	s_mov_b64 s[14:15], 0
	s_andn2_b64 vcc, exec, s[8:9]
	s_mov_b32 s35, 1
	s_cbranch_vccnz .LBB129_129
; %bb.119:                              ;   in Loop: Header=BB129_21 Depth=1
	s_cmp_gt_u32 s3, s28
	s_mov_b64 s[14:15], -1
                                        ; implicit-def: $sgpr52
                                        ; implicit-def: $sgpr8
                                        ; implicit-def: $sgpr9
	s_cbranch_scc1 .LBB129_125
; %bb.120:                              ;   in Loop: Header=BB129_21 Depth=1
	ds_read_b32 v2, v9 offset:4104
	s_waitcnt lgkmcnt(0)
	v_cmp_ne_u32_e32 vcc, 0, v2
	s_cbranch_vccnz .LBB129_124
; %bb.121:                              ;   in Loop: Header=BB129_21 Depth=1
	s_mov_b64 s[14:15], exec
	v_readlane_b32 s8, v52, 15
	v_readlane_b32 s9, v52, 16
	s_and_b64 s[8:9], s[14:15], s[8:9]
	s_mov_b64 exec, s[8:9]
	s_cbranch_execz .LBB129_123
; %bb.122:                              ;   in Loop: Header=BB129_21 Depth=1
	v_mov_b32_e32 v2, s28
	ds_write_b32 v9, v2 offset:4108
.LBB129_123:                            ;   in Loop: Header=BB129_21 Depth=1
	s_or_b64 exec, exec, s[14:15]
	s_waitcnt lgkmcnt(0)
	s_barrier
.LBB129_124:                            ;   in Loop: Header=BB129_21 Depth=1
	s_and_b32 s8, s2, s44
	s_or_b32 s9, s1, s51
	s_mov_b64 s[14:15], 0
	s_mov_b32 s52, 8
.LBB129_125:                            ;   in Loop: Header=BB129_21 Depth=1
	s_andn2_b64 vcc, exec, s[14:15]
	s_cbranch_vccnz .LBB129_127
; %bb.126:                              ;   in Loop: Header=BB129_21 Depth=1
	s_sub_i32 s3, s3, s28
	s_mov_b64 s[14:15], -1
	s_mov_b32 s52, 0
	s_mov_b32 s8, s2
	;; [unrolled: 1-line block ×3, first 2 shown]
.LBB129_127:                            ;   in Loop: Header=BB129_21 Depth=1
	s_mov_b32 s1, s9
	s_mov_b32 s2, s8
	;; [unrolled: 1-line block ×3, first 2 shown]
	s_mov_b64 s[18:19], -1
	s_and_b64 vcc, exec, s[14:15]
	s_cbranch_vccnz .LBB129_130
.LBB129_128:                            ;   in Loop: Header=BB129_21 Depth=1
	s_mov_b64 s[30:31], -1
                                        ; implicit-def: $sgpr20_sgpr21
                                        ; implicit-def: $sgpr24_sgpr25
                                        ; implicit-def: $sgpr22_sgpr23
                                        ; implicit-def: $sgpr3
	s_and_saveexec_b64 s[8:9], s[30:31]
	s_xor_b64 s[14:15], exec, s[8:9]
	s_cbranch_execz .LBB129_19
	s_branch .LBB129_253
.LBB129_129:                            ;   in Loop: Header=BB129_21 Depth=1
	s_mov_b32 s52, 1
	s_mov_b64 s[18:19], -1
	s_and_b64 vcc, exec, s[14:15]
	s_cbranch_vccz .LBB129_128
.LBB129_130:                            ;   in Loop: Header=BB129_21 Depth=1
	s_cmp_eq_u32 s34, 1
	s_cselect_b64 s[8:9], -1, 0
	s_cmp_eq_u32 s35, 1
	s_cselect_b64 s[14:15], -1, 0
	s_and_b64 s[28:29], s[8:9], s[14:15]
	s_mov_b64 s[14:15], -1
	s_and_b64 vcc, exec, s[28:29]
	s_cbranch_vccz .LBB129_142
; %bb.131:                              ;   in Loop: Header=BB129_21 Depth=1
	ds_read_b32 v2, v9 offset:4104
	s_waitcnt lgkmcnt(0)
	s_barrier
	v_readfirstlane_b32 s3, v2
	s_and_saveexec_b64 s[14:15], s[6:7]
	s_cbranch_execz .LBB129_133
; %bb.132:                              ;   in Loop: Header=BB129_21 Depth=1
	ds_write_b16 v18, v9
.LBB129_133:                            ;   in Loop: Header=BB129_21 Depth=1
	s_or_b64 exec, exec, s[14:15]
	s_lshl_b32 s8, 1, s43
	s_and_b32 s2, s2, s44
	s_or_b32 s2, s2, s8
	s_or_b32 s1, s1, s51
	s_cmp_eq_u32 s3, 0
	s_waitcnt lgkmcnt(0)
	s_barrier
	s_cbranch_scc1 .LBB129_143
; %bb.134:                              ;   in Loop: Header=BB129_21 Depth=1
	v_readlane_b32 s8, v52, 17
	s_add_i32 s8, s3, s8
	v_readlane_b32 s9, v52, 38
	s_mul_hi_u32 s9, s8, s9
	s_mul_i32 s9, s9, s59
	s_sub_i32 s9, s8, s9
	s_sub_i32 s14, s9, s59
	s_cmp_ge_u32 s9, s59
	s_cselect_b32 s9, s14, s9
	s_sub_i32 s14, s9, s59
	s_cmp_ge_u32 s9, s59
	s_cselect_b32 s9, s14, s9
	s_sub_i32 s8, s8, s9
	v_cmp_gt_u32_e32 vcc, s8, v0
	s_mov_b64 s[14:15], 0
                                        ; implicit-def: $vgpr34
	s_and_saveexec_b64 s[20:21], vcc
	s_cbranch_execz .LBB129_145
; %bb.135:                              ;   in Loop: Header=BB129_21 Depth=1
	s_mov_b64 s[22:23], 0
	v_mov_b32_e32 v2, v17
	v_mov_b32_e32 v3, v0
                                        ; implicit-def: $sgpr24_sgpr25
	s_branch .LBB129_137
.LBB129_136:                            ;   in Loop: Header=BB129_137 Depth=2
	s_or_b64 exec, exec, s[14:15]
	s_waitcnt lgkmcnt(0)
	s_barrier
	ds_read_b32 v4, v9 offset:3072
	v_add_u32_e32 v3, s59, v3
	v_cmp_le_u32_e64 s[14:15], s8, v3
	v_add_u32_e32 v2, s13, v2
	s_waitcnt lgkmcnt(0)
	v_cmp_neq_f16_e32 vcc, 0, v4
	s_or_b64 s[14:15], s[14:15], vcc
	s_and_b64 s[14:15], exec, s[14:15]
	s_or_b64 s[22:23], s[14:15], s[22:23]
	s_andn2_b64 s[14:15], s[24:25], exec
	s_and_b64 s[24:25], vcc, exec
	s_or_b64 s[24:25], s[14:15], s[24:25]
	s_barrier
	s_andn2_b64 exec, exec, s[22:23]
	s_cbranch_execz .LBB129_144
.LBB129_137:                            ;   Parent Loop BB129_21 Depth=1
                                        ; =>  This Inner Loop Header: Depth=2
	v_cmp_gt_u32_e32 vcc, s3, v3
	v_mov_b32_e32 v4, 0
	s_and_saveexec_b64 s[14:15], vcc
	s_cbranch_execz .LBB129_139
; %bb.138:                              ;   in Loop: Header=BB129_137 Depth=2
	ds_read_u16 v4, v2
.LBB129_139:                            ;   in Loop: Header=BB129_137 Depth=2
	s_or_b64 exec, exec, s[14:15]
	s_and_saveexec_b64 s[14:15], vcc
	s_cbranch_execz .LBB129_136
; %bb.140:                              ;   in Loop: Header=BB129_137 Depth=2
	s_waitcnt lgkmcnt(0)
	v_cmp_lt_i16_e32 vcc, -1, v4
	v_cndmask_b32_e32 v5, v29, v30, vcc
	v_xor_b32_sdwa v5, v5, v4 dst_sel:DWORD dst_unused:UNUSED_PAD src0_sel:DWORD src1_sel:WORD_0
	v_cmp_o_f16_e32 vcc, v4, v4
	v_cndmask_b32_e32 v5, v29, v5, vcc
	v_and_b32_e32 v5, s1, v5
	v_cmp_eq_u32_e32 vcc, s2, v5
	s_and_b64 exec, exec, vcc
	s_cbranch_execz .LBB129_136
; %bb.141:                              ;   in Loop: Header=BB129_137 Depth=2
	v_perm_b32 v4, v4, s72, v33
	ds_write_b32 v9, v4 offset:3072
	s_branch .LBB129_136
.LBB129_142:                            ;   in Loop: Header=BB129_21 Depth=1
                                        ; implicit-def: $sgpr22_sgpr23
                                        ; implicit-def: $sgpr24_sgpr25
                                        ; implicit-def: $sgpr20_sgpr21
	s_branch .LBB129_156
.LBB129_143:                            ;   in Loop: Header=BB129_21 Depth=1
	s_mov_b64 s[22:23], -1
	s_mov_b64 s[14:15], 0
                                        ; implicit-def: $sgpr20_sgpr21
                                        ; implicit-def: $vgpr34
	s_mov_b64 s[24:25], s[22:23]
	s_cbranch_execnz .LBB129_146
	s_branch .LBB129_156
.LBB129_144:                            ;   in Loop: Header=BB129_21 Depth=1
	s_or_b64 exec, exec, s[22:23]
	v_lshrrev_b32_e32 v34, 16, v4
	s_and_b64 s[14:15], s[24:25], exec
.LBB129_145:                            ;   in Loop: Header=BB129_21 Depth=1
	s_or_b64 exec, exec, s[20:21]
	s_mov_b64 s[20:21], -1
	s_mov_b64 s[22:23], 0
	s_mov_b64 s[24:25], s[22:23]
	s_branch .LBB129_156
.LBB129_146:                            ;   in Loop: Header=BB129_21 Depth=1
	s_mov_b64 s[14:15], 0
                                        ; implicit-def: $vgpr34
	s_mov_b64 s[20:21], exec
	v_readlane_b32 s8, v52, 39
	v_readlane_b32 s9, v52, 40
	s_and_b64 s[8:9], s[20:21], s[8:9]
	s_mov_b64 exec, s[8:9]
	s_cbranch_execz .LBB129_155
; %bb.147:                              ;   in Loop: Header=BB129_21 Depth=1
	s_mov_b64 s[22:23], 0
	v_mov_b32_e32 v8, v6
	v_mov_b32_e32 v2, v0
                                        ; implicit-def: $sgpr24_sgpr25
	s_branch .LBB129_149
.LBB129_148:                            ;   in Loop: Header=BB129_149 Depth=2
	s_or_b64 exec, exec, s[14:15]
	s_waitcnt lgkmcnt(0)
	s_barrier
	s_waitcnt vmcnt(0)
	ds_read_b32 v3, v9 offset:3072
	v_add_u32_e32 v2, s59, v2
	v_cmp_le_u32_e64 s[14:15], s78, v2
	v_add_u32_e32 v8, s83, v8
	s_waitcnt lgkmcnt(0)
	v_cmp_neq_f16_e32 vcc, 0, v3
	s_or_b64 s[8:9], s[14:15], vcc
	s_and_b64 s[8:9], exec, s[8:9]
	s_or_b64 s[22:23], s[8:9], s[22:23]
	s_andn2_b64 s[8:9], s[24:25], exec
	s_and_b64 s[14:15], vcc, exec
	s_or_b64 s[24:25], s[8:9], s[14:15]
	s_barrier
	s_andn2_b64 exec, exec, s[22:23]
	s_cbranch_execz .LBB129_154
.LBB129_149:                            ;   Parent Loop BB129_21 Depth=1
                                        ; =>  This Inner Loop Header: Depth=2
	v_cmp_gt_u32_e32 vcc, s56, v2
	v_mov_b32_e32 v3, 0
	s_and_saveexec_b64 s[26:27], vcc
	s_cbranch_execz .LBB129_151
; %bb.150:                              ;   in Loop: Header=BB129_149 Depth=2
	v_lshlrev_b64 v[4:5], 1, v[8:9]
	v_mov_b32_e32 v3, s82
	v_add_co_u32_e64 v4, s[14:15], s57, v4
	v_addc_co_u32_e64 v5, s[14:15], v3, v5, s[14:15]
	global_load_ushort v3, v[4:5], off
.LBB129_151:                            ;   in Loop: Header=BB129_149 Depth=2
	s_or_b64 exec, exec, s[26:27]
	s_and_saveexec_b64 s[14:15], vcc
	s_cbranch_execz .LBB129_148
; %bb.152:                              ;   in Loop: Header=BB129_149 Depth=2
	s_waitcnt vmcnt(0)
	v_cmp_lt_i16_e32 vcc, -1, v3
	v_cndmask_b32_e32 v4, v29, v30, vcc
	v_xor_b32_sdwa v4, v4, v3 dst_sel:DWORD dst_unused:UNUSED_PAD src0_sel:DWORD src1_sel:WORD_0
	v_cmp_o_f16_e32 vcc, v3, v3
	v_cndmask_b32_e32 v4, v29, v4, vcc
	v_and_b32_e32 v4, s1, v4
	v_cmp_eq_u32_e32 vcc, s2, v4
	s_and_b64 exec, exec, vcc
	s_cbranch_execz .LBB129_148
; %bb.153:                              ;   in Loop: Header=BB129_149 Depth=2
	v_perm_b32 v3, v3, s72, v33
	ds_write_b32 v9, v3 offset:3072
	s_branch .LBB129_148
.LBB129_154:                            ;   in Loop: Header=BB129_21 Depth=1
	s_or_b64 exec, exec, s[22:23]
	v_lshrrev_b32_e32 v34, 16, v3
	s_and_b64 s[14:15], s[24:25], exec
.LBB129_155:                            ;   in Loop: Header=BB129_21 Depth=1
	s_or_b64 exec, exec, s[20:21]
	s_mov_b64 s[24:25], -1
	s_mov_b64 s[22:23], 0
	s_mov_b64 s[20:21], 0
.LBB129_156:                            ;   in Loop: Header=BB129_21 Depth=1
	s_mov_b64 s[30:31], 0
                                        ; implicit-def: $sgpr52
	s_and_saveexec_b64 s[26:27], s[14:15]
	s_cbranch_execz .LBB129_252
; %bb.157:                              ;   in Loop: Header=BB129_21 Depth=1
	s_xor_b64 s[8:9], s[28:29], -1
	s_mov_b64 s[14:15], 0
	s_andn2_b64 vcc, exec, s[8:9]
	s_mov_b32 s45, 1
	s_cbranch_vccnz .LBB129_168
; %bb.158:                              ;   in Loop: Header=BB129_21 Depth=1
	s_cmp_gt_u32 s35, s34
	s_mov_b64 s[14:15], -1
                                        ; implicit-def: $sgpr52
                                        ; implicit-def: $sgpr3
                                        ; implicit-def: $sgpr8
	s_cbranch_scc1 .LBB129_164
; %bb.159:                              ;   in Loop: Header=BB129_21 Depth=1
	ds_read_b32 v2, v9 offset:4104
	s_waitcnt lgkmcnt(0)
	v_cmp_ne_u32_e32 vcc, 0, v2
	s_cbranch_vccnz .LBB129_163
; %bb.160:                              ;   in Loop: Header=BB129_21 Depth=1
	s_mov_b64 s[14:15], exec
	v_readlane_b32 s8, v52, 15
	v_readlane_b32 s9, v52, 16
	s_and_b64 s[8:9], s[14:15], s[8:9]
	s_mov_b64 exec, s[8:9]
	s_cbranch_execz .LBB129_162
; %bb.161:                              ;   in Loop: Header=BB129_21 Depth=1
	v_mov_b32_e32 v2, s34
	ds_write_b32 v9, v2 offset:4108
.LBB129_162:                            ;   in Loop: Header=BB129_21 Depth=1
	s_or_b64 exec, exec, s[14:15]
	s_waitcnt lgkmcnt(0)
	s_barrier
.LBB129_163:                            ;   in Loop: Header=BB129_21 Depth=1
	s_lshl_b32 s3, 1, s43
	s_and_b32 s8, s2, s44
	s_or_b32 s3, s8, s3
	s_or_b32 s8, s1, s51
	s_mov_b64 s[14:15], 0
	s_mov_b32 s52, 8
.LBB129_164:                            ;   in Loop: Header=BB129_21 Depth=1
	s_andn2_b64 vcc, exec, s[14:15]
	s_cbranch_vccnz .LBB129_166
; %bb.165:                              ;   in Loop: Header=BB129_21 Depth=1
	s_sub_i32 s35, s35, s34
	s_mov_b64 s[14:15], -1
	s_mov_b32 s52, 0
	s_mov_b32 s3, s2
	;; [unrolled: 1-line block ×3, first 2 shown]
.LBB129_166:                            ;   in Loop: Header=BB129_21 Depth=1
	s_mov_b32 s1, s8
	s_mov_b32 s2, s3
	;; [unrolled: 1-line block ×3, first 2 shown]
	s_andn2_b64 vcc, exec, s[14:15]
	s_mov_b64 s[40:41], -1
	s_cbranch_vccz .LBB129_169
.LBB129_167:                            ;   in Loop: Header=BB129_21 Depth=1
                                        ; implicit-def: $sgpr30_sgpr31
                                        ; implicit-def: $sgpr34_sgpr35
                                        ; implicit-def: $sgpr28_sgpr29
	s_branch .LBB129_251
.LBB129_168:                            ;   in Loop: Header=BB129_21 Depth=1
	s_mov_b32 s52, 1
	s_andn2_b64 vcc, exec, s[14:15]
	s_mov_b64 s[40:41], -1
	s_cbranch_vccnz .LBB129_167
.LBB129_169:                            ;   in Loop: Header=BB129_21 Depth=1
	s_cmp_eq_u32 s42, 1
	s_cselect_b64 s[8:9], -1, 0
	s_cmp_eq_u32 s45, 1
	s_cselect_b64 s[14:15], -1, 0
	s_and_b64 s[38:39], s[8:9], s[14:15]
	s_mov_b64 s[14:15], -1
	s_and_b64 vcc, exec, s[38:39]
	s_cbranch_vccz .LBB129_181
; %bb.170:                              ;   in Loop: Header=BB129_21 Depth=1
	ds_read_b32 v2, v9 offset:4104
	s_waitcnt lgkmcnt(0)
	s_barrier
	v_readfirstlane_b32 s3, v2
	s_and_saveexec_b64 s[14:15], s[6:7]
	s_cbranch_execz .LBB129_172
; %bb.171:                              ;   in Loop: Header=BB129_21 Depth=1
	ds_write_b16 v18, v9
.LBB129_172:                            ;   in Loop: Header=BB129_21 Depth=1
	s_or_b64 exec, exec, s[14:15]
	s_lshl_b32 s8, 2, s43
	s_and_b32 s2, s2, s44
	s_or_b32 s2, s2, s8
	s_or_b32 s1, s1, s51
	s_cmp_eq_u32 s3, 0
	s_waitcnt lgkmcnt(0)
	s_barrier
	s_cbranch_scc1 .LBB129_182
; %bb.173:                              ;   in Loop: Header=BB129_21 Depth=1
	v_readlane_b32 s8, v52, 17
	s_add_i32 s8, s3, s8
	v_readlane_b32 s9, v52, 38
	s_mul_hi_u32 s9, s8, s9
	s_mul_i32 s9, s9, s59
	s_sub_i32 s9, s8, s9
	s_sub_i32 s14, s9, s59
	s_cmp_ge_u32 s9, s59
	s_cselect_b32 s9, s14, s9
	s_sub_i32 s14, s9, s59
	s_cmp_ge_u32 s9, s59
	s_cselect_b32 s9, s14, s9
	s_sub_i32 s8, s8, s9
	v_cmp_gt_u32_e32 vcc, s8, v0
	s_mov_b64 s[14:15], 0
                                        ; implicit-def: $vgpr34
	s_and_saveexec_b64 s[28:29], vcc
	s_cbranch_execz .LBB129_184
; %bb.174:                              ;   in Loop: Header=BB129_21 Depth=1
	v_mov_b32_e32 v2, v17
	v_mov_b32_e32 v3, v0
                                        ; implicit-def: $sgpr34_sgpr35
	s_branch .LBB129_176
.LBB129_175:                            ;   in Loop: Header=BB129_176 Depth=2
	s_or_b64 exec, exec, s[14:15]
	s_waitcnt lgkmcnt(0)
	s_barrier
	ds_read_b32 v4, v9 offset:3072
	v_add_u32_e32 v3, s59, v3
	v_cmp_le_u32_e64 s[14:15], s8, v3
	v_add_u32_e32 v2, s13, v2
	s_waitcnt lgkmcnt(0)
	v_cmp_neq_f16_e32 vcc, 0, v4
	s_or_b64 s[14:15], s[14:15], vcc
	s_and_b64 s[14:15], exec, s[14:15]
	s_or_b64 s[30:31], s[14:15], s[30:31]
	s_andn2_b64 s[14:15], s[34:35], exec
	s_and_b64 s[34:35], vcc, exec
	s_or_b64 s[34:35], s[14:15], s[34:35]
	s_barrier
	s_andn2_b64 exec, exec, s[30:31]
	s_cbranch_execz .LBB129_183
.LBB129_176:                            ;   Parent Loop BB129_21 Depth=1
                                        ; =>  This Inner Loop Header: Depth=2
	v_cmp_gt_u32_e32 vcc, s3, v3
	v_mov_b32_e32 v4, 0
	s_and_saveexec_b64 s[14:15], vcc
	s_cbranch_execz .LBB129_178
; %bb.177:                              ;   in Loop: Header=BB129_176 Depth=2
	ds_read_u16 v4, v2
.LBB129_178:                            ;   in Loop: Header=BB129_176 Depth=2
	s_or_b64 exec, exec, s[14:15]
	s_and_saveexec_b64 s[14:15], vcc
	s_cbranch_execz .LBB129_175
; %bb.179:                              ;   in Loop: Header=BB129_176 Depth=2
	s_waitcnt lgkmcnt(0)
	v_cmp_lt_i16_e32 vcc, -1, v4
	v_cndmask_b32_e32 v5, v29, v30, vcc
	v_xor_b32_sdwa v5, v5, v4 dst_sel:DWORD dst_unused:UNUSED_PAD src0_sel:DWORD src1_sel:WORD_0
	v_cmp_o_f16_e32 vcc, v4, v4
	v_cndmask_b32_e32 v5, v29, v5, vcc
	v_and_b32_e32 v5, s1, v5
	v_cmp_eq_u32_e32 vcc, s2, v5
	s_and_b64 exec, exec, vcc
	s_cbranch_execz .LBB129_175
; %bb.180:                              ;   in Loop: Header=BB129_176 Depth=2
	v_perm_b32 v4, v4, s72, v33
	ds_write_b32 v9, v4 offset:3072
	s_branch .LBB129_175
.LBB129_181:                            ;   in Loop: Header=BB129_21 Depth=1
                                        ; implicit-def: $sgpr28_sgpr29
                                        ; implicit-def: $sgpr34_sgpr35
                                        ; implicit-def: $sgpr30_sgpr31
	s_branch .LBB129_195
.LBB129_182:                            ;   in Loop: Header=BB129_21 Depth=1
	s_mov_b64 s[28:29], -1
	s_mov_b64 s[14:15], 0
                                        ; implicit-def: $sgpr30_sgpr31
                                        ; implicit-def: $vgpr34
	s_mov_b64 s[34:35], s[28:29]
	s_cbranch_execnz .LBB129_185
	s_branch .LBB129_195
.LBB129_183:                            ;   in Loop: Header=BB129_21 Depth=1
	s_or_b64 exec, exec, s[30:31]
	v_lshrrev_b32_e32 v34, 16, v4
	s_and_b64 s[14:15], s[34:35], exec
.LBB129_184:                            ;   in Loop: Header=BB129_21 Depth=1
	s_or_b64 exec, exec, s[28:29]
	s_mov_b64 s[30:31], -1
	s_mov_b64 s[28:29], 0
	s_mov_b64 s[34:35], s[28:29]
	s_branch .LBB129_195
.LBB129_185:                            ;   in Loop: Header=BB129_21 Depth=1
	s_mov_b64 s[14:15], 0
                                        ; implicit-def: $vgpr34
	s_mov_b64 s[28:29], exec
	v_readlane_b32 s8, v52, 39
	v_readlane_b32 s9, v52, 40
	s_and_b64 s[8:9], s[28:29], s[8:9]
	s_mov_b64 exec, s[8:9]
	s_cbranch_execz .LBB129_194
; %bb.186:                              ;   in Loop: Header=BB129_21 Depth=1
	s_mov_b64 s[30:31], 0
	v_mov_b32_e32 v8, v6
	v_mov_b32_e32 v2, v0
                                        ; implicit-def: $sgpr34_sgpr35
	s_branch .LBB129_188
.LBB129_187:                            ;   in Loop: Header=BB129_188 Depth=2
	s_or_b64 exec, exec, s[14:15]
	s_waitcnt lgkmcnt(0)
	s_barrier
	s_waitcnt vmcnt(0)
	ds_read_b32 v3, v9 offset:3072
	v_add_u32_e32 v2, s59, v2
	v_cmp_le_u32_e64 s[14:15], s78, v2
	v_add_u32_e32 v8, s83, v8
	s_waitcnt lgkmcnt(0)
	v_cmp_neq_f16_e32 vcc, 0, v3
	s_or_b64 s[8:9], s[14:15], vcc
	s_and_b64 s[8:9], exec, s[8:9]
	s_or_b64 s[30:31], s[8:9], s[30:31]
	s_andn2_b64 s[8:9], s[34:35], exec
	s_and_b64 s[14:15], vcc, exec
	s_or_b64 s[34:35], s[8:9], s[14:15]
	s_barrier
	s_andn2_b64 exec, exec, s[30:31]
	s_cbranch_execz .LBB129_193
.LBB129_188:                            ;   Parent Loop BB129_21 Depth=1
                                        ; =>  This Inner Loop Header: Depth=2
	v_cmp_gt_u32_e32 vcc, s56, v2
	v_mov_b32_e32 v3, 0
	s_and_saveexec_b64 s[36:37], vcc
	s_cbranch_execz .LBB129_190
; %bb.189:                              ;   in Loop: Header=BB129_188 Depth=2
	v_lshlrev_b64 v[4:5], 1, v[8:9]
	v_mov_b32_e32 v3, s82
	v_add_co_u32_e64 v4, s[14:15], s57, v4
	v_addc_co_u32_e64 v5, s[14:15], v3, v5, s[14:15]
	global_load_ushort v3, v[4:5], off
.LBB129_190:                            ;   in Loop: Header=BB129_188 Depth=2
	s_or_b64 exec, exec, s[36:37]
	s_and_saveexec_b64 s[14:15], vcc
	s_cbranch_execz .LBB129_187
; %bb.191:                              ;   in Loop: Header=BB129_188 Depth=2
	s_waitcnt vmcnt(0)
	v_cmp_lt_i16_e32 vcc, -1, v3
	v_cndmask_b32_e32 v4, v29, v30, vcc
	v_xor_b32_sdwa v4, v4, v3 dst_sel:DWORD dst_unused:UNUSED_PAD src0_sel:DWORD src1_sel:WORD_0
	v_cmp_o_f16_e32 vcc, v3, v3
	v_cndmask_b32_e32 v4, v29, v4, vcc
	v_and_b32_e32 v4, s1, v4
	v_cmp_eq_u32_e32 vcc, s2, v4
	s_and_b64 exec, exec, vcc
	s_cbranch_execz .LBB129_187
; %bb.192:                              ;   in Loop: Header=BB129_188 Depth=2
	v_perm_b32 v3, v3, s72, v33
	ds_write_b32 v9, v3 offset:3072
	s_branch .LBB129_187
.LBB129_193:                            ;   in Loop: Header=BB129_21 Depth=1
	s_or_b64 exec, exec, s[30:31]
	v_lshrrev_b32_e32 v34, 16, v3
	s_and_b64 s[14:15], s[34:35], exec
.LBB129_194:                            ;   in Loop: Header=BB129_21 Depth=1
	s_or_b64 exec, exec, s[28:29]
	s_mov_b64 s[34:35], -1
	s_mov_b64 s[28:29], 0
	s_mov_b64 s[30:31], 0
.LBB129_195:                            ;   in Loop: Header=BB129_21 Depth=1
	s_mov_b64 s[40:41], 0
                                        ; implicit-def: $sgpr52
	s_and_saveexec_b64 s[36:37], s[14:15]
	s_cbranch_execz .LBB129_250
; %bb.196:                              ;   in Loop: Header=BB129_21 Depth=1
	s_xor_b64 s[8:9], s[38:39], -1
	s_mov_b64 s[14:15], 0
	s_andn2_b64 vcc, exec, s[8:9]
	s_mov_b32 s3, 1
	s_cbranch_vccnz .LBB129_207
; %bb.197:                              ;   in Loop: Header=BB129_21 Depth=1
	s_cmp_gt_u32 s45, s42
	s_mov_b64 s[14:15], -1
                                        ; implicit-def: $sgpr52
                                        ; implicit-def: $sgpr3
                                        ; implicit-def: $sgpr8
	s_cbranch_scc1 .LBB129_203
; %bb.198:                              ;   in Loop: Header=BB129_21 Depth=1
	ds_read_b32 v2, v9 offset:4104
	s_waitcnt lgkmcnt(0)
	v_cmp_ne_u32_e32 vcc, 0, v2
	s_cbranch_vccnz .LBB129_202
; %bb.199:                              ;   in Loop: Header=BB129_21 Depth=1
	s_mov_b64 s[14:15], exec
	v_readlane_b32 s8, v52, 15
	v_readlane_b32 s9, v52, 16
	s_and_b64 s[8:9], s[14:15], s[8:9]
	s_mov_b64 exec, s[8:9]
	s_cbranch_execz .LBB129_201
; %bb.200:                              ;   in Loop: Header=BB129_21 Depth=1
	v_mov_b32_e32 v2, s42
	ds_write_b32 v9, v2 offset:4108
.LBB129_201:                            ;   in Loop: Header=BB129_21 Depth=1
	s_or_b64 exec, exec, s[14:15]
	s_waitcnt lgkmcnt(0)
	s_barrier
.LBB129_202:                            ;   in Loop: Header=BB129_21 Depth=1
	s_lshl_b32 s3, 2, s43
	s_and_b32 s8, s2, s44
	s_or_b32 s3, s8, s3
	s_or_b32 s8, s1, s51
	s_mov_b64 s[14:15], 0
	s_mov_b32 s52, 8
.LBB129_203:                            ;   in Loop: Header=BB129_21 Depth=1
	s_andn2_b64 vcc, exec, s[14:15]
	s_cbranch_vccnz .LBB129_205
; %bb.204:                              ;   in Loop: Header=BB129_21 Depth=1
	s_sub_i32 s45, s45, s42
	s_mov_b64 s[14:15], -1
	s_mov_b32 s52, 0
	s_mov_b32 s3, s2
	;; [unrolled: 1-line block ×3, first 2 shown]
.LBB129_205:                            ;   in Loop: Header=BB129_21 Depth=1
	s_mov_b32 s1, s8
	s_mov_b32 s2, s3
	;; [unrolled: 1-line block ×3, first 2 shown]
	s_andn2_b64 vcc, exec, s[14:15]
	s_mov_b64 s[48:49], -1
	s_cbranch_vccz .LBB129_208
.LBB129_206:                            ;   in Loop: Header=BB129_21 Depth=1
                                        ; implicit-def: $sgpr14_sgpr15
                                        ; implicit-def: $sgpr42_sgpr43
                                        ; implicit-def: $sgpr40_sgpr41
	s_branch .LBB129_249
.LBB129_207:                            ;   in Loop: Header=BB129_21 Depth=1
	s_mov_b32 s52, 1
	s_andn2_b64 vcc, exec, s[14:15]
	s_mov_b64 s[48:49], -1
	s_cbranch_vccnz .LBB129_206
.LBB129_208:                            ;   in Loop: Header=BB129_21 Depth=1
	s_cmp_eq_u32 s50, 1
	s_cselect_b64 s[8:9], -1, 0
	s_cmp_eq_u32 s3, 1
	s_cselect_b64 s[14:15], -1, 0
	s_and_b64 s[38:39], s[8:9], s[14:15]
	s_mov_b64 s[44:45], -1
	s_and_b64 vcc, exec, s[38:39]
	s_cbranch_vccz .LBB129_220
; %bb.209:                              ;   in Loop: Header=BB129_21 Depth=1
	ds_read_b32 v2, v9 offset:4104
	s_waitcnt lgkmcnt(0)
	s_barrier
	v_readfirstlane_b32 s8, v2
	s_and_saveexec_b64 s[14:15], s[6:7]
	s_cbranch_execz .LBB129_211
; %bb.210:                              ;   in Loop: Header=BB129_21 Depth=1
	ds_write_b16 v18, v9
.LBB129_211:                            ;   in Loop: Header=BB129_21 Depth=1
	s_or_b64 exec, exec, s[14:15]
	s_or_b32 s2, s2, s51
	s_or_b32 s1, s1, s51
	s_cmp_eq_u32 s8, 0
	s_waitcnt lgkmcnt(0)
	s_barrier
	s_cbranch_scc1 .LBB129_221
; %bb.212:                              ;   in Loop: Header=BB129_21 Depth=1
	v_readlane_b32 s9, v52, 17
	s_add_i32 s9, s8, s9
	v_readlane_b32 s14, v52, 38
	s_mul_hi_u32 s14, s9, s14
	s_mul_i32 s14, s14, s59
	s_sub_i32 s14, s9, s14
	s_sub_i32 s15, s14, s59
	s_cmp_ge_u32 s14, s59
	s_cselect_b32 s14, s15, s14
	s_sub_i32 s15, s14, s59
	s_cmp_ge_u32 s14, s59
	s_cselect_b32 s14, s15, s14
	s_sub_i32 s9, s9, s14
	v_cmp_gt_u32_e32 vcc, s9, v0
	s_mov_b64 s[44:45], 0
                                        ; implicit-def: $vgpr34
	s_and_saveexec_b64 s[40:41], vcc
	s_cbranch_execz .LBB129_223
; %bb.213:                              ;   in Loop: Header=BB129_21 Depth=1
	s_mov_b64 s[42:43], 0
	v_mov_b32_e32 v2, v17
	v_mov_b32_e32 v3, v0
                                        ; implicit-def: $sgpr44_sgpr45
	s_branch .LBB129_215
.LBB129_214:                            ;   in Loop: Header=BB129_215 Depth=2
	s_or_b64 exec, exec, s[14:15]
	s_waitcnt lgkmcnt(0)
	s_barrier
	ds_read_b32 v4, v9 offset:3072
	v_add_u32_e32 v3, s59, v3
	v_cmp_le_u32_e64 s[14:15], s9, v3
	v_add_u32_e32 v2, s13, v2
	s_waitcnt lgkmcnt(0)
	v_cmp_neq_f16_e32 vcc, 0, v4
	s_or_b64 s[14:15], s[14:15], vcc
	s_and_b64 s[14:15], exec, s[14:15]
	s_or_b64 s[42:43], s[14:15], s[42:43]
	s_andn2_b64 s[14:15], s[44:45], exec
	s_and_b64 s[44:45], vcc, exec
	s_or_b64 s[44:45], s[14:15], s[44:45]
	s_barrier
	s_andn2_b64 exec, exec, s[42:43]
	s_cbranch_execz .LBB129_222
.LBB129_215:                            ;   Parent Loop BB129_21 Depth=1
                                        ; =>  This Inner Loop Header: Depth=2
	v_cmp_gt_u32_e32 vcc, s8, v3
	v_mov_b32_e32 v4, 0
	s_and_saveexec_b64 s[14:15], vcc
	s_cbranch_execz .LBB129_217
; %bb.216:                              ;   in Loop: Header=BB129_215 Depth=2
	ds_read_u16 v4, v2
.LBB129_217:                            ;   in Loop: Header=BB129_215 Depth=2
	s_or_b64 exec, exec, s[14:15]
	s_and_saveexec_b64 s[14:15], vcc
	s_cbranch_execz .LBB129_214
; %bb.218:                              ;   in Loop: Header=BB129_215 Depth=2
	s_waitcnt lgkmcnt(0)
	v_cmp_lt_i16_e32 vcc, -1, v4
	v_cndmask_b32_e32 v5, v29, v30, vcc
	v_xor_b32_sdwa v5, v5, v4 dst_sel:DWORD dst_unused:UNUSED_PAD src0_sel:DWORD src1_sel:WORD_0
	v_cmp_o_f16_e32 vcc, v4, v4
	v_cndmask_b32_e32 v5, v29, v5, vcc
	v_and_b32_e32 v5, s1, v5
	v_cmp_eq_u32_e32 vcc, s2, v5
	s_and_b64 exec, exec, vcc
	s_cbranch_execz .LBB129_214
; %bb.219:                              ;   in Loop: Header=BB129_215 Depth=2
	v_perm_b32 v4, v4, s72, v33
	ds_write_b32 v9, v4 offset:3072
	s_branch .LBB129_214
.LBB129_220:                            ;   in Loop: Header=BB129_21 Depth=1
                                        ; implicit-def: $sgpr14_sgpr15
                                        ; implicit-def: $sgpr42_sgpr43
                                        ; implicit-def: $sgpr40_sgpr41
	s_branch .LBB129_234
.LBB129_221:                            ;   in Loop: Header=BB129_21 Depth=1
	s_mov_b64 s[14:15], -1
	s_mov_b64 s[44:45], 0
                                        ; implicit-def: $sgpr40_sgpr41
                                        ; implicit-def: $vgpr34
	s_mov_b64 s[42:43], s[14:15]
	s_cbranch_execnz .LBB129_224
	s_branch .LBB129_234
.LBB129_222:                            ;   in Loop: Header=BB129_21 Depth=1
	s_or_b64 exec, exec, s[42:43]
	v_lshrrev_b32_e32 v34, 16, v4
	s_and_b64 s[44:45], s[44:45], exec
.LBB129_223:                            ;   in Loop: Header=BB129_21 Depth=1
	s_or_b64 exec, exec, s[40:41]
	s_mov_b64 s[40:41], -1
	s_mov_b64 s[14:15], 0
	s_mov_b64 s[42:43], s[14:15]
	s_branch .LBB129_234
.LBB129_224:                            ;   in Loop: Header=BB129_21 Depth=1
	s_mov_b64 s[44:45], 0
                                        ; implicit-def: $vgpr34
	s_mov_b64 s[40:41], exec
	v_readlane_b32 s8, v52, 39
	v_readlane_b32 s9, v52, 40
	s_and_b64 s[8:9], s[40:41], s[8:9]
	s_mov_b64 exec, s[8:9]
	s_cbranch_execz .LBB129_233
; %bb.225:                              ;   in Loop: Header=BB129_21 Depth=1
	s_mov_b64 s[42:43], 0
	v_mov_b32_e32 v8, v6
	v_mov_b32_e32 v2, v0
                                        ; implicit-def: $sgpr44_sgpr45
	s_branch .LBB129_227
.LBB129_226:                            ;   in Loop: Header=BB129_227 Depth=2
	s_or_b64 exec, exec, s[14:15]
	s_waitcnt lgkmcnt(0)
	s_barrier
	s_waitcnt vmcnt(0)
	ds_read_b32 v3, v9 offset:3072
	v_add_u32_e32 v2, s59, v2
	v_cmp_le_u32_e64 s[14:15], s78, v2
	v_add_u32_e32 v8, s83, v8
	s_waitcnt lgkmcnt(0)
	v_cmp_neq_f16_e32 vcc, 0, v3
	s_or_b64 s[8:9], s[14:15], vcc
	s_and_b64 s[8:9], exec, s[8:9]
	s_or_b64 s[42:43], s[8:9], s[42:43]
	s_andn2_b64 s[8:9], s[44:45], exec
	s_and_b64 s[14:15], vcc, exec
	s_or_b64 s[44:45], s[8:9], s[14:15]
	s_barrier
	s_andn2_b64 exec, exec, s[42:43]
	s_cbranch_execz .LBB129_232
.LBB129_227:                            ;   Parent Loop BB129_21 Depth=1
                                        ; =>  This Inner Loop Header: Depth=2
	v_cmp_gt_u32_e32 vcc, s56, v2
	v_mov_b32_e32 v3, 0
	s_and_saveexec_b64 s[46:47], vcc
	s_cbranch_execz .LBB129_229
; %bb.228:                              ;   in Loop: Header=BB129_227 Depth=2
	v_lshlrev_b64 v[4:5], 1, v[8:9]
	v_mov_b32_e32 v3, s82
	v_add_co_u32_e64 v4, s[14:15], s57, v4
	v_addc_co_u32_e64 v5, s[14:15], v3, v5, s[14:15]
	global_load_ushort v3, v[4:5], off
.LBB129_229:                            ;   in Loop: Header=BB129_227 Depth=2
	s_or_b64 exec, exec, s[46:47]
	s_and_saveexec_b64 s[14:15], vcc
	s_cbranch_execz .LBB129_226
; %bb.230:                              ;   in Loop: Header=BB129_227 Depth=2
	s_waitcnt vmcnt(0)
	v_cmp_lt_i16_e32 vcc, -1, v3
	v_cndmask_b32_e32 v4, v29, v30, vcc
	v_xor_b32_sdwa v4, v4, v3 dst_sel:DWORD dst_unused:UNUSED_PAD src0_sel:DWORD src1_sel:WORD_0
	v_cmp_o_f16_e32 vcc, v3, v3
	v_cndmask_b32_e32 v4, v29, v4, vcc
	v_and_b32_e32 v4, s1, v4
	v_cmp_eq_u32_e32 vcc, s2, v4
	s_and_b64 exec, exec, vcc
	s_cbranch_execz .LBB129_226
; %bb.231:                              ;   in Loop: Header=BB129_227 Depth=2
	v_perm_b32 v3, v3, s72, v33
	ds_write_b32 v9, v3 offset:3072
	s_branch .LBB129_226
.LBB129_232:                            ;   in Loop: Header=BB129_21 Depth=1
	s_or_b64 exec, exec, s[42:43]
	v_lshrrev_b32_e32 v34, 16, v3
	s_and_b64 s[44:45], s[44:45], exec
.LBB129_233:                            ;   in Loop: Header=BB129_21 Depth=1
	s_or_b64 exec, exec, s[40:41]
	s_mov_b64 s[42:43], -1
	s_mov_b64 s[14:15], 0
	s_mov_b64 s[40:41], 0
.LBB129_234:                            ;   in Loop: Header=BB129_21 Depth=1
	s_mov_b64 s[48:49], 0
                                        ; implicit-def: $sgpr52
	s_and_saveexec_b64 s[46:47], s[44:45]
	s_cbranch_execz .LBB129_248
; %bb.235:                              ;   in Loop: Header=BB129_21 Depth=1
	s_xor_b64 s[8:9], s[38:39], -1
	s_andn2_b64 vcc, exec, s[8:9]
	s_mov_b32 s52, 1
	s_cbranch_vccnz .LBB129_242
; %bb.236:                              ;   in Loop: Header=BB129_21 Depth=1
	s_cmp_gt_u32 s3, s50
	s_cbranch_scc1 .LBB129_243
; %bb.237:                              ;   in Loop: Header=BB129_21 Depth=1
	ds_read_b32 v2, v9 offset:4104
	s_waitcnt lgkmcnt(0)
	v_cmp_ne_u32_e32 vcc, 0, v2
	s_cbranch_vccnz .LBB129_241
; %bb.238:                              ;   in Loop: Header=BB129_21 Depth=1
	s_mov_b64 s[38:39], exec
	v_readlane_b32 s8, v52, 15
	v_readlane_b32 s9, v52, 16
	s_and_b64 s[8:9], s[38:39], s[8:9]
	s_mov_b64 exec, s[8:9]
	s_cbranch_execz .LBB129_240
; %bb.239:                              ;   in Loop: Header=BB129_21 Depth=1
	v_mov_b32_e32 v2, s50
	ds_write_b32 v9, v2 offset:4108
.LBB129_240:                            ;   in Loop: Header=BB129_21 Depth=1
	s_or_b64 exec, exec, s[38:39]
	s_waitcnt lgkmcnt(0)
	s_barrier
.LBB129_241:                            ;   in Loop: Header=BB129_21 Depth=1
	s_or_b32 s8, s2, s51
	s_or_b32 s9, s1, s51
	s_mov_b64 s[38:39], 0
	s_mov_b32 s52, 8
	s_branch .LBB129_244
.LBB129_242:                            ;   in Loop: Header=BB129_21 Depth=1
	s_mov_b32 s3, 1
	s_branch .LBB129_247
.LBB129_243:                            ;   in Loop: Header=BB129_21 Depth=1
	s_mov_b64 s[38:39], -1
                                        ; implicit-def: $sgpr52
                                        ; implicit-def: $sgpr8
                                        ; implicit-def: $sgpr9
.LBB129_244:                            ;   in Loop: Header=BB129_21 Depth=1
	s_andn2_b64 vcc, exec, s[38:39]
	s_cbranch_vccnz .LBB129_246
; %bb.245:                              ;   in Loop: Header=BB129_21 Depth=1
	s_sub_i32 s3, s3, s50
	s_mov_b32 s52, 8
	s_mov_b32 s8, s2
	;; [unrolled: 1-line block ×3, first 2 shown]
.LBB129_246:                            ;   in Loop: Header=BB129_21 Depth=1
	s_mov_b32 s2, s8
	s_mov_b32 s1, s9
.LBB129_247:                            ;   in Loop: Header=BB129_21 Depth=1
	s_mov_b64 s[48:49], exec
.LBB129_248:                            ;   in Loop: Header=BB129_21 Depth=1
	s_or_b64 exec, exec, s[46:47]
.LBB129_249:                            ;   in Loop: Header=BB129_21 Depth=1
	s_andn2_b64 s[8:9], s[28:29], exec
	s_and_b64 s[14:15], s[14:15], exec
	s_or_b64 s[28:29], s[8:9], s[14:15]
	s_andn2_b64 s[8:9], s[34:35], exec
	s_and_b64 s[14:15], s[42:43], exec
	s_or_b64 s[34:35], s[8:9], s[14:15]
	s_andn2_b64 s[8:9], s[30:31], exec
	s_and_b64 s[14:15], s[40:41], exec
	s_or_b64 s[30:31], s[8:9], s[14:15]
	s_and_b64 s[40:41], s[48:49], exec
	s_mov_b32 s45, s3
.LBB129_250:                            ;   in Loop: Header=BB129_21 Depth=1
	s_or_b64 exec, exec, s[36:37]
.LBB129_251:                            ;   in Loop: Header=BB129_21 Depth=1
	s_andn2_b64 s[8:9], s[22:23], exec
	s_and_b64 s[14:15], s[28:29], exec
	s_or_b64 s[22:23], s[8:9], s[14:15]
	s_andn2_b64 s[8:9], s[24:25], exec
	s_and_b64 s[14:15], s[34:35], exec
	s_or_b64 s[24:25], s[8:9], s[14:15]
	;; [unrolled: 3-line block ×3, first 2 shown]
	s_and_b64 s[30:31], s[40:41], exec
	s_mov_b32 s35, s45
.LBB129_252:                            ;   in Loop: Header=BB129_21 Depth=1
	s_or_b64 exec, exec, s[26:27]
                                        ; implicit-def: $sgpr3
	s_and_saveexec_b64 s[8:9], s[30:31]
	s_xor_b64 s[14:15], exec, s[8:9]
	s_cbranch_execz .LBB129_19
.LBB129_253:                            ;   in Loop: Header=BB129_21 Depth=1
	s_and_b32 s3, s52, -9
	s_cmp_eq_u32 s3, 0
	s_cbranch_scc1 .LBB129_17
; %bb.254:                              ;   in Loop: Header=BB129_21 Depth=1
	s_mov_b64 s[18:19], -1
                                        ; implicit-def: $sgpr1
                                        ; implicit-def: $sgpr35
                                        ; implicit-def: $sgpr73
                                        ; implicit-def: $sgpr0
	s_mov_b64 s[26:27], -1
	s_branch .LBB129_18
.LBB129_255:
	s_or_b64 exec, exec, s[86:87]
	s_xor_b64 s[8:9], s[92:93], -1
	s_xor_b64 s[0:1], s[88:89], -1
	;; [unrolled: 1-line block ×3, first 2 shown]
	s_mov_b64 s[4:5], 0
	s_and_saveexec_b64 s[2:3], s[0:1]
	s_xor_b64 s[2:3], exec, s[2:3]
	s_cbranch_execnz .LBB129_260
; %bb.256:
	s_andn2_saveexec_b64 s[0:1], s[2:3]
	s_cbranch_execnz .LBB129_273
.LBB129_257:
	s_or_b64 exec, exec, s[0:1]
	s_and_saveexec_b64 s[0:1], s[4:5]
.LBB129_258:
	; divergent unreachable
.LBB129_259:
	s_endpgm
.LBB129_260:
	s_and_saveexec_b64 s[0:1], s[8:9]
	s_xor_b64 s[4:5], exec, s[0:1]
	s_cbranch_execz .LBB129_271
; %bb.261:
	s_and_saveexec_b64 s[0:1], s[6:7]
	s_xor_b64 s[6:7], exec, s[0:1]
; %bb.262:
	v_and_b32_e32 v1, 0x8000, v2
	v_mov_b32_e32 v3, 0x8000
	v_mov_b32_e32 v4, 0xffff
	v_cmp_eq_u32_e32 vcc, 0, v1
	v_cndmask_b32_e32 v1, v3, v4, vcc
	v_xor_b32_e32 v34, v1, v2
; %bb.263:
	s_or_b64 exec, exec, s[6:7]
	v_readlane_b32 s8, v52, 8
	v_readlane_b32 s9, v52, 9
	s_mul_i32 s0, s9, s8
	v_readlane_b32 s7, v52, 12
	s_sub_i32 s0, s7, s0
	s_add_i32 s1, s9, 1
	s_sub_i32 s6, s0, s8
	s_cmp_ge_u32 s0, s8
	s_cselect_b32 s1, s1, s9
	s_cselect_b32 s0, s6, s0
	s_add_i32 s6, s1, 1
	s_cmp_ge_u32 s0, s8
	s_cselect_b32 s0, s6, s1
	s_mul_i32 s1, s0, s8
	s_sub_i32 s1, s7, s1
	v_readlane_b32 s6, v52, 4
	v_readlane_b32 s7, v52, 5
	s_mul_i32 s1, s1, s7
	s_mul_i32 s0, s0, s6
	s_add_i32 s0, s0, s1
	s_mov_b32 s1, 0
	s_lshl_b64 s[0:1], s[0:1], 1
	v_readlane_b32 s6, v52, 6
	v_readlane_b32 s7, v52, 7
	s_add_u32 s0, s6, s0
	s_addc_u32 s1, s7, s1
	v_mov_b32_e32 v7, 0
	global_store_short v7, v34, s[0:1]
	s_mov_b64 s[6:7], exec
	v_readlane_b32 s0, v52, 13
	v_readlane_b32 s1, v52, 14
	s_and_b64 s[0:1], s[6:7], s[0:1]
	s_mov_b64 exec, s[0:1]
	s_cbranch_execz .LBB129_270
; %bb.264:
	v_cmp_u_f16_e32 vcc, v34, v34
	s_mov_b64 s[8:9], 0
	v_mov_b32_e32 v1, s82
	s_xor_b64 s[12:13], vcc, -1
                                        ; implicit-def: $sgpr10_sgpr11
                                        ; implicit-def: $sgpr16_sgpr17
                                        ; implicit-def: $sgpr14_sgpr15
	s_branch .LBB129_266
.LBB129_265:                            ;   in Loop: Header=BB129_266 Depth=1
	s_or_b64 exec, exec, s[0:1]
	s_and_b64 s[0:1], exec, s[16:17]
	s_or_b64 s[8:9], s[0:1], s[8:9]
	s_andn2_b64 s[0:1], s[10:11], exec
	s_and_b64 s[10:11], s[14:15], exec
	s_or_b64 s[10:11], s[0:1], s[10:11]
	s_andn2_b64 exec, exec, s[8:9]
	s_cbranch_execz .LBB129_268
.LBB129_266:                            ; =>This Inner Loop Header: Depth=1
	v_lshlrev_b64 v[2:3], 1, v[6:7]
	v_add_co_u32_e32 v2, vcc, s57, v2
	v_addc_co_u32_e32 v3, vcc, v1, v3, vcc
	global_load_ushort v3, v[2:3], off
	v_mov_b32_e32 v2, v0
	s_or_b64 s[14:15], s[14:15], exec
	s_or_b64 s[16:17], s[16:17], exec
                                        ; implicit-def: $vgpr0
	s_waitcnt vmcnt(0)
	v_cmp_o_f16_e64 s[0:1], v3, v3
	v_cmp_neq_f16_e32 vcc, v3, v34
	s_or_b64 s[0:1], s[12:13], s[0:1]
	s_and_b64 s[18:19], vcc, s[0:1]
	s_and_saveexec_b64 s[0:1], s[18:19]
	s_cbranch_execz .LBB129_265
; %bb.267:                              ;   in Loop: Header=BB129_266 Depth=1
	v_add_u32_e32 v0, s59, v2
	v_cmp_le_u32_e32 vcc, s56, v0
	s_andn2_b64 s[16:17], s[16:17], exec
	s_and_b64 s[18:19], vcc, exec
	v_add_u32_e32 v6, s83, v6
	s_andn2_b64 s[14:15], s[14:15], exec
	s_or_b64 s[16:17], s[16:17], s[18:19]
	s_branch .LBB129_265
.LBB129_268:
	s_or_b64 exec, exec, s[8:9]
	s_and_saveexec_b64 s[0:1], s[10:11]
	s_xor_b64 s[0:1], exec, s[0:1]
	s_cbranch_execz .LBB129_270
; %bb.269:
	v_readlane_b32 s10, v52, 10
	v_readlane_b32 s11, v52, 11
	s_mul_i32 s0, s11, s10
	v_readlane_b32 s9, v52, 12
	s_sub_i32 s0, s9, s0
	s_add_i32 s1, s11, 1
	s_sub_i32 s8, s0, s10
	s_cmp_ge_u32 s0, s10
	s_cselect_b32 s1, s1, s11
	s_cselect_b32 s0, s8, s0
	s_add_i32 s8, s1, 1
	s_cmp_ge_u32 s0, s10
	s_cselect_b32 s0, s8, s1
	s_mul_i32 s1, s0, s10
	s_sub_i32 s1, s9, s1
	v_readlane_b32 s8, v52, 0
	v_readlane_b32 s9, v52, 1
	s_mul_i32 s1, s1, s9
	s_mul_i32 s0, s0, s8
	s_add_i32 s0, s0, s1
	s_mov_b32 s1, 0
	s_lshl_b64 s[0:1], s[0:1], 3
	v_readlane_b32 s8, v52, 2
	v_readlane_b32 s9, v52, 3
	s_add_u32 s0, s8, s0
	s_addc_u32 s1, s9, s1
	v_mov_b32_e32 v3, 0
	global_store_dwordx2 v3, v[2:3], s[0:1]
.LBB129_270:
	s_or_b64 exec, exec, s[6:7]
.LBB129_271:
	s_or_saveexec_b64 s[0:1], s[4:5]
	s_mov_b64 s[4:5], 0
	s_xor_b64 exec, exec, s[0:1]
	s_cbranch_execnz .LBB129_274
.LBB129_272:
	s_or_b64 exec, exec, s[0:1]
	s_and_b64 s[4:5], s[4:5], exec
	s_andn2_saveexec_b64 s[0:1], s[2:3]
	s_cbranch_execz .LBB129_257
.LBB129_273:
	s_or_b64 s[4:5], s[4:5], exec
	s_trap 2
	s_or_b64 exec, exec, s[0:1]
	s_and_saveexec_b64 s[0:1], s[4:5]
	s_cbranch_execnz .LBB129_258
	s_branch .LBB129_259
.LBB129_274:
	s_mov_b64 s[4:5], exec
	s_trap 2
	s_branch .LBB129_272
	.section	.rodata,"a",@progbits
	.p2align	6, 0x0
	.amdhsa_kernel _ZN2at6native12_GLOBAL__N_112gatherMedianIN3c104HalfEjLi2EEEvNS_4cuda6detail10TensorInfoIT_T0_EENS7_IlS9_EENS7_IKS8_S9_EES9_S9_S9_b
		.amdhsa_group_segment_fixed_size 4120
		.amdhsa_private_segment_fixed_size 0
		.amdhsa_kernarg_size 920
		.amdhsa_user_sgpr_count 6
		.amdhsa_user_sgpr_private_segment_buffer 1
		.amdhsa_user_sgpr_dispatch_ptr 0
		.amdhsa_user_sgpr_queue_ptr 0
		.amdhsa_user_sgpr_kernarg_segment_ptr 1
		.amdhsa_user_sgpr_dispatch_id 0
		.amdhsa_user_sgpr_flat_scratch_init 0
		.amdhsa_user_sgpr_kernarg_preload_length 0
		.amdhsa_user_sgpr_kernarg_preload_offset 0
		.amdhsa_user_sgpr_private_segment_size 0
		.amdhsa_uses_dynamic_stack 0
		.amdhsa_system_sgpr_private_segment_wavefront_offset 0
		.amdhsa_system_sgpr_workgroup_id_x 1
		.amdhsa_system_sgpr_workgroup_id_y 1
		.amdhsa_system_sgpr_workgroup_id_z 1
		.amdhsa_system_sgpr_workgroup_info 0
		.amdhsa_system_vgpr_workitem_id 0
		.amdhsa_next_free_vgpr 53
		.amdhsa_next_free_sgpr 96
		.amdhsa_accum_offset 56
		.amdhsa_reserve_vcc 1
		.amdhsa_reserve_flat_scratch 0
		.amdhsa_float_round_mode_32 0
		.amdhsa_float_round_mode_16_64 0
		.amdhsa_float_denorm_mode_32 3
		.amdhsa_float_denorm_mode_16_64 3
		.amdhsa_dx10_clamp 1
		.amdhsa_ieee_mode 1
		.amdhsa_fp16_overflow 0
		.amdhsa_tg_split 0
		.amdhsa_exception_fp_ieee_invalid_op 0
		.amdhsa_exception_fp_denorm_src 0
		.amdhsa_exception_fp_ieee_div_zero 0
		.amdhsa_exception_fp_ieee_overflow 0
		.amdhsa_exception_fp_ieee_underflow 0
		.amdhsa_exception_fp_ieee_inexact 0
		.amdhsa_exception_int_div_zero 0
	.end_amdhsa_kernel
	.section	.text._ZN2at6native12_GLOBAL__N_112gatherMedianIN3c104HalfEjLi2EEEvNS_4cuda6detail10TensorInfoIT_T0_EENS7_IlS9_EENS7_IKS8_S9_EES9_S9_S9_b,"axG",@progbits,_ZN2at6native12_GLOBAL__N_112gatherMedianIN3c104HalfEjLi2EEEvNS_4cuda6detail10TensorInfoIT_T0_EENS7_IlS9_EENS7_IKS8_S9_EES9_S9_S9_b,comdat
.Lfunc_end129:
	.size	_ZN2at6native12_GLOBAL__N_112gatherMedianIN3c104HalfEjLi2EEEvNS_4cuda6detail10TensorInfoIT_T0_EENS7_IlS9_EENS7_IKS8_S9_EES9_S9_S9_b, .Lfunc_end129-_ZN2at6native12_GLOBAL__N_112gatherMedianIN3c104HalfEjLi2EEEvNS_4cuda6detail10TensorInfoIT_T0_EENS7_IlS9_EENS7_IKS8_S9_EES9_S9_S9_b
                                        ; -- End function
	.section	.AMDGPU.csdata,"",@progbits
; Kernel info:
; codeLenInByte = 10936
; NumSgprs: 100
; NumVgprs: 53
; NumAgprs: 0
; TotalNumVgprs: 53
; ScratchSize: 0
; MemoryBound: 0
; FloatMode: 240
; IeeeMode: 1
; LDSByteSize: 4120 bytes/workgroup (compile time only)
; SGPRBlocks: 12
; VGPRBlocks: 6
; NumSGPRsForWavesPerEU: 100
; NumVGPRsForWavesPerEU: 53
; AccumOffset: 56
; Occupancy: 8
; WaveLimiterHint : 1
; COMPUTE_PGM_RSRC2:SCRATCH_EN: 0
; COMPUTE_PGM_RSRC2:USER_SGPR: 6
; COMPUTE_PGM_RSRC2:TRAP_HANDLER: 0
; COMPUTE_PGM_RSRC2:TGID_X_EN: 1
; COMPUTE_PGM_RSRC2:TGID_Y_EN: 1
; COMPUTE_PGM_RSRC2:TGID_Z_EN: 1
; COMPUTE_PGM_RSRC2:TIDIG_COMP_CNT: 0
; COMPUTE_PGM_RSRC3_GFX90A:ACCUM_OFFSET: 13
; COMPUTE_PGM_RSRC3_GFX90A:TG_SPLIT: 0
	.section	.text._ZN2at6native12_GLOBAL__N_112gatherMedianIN3c104HalfEjLi3EEEvNS_4cuda6detail10TensorInfoIT_T0_EENS7_IlS9_EENS7_IKS8_S9_EES9_S9_S9_b,"axG",@progbits,_ZN2at6native12_GLOBAL__N_112gatherMedianIN3c104HalfEjLi3EEEvNS_4cuda6detail10TensorInfoIT_T0_EENS7_IlS9_EENS7_IKS8_S9_EES9_S9_S9_b,comdat
	.globl	_ZN2at6native12_GLOBAL__N_112gatherMedianIN3c104HalfEjLi3EEEvNS_4cuda6detail10TensorInfoIT_T0_EENS7_IlS9_EENS7_IKS8_S9_EES9_S9_S9_b ; -- Begin function _ZN2at6native12_GLOBAL__N_112gatherMedianIN3c104HalfEjLi3EEEvNS_4cuda6detail10TensorInfoIT_T0_EENS7_IlS9_EENS7_IKS8_S9_EES9_S9_S9_b
	.p2align	8
	.type	_ZN2at6native12_GLOBAL__N_112gatherMedianIN3c104HalfEjLi3EEEvNS_4cuda6detail10TensorInfoIT_T0_EENS7_IlS9_EENS7_IKS8_S9_EES9_S9_S9_b,@function
_ZN2at6native12_GLOBAL__N_112gatherMedianIN3c104HalfEjLi3EEEvNS_4cuda6detail10TensorInfoIT_T0_EENS7_IlS9_EENS7_IKS8_S9_EES9_S9_S9_b: ; @_ZN2at6native12_GLOBAL__N_112gatherMedianIN3c104HalfEjLi3EEEvNS_4cuda6detail10TensorInfoIT_T0_EENS7_IlS9_EENS7_IKS8_S9_EES9_S9_S9_b
; %bb.0:
	s_load_dwordx2 s[12:13], s[4:5], 0x298
	s_load_dwordx4 s[56:59], s[4:5], 0x288
	s_add_u32 s10, s4, 0x298
	s_addc_u32 s11, s5, 0
	s_waitcnt lgkmcnt(0)
	s_mul_i32 s0, s13, s8
	s_add_i32 s0, s0, s7
	s_mul_i32 s0, s0, s12
	s_add_i32 s16, s0, s6
	s_cmp_ge_u32 s16, s57
	s_cbranch_scc1 .LBB130_259
; %bb.1:
	s_load_dwordx2 s[24:25], s[4:5], 0xc
	s_load_dwordx2 s[0:1], s[4:5], 0x0
	;; [unrolled: 1-line block ×4, first 2 shown]
	s_load_dwordx4 s[20:23], s[4:5], 0x144
                                        ; implicit-def: $vgpr52 : SGPR spill to VGPR lane
	s_load_dwordx2 s[18:19], s[4:5], 0xd8
	s_load_dwordx4 s[28:31], s[4:5], 0x6c
	s_waitcnt lgkmcnt(0)
	v_cvt_f32_u32_e32 v1, s25
	v_writelane_b32 v52, s0, 0
	v_writelane_b32 v52, s1, 1
	;; [unrolled: 1-line block ×3, first 2 shown]
	v_rcp_iflag_f32_e32 v1, v1
	v_cvt_f32_u32_e32 v2, s24
	v_writelane_b32 v52, s21, 3
	v_writelane_b32 v52, s22, 4
	v_mul_f32_e32 v1, 0x4f7ffffe, v1
	v_cvt_u32_f32_e32 v1, v1
	s_load_dwordx4 s[0:3], s[4:5], 0x21c
	v_writelane_b32 v52, s23, 5
	s_load_dwordx2 s[20:21], s[4:5], 0xe4
	v_rcp_iflag_f32_e32 v2, v2
                                        ; kill: killed $sgpr4 killed $sgpr5
	s_sub_i32 s4, 0, s25
	v_readfirstlane_b32 s5, v1
	s_mul_i32 s4, s4, s5
	s_mul_hi_u32 s4, s5, s4
	s_add_i32 s5, s5, s4
	v_mul_f32_e32 v1, 0x4f7ffffe, v2
	s_waitcnt lgkmcnt(0)
	v_cvt_f32_u32_e32 v2, s21
	s_mul_hi_u32 s4, s16, s5
	s_mul_i32 s5, s4, s25
	v_writelane_b32 v52, s18, 6
	s_sub_i32 s5, s16, s5
	v_writelane_b32 v52, s19, 7
	s_add_i32 s7, s4, 1
	s_sub_i32 s13, s5, s25
	v_cvt_u32_f32_e32 v1, v1
	v_rcp_iflag_f32_e32 v2, v2
	v_writelane_b32 v52, s28, 8
	s_cmp_ge_u32 s5, s25
	v_writelane_b32 v52, s29, 9
	s_cselect_b32 s4, s7, s4
	v_writelane_b32 v52, s30, 10
	s_cselect_b32 s5, s13, s5
	s_add_i32 s7, s4, 1
	v_writelane_b32 v52, s31, 11
	s_cmp_ge_u32 s5, s25
	v_readfirstlane_b32 s5, v1
	v_mul_f32_e32 v1, 0x4f7ffffe, v2
	s_cselect_b32 s7, s7, s4
	v_writelane_b32 v52, s24, 12
	s_sub_i32 s4, 0, s24
	v_cvt_u32_f32_e32 v1, v1
	s_mul_i32 s4, s4, s5
	s_mul_hi_u32 s4, s5, s4
	v_writelane_b32 v52, s25, 13
	s_add_i32 s5, s5, s4
	v_writelane_b32 v52, s7, 14
	s_mul_hi_u32 s4, s7, s5
	v_readfirstlane_b32 s5, v1
	v_cvt_f32_u32_e32 v1, s20
	v_writelane_b32 v52, s4, 15
	s_sub_i32 s4, 0, s21
	s_mul_i32 s4, s4, s5
	s_mul_hi_u32 s4, s5, s4
	s_add_i32 s5, s5, s4
	v_rcp_iflag_f32_e32 v1, v1
	s_mul_hi_u32 s4, s16, s5
	v_cvt_f32_u32_e32 v2, s15
	s_mul_i32 s5, s4, s21
	s_sub_i32 s5, s16, s5
	s_add_i32 s7, s4, 1
	s_sub_i32 s13, s5, s21
	v_mul_f32_e32 v1, 0x4f7ffffe, v1
	s_cmp_ge_u32 s5, s21
	v_cvt_u32_f32_e32 v1, v1
	v_rcp_iflag_f32_e32 v2, v2
	s_cselect_b32 s4, s7, s4
	s_cselect_b32 s5, s13, s5
	s_add_i32 s7, s4, 1
	s_cmp_ge_u32 s5, s21
	s_cselect_b32 s7, s7, s4
	v_writelane_b32 v52, s20, 16
	s_sub_i32 s4, 0, s20
	v_readfirstlane_b32 s5, v1
	v_mul_f32_e32 v1, 0x4f7ffffe, v2
	s_mul_i32 s4, s4, s5
	v_cvt_u32_f32_e32 v1, v1
	s_mul_hi_u32 s4, s5, s4
	v_writelane_b32 v52, s21, 17
	s_add_i32 s5, s5, s4
	v_writelane_b32 v52, s7, 18
	s_mul_hi_u32 s4, s7, s5
	v_writelane_b32 v52, s4, 19
	s_sub_i32 s4, 0, s15
	v_readfirstlane_b32 s5, v1
	s_mul_i32 s4, s4, s5
	s_mul_hi_u32 s4, s5, s4
	v_cvt_f32_u32_e32 v1, s14
	s_add_i32 s5, s5, s4
	s_mul_hi_u32 s4, s16, s5
	s_mul_i32 s5, s4, s15
	s_sub_i32 s5, s16, s5
	v_rcp_iflag_f32_e32 v1, v1
	s_add_i32 s7, s4, 1
	s_sub_i32 s13, s5, s15
	s_cmp_ge_u32 s5, s15
	s_cselect_b32 s4, s7, s4
	s_cselect_b32 s5, s13, s5
	s_add_i32 s7, s4, 1
	v_mul_f32_e32 v1, 0x4f7ffffe, v1
	s_cmp_ge_u32 s5, s15
	v_cvt_u32_f32_e32 v1, v1
	s_cselect_b32 s4, s7, s4
	s_mul_i32 s5, s4, s15
	s_sub_i32 s5, s16, s5
	s_mul_i32 s5, s5, s2
	s_sub_i32 s2, 0, s14
	v_readfirstlane_b32 s7, v1
	s_mul_i32 s2, s2, s7
	s_mul_hi_u32 s2, s7, s2
	s_add_i32 s7, s7, s2
	s_mul_hi_u32 s2, s4, s7
	s_mul_i32 s7, s2, s14
	s_sub_i32 s7, s4, s7
	s_add_i32 s13, s2, 1
	s_sub_i32 s15, s7, s14
	s_cmp_ge_u32 s7, s14
	s_cselect_b32 s2, s13, s2
	s_cselect_b32 s7, s15, s7
	s_add_i32 s13, s2, 1
	s_cmp_ge_u32 s7, s14
	s_cselect_b32 s2, s13, s2
	s_mul_i32 s7, s2, s14
	s_sub_i32 s4, s4, s7
	s_mul_i32 s1, s4, s1
	s_add_i32 s1, s1, s5
	s_mul_i32 s2, s2, s0
	s_mov_b32 s3, 0
	s_add_i32 s2, s1, s2
	s_lshl_b64 s[0:1], s[2:3], 1
	s_add_u32 s57, s8, s0
	s_addc_u32 s90, s9, s1
	v_mov_b32_e32 v2, 0
	v_mul_lo_u32 v6, v0, s58
	v_writelane_b32 v52, s16, 20
	v_cmp_gt_u32_e64 s[0:1], s56, v0
	s_mov_b64 s[2:3], exec
	v_writelane_b32 v52, s0, 21
	v_writelane_b32 v52, s1, 22
	s_and_b64 s[0:1], s[2:3], s[0:1]
	s_mov_b64 exec, s[0:1]
	s_cbranch_execz .LBB130_5
; %bb.2:
	s_load_dword s0, s[10:11], 0xc
	v_mov_b32_e32 v5, 0
	v_mul_lo_u32 v4, v0, s58
	s_mov_b64 s[4:5], 0
	v_mov_b32_e32 v1, s90
	s_waitcnt lgkmcnt(0)
	s_and_b32 s0, s0, 0xffff
	s_mul_i32 s1, s58, s0
	v_mov_b32_e32 v2, v5
	v_mov_b32_e32 v3, v0
.LBB130_3:                              ; =>This Inner Loop Header: Depth=1
	v_lshlrev_b64 v[8:9], 1, v[4:5]
	v_add_co_u32_e32 v8, vcc, s57, v8
	v_addc_co_u32_e32 v9, vcc, v1, v9, vcc
	global_load_ushort v7, v[8:9], off
	v_add_u32_e32 v3, s0, v3
	v_cmp_le_u32_e32 vcc, s56, v3
	s_or_b64 s[4:5], vcc, s[4:5]
	v_add_u32_e32 v4, s1, v4
	s_waitcnt vmcnt(0)
	v_cmp_u_f16_e32 vcc, v7, v7
	v_addc_co_u32_e32 v2, vcc, 0, v2, vcc
	s_andn2_b64 exec, exec, s[4:5]
	s_cbranch_execnz .LBB130_3
; %bb.4:
	s_or_b64 exec, exec, s[4:5]
.LBB130_5:
	s_or_b64 exec, exec, s[2:3]
	v_cmp_eq_u32_e64 s[0:1], 0, v0
	s_mov_b64 s[4:5], exec
	v_writelane_b32 v52, s0, 23
	v_writelane_b32 v52, s1, 24
	s_and_b64 s[0:1], s[4:5], s[0:1]
	s_mov_b64 exec, s[0:1]
	s_cbranch_execz .LBB130_7
; %bb.6:
	v_mov_b32_e32 v4, 0
	v_mov_b32_e32 v5, v4
	ds_write_b64 v4, v[4:5] offset:4096
.LBB130_7:
	s_or_b64 exec, exec, s[4:5]
	v_cmp_ne_u32_e32 vcc, 0, v2
	s_waitcnt lgkmcnt(0)
	s_barrier
	s_and_saveexec_b64 s[4:5], vcc
	s_cbranch_execz .LBB130_12
; %bb.8:
	s_mov_b64 s[14:15], exec
	v_mov_b32_e32 v1, 0
	s_mov_b64 s[8:9], 0
.LBB130_9:                              ; =>This Inner Loop Header: Depth=1
	s_ff1_i32_b64 s0, s[14:15]
	v_readlane_b32 s2, v2, s0
	v_readlane_b32 s1, v1, s0
	s_add_u32 s8, s8, s2
	s_addc_u32 s9, s9, s1
	s_lshl_b64 s[0:1], 1, s0
	s_andn2_b64 s[14:15], s[14:15], s[0:1]
	s_cmp_lg_u64 s[14:15], 0
	s_cbranch_scc1 .LBB130_9
; %bb.10:
	v_mbcnt_lo_u32_b32 v1, exec_lo, 0
	v_mbcnt_hi_u32_b32 v1, exec_hi, v1
	v_cmp_eq_u32_e32 vcc, 0, v1
	s_and_saveexec_b64 s[0:1], vcc
	s_xor_b64 s[0:1], exec, s[0:1]
	s_cbranch_execz .LBB130_12
; %bb.11:
	v_mov_b32_e32 v1, 0
	v_pk_mov_b32 v[2:3], s[8:9], s[8:9] op_sel:[0,1]
	ds_add_u64 v1, v[2:3] offset:4096
.LBB130_12:
	s_or_b64 exec, exec, s[4:5]
	v_mov_b32_e32 v1, 0
	s_waitcnt lgkmcnt(0)
	s_barrier
	ds_read_b64 v[2:3], v1 offset:4096
	s_bitcmp1_b32 s59, 0
	s_cselect_b64 s[0:1], -1, 0
	s_mov_b32 s3, s56
	s_waitcnt lgkmcnt(0)
	v_cmp_gt_i64_e32 vcc, 1, v[2:3]
	s_or_b64 s[0:1], s[0:1], vcc
	s_andn2_b64 vcc, exec, s[0:1]
	s_cbranch_vccnz .LBB130_14
; %bb.13:
	v_not_b32_e32 v1, v2
	v_not_b32_e32 v2, v3
	v_add_co_u32_e32 v1, vcc, s56, v1
	v_addc_co_u32_e32 v2, vcc, 0, v2, vcc
	v_lshrrev_b32_e32 v3, 31, v2
	v_add_co_u32_e32 v1, vcc, v1, v3
	v_addc_co_u32_e32 v2, vcc, 0, v2, vcc
	v_alignbit_b32 v1, v2, v1, 1
	v_readfirstlane_b32 s0, v1
	s_add_i32 s3, s0, 1
.LBB130_14:
	s_mov_b64 s[4:5], exec
	v_readlane_b32 s0, v52, 23
	v_readlane_b32 s1, v52, 24
	s_and_b64 s[0:1], s[4:5], s[0:1]
	s_mov_b64 exec, s[0:1]
	s_cbranch_execz .LBB130_16
; %bb.15:
	v_mov_b32_e32 v2, 0
	v_mov_b32_e32 v3, s56
	ds_write_b32 v2, v2 offset:4112
	ds_write_b64 v2, v[2:3] offset:4104
.LBB130_16:
	s_or_b64 exec, exec, s[4:5]
	s_waitcnt lgkmcnt(0)
	s_barrier
	s_load_dword s0, s[10:11], 0xc
	v_mbcnt_lo_u32_b32 v1, -1, 0
	v_mbcnt_hi_u32_b32 v13, -1, v1
	v_cmp_gt_u32_e32 vcc, 64, v0
	v_cmp_gt_i32_e64 s[4:5], 4, v13
	s_waitcnt lgkmcnt(0)
	s_and_b32 s59, s0, 0xffff
	s_bfe_u32 s8, s0, 0xa0006
	s_add_i32 s0, s59, -1
	s_lshl_b32 s93, s59, 2
	s_and_b64 s[78:79], vcc, s[4:5]
	v_writelane_b32 v52, s0, 25
	s_add_i32 s0, s0, s56
	s_cmpk_gt_u32 s56, 0x600
	s_cselect_b64 s[4:5], -1, 0
	v_mov_b32_e32 v9, 0
	v_writelane_b32 v52, s4, 26
	s_cmp_gt_u32 s59, 63
	v_writelane_b32 v52, s5, 27
	s_cselect_b64 s[4:5], -1, 0
	s_cmp_lt_u32 s6, s12
	v_mov_b32_e32 v7, v9
	v_writelane_b32 v52, s4, 28
	s_cselect_b32 s1, 12, 18
	v_lshlrev_b64 v[2:3], 1, v[6:7]
	v_writelane_b32 v52, s5, 29
	s_add_u32 s4, s10, s1
	v_mov_b32_e32 v7, s90
	v_add_co_u32_e32 v10, vcc, s57, v2
	s_addc_u32 s5, s11, 0
	s_add_i32 s1, s8, -2
	v_addc_co_u32_e32 v11, vcc, v7, v3, vcc
	v_lshlrev_b64 v[2:3], v13, -1
	s_lshr_b32 s2, s1, 1
	v_not_b32_e32 v12, v2
	v_cvt_f32_u32_e32 v2, s93
	s_add_i32 s2, s2, 1
	v_writelane_b32 v52, s4, 30
	s_cmpk_gt_u32 s59, 0x7f
	v_writelane_b32 v52, s5, 31
	s_cselect_b64 s[4:5], -1, 0
	s_and_b32 s9, s8, 0x3fe
	s_and_b32 s10, s2, 7
	v_writelane_b32 v52, s4, 32
	s_cmp_gt_u32 s1, 13
	v_rcp_iflag_f32_e32 v2, v2
	v_writelane_b32 v52, s5, 33
	s_cselect_b64 s[12:13], -1, 0
	v_writelane_b32 v52, s12, 34
	v_writelane_b32 v52, s13, 35
	s_and_b32 s1, s2, -8
	v_writelane_b32 v52, s1, 36
	s_cmp_lg_u32 s10, 0
	v_mul_f32_e32 v2, 0x4f7ffffe, v2
	v_writelane_b32 v52, s10, 37
	s_cselect_b64 s[10:11], -1, 0
	v_cvt_u32_f32_e32 v2, v2
	v_writelane_b32 v52, s10, 38
	v_writelane_b32 v52, s11, 39
	;; [unrolled: 1-line block ×3, first 2 shown]
	s_cmp_lg_u32 s9, s8
	v_writelane_b32 v52, s9, 41
	s_cselect_b64 s[8:9], -1, 0
	s_sub_i32 s1, 0, s93
	v_readfirstlane_b32 s2, v2
	s_mul_i32 s1, s1, s2
	s_mul_hi_u32 s1, s2, s1
	s_add_i32 s84, s2, s1
	v_cvt_f32_u32_e32 v2, s59
	s_mul_hi_u32 s1, s56, s84
	s_mul_i32 s1, s1, s93
	s_sub_i32 s1, s56, s1
	s_sub_i32 s2, s1, s93
	v_rcp_iflag_f32_e32 v5, v2
	s_cmp_ge_u32 s1, s93
	s_cselect_b32 s1, s2, s1
	s_sub_i32 s2, s1, s93
	s_cmp_ge_u32 s1, s93
	v_mul_f32_e32 v5, 0x4f7ffffe, v5
	s_cselect_b32 s1, s2, s1
	v_cvt_u32_f32_e32 v5, v5
	v_lshlrev_b32_e32 v16, 2, v0
	v_writelane_b32 v52, s8, 42
	s_sub_i32 s85, s56, s1
	v_writelane_b32 v52, s9, 43
	v_cmp_gt_u32_e64 s[8:9], s85, v16
	v_writelane_b32 v52, s8, 44
	v_writelane_b32 v52, s9, 45
	s_sub_i32 s2, 0, s59
	v_readfirstlane_b32 s8, v5
	s_mul_i32 s2, s2, s8
	s_mul_hi_u32 s2, s8, s2
	s_add_i32 s2, s8, s2
	v_writelane_b32 v52, s2, 46
	s_mul_hi_u32 s2, s0, s2
	s_mul_i32 s2, s2, s59
	s_sub_i32 s2, s0, s2
	s_sub_i32 s8, s2, s59
	v_add_u32_e32 v21, s85, v0
	s_cmp_ge_u32 s2, s59
	v_lshrrev_b32_e32 v1, 4, v0
	v_mul_lo_u32 v8, v21, s58
	s_cselect_b32 s2, s8, s2
	v_and_b32_e32 v19, 60, v1
	v_not_b32_e32 v1, v3
	v_lshlrev_b64 v[2:3], 1, v[8:9]
	s_sub_i32 s8, s2, s59
	v_add_co_u32_e32 v14, vcc, s57, v2
	s_cmp_ge_u32 s2, s59
	v_mul_lo_u32 v2, s58, v16
	s_cselect_b32 s2, s8, s2
	v_add_u32_e32 v22, s58, v2
	v_or_b32_e32 v2, 2, v16
	s_sub_i32 s87, s0, s2
	v_mul_lo_u32 v23, s58, v2
	v_or_b32_e32 v2, 3, v16
	s_add_i32 s0, s59, s56
	v_mul_lo_u32 v24, s58, v2
	v_add_u32_e32 v2, s0, v0
	v_lshlrev_b32_e32 v17, 1, v0
	v_lshlrev_b32_e32 v4, 2, v13
	v_mov_b32_e32 v8, s90
	v_cmp_gt_u32_e64 s[8:9], s87, v0
	s_mul_i32 s91, s58, s59
	v_subrev_u32_e32 v2, s1, v2
	s_mov_b32 s76, 0
	v_cmp_eq_u32_e64 s[4:5], 0, v13
	v_cmp_gt_u32_e64 s[6:7], 2, v0
	v_add_u32_e32 v18, 0xc00, v17
	v_and_b32_e32 v20, 0x100, v4
	v_cmp_gt_u32_e64 s[10:11], s56, v21
	v_addc_co_u32_e32 v15, vcc, v8, v3, vcc
	v_writelane_b32 v52, s8, 47
	s_lshl_b32 s33, s91, 2
	v_lshlrev_b32_e32 v25, 2, v6
	v_mul_lo_u32 v26, s58, v2
	v_lshlrev_b32_e32 v27, 3, v0
	s_lshl_b32 s12, s59, 3
	s_lshl_b32 s13, s59, 1
	v_or_b32_e32 v28, 0xc00, v4
	s_mov_b32 s81, 14
	s_mov_b64 s[94:95], 0
	s_movk_i32 s80, 0x3c00
	v_mov_b32_e32 v29, 0xffff
	v_mov_b32_e32 v30, 0x8000
	v_mov_b32_e32 v31, -1
	v_mov_b32_e32 v32, 0xc00
	v_mov_b32_e32 v33, 0x5040100
	;; [unrolled: 1-line block ×3, first 2 shown]
	s_mov_b32 s0, 0
	s_mov_b32 s2, 0
	s_mov_b32 s1, 0
	v_writelane_b32 v52, s9, 48
                                        ; implicit-def: $sgpr68_sgpr69
                                        ; implicit-def: $sgpr62_sgpr63
                                        ; implicit-def: $sgpr60_sgpr61
                                        ; implicit-def: $sgpr72_sgpr73
                                        ; implicit-def: $sgpr64_sgpr65
                                        ; implicit-def: $sgpr66_sgpr67
	s_branch .LBB130_21
.LBB130_17:                             ;   in Loop: Header=BB130_21 Depth=1
	s_xor_b32 s0, s0, 1
	s_add_i32 s3, s81, -2
	s_cmp_eq_u32 s81, 0
	s_mov_b64 s[18:19], 0
	s_cselect_b64 s[26:27], -1, 0
	s_mov_b32 s81, s3
.LBB130_18:                             ;   in Loop: Header=BB130_21 Depth=1
	s_andn2_b64 s[8:9], s[22:23], exec
	s_and_b64 s[18:19], s[18:19], exec
	s_or_b64 s[22:23], s[8:9], s[18:19]
	s_andn2_b64 s[24:25], s[24:25], exec
	s_andn2_b64 s[20:21], s[20:21], exec
	s_orn2_b64 s[18:19], s[26:27], exec
	s_mov_b32 s3, s35
.LBB130_19:                             ;   in Loop: Header=BB130_21 Depth=1
	s_or_b64 exec, exec, s[14:15]
	s_andn2_b64 s[8:9], s[66:67], exec
	s_and_b64 s[14:15], s[22:23], exec
	s_or_b64 s[66:67], s[8:9], s[14:15]
	s_andn2_b64 s[8:9], s[64:65], exec
	s_and_b64 s[14:15], s[24:25], exec
	s_or_b64 s[64:65], s[8:9], s[14:15]
	;; [unrolled: 3-line block ×3, first 2 shown]
	s_orn2_b64 s[18:19], s[18:19], exec
.LBB130_20:                             ;   in Loop: Header=BB130_21 Depth=1
	s_or_b64 exec, exec, s[16:17]
	s_and_b64 s[8:9], exec, s[18:19]
	s_or_b64 s[94:95], s[8:9], s[94:95]
	s_andn2_b64 s[8:9], s[60:61], exec
	s_and_b64 s[14:15], s[66:67], exec
	s_or_b64 s[60:61], s[8:9], s[14:15]
	s_andn2_b64 s[8:9], s[62:63], exec
	s_and_b64 s[14:15], s[64:65], exec
	;; [unrolled: 3-line block ×3, first 2 shown]
	v_mov_b32_e32 v2, s2
	s_or_b64 s[68:69], s[8:9], s[14:15]
	s_andn2_b64 exec, exec, s[94:95]
	s_cbranch_execz .LBB130_255
.LBB130_21:                             ; =>This Loop Header: Depth=1
                                        ;     Child Loop BB130_26 Depth 2
                                        ;     Child Loop BB130_44 Depth 2
	;; [unrolled: 1-line block ×17, first 2 shown]
	ds_read_b64 v[2:3], v9 offset:4104
	s_waitcnt lgkmcnt(0)
	v_readfirstlane_b32 s77, v2
	s_cmp_lg_u32 s77, 0
	s_cbranch_scc1 .LBB130_51
; %bb.22:                               ;   in Loop: Header=BB130_21 Depth=1
	v_readlane_b32 s8, v52, 26
	v_readlane_b32 s9, v52, 27
	s_and_b64 vcc, exec, s[8:9]
	s_cbranch_vccz .LBB130_34
; %bb.23:                               ;   in Loop: Header=BB130_21 Depth=1
	s_movk_i32 s8, 0x601
	v_cmp_gt_u32_e32 vcc, s8, v3
	s_mov_b64 s[18:19], 0
	s_mov_b64 s[14:15], 0
	s_cbranch_vccz .LBB130_35
; %bb.24:                               ;   in Loop: Header=BB130_21 Depth=1
	v_readlane_b32 s8, v52, 30
	v_readlane_b32 s9, v52, 31
	s_nop 4
	global_load_ushort v2, v9, s[8:9]
	global_load_ushort v4, v[10:11], off
	s_mov_b64 s[20:21], 0
	s_waitcnt vmcnt(1)
	v_add_u32_e32 v5, v0, v2
	v_mul_lo_u32 v3, s58, v2
	v_mul_lo_u32 v8, s58, v5
	v_mov_b32_e32 v5, v0
	s_branch .LBB130_26
.LBB130_25:                             ;   in Loop: Header=BB130_26 Depth=2
	s_or_b64 exec, exec, s[16:17]
	v_add_u32_e32 v8, v8, v3
	v_mov_b32_e32 v4, v35
	s_andn2_b64 exec, exec, s[20:21]
	s_cbranch_execz .LBB130_36
.LBB130_26:                             ;   Parent Loop BB130_21 Depth=1
                                        ; =>  This Inner Loop Header: Depth=2
	v_add_u32_e32 v5, v5, v2
	v_cmp_gt_u32_e64 s[14:15], s56, v5
	v_cmp_le_u32_e32 vcc, s56, v5
	s_waitcnt lgkmcnt(0)
	v_mov_b32_e32 v36, 0
	v_mov_b32_e32 v35, 0
	s_and_saveexec_b64 s[16:17], s[14:15]
	s_cbranch_execz .LBB130_28
; %bb.27:                               ;   in Loop: Header=BB130_26 Depth=2
	v_lshlrev_b64 v[38:39], 1, v[8:9]
	v_add_co_u32_e64 v38, s[14:15], s57, v38
	v_addc_co_u32_e64 v39, s[14:15], v7, v39, s[14:15]
	global_load_ushort v35, v[38:39], off
.LBB130_28:                             ;   in Loop: Header=BB130_26 Depth=2
	s_or_b64 exec, exec, s[16:17]
	s_waitcnt vmcnt(0)
	v_cmp_lt_i16_e64 s[14:15], -1, v4
	v_cndmask_b32_e64 v37, v29, v30, s[14:15]
	v_xor_b32_sdwa v37, v37, v4 dst_sel:DWORD dst_unused:UNUSED_PAD src0_sel:DWORD src1_sel:WORD_0
	v_cmp_o_f16_e64 s[14:15], v4, v4
	v_cndmask_b32_e64 v37, v29, v37, s[14:15]
	v_and_b32_e32 v37, s1, v37
	v_cmp_eq_u32_e64 s[14:15], s2, v37
	s_cmp_lg_u64 s[14:15], 0
	s_cselect_b64 s[8:9], -1, 0
	s_and_b64 s[8:9], s[4:5], s[8:9]
	s_and_saveexec_b64 s[22:23], s[8:9]
	s_cbranch_execz .LBB130_32
; %bb.29:                               ;   in Loop: Header=BB130_26 Depth=2
	s_mov_b64 s[26:27], exec
	v_mbcnt_lo_u32_b32 v36, s26, 0
	v_mbcnt_hi_u32_b32 v36, s27, v36
	s_bcnt1_i32_b64 s8, s[14:15]
	v_cmp_eq_u32_e64 s[16:17], 0, v36
                                        ; implicit-def: $vgpr37
	s_and_saveexec_b64 s[24:25], s[16:17]
	s_cbranch_execz .LBB130_31
; %bb.30:                               ;   in Loop: Header=BB130_26 Depth=2
	s_bcnt1_i32_b64 s9, s[26:27]
	s_mul_i32 s9, s8, s9
	v_mov_b32_e32 v37, s9
	ds_add_rtn_u32 v37, v9, v37 offset:4112
.LBB130_31:                             ;   in Loop: Header=BB130_26 Depth=2
	s_or_b64 exec, exec, s[24:25]
	s_waitcnt lgkmcnt(0)
	v_readfirstlane_b32 s9, v37
	v_mov_b32_e32 v37, s9
	v_mad_u32_u24 v36, s8, v36, v37
.LBB130_32:                             ;   in Loop: Header=BB130_26 Depth=2
	s_or_b64 exec, exec, s[22:23]
	ds_bpermute_b32 v36, v20, v36
	s_and_b64 s[8:9], exec, vcc
	s_or_b64 s[20:21], s[8:9], s[20:21]
	s_and_saveexec_b64 s[16:17], s[14:15]
	s_cbranch_execz .LBB130_25
; %bb.33:                               ;   in Loop: Header=BB130_26 Depth=2
	v_and_b32_e32 v38, s14, v12
	v_and_b32_e32 v37, s15, v1
	v_bcnt_u32_b32 v38, v38, 0
	v_bcnt_u32_b32 v37, v37, v38
	v_lshlrev_b32_e32 v37, 1, v37
	s_waitcnt lgkmcnt(0)
	v_lshl_add_u32 v36, v36, 1, v37
	ds_write_b16 v36, v4
	s_branch .LBB130_25
.LBB130_34:                             ;   in Loop: Header=BB130_21 Depth=1
	s_mov_b64 s[14:15], 0
                                        ; implicit-def: $sgpr77
	s_cbranch_execnz .LBB130_39
	s_branch .LBB130_49
.LBB130_35:                             ;   in Loop: Header=BB130_21 Depth=1
	s_mov_b32 s77, 0
	s_and_b64 vcc, exec, s[18:19]
	s_cbranch_vccnz .LBB130_39
	s_branch .LBB130_49
.LBB130_36:                             ;   in Loop: Header=BB130_21 Depth=1
	s_or_b64 exec, exec, s[20:21]
	s_waitcnt lgkmcnt(0)
	s_barrier
	s_mov_b64 s[14:15], exec
	v_readlane_b32 s8, v52, 23
	v_readlane_b32 s9, v52, 24
	s_and_b64 s[8:9], s[14:15], s[8:9]
	s_mov_b64 exec, s[8:9]
	s_cbranch_execz .LBB130_38
; %bb.37:                               ;   in Loop: Header=BB130_21 Depth=1
	ds_read_b32 v2, v9 offset:4112
	s_waitcnt lgkmcnt(0)
	ds_write_b32 v9, v2 offset:4104
.LBB130_38:                             ;   in Loop: Header=BB130_21 Depth=1
	s_or_b64 exec, exec, s[14:15]
	s_waitcnt lgkmcnt(0)
	s_barrier
	s_mov_b64 s[14:15], -1
	s_mov_b32 s77, 0
	s_and_b64 vcc, exec, s[18:19]
	s_cbranch_vccz .LBB130_49
.LBB130_39:                             ;   in Loop: Header=BB130_21 Depth=1
	v_mov_b32_e32 v2, 0
	s_mov_b64 s[14:15], exec
	v_readlane_b32 s8, v52, 21
	v_readlane_b32 s9, v52, 22
	s_and_b64 s[8:9], s[14:15], s[8:9]
	s_mov_b64 exec, s[8:9]
	s_cbranch_execz .LBB130_41
; %bb.40:                               ;   in Loop: Header=BB130_21 Depth=1
	global_load_ushort v2, v[10:11], off
.LBB130_41:                             ;   in Loop: Header=BB130_21 Depth=1
	s_or_b64 exec, exec, s[14:15]
	s_mov_b64 s[16:17], exec
	v_readlane_b32 s8, v52, 21
	v_readlane_b32 s9, v52, 22
	s_and_b64 s[8:9], s[16:17], s[8:9]
	s_mov_b64 exec, s[8:9]
	s_cbranch_execz .LBB130_46
; %bb.42:                               ;   in Loop: Header=BB130_21 Depth=1
	v_readlane_b32 s8, v52, 30
	v_readlane_b32 s9, v52, 31
	s_mov_b64 s[18:19], 0
	v_mov_b32_e32 v4, v17
	v_mov_b32_e32 v36, v0
	s_nop 1
	global_load_ushort v3, v9, s[8:9]
	s_waitcnt vmcnt(0)
	v_add_u32_e32 v8, v0, v3
	v_lshlrev_b32_e32 v5, 1, v3
	v_mul_lo_u32 v35, s58, v3
	v_mul_lo_u32 v8, s58, v8
	s_branch .LBB130_44
.LBB130_43:                             ;   in Loop: Header=BB130_44 Depth=2
	s_or_b64 exec, exec, s[20:21]
	s_and_b64 s[8:9], exec, vcc
	s_or_b64 s[18:19], s[8:9], s[18:19]
	ds_write_b16 v4, v2
	v_add_u32_e32 v4, v4, v5
	v_add_u32_e32 v8, v8, v35
	s_waitcnt vmcnt(0)
	v_mov_b32_e32 v2, v37
	s_andn2_b64 exec, exec, s[18:19]
	s_cbranch_execz .LBB130_46
.LBB130_44:                             ;   Parent Loop BB130_21 Depth=1
                                        ; =>  This Inner Loop Header: Depth=2
	v_add_u32_e32 v36, v36, v3
	v_cmp_gt_u32_e64 s[14:15], s56, v36
	v_cmp_le_u32_e32 vcc, s56, v36
	v_mov_b32_e32 v37, 0
	s_and_saveexec_b64 s[20:21], s[14:15]
	s_cbranch_execz .LBB130_43
; %bb.45:                               ;   in Loop: Header=BB130_44 Depth=2
	v_lshlrev_b64 v[38:39], 1, v[8:9]
	v_mov_b32_e32 v37, s90
	v_add_co_u32_e64 v38, s[14:15], s57, v38
	v_addc_co_u32_e64 v39, s[14:15], v37, v39, s[14:15]
	global_load_ushort v37, v[38:39], off
	s_branch .LBB130_43
.LBB130_46:                             ;   in Loop: Header=BB130_21 Depth=1
	s_or_b64 exec, exec, s[16:17]
	s_waitcnt lgkmcnt(0)
	s_barrier
	s_mov_b64 s[14:15], exec
	v_readlane_b32 s8, v52, 23
	v_readlane_b32 s9, v52, 24
	s_and_b64 s[8:9], s[14:15], s[8:9]
	s_mov_b64 exec, s[8:9]
	s_cbranch_execz .LBB130_48
; %bb.47:                               ;   in Loop: Header=BB130_21 Depth=1
	s_waitcnt vmcnt(0)
	v_mov_b32_e32 v2, s56
	ds_write_b32 v9, v2 offset:4104
.LBB130_48:                             ;   in Loop: Header=BB130_21 Depth=1
	s_or_b64 exec, exec, s[14:15]
	s_mov_b64 s[14:15], -1
	s_waitcnt lgkmcnt(0)
	s_barrier
                                        ; implicit-def: $sgpr77
.LBB130_49:                             ;   in Loop: Header=BB130_21 Depth=1
	s_and_b64 vcc, exec, s[14:15]
	s_cbranch_vccz .LBB130_51
; %bb.50:                               ;   in Loop: Header=BB130_21 Depth=1
	s_waitcnt vmcnt(0)
	ds_read_b32 v2, v9 offset:4104
	s_waitcnt lgkmcnt(0)
	v_readfirstlane_b32 s77, v2
.LBB130_51:                             ;   in Loop: Header=BB130_21 Depth=1
	s_cmp_lt_i32 s77, 1
	s_cbranch_scc0 .LBB130_63
; %bb.52:                               ;   in Loop: Header=BB130_21 Depth=1
	s_waitcnt vmcnt(0)
	v_mov_b32_e32 v2, 0
	s_mov_b32 s48, 0
	v_mov_b32_e32 v3, 0
	v_mov_b32_e32 v4, v2
	;; [unrolled: 1-line block ×3, first 2 shown]
	s_mov_b64 s[44:45], exec
	v_readlane_b32 s8, v52, 44
	v_readlane_b32 s9, v52, 45
	s_and_b64 s[8:9], s[44:45], s[8:9]
	s_mov_b64 exec, s[8:9]
	s_cbranch_execz .LBB130_56
; %bb.53:                               ;   in Loop: Header=BB130_21 Depth=1
	s_and_b32 s49, s81, 0xfe
	s_mov_b64 s[46:47], 0
	s_mov_b32 s50, 0
	s_mov_b32 s51, 0
	;; [unrolled: 1-line block ×4, first 2 shown]
	v_mov_b32_e32 v35, v16
.LBB130_54:                             ;   Parent Loop BB130_21 Depth=1
                                        ; =>  This Inner Loop Header: Depth=2
	v_add_u32_e32 v8, s48, v25
	v_lshlrev_b64 v[2:3], 1, v[8:9]
	v_mov_b32_e32 v38, s90
	v_add_u32_e32 v8, s48, v22
	v_add_co_u32_e64 v2, s[14:15], s57, v2
	v_lshlrev_b64 v[4:5], 1, v[8:9]
	v_addc_co_u32_e64 v3, s[14:15], v38, v3, s[14:15]
	v_add_u32_e32 v8, s48, v23
	global_load_ushort v39, v[2:3], off
	v_add_co_u32_e64 v2, s[14:15], s57, v4
	v_lshlrev_b64 v[36:37], 1, v[8:9]
	v_add_u32_e32 v8, s48, v24
	v_addc_co_u32_e64 v3, s[14:15], v38, v5, s[14:15]
	v_lshlrev_b64 v[4:5], 1, v[8:9]
	global_load_ushort v8, v[2:3], off
	v_add_co_u32_e64 v2, s[14:15], s57, v36
	v_addc_co_u32_e64 v3, s[14:15], v38, v37, s[14:15]
	global_load_ushort v36, v[2:3], off
	v_add_co_u32_e64 v2, s[14:15], s57, v4
	v_addc_co_u32_e64 v3, s[14:15], v38, v5, s[14:15]
	global_load_ushort v2, v[2:3], off
	v_add_u32_e32 v35, s93, v35
	v_cmp_le_u32_e32 vcc, s85, v35
	s_add_i32 s48, s48, s33
	s_waitcnt vmcnt(3)
	v_cmp_lt_i16_e64 s[14:15], -1, v39
	v_cndmask_b32_e64 v3, v29, v30, s[14:15]
	v_xor_b32_sdwa v3, v3, v39 dst_sel:DWORD dst_unused:UNUSED_PAD src0_sel:DWORD src1_sel:WORD_0
	s_waitcnt vmcnt(2)
	v_cmp_lt_i16_e64 s[14:15], -1, v8
	v_cndmask_b32_e64 v4, v29, v30, s[14:15]
	v_cmp_o_f16_e64 s[14:15], v39, v39
	v_cndmask_b32_e64 v3, v29, v3, s[14:15]
	v_xor_b32_sdwa v4, v4, v8 dst_sel:DWORD dst_unused:UNUSED_PAD src0_sel:DWORD src1_sel:WORD_0
	s_waitcnt vmcnt(1)
	v_cmp_lt_i16_e64 s[14:15], -1, v36
	v_cndmask_b32_e64 v5, v29, v30, s[14:15]
	v_cmp_o_f16_e64 s[14:15], v8, v8
	v_cndmask_b32_e64 v4, v29, v4, s[14:15]
	v_xor_b32_sdwa v5, v5, v36 dst_sel:DWORD dst_unused:UNUSED_PAD src0_sel:DWORD src1_sel:WORD_0
	s_waitcnt vmcnt(0)
	v_cmp_lt_i16_e64 s[14:15], -1, v2
	v_cndmask_b32_e64 v8, v29, v30, s[14:15]
	v_and_b32_e32 v37, s1, v3
	v_bfe_u32 v3, v3, s49, 2
	v_cmp_o_f16_e64 s[14:15], v36, v36
	v_cndmask_b32_e64 v5, v29, v5, s[14:15]
	v_cmp_eq_u32_e64 s[14:15], s2, v37
	v_cmp_eq_u32_e64 s[16:17], 0, v3
	v_and_b32_e32 v36, s1, v4
	v_bfe_u32 v4, v4, s49, 2
	v_cmp_eq_u32_e64 s[18:19], 1, v3
	s_and_b64 s[8:9], s[14:15], s[16:17]
	v_xor_b32_sdwa v8, v8, v2 dst_sel:DWORD dst_unused:UNUSED_PAD src0_sel:DWORD src1_sel:WORD_0
	v_cmp_eq_u32_e64 s[20:21], 2, v3
	v_cmp_o_f16_e64 s[24:25], v2, v2
	v_cmp_eq_u32_e64 s[26:27], 0, v4
	v_cmp_eq_u32_e64 s[28:29], 1, v4
	;; [unrolled: 1-line block ×4, first 2 shown]
	v_cndmask_b32_e64 v4, 0, 1, s[8:9]
	s_and_b64 s[8:9], s[14:15], s[18:19]
	v_cmp_eq_u32_e64 s[22:23], 3, v3
	v_cndmask_b32_e64 v2, v29, v8, s[24:25]
	v_cndmask_b32_e64 v8, 0, 1, s[8:9]
	s_and_b64 s[8:9], s[14:15], s[20:21]
	v_cmp_eq_u32_e64 s[24:25], s2, v36
	v_cndmask_b32_e64 v36, 0, 1, s[8:9]
	s_and_b64 s[8:9], s[14:15], s[22:23]
	v_cndmask_b32_e64 v37, 0, 1, s[8:9]
	s_and_b64 s[8:9], s[24:25], s[26:27]
	v_and_b32_e32 v3, s1, v5
	v_bfe_u32 v5, v5, s49, 2
	v_cmp_ne_u32_e64 s[36:37], 0, v4
	v_cndmask_b32_e64 v4, 0, 1, s[8:9]
	s_and_b64 s[8:9], s[24:25], s[28:29]
	v_cmp_eq_u32_e64 s[16:17], 0, v5
	v_cmp_eq_u32_e64 s[18:19], 1, v5
	;; [unrolled: 1-line block ×4, first 2 shown]
	v_cndmask_b32_e64 v5, 0, 1, s[8:9]
	s_and_b64 s[8:9], s[24:25], s[30:31]
	v_cmp_eq_u32_e64 s[14:15], s2, v3
	v_cmp_ne_u32_e64 s[26:27], 0, v8
	v_cndmask_b32_e64 v8, 0, 1, s[8:9]
	s_and_b64 s[8:9], s[24:25], s[34:35]
	v_and_b32_e32 v3, s1, v2
	v_bfe_u32 v2, v2, s49, 2
	v_cmp_ne_u32_e64 s[28:29], 0, v36
	v_cndmask_b32_e64 v36, 0, 1, s[8:9]
	s_and_b64 s[8:9], s[14:15], s[16:17]
	v_cmp_eq_u32_e64 s[34:35], 0, v2
	v_cmp_eq_u32_e64 s[38:39], 1, v2
	;; [unrolled: 1-line block ×4, first 2 shown]
	v_cndmask_b32_e64 v2, 0, 1, s[8:9]
	s_and_b64 s[8:9], s[14:15], s[18:19]
	v_cmp_eq_u32_e64 s[24:25], s2, v3
	v_cndmask_b32_e64 v3, 0, 1, s[8:9]
	s_and_b64 s[8:9], s[14:15], s[20:21]
	s_bcnt1_i32_b64 s54, s[36:37]
	v_cmp_ne_u32_e64 s[36:37], 0, v4
	v_cndmask_b32_e64 v4, 0, 1, s[8:9]
	s_and_b64 s[8:9], s[14:15], s[22:23]
	v_cmp_ne_u32_e64 s[16:17], 0, v5
	v_cndmask_b32_e64 v5, 0, 1, s[8:9]
	s_and_b64 s[8:9], s[24:25], s[34:35]
	;; [unrolled: 3-line block ×3, first 2 shown]
	v_cmp_ne_u32_e64 s[30:31], 0, v37
	s_bcnt1_i32_b64 s26, s[26:27]
	s_bcnt1_i32_b64 s27, s[28:29]
	v_cmp_ne_u32_e64 s[18:19], 0, v8
	s_bcnt1_i32_b64 s29, s[16:17]
	v_cmp_ne_u32_e64 s[16:17], 0, v3
	v_cndmask_b32_e64 v3, 0, 1, s[8:9]
	s_and_b64 s[8:9], s[24:25], s[40:41]
	s_bcnt1_i32_b64 s28, s[30:31]
	v_cmp_ne_u32_e64 s[20:21], 0, v36
	s_bcnt1_i32_b64 s30, s[18:19]
	v_cmp_ne_u32_e64 s[18:19], 0, v4
	v_cndmask_b32_e64 v4, 0, 1, s[8:9]
	s_and_b64 s[8:9], s[24:25], s[42:43]
	s_bcnt1_i32_b64 s22, s[36:37]
	s_add_i32 s23, s53, s54
	s_add_i32 s26, s52, s26
	;; [unrolled: 1-line block ×3, first 2 shown]
	s_bcnt1_i32_b64 s31, s[20:21]
	v_cmp_ne_u32_e64 s[20:21], 0, v5
	v_cndmask_b32_e64 v5, 0, 1, s[8:9]
	s_add_i32 s8, s50, s28
	s_bcnt1_i32_b64 s9, s[14:15]
	v_cmp_ne_u32_e64 s[14:15], 0, v2
	s_add_i32 s22, s23, s22
	s_bcnt1_i32_b64 s23, s[16:17]
	v_cmp_ne_u32_e64 s[16:17], 0, v3
	;; [unrolled: 3-line block ×4, first 2 shown]
	s_add_i32 s8, s8, s31
	s_bcnt1_i32_b64 s14, s[14:15]
	s_add_i32 s9, s22, s9
	s_bcnt1_i32_b64 s15, s[16:17]
	;; [unrolled: 2-line block ×4, first 2 shown]
	s_add_i32 s8, s8, s27
	s_add_i32 s53, s9, s14
	;; [unrolled: 1-line block ×5, first 2 shown]
	s_or_b64 s[46:47], vcc, s[46:47]
	v_mov_b32_e32 v2, s53
	v_mov_b32_e32 v3, s52
	;; [unrolled: 1-line block ×4, first 2 shown]
	s_andn2_b64 exec, exec, s[46:47]
	s_cbranch_execnz .LBB130_54
; %bb.55:                               ;   in Loop: Header=BB130_21 Depth=1
	s_or_b64 exec, exec, s[46:47]
.LBB130_56:                             ;   in Loop: Header=BB130_21 Depth=1
	s_or_b64 exec, exec, s[44:45]
	v_mov_b32_e32 v35, 0
	s_and_saveexec_b64 s[14:15], s[10:11]
	s_cbranch_execz .LBB130_58
; %bb.57:                               ;   in Loop: Header=BB130_21 Depth=1
	global_load_ushort v35, v[14:15], off
.LBB130_58:                             ;   in Loop: Header=BB130_21 Depth=1
	s_or_b64 exec, exec, s[14:15]
	s_mov_b64 s[16:17], 0
	s_mov_b64 s[70:71], 0
	s_and_saveexec_b64 s[18:19], s[10:11]
	s_cbranch_execz .LBB130_65
; %bb.59:                               ;   in Loop: Header=BB130_21 Depth=1
	s_and_b32 s8, s81, 0xfe
	s_mov_b64 s[20:21], 0
	v_mov_b32_e32 v8, v26
	v_mov_b32_e32 v36, v21
	s_branch .LBB130_61
.LBB130_60:                             ;   in Loop: Header=BB130_61 Depth=2
	s_or_b64 exec, exec, s[22:23]
	s_and_b64 s[14:15], exec, vcc
	s_waitcnt vmcnt(0)
	v_cmp_lt_i16_e32 vcc, -1, v35
	v_cndmask_b32_e32 v38, v29, v30, vcc
	v_xor_b32_sdwa v38, v38, v35 dst_sel:DWORD dst_unused:UNUSED_PAD src0_sel:DWORD src1_sel:WORD_0
	v_cmp_o_f16_e32 vcc, v35, v35
	v_cndmask_b32_e32 v35, v29, v38, vcc
	v_and_b32_e32 v38, s1, v35
	v_bfe_u32 v35, v35, s8, 2
	s_or_b64 s[20:21], s[14:15], s[20:21]
	v_cmp_eq_u32_e32 vcc, s2, v38
	v_cmp_eq_u32_e64 s[14:15], 0, v35
	s_and_b64 s[14:15], vcc, s[14:15]
	v_cndmask_b32_e64 v38, 0, 1, s[14:15]
	v_cmp_ne_u32_e64 s[14:15], 0, v38
	s_bcnt1_i32_b64 s9, s[14:15]
	v_cmp_eq_u32_e64 s[14:15], 1, v35
	s_and_b64 s[14:15], vcc, s[14:15]
	v_cndmask_b32_e64 v38, 0, 1, s[14:15]
	v_cmp_ne_u32_e64 s[14:15], 0, v38
	v_add_u32_e32 v2, s9, v2
	s_bcnt1_i32_b64 s9, s[14:15]
	v_cmp_eq_u32_e64 s[14:15], 2, v35
	s_and_b64 s[14:15], vcc, s[14:15]
	v_cndmask_b32_e64 v38, 0, 1, s[14:15]
	v_cmp_ne_u32_e64 s[14:15], 0, v38
	v_add_u32_e32 v3, s9, v3
	s_bcnt1_i32_b64 s9, s[14:15]
	v_cmp_eq_u32_e64 s[14:15], 3, v35
	s_and_b64 s[14:15], vcc, s[14:15]
	v_cndmask_b32_e64 v35, 0, 1, s[14:15]
	v_cmp_ne_u32_e32 vcc, 0, v35
	v_add_u32_e32 v4, s9, v4
	s_bcnt1_i32_b64 s9, vcc
	v_add_u32_e32 v5, s9, v5
	v_add_u32_e32 v8, s91, v8
	v_mov_b32_e32 v35, v37
	s_andn2_b64 exec, exec, s[20:21]
	s_cbranch_execz .LBB130_64
.LBB130_61:                             ;   Parent Loop BB130_21 Depth=1
                                        ; =>  This Inner Loop Header: Depth=2
	v_add_u32_e32 v36, s59, v36
	v_cmp_gt_u32_e64 s[14:15], s56, v36
	v_cmp_le_u32_e32 vcc, s56, v36
	v_mov_b32_e32 v37, 0
	s_and_saveexec_b64 s[22:23], s[14:15]
	s_cbranch_execz .LBB130_60
; %bb.62:                               ;   in Loop: Header=BB130_61 Depth=2
	v_lshlrev_b64 v[38:39], 1, v[8:9]
	v_mov_b32_e32 v37, s90
	v_add_co_u32_e64 v38, s[14:15], s57, v38
	v_addc_co_u32_e64 v39, s[14:15], v37, v39, s[14:15]
	global_load_ushort v37, v[38:39], off
	s_branch .LBB130_60
.LBB130_63:                             ;   in Loop: Header=BB130_21 Depth=1
	s_mov_b64 s[70:71], 0
                                        ; implicit-def: $vgpr5
	s_cbranch_execnz .LBB130_66
	s_branch .LBB130_75
.LBB130_64:                             ;   in Loop: Header=BB130_21 Depth=1
	s_or_b64 exec, exec, s[20:21]
	s_mov_b64 s[70:71], exec
.LBB130_65:                             ;   in Loop: Header=BB130_21 Depth=1
	s_or_b64 exec, exec, s[18:19]
	s_and_b64 vcc, exec, s[16:17]
	s_cbranch_vccz .LBB130_75
.LBB130_66:                             ;   in Loop: Header=BB130_21 Depth=1
	s_mul_hi_u32 s8, s77, s84
	s_mul_i32 s8, s8, s93
	s_sub_i32 s8, s77, s8
	s_sub_i32 s9, s8, s93
	s_cmp_ge_u32 s8, s93
	s_cselect_b32 s8, s9, s8
	s_sub_i32 s9, s8, s93
	s_cmp_ge_u32 s8, s93
	s_cselect_b32 s8, s9, s8
	s_sub_i32 s92, s77, s8
	v_cmp_gt_u32_e32 vcc, s92, v16
	s_mov_b32 s82, 0
	s_waitcnt vmcnt(0)
	v_mov_b32_e32 v2, 0
	v_mov_b32_e32 v3, 0
	;; [unrolled: 1-line block ×4, first 2 shown]
	s_and_saveexec_b64 s[74:75], vcc
	s_cbranch_execz .LBB130_70
; %bb.67:                               ;   in Loop: Header=BB130_21 Depth=1
	s_and_b32 s86, s81, 0xfe
	s_mov_b64 s[88:89], 0
	v_mov_b32_e32 v8, v27
	s_mov_b32 s83, 0
	s_mov_b32 s8, 0
	;; [unrolled: 1-line block ×3, first 2 shown]
	v_mov_b32_e32 v35, v16
.LBB130_68:                             ;   Parent Loop BB130_21 Depth=1
                                        ; =>  This Inner Loop Header: Depth=2
	ds_read_b64 v[2:3], v8
	v_add_u32_e32 v35, s93, v35
	v_cmp_le_u32_e32 vcc, s92, v35
	v_add_u32_e32 v8, s12, v8
	s_waitcnt lgkmcnt(0)
	v_cmp_lt_i16_e64 s[14:15], -1, v2
	v_cndmask_b32_e64 v4, v29, v30, s[14:15]
	v_cmp_gt_i16_sdwa s[14:15], v2, v31 src0_sel:WORD_1 src1_sel:DWORD
	v_cndmask_b32_e64 v5, v29, v30, s[14:15]
	v_cmp_lt_i16_e64 s[14:15], -1, v3
	v_cndmask_b32_e64 v36, v29, v30, s[14:15]
	v_cmp_gt_i16_sdwa s[14:15], v3, v31 src0_sel:WORD_1 src1_sel:DWORD
	v_cndmask_b32_e64 v37, v29, v30, s[14:15]
	v_xor_b32_sdwa v36, v36, v3 dst_sel:DWORD dst_unused:UNUSED_PAD src0_sel:DWORD src1_sel:WORD_0
	v_cmp_o_f16_e64 s[16:17], v3, v3
	v_xor_b32_sdwa v37, v37, v3 dst_sel:DWORD dst_unused:UNUSED_PAD src0_sel:DWORD src1_sel:WORD_1
	v_cmp_o_f16_sdwa s[18:19], v3, v3 src0_sel:WORD_1 src1_sel:WORD_1
	v_xor_b32_sdwa v3, v4, v2 dst_sel:DWORD dst_unused:UNUSED_PAD src0_sel:DWORD src1_sel:WORD_0
	v_cmp_o_f16_e64 s[20:21], v2, v2
	v_xor_b32_sdwa v5, v5, v2 dst_sel:DWORD dst_unused:UNUSED_PAD src0_sel:DWORD src1_sel:WORD_1
	v_cmp_o_f16_sdwa s[14:15], v2, v2 src0_sel:WORD_1 src1_sel:WORD_1
	v_cndmask_b32_e64 v2, v29, v3, s[20:21]
	v_cndmask_b32_e64 v3, v29, v5, s[14:15]
	;; [unrolled: 1-line block ×3, first 2 shown]
	v_and_b32_e32 v36, s1, v2
	v_bfe_u32 v2, v2, s86, 2
	v_cndmask_b32_e64 v5, v29, v37, s[18:19]
	v_and_b32_e32 v37, s1, v3
	v_bfe_u32 v3, v3, s86, 2
	v_cmp_eq_u32_e64 s[14:15], s2, v36
	v_cmp_eq_u32_e64 s[22:23], 0, v2
	v_and_b32_e32 v38, s1, v4
	v_bfe_u32 v4, v4, s86, 2
	v_cmp_eq_u32_e64 s[16:17], s2, v37
	v_cmp_eq_u32_e64 s[24:25], 0, v3
	s_and_b64 s[22:23], s[14:15], s[22:23]
	v_and_b32_e32 v39, s1, v5
	v_bfe_u32 v5, v5, s86, 2
	v_cmp_eq_u32_e64 s[18:19], s2, v38
	v_cmp_eq_u32_e64 s[26:27], 0, v4
	;; [unrolled: 1-line block ×5, first 2 shown]
	v_cndmask_b32_e64 v2, 0, 1, s[22:23]
	s_and_b64 s[22:23], s[16:17], s[24:25]
	v_cmp_eq_u32_e64 s[20:21], s2, v39
	v_cmp_eq_u32_e64 s[28:29], 0, v5
	v_cmp_eq_u32_e64 s[34:35], 1, v3
	v_cmp_eq_u32_e64 s[42:43], 2, v3
	v_cmp_eq_u32_e64 s[50:51], 3, v3
	v_cndmask_b32_e64 v3, 0, 1, s[22:23]
	s_and_b64 s[22:23], s[18:19], s[26:27]
	v_cmp_eq_u32_e64 s[36:37], 1, v4
	v_cmp_eq_u32_e64 s[44:45], 2, v4
	;; [unrolled: 1-line block ×3, first 2 shown]
	v_cndmask_b32_e64 v4, 0, 1, s[22:23]
	s_and_b64 s[22:23], s[20:21], s[28:29]
	v_cmp_eq_u32_e64 s[38:39], 1, v5
	v_cmp_eq_u32_e64 s[46:47], 2, v5
	;; [unrolled: 1-line block ×3, first 2 shown]
	v_cndmask_b32_e64 v5, 0, 1, s[22:23]
	s_and_b64 s[22:23], s[14:15], s[30:31]
	v_cndmask_b32_e64 v36, 0, 1, s[22:23]
	s_and_b64 s[22:23], s[16:17], s[34:35]
	;; [unrolled: 2-line block ×5, first 2 shown]
	s_and_b64 s[14:15], s[14:15], s[48:49]
	v_cndmask_b32_e64 v40, 0, 1, s[22:23]
	s_and_b64 s[22:23], s[16:17], s[42:43]
	v_cndmask_b32_e64 v44, 0, 1, s[14:15]
	;; [unrolled: 2-line block ×7, first 2 shown]
	v_cndmask_b32_e64 v47, 0, 1, s[14:15]
	v_cmp_ne_u32_e64 s[14:15], 0, v2
	v_cmp_ne_u32_e64 s[16:17], 0, v3
	;; [unrolled: 1-line block ×11, first 2 shown]
	s_bcnt1_i32_b64 s14, s[14:15]
	s_bcnt1_i32_b64 s15, s[16:17]
	;; [unrolled: 1-line block ×8, first 2 shown]
	v_cmp_ne_u32_e64 s[28:29], 0, v39
	v_cmp_ne_u32_e64 s[36:37], 0, v42
	;; [unrolled: 1-line block ×3, first 2 shown]
	s_bcnt1_i32_b64 s19, s[24:25]
	s_bcnt1_i32_b64 s23, s[34:35]
	s_bcnt1_i32_b64 s27, s[42:43]
	s_add_i32 s9, s9, s14
	s_add_i32 s8, s8, s18
	;; [unrolled: 1-line block ×4, first 2 shown]
	v_cmp_ne_u32_e64 s[38:39], 0, v43
	v_cmp_ne_u32_e64 s[46:47], 0, v47
	s_bcnt1_i32_b64 s21, s[28:29]
	s_bcnt1_i32_b64 s24, s[36:37]
	;; [unrolled: 1-line block ×3, first 2 shown]
	s_add_i32 s9, s9, s15
	s_add_i32 s8, s8, s19
	s_add_i32 s14, s14, s23
	s_add_i32 s15, s18, s27
	s_bcnt1_i32_b64 s25, s[38:39]
	s_bcnt1_i32_b64 s29, s[46:47]
	s_add_i32 s9, s9, s16
	s_add_i32 s8, s8, s20
	;; [unrolled: 1-line block ×8, first 2 shown]
	s_or_b64 s[88:89], vcc, s[88:89]
	v_mov_b32_e32 v2, s9
	v_mov_b32_e32 v3, s8
	;; [unrolled: 1-line block ×4, first 2 shown]
	s_andn2_b64 exec, exec, s[88:89]
	s_cbranch_execnz .LBB130_68
; %bb.69:                               ;   in Loop: Header=BB130_21 Depth=1
	s_or_b64 exec, exec, s[88:89]
.LBB130_70:                             ;   in Loop: Header=BB130_21 Depth=1
	s_or_b64 exec, exec, s[74:75]
	v_add_u32_e32 v8, s92, v0
	v_cmp_gt_u32_e32 vcc, s77, v8
	s_and_saveexec_b64 s[24:25], vcc
	s_cbranch_execz .LBB130_74
; %bb.71:                               ;   in Loop: Header=BB130_21 Depth=1
	s_and_b32 s8, s81, 0xfe
	v_lshlrev_b32_e32 v35, 1, v8
	s_mov_b64 s[26:27], 0
.LBB130_72:                             ;   Parent Loop BB130_21 Depth=1
                                        ; =>  This Inner Loop Header: Depth=2
	ds_read_u16 v36, v35
	v_add_u32_e32 v8, s59, v8
	v_cmp_le_u32_e32 vcc, s77, v8
	v_add_u32_e32 v35, s13, v35
	s_waitcnt lgkmcnt(0)
	v_cmp_lt_i16_e64 s[14:15], -1, v36
	v_cndmask_b32_e64 v37, v29, v30, s[14:15]
	v_xor_b32_sdwa v37, v37, v36 dst_sel:DWORD dst_unused:UNUSED_PAD src0_sel:DWORD src1_sel:WORD_0
	v_cmp_o_f16_e64 s[14:15], v36, v36
	v_cndmask_b32_e64 v36, v29, v37, s[14:15]
	v_and_b32_e32 v37, s1, v36
	v_bfe_u32 v36, v36, s8, 2
	v_cmp_eq_u32_e64 s[14:15], s2, v37
	v_cmp_eq_u32_e64 s[16:17], 0, v36
	;; [unrolled: 1-line block ×3, first 2 shown]
	s_and_b64 s[16:17], s[14:15], s[16:17]
	v_cmp_eq_u32_e64 s[20:21], 2, v36
	v_cmp_eq_u32_e64 s[22:23], 3, v36
	v_cndmask_b32_e64 v36, 0, 1, s[16:17]
	s_and_b64 s[16:17], s[14:15], s[18:19]
	v_cndmask_b32_e64 v37, 0, 1, s[16:17]
	s_and_b64 s[16:17], s[14:15], s[20:21]
	s_and_b64 s[14:15], s[14:15], s[22:23]
	v_cndmask_b32_e64 v38, 0, 1, s[16:17]
	v_cndmask_b32_e64 v39, 0, 1, s[14:15]
	v_cmp_ne_u32_e64 s[14:15], 0, v36
	v_cmp_ne_u32_e64 s[16:17], 0, v37
	;; [unrolled: 1-line block ×4, first 2 shown]
	s_bcnt1_i32_b64 s9, s[14:15]
	s_bcnt1_i32_b64 s14, s[16:17]
	;; [unrolled: 1-line block ×4, first 2 shown]
	v_add_u32_e32 v2, s9, v2
	v_add_u32_e32 v3, s14, v3
	;; [unrolled: 1-line block ×3, first 2 shown]
	s_or_b64 s[26:27], vcc, s[26:27]
	v_add_u32_e32 v5, s16, v5
	s_andn2_b64 exec, exec, s[26:27]
	s_cbranch_execnz .LBB130_72
; %bb.73:                               ;   in Loop: Header=BB130_21 Depth=1
	s_or_b64 exec, exec, s[26:27]
	s_or_b64 s[70:71], s[70:71], exec
.LBB130_74:                             ;   in Loop: Header=BB130_21 Depth=1
	s_or_b64 exec, exec, s[24:25]
.LBB130_75:                             ;   in Loop: Header=BB130_21 Depth=1
	s_and_saveexec_b64 s[14:15], s[70:71]
	s_or_b64 exec, exec, s[14:15]
	s_lshl_b32 s8, s0, 6
	s_and_saveexec_b64 s[14:15], s[4:5]
	s_cbranch_execz .LBB130_77
; %bb.76:                               ;   in Loop: Header=BB130_21 Depth=1
	v_or_b32_e32 v8, s8, v19
	v_lshlrev_b32_e32 v8, 2, v8
	s_waitcnt vmcnt(0)
	ds_write_b128 v8, v[2:5] offset:3072
.LBB130_77:                             ;   in Loop: Header=BB130_21 Depth=1
	s_or_b64 exec, exec, s[14:15]
	s_waitcnt lgkmcnt(0)
	s_barrier
	s_and_saveexec_b64 s[14:15], s[78:79]
	s_cbranch_execz .LBB130_91
; %bb.78:                               ;   in Loop: Header=BB130_21 Depth=1
	v_readlane_b32 s16, v52, 28
	v_readlane_b32 s17, v52, 29
	v_add_u32_e32 v4, s8, v13
	s_andn2_b64 vcc, exec, s[16:17]
	s_waitcnt vmcnt(0)
	v_mov_b32_e32 v2, 0
	s_cbranch_vccnz .LBB130_90
; %bb.79:                               ;   in Loop: Header=BB130_21 Depth=1
	v_readlane_b32 s16, v52, 32
	v_readlane_b32 s17, v52, 33
	s_mov_b32 s9, 0
	s_and_b64 vcc, exec, s[16:17]
	v_mov_b32_e32 v2, 0
	s_cbranch_vccz .LBB130_83
; %bb.80:                               ;   in Loop: Header=BB130_21 Depth=1
	v_readlane_b32 s16, v52, 34
	v_readlane_b32 s17, v52, 35
	v_lshl_add_u32 v5, v4, 2, v32
	s_andn2_b64 vcc, exec, s[16:17]
	s_cbranch_vccnz .LBB130_84
; %bb.81:                               ;   in Loop: Header=BB130_21 Depth=1
	s_mov_b32 s17, 1
	s_mov_b32 s16, 0
	v_mov_b32_e32 v2, 0
	v_readlane_b32 s9, v52, 36
	v_mov_b32_e32 v3, 0
.LBB130_82:                             ;   Parent Loop BB130_21 Depth=1
                                        ; =>  This Inner Loop Header: Depth=2
	v_lshl_add_u32 v8, s16, 4, v5
	v_lshl_add_u32 v35, s17, 4, v5
	ds_read2_b32 v[36:37], v8 offset1:8
	ds_read2_b32 v[38:39], v35 offset1:8
	ds_read2_b32 v[40:41], v8 offset0:16 offset1:24
	ds_read2_b32 v[42:43], v35 offset0:16 offset1:24
	;; [unrolled: 1-line block ×6, first 2 shown]
	s_waitcnt lgkmcnt(7)
	v_add3_u32 v2, v36, v2, v37
	s_waitcnt lgkmcnt(6)
	v_add3_u32 v3, v38, v3, v39
	;; [unrolled: 2-line block ×3, first 2 shown]
	v_add3_u32 v2, v40, v2, v41
	s_add_i32 s17, s17, 16
	s_add_i32 s16, s16, 16
	s_add_i32 s9, s9, -8
	s_waitcnt lgkmcnt(3)
	v_add3_u32 v2, v44, v2, v45
	s_waitcnt lgkmcnt(2)
	v_add3_u32 v3, v46, v3, v47
	s_cmp_lg_u32 s9, 0
	s_waitcnt lgkmcnt(0)
	v_add3_u32 v3, v50, v3, v51
	v_add3_u32 v2, v48, v2, v49
	s_cbranch_scc1 .LBB130_82
	s_branch .LBB130_85
.LBB130_83:                             ;   in Loop: Header=BB130_21 Depth=1
	s_cbranch_execnz .LBB130_88
	s_branch .LBB130_90
.LBB130_84:                             ;   in Loop: Header=BB130_21 Depth=1
	s_mov_b32 s77, s76
	v_pk_mov_b32 v[2:3], s[76:77], s[76:77] op_sel:[0,1]
	s_mov_b32 s77, 1
	s_mov_b64 s[16:17], s[76:77]
.LBB130_85:                             ;   in Loop: Header=BB130_21 Depth=1
	v_readlane_b32 s18, v52, 38
	v_readlane_b32 s19, v52, 39
	s_andn2_b64 vcc, exec, s[18:19]
	v_readlane_b32 s9, v52, 37
	s_cbranch_vccnz .LBB130_87
.LBB130_86:                             ;   Parent Loop BB130_21 Depth=1
                                        ; =>  This Inner Loop Header: Depth=2
	v_lshl_add_u32 v8, s16, 4, v5
	v_lshl_add_u32 v35, s17, 4, v5
	ds_read_b32 v35, v35
	ds_read_b32 v8, v8
	s_add_i32 s17, s17, 2
	s_add_i32 s16, s16, 2
	s_add_i32 s9, s9, -1
	s_cmp_lg_u32 s9, 0
	s_waitcnt lgkmcnt(1)
	v_add_u32_e32 v3, v35, v3
	s_waitcnt lgkmcnt(0)
	v_add_u32_e32 v2, v8, v2
	s_cbranch_scc1 .LBB130_86
.LBB130_87:                             ;   in Loop: Header=BB130_21 Depth=1
	v_readlane_b32 s16, v52, 42
	v_add_u32_e32 v2, v2, v3
	v_readlane_b32 s9, v52, 41
	v_readlane_b32 s17, v52, 43
	s_and_b64 vcc, exec, s[16:17]
	s_cbranch_vccz .LBB130_90
.LBB130_88:                             ;   in Loop: Header=BB130_21 Depth=1
	s_lshl_b32 s16, s0, 8
	s_lshl_b32 s17, s9, 4
	s_add_i32 s16, s16, s17
	v_add_u32_e32 v3, s16, v28
	v_readlane_b32 s16, v52, 40
	s_sub_i32 s9, s16, s9
.LBB130_89:                             ;   Parent Loop BB130_21 Depth=1
                                        ; =>  This Inner Loop Header: Depth=2
	ds_read_b32 v5, v3
	s_add_i32 s9, s9, -1
	v_add_u32_e32 v3, 16, v3
	s_cmp_eq_u32 s9, 0
	s_waitcnt lgkmcnt(0)
	v_add_u32_e32 v2, v5, v2
	s_cbranch_scc0 .LBB130_89
.LBB130_90:                             ;   in Loop: Header=BB130_21 Depth=1
	v_lshlrev_b32_e32 v3, 2, v4
	ds_write_b32 v3, v2 offset:3072
.LBB130_91:                             ;   in Loop: Header=BB130_21 Depth=1
	s_or_b64 exec, exec, s[14:15]
	s_lshl_b32 s8, s8, 2
	s_waitcnt vmcnt(0)
	v_mov_b32_e32 v2, s8
	s_waitcnt lgkmcnt(0)
	s_barrier
	ds_read_b128 v[2:5], v2 offset:3072
	s_and_b32 s43, s81, 0xfe
	s_lshl_b32 s51, 3, s43
	s_not_b32 s44, s51
	s_mov_b64 s[18:19], -1
	s_waitcnt lgkmcnt(0)
	v_readfirstlane_b32 s28, v2
	s_cmp_eq_u32 s28, 1
	s_cselect_b64 s[8:9], -1, 0
	s_cmp_eq_u32 s3, 1
	s_cselect_b64 s[14:15], -1, 0
	s_and_b64 s[20:21], s[8:9], s[14:15]
	v_readfirstlane_b32 s34, v3
	v_readfirstlane_b32 s42, v4
	;; [unrolled: 1-line block ×3, first 2 shown]
	s_and_b64 vcc, exec, s[20:21]
	s_cbranch_vccz .LBB130_103
; %bb.92:                               ;   in Loop: Header=BB130_21 Depth=1
	ds_read_b32 v2, v9 offset:4104
	s_waitcnt lgkmcnt(0)
	s_barrier
	v_readfirstlane_b32 s8, v2
	s_and_saveexec_b64 s[14:15], s[6:7]
	s_cbranch_execz .LBB130_94
; %bb.93:                               ;   in Loop: Header=BB130_21 Depth=1
	ds_write_b16 v18, v9
.LBB130_94:                             ;   in Loop: Header=BB130_21 Depth=1
	s_or_b64 exec, exec, s[14:15]
	s_and_b32 s2, s2, s44
	s_or_b32 s1, s1, s51
	s_cmp_eq_u32 s8, 0
	s_waitcnt lgkmcnt(0)
	s_barrier
	s_cbranch_scc1 .LBB130_104
; %bb.95:                               ;   in Loop: Header=BB130_21 Depth=1
	v_readlane_b32 s9, v52, 25
	s_add_i32 s9, s8, s9
	v_readlane_b32 s14, v52, 46
	s_mul_hi_u32 s14, s9, s14
	s_mul_i32 s14, s14, s59
	s_sub_i32 s14, s9, s14
	s_sub_i32 s15, s14, s59
	s_cmp_ge_u32 s14, s59
	s_cselect_b32 s14, s15, s14
	s_sub_i32 s15, s14, s59
	s_cmp_ge_u32 s14, s59
	s_cselect_b32 s14, s15, s14
	s_sub_i32 s9, s9, s14
	v_cmp_gt_u32_e32 vcc, s9, v0
	s_mov_b64 s[14:15], 0
                                        ; implicit-def: $vgpr34
	s_and_saveexec_b64 s[16:17], vcc
	s_cbranch_execz .LBB130_106
; %bb.96:                               ;   in Loop: Header=BB130_21 Depth=1
	s_mov_b64 s[22:23], 0
	v_mov_b32_e32 v2, v17
	v_mov_b32_e32 v3, v0
                                        ; implicit-def: $sgpr24_sgpr25
	s_branch .LBB130_98
.LBB130_97:                             ;   in Loop: Header=BB130_98 Depth=2
	s_or_b64 exec, exec, s[14:15]
	s_waitcnt lgkmcnt(0)
	s_barrier
	ds_read_b32 v4, v9 offset:3072
	v_add_u32_e32 v3, s59, v3
	v_cmp_le_u32_e64 s[14:15], s9, v3
	v_add_u32_e32 v2, s13, v2
	s_waitcnt lgkmcnt(0)
	v_cmp_neq_f16_e32 vcc, 0, v4
	s_or_b64 s[14:15], s[14:15], vcc
	s_and_b64 s[14:15], exec, s[14:15]
	s_or_b64 s[22:23], s[14:15], s[22:23]
	s_andn2_b64 s[14:15], s[24:25], exec
	s_and_b64 s[24:25], vcc, exec
	s_or_b64 s[24:25], s[14:15], s[24:25]
	s_barrier
	s_andn2_b64 exec, exec, s[22:23]
	s_cbranch_execz .LBB130_105
.LBB130_98:                             ;   Parent Loop BB130_21 Depth=1
                                        ; =>  This Inner Loop Header: Depth=2
	v_cmp_gt_u32_e32 vcc, s8, v3
	v_mov_b32_e32 v4, 0
	s_and_saveexec_b64 s[14:15], vcc
	s_cbranch_execz .LBB130_100
; %bb.99:                               ;   in Loop: Header=BB130_98 Depth=2
	ds_read_u16 v4, v2
.LBB130_100:                            ;   in Loop: Header=BB130_98 Depth=2
	s_or_b64 exec, exec, s[14:15]
	s_and_saveexec_b64 s[14:15], vcc
	s_cbranch_execz .LBB130_97
; %bb.101:                              ;   in Loop: Header=BB130_98 Depth=2
	s_waitcnt lgkmcnt(0)
	v_cmp_lt_i16_e32 vcc, -1, v4
	v_cndmask_b32_e32 v5, v29, v30, vcc
	v_xor_b32_sdwa v5, v5, v4 dst_sel:DWORD dst_unused:UNUSED_PAD src0_sel:DWORD src1_sel:WORD_0
	v_cmp_o_f16_e32 vcc, v4, v4
	v_cndmask_b32_e32 v5, v29, v5, vcc
	v_and_b32_e32 v5, s1, v5
	v_cmp_eq_u32_e32 vcc, s2, v5
	s_and_b64 exec, exec, vcc
	s_cbranch_execz .LBB130_97
; %bb.102:                              ;   in Loop: Header=BB130_98 Depth=2
	v_perm_b32 v4, v4, s80, v33
	ds_write_b32 v9, v4 offset:3072
	s_branch .LBB130_97
.LBB130_103:                            ;   in Loop: Header=BB130_21 Depth=1
	s_mov_b64 s[14:15], -1
                                        ; implicit-def: $sgpr16_sgpr17
                                        ; implicit-def: $sgpr24_sgpr25
                                        ; implicit-def: $sgpr22_sgpr23
	s_branch .LBB130_117
.LBB130_104:                            ;   in Loop: Header=BB130_21 Depth=1
	s_mov_b64 s[16:17], -1
	s_mov_b64 s[14:15], 0
                                        ; implicit-def: $sgpr22_sgpr23
                                        ; implicit-def: $vgpr34
	s_mov_b64 s[24:25], s[16:17]
	s_cbranch_execnz .LBB130_107
	s_branch .LBB130_117
.LBB130_105:                            ;   in Loop: Header=BB130_21 Depth=1
	s_or_b64 exec, exec, s[22:23]
	v_lshrrev_b32_e32 v34, 16, v4
	s_and_b64 s[14:15], s[24:25], exec
.LBB130_106:                            ;   in Loop: Header=BB130_21 Depth=1
	s_or_b64 exec, exec, s[16:17]
	s_mov_b64 s[22:23], -1
	s_mov_b64 s[16:17], 0
	s_mov_b64 s[24:25], s[16:17]
	s_branch .LBB130_117
.LBB130_107:                            ;   in Loop: Header=BB130_21 Depth=1
	s_mov_b64 s[14:15], 0
                                        ; implicit-def: $vgpr34
	s_mov_b64 s[16:17], exec
	v_readlane_b32 s8, v52, 47
	v_readlane_b32 s9, v52, 48
	s_and_b64 s[8:9], s[16:17], s[8:9]
	s_mov_b64 exec, s[8:9]
	s_cbranch_execz .LBB130_116
; %bb.108:                              ;   in Loop: Header=BB130_21 Depth=1
	s_mov_b64 s[22:23], 0
	v_mov_b32_e32 v8, v6
	v_mov_b32_e32 v2, v0
                                        ; implicit-def: $sgpr24_sgpr25
	s_branch .LBB130_110
.LBB130_109:                            ;   in Loop: Header=BB130_110 Depth=2
	s_or_b64 exec, exec, s[14:15]
	s_waitcnt lgkmcnt(0)
	s_barrier
	s_waitcnt vmcnt(0)
	ds_read_b32 v3, v9 offset:3072
	v_add_u32_e32 v2, s59, v2
	v_cmp_le_u32_e64 s[14:15], s87, v2
	v_add_u32_e32 v8, s91, v8
	s_waitcnt lgkmcnt(0)
	v_cmp_neq_f16_e32 vcc, 0, v3
	s_or_b64 s[8:9], s[14:15], vcc
	s_and_b64 s[8:9], exec, s[8:9]
	s_or_b64 s[22:23], s[8:9], s[22:23]
	s_andn2_b64 s[8:9], s[24:25], exec
	s_and_b64 s[14:15], vcc, exec
	s_or_b64 s[24:25], s[8:9], s[14:15]
	s_barrier
	s_andn2_b64 exec, exec, s[22:23]
	s_cbranch_execz .LBB130_115
.LBB130_110:                            ;   Parent Loop BB130_21 Depth=1
                                        ; =>  This Inner Loop Header: Depth=2
	v_cmp_gt_u32_e32 vcc, s56, v2
	v_mov_b32_e32 v3, 0
	s_and_saveexec_b64 s[26:27], vcc
	s_cbranch_execz .LBB130_112
; %bb.111:                              ;   in Loop: Header=BB130_110 Depth=2
	v_lshlrev_b64 v[4:5], 1, v[8:9]
	v_mov_b32_e32 v3, s90
	v_add_co_u32_e64 v4, s[14:15], s57, v4
	v_addc_co_u32_e64 v5, s[14:15], v3, v5, s[14:15]
	global_load_ushort v3, v[4:5], off
.LBB130_112:                            ;   in Loop: Header=BB130_110 Depth=2
	s_or_b64 exec, exec, s[26:27]
	s_and_saveexec_b64 s[14:15], vcc
	s_cbranch_execz .LBB130_109
; %bb.113:                              ;   in Loop: Header=BB130_110 Depth=2
	s_waitcnt vmcnt(0)
	v_cmp_lt_i16_e32 vcc, -1, v3
	v_cndmask_b32_e32 v4, v29, v30, vcc
	v_xor_b32_sdwa v4, v4, v3 dst_sel:DWORD dst_unused:UNUSED_PAD src0_sel:DWORD src1_sel:WORD_0
	v_cmp_o_f16_e32 vcc, v3, v3
	v_cndmask_b32_e32 v4, v29, v4, vcc
	v_and_b32_e32 v4, s1, v4
	v_cmp_eq_u32_e32 vcc, s2, v4
	s_and_b64 exec, exec, vcc
	s_cbranch_execz .LBB130_109
; %bb.114:                              ;   in Loop: Header=BB130_110 Depth=2
	v_perm_b32 v3, v3, s80, v33
	ds_write_b32 v9, v3 offset:3072
	s_branch .LBB130_109
.LBB130_115:                            ;   in Loop: Header=BB130_21 Depth=1
	s_or_b64 exec, exec, s[22:23]
	v_lshrrev_b32_e32 v34, 16, v3
	s_and_b64 s[14:15], s[24:25], exec
.LBB130_116:                            ;   in Loop: Header=BB130_21 Depth=1
	s_or_b64 exec, exec, s[16:17]
	s_mov_b64 s[24:25], -1
	s_mov_b64 s[16:17], 0
	s_mov_b64 s[22:23], 0
.LBB130_117:                            ;   in Loop: Header=BB130_21 Depth=1
	s_andn2_b64 s[8:9], s[66:67], exec
	s_and_b64 s[16:17], s[16:17], exec
	s_or_b64 s[66:67], s[8:9], s[16:17]
	s_andn2_b64 s[8:9], s[64:65], exec
	s_and_b64 s[16:17], s[24:25], exec
	s_or_b64 s[64:65], s[8:9], s[16:17]
	;; [unrolled: 3-line block ×3, first 2 shown]
	s_and_saveexec_b64 s[16:17], s[14:15]
	s_cbranch_execz .LBB130_20
; %bb.118:                              ;   in Loop: Header=BB130_21 Depth=1
	s_xor_b64 s[8:9], s[20:21], -1
	s_mov_b64 s[14:15], 0
	s_andn2_b64 vcc, exec, s[8:9]
	s_mov_b32 s35, 1
	s_cbranch_vccnz .LBB130_129
; %bb.119:                              ;   in Loop: Header=BB130_21 Depth=1
	s_cmp_gt_u32 s3, s28
	s_mov_b64 s[14:15], -1
                                        ; implicit-def: $sgpr52
                                        ; implicit-def: $sgpr8
                                        ; implicit-def: $sgpr9
	s_cbranch_scc1 .LBB130_125
; %bb.120:                              ;   in Loop: Header=BB130_21 Depth=1
	ds_read_b32 v2, v9 offset:4104
	s_waitcnt lgkmcnt(0)
	v_cmp_ne_u32_e32 vcc, 0, v2
	s_cbranch_vccnz .LBB130_124
; %bb.121:                              ;   in Loop: Header=BB130_21 Depth=1
	s_mov_b64 s[14:15], exec
	v_readlane_b32 s8, v52, 23
	v_readlane_b32 s9, v52, 24
	s_and_b64 s[8:9], s[14:15], s[8:9]
	s_mov_b64 exec, s[8:9]
	s_cbranch_execz .LBB130_123
; %bb.122:                              ;   in Loop: Header=BB130_21 Depth=1
	v_mov_b32_e32 v2, s28
	ds_write_b32 v9, v2 offset:4108
.LBB130_123:                            ;   in Loop: Header=BB130_21 Depth=1
	s_or_b64 exec, exec, s[14:15]
	s_waitcnt lgkmcnt(0)
	s_barrier
.LBB130_124:                            ;   in Loop: Header=BB130_21 Depth=1
	s_and_b32 s8, s2, s44
	s_or_b32 s9, s1, s51
	s_mov_b64 s[14:15], 0
	s_mov_b32 s52, 8
.LBB130_125:                            ;   in Loop: Header=BB130_21 Depth=1
	s_andn2_b64 vcc, exec, s[14:15]
	s_cbranch_vccnz .LBB130_127
; %bb.126:                              ;   in Loop: Header=BB130_21 Depth=1
	s_sub_i32 s3, s3, s28
	s_mov_b64 s[14:15], -1
	s_mov_b32 s52, 0
	s_mov_b32 s8, s2
	;; [unrolled: 1-line block ×3, first 2 shown]
.LBB130_127:                            ;   in Loop: Header=BB130_21 Depth=1
	s_mov_b32 s1, s9
	s_mov_b32 s2, s8
	;; [unrolled: 1-line block ×3, first 2 shown]
	s_mov_b64 s[18:19], -1
	s_and_b64 vcc, exec, s[14:15]
	s_cbranch_vccnz .LBB130_130
.LBB130_128:                            ;   in Loop: Header=BB130_21 Depth=1
	s_mov_b64 s[30:31], -1
                                        ; implicit-def: $sgpr20_sgpr21
                                        ; implicit-def: $sgpr24_sgpr25
                                        ; implicit-def: $sgpr22_sgpr23
                                        ; implicit-def: $sgpr3
	s_and_saveexec_b64 s[8:9], s[30:31]
	s_xor_b64 s[14:15], exec, s[8:9]
	s_cbranch_execz .LBB130_19
	s_branch .LBB130_253
.LBB130_129:                            ;   in Loop: Header=BB130_21 Depth=1
	s_mov_b32 s52, 1
	s_mov_b64 s[18:19], -1
	s_and_b64 vcc, exec, s[14:15]
	s_cbranch_vccz .LBB130_128
.LBB130_130:                            ;   in Loop: Header=BB130_21 Depth=1
	s_cmp_eq_u32 s34, 1
	s_cselect_b64 s[8:9], -1, 0
	s_cmp_eq_u32 s35, 1
	s_cselect_b64 s[14:15], -1, 0
	s_and_b64 s[28:29], s[8:9], s[14:15]
	s_mov_b64 s[14:15], -1
	s_and_b64 vcc, exec, s[28:29]
	s_cbranch_vccz .LBB130_142
; %bb.131:                              ;   in Loop: Header=BB130_21 Depth=1
	ds_read_b32 v2, v9 offset:4104
	s_waitcnt lgkmcnt(0)
	s_barrier
	v_readfirstlane_b32 s3, v2
	s_and_saveexec_b64 s[14:15], s[6:7]
	s_cbranch_execz .LBB130_133
; %bb.132:                              ;   in Loop: Header=BB130_21 Depth=1
	ds_write_b16 v18, v9
.LBB130_133:                            ;   in Loop: Header=BB130_21 Depth=1
	s_or_b64 exec, exec, s[14:15]
	s_lshl_b32 s8, 1, s43
	s_and_b32 s2, s2, s44
	s_or_b32 s2, s2, s8
	s_or_b32 s1, s1, s51
	s_cmp_eq_u32 s3, 0
	s_waitcnt lgkmcnt(0)
	s_barrier
	s_cbranch_scc1 .LBB130_143
; %bb.134:                              ;   in Loop: Header=BB130_21 Depth=1
	v_readlane_b32 s8, v52, 25
	s_add_i32 s8, s3, s8
	v_readlane_b32 s9, v52, 46
	s_mul_hi_u32 s9, s8, s9
	s_mul_i32 s9, s9, s59
	s_sub_i32 s9, s8, s9
	s_sub_i32 s14, s9, s59
	s_cmp_ge_u32 s9, s59
	s_cselect_b32 s9, s14, s9
	s_sub_i32 s14, s9, s59
	s_cmp_ge_u32 s9, s59
	s_cselect_b32 s9, s14, s9
	s_sub_i32 s8, s8, s9
	v_cmp_gt_u32_e32 vcc, s8, v0
	s_mov_b64 s[14:15], 0
                                        ; implicit-def: $vgpr34
	s_and_saveexec_b64 s[20:21], vcc
	s_cbranch_execz .LBB130_145
; %bb.135:                              ;   in Loop: Header=BB130_21 Depth=1
	s_mov_b64 s[22:23], 0
	v_mov_b32_e32 v2, v17
	v_mov_b32_e32 v3, v0
                                        ; implicit-def: $sgpr24_sgpr25
	s_branch .LBB130_137
.LBB130_136:                            ;   in Loop: Header=BB130_137 Depth=2
	s_or_b64 exec, exec, s[14:15]
	s_waitcnt lgkmcnt(0)
	s_barrier
	ds_read_b32 v4, v9 offset:3072
	v_add_u32_e32 v3, s59, v3
	v_cmp_le_u32_e64 s[14:15], s8, v3
	v_add_u32_e32 v2, s13, v2
	s_waitcnt lgkmcnt(0)
	v_cmp_neq_f16_e32 vcc, 0, v4
	s_or_b64 s[14:15], s[14:15], vcc
	s_and_b64 s[14:15], exec, s[14:15]
	s_or_b64 s[22:23], s[14:15], s[22:23]
	s_andn2_b64 s[14:15], s[24:25], exec
	s_and_b64 s[24:25], vcc, exec
	s_or_b64 s[24:25], s[14:15], s[24:25]
	s_barrier
	s_andn2_b64 exec, exec, s[22:23]
	s_cbranch_execz .LBB130_144
.LBB130_137:                            ;   Parent Loop BB130_21 Depth=1
                                        ; =>  This Inner Loop Header: Depth=2
	v_cmp_gt_u32_e32 vcc, s3, v3
	v_mov_b32_e32 v4, 0
	s_and_saveexec_b64 s[14:15], vcc
	s_cbranch_execz .LBB130_139
; %bb.138:                              ;   in Loop: Header=BB130_137 Depth=2
	ds_read_u16 v4, v2
.LBB130_139:                            ;   in Loop: Header=BB130_137 Depth=2
	s_or_b64 exec, exec, s[14:15]
	s_and_saveexec_b64 s[14:15], vcc
	s_cbranch_execz .LBB130_136
; %bb.140:                              ;   in Loop: Header=BB130_137 Depth=2
	s_waitcnt lgkmcnt(0)
	v_cmp_lt_i16_e32 vcc, -1, v4
	v_cndmask_b32_e32 v5, v29, v30, vcc
	v_xor_b32_sdwa v5, v5, v4 dst_sel:DWORD dst_unused:UNUSED_PAD src0_sel:DWORD src1_sel:WORD_0
	v_cmp_o_f16_e32 vcc, v4, v4
	v_cndmask_b32_e32 v5, v29, v5, vcc
	v_and_b32_e32 v5, s1, v5
	v_cmp_eq_u32_e32 vcc, s2, v5
	s_and_b64 exec, exec, vcc
	s_cbranch_execz .LBB130_136
; %bb.141:                              ;   in Loop: Header=BB130_137 Depth=2
	v_perm_b32 v4, v4, s80, v33
	ds_write_b32 v9, v4 offset:3072
	s_branch .LBB130_136
.LBB130_142:                            ;   in Loop: Header=BB130_21 Depth=1
                                        ; implicit-def: $sgpr22_sgpr23
                                        ; implicit-def: $sgpr24_sgpr25
                                        ; implicit-def: $sgpr20_sgpr21
	s_branch .LBB130_156
.LBB130_143:                            ;   in Loop: Header=BB130_21 Depth=1
	s_mov_b64 s[22:23], -1
	s_mov_b64 s[14:15], 0
                                        ; implicit-def: $sgpr20_sgpr21
                                        ; implicit-def: $vgpr34
	s_mov_b64 s[24:25], s[22:23]
	s_cbranch_execnz .LBB130_146
	s_branch .LBB130_156
.LBB130_144:                            ;   in Loop: Header=BB130_21 Depth=1
	s_or_b64 exec, exec, s[22:23]
	v_lshrrev_b32_e32 v34, 16, v4
	s_and_b64 s[14:15], s[24:25], exec
.LBB130_145:                            ;   in Loop: Header=BB130_21 Depth=1
	s_or_b64 exec, exec, s[20:21]
	s_mov_b64 s[20:21], -1
	s_mov_b64 s[22:23], 0
	s_mov_b64 s[24:25], s[22:23]
	s_branch .LBB130_156
.LBB130_146:                            ;   in Loop: Header=BB130_21 Depth=1
	s_mov_b64 s[14:15], 0
                                        ; implicit-def: $vgpr34
	s_mov_b64 s[20:21], exec
	v_readlane_b32 s8, v52, 47
	v_readlane_b32 s9, v52, 48
	s_and_b64 s[8:9], s[20:21], s[8:9]
	s_mov_b64 exec, s[8:9]
	s_cbranch_execz .LBB130_155
; %bb.147:                              ;   in Loop: Header=BB130_21 Depth=1
	s_mov_b64 s[22:23], 0
	v_mov_b32_e32 v8, v6
	v_mov_b32_e32 v2, v0
                                        ; implicit-def: $sgpr24_sgpr25
	s_branch .LBB130_149
.LBB130_148:                            ;   in Loop: Header=BB130_149 Depth=2
	s_or_b64 exec, exec, s[14:15]
	s_waitcnt lgkmcnt(0)
	s_barrier
	s_waitcnt vmcnt(0)
	ds_read_b32 v3, v9 offset:3072
	v_add_u32_e32 v2, s59, v2
	v_cmp_le_u32_e64 s[14:15], s87, v2
	v_add_u32_e32 v8, s91, v8
	s_waitcnt lgkmcnt(0)
	v_cmp_neq_f16_e32 vcc, 0, v3
	s_or_b64 s[8:9], s[14:15], vcc
	s_and_b64 s[8:9], exec, s[8:9]
	s_or_b64 s[22:23], s[8:9], s[22:23]
	s_andn2_b64 s[8:9], s[24:25], exec
	s_and_b64 s[14:15], vcc, exec
	s_or_b64 s[24:25], s[8:9], s[14:15]
	s_barrier
	s_andn2_b64 exec, exec, s[22:23]
	s_cbranch_execz .LBB130_154
.LBB130_149:                            ;   Parent Loop BB130_21 Depth=1
                                        ; =>  This Inner Loop Header: Depth=2
	v_cmp_gt_u32_e32 vcc, s56, v2
	v_mov_b32_e32 v3, 0
	s_and_saveexec_b64 s[26:27], vcc
	s_cbranch_execz .LBB130_151
; %bb.150:                              ;   in Loop: Header=BB130_149 Depth=2
	v_lshlrev_b64 v[4:5], 1, v[8:9]
	v_mov_b32_e32 v3, s90
	v_add_co_u32_e64 v4, s[14:15], s57, v4
	v_addc_co_u32_e64 v5, s[14:15], v3, v5, s[14:15]
	global_load_ushort v3, v[4:5], off
.LBB130_151:                            ;   in Loop: Header=BB130_149 Depth=2
	s_or_b64 exec, exec, s[26:27]
	s_and_saveexec_b64 s[14:15], vcc
	s_cbranch_execz .LBB130_148
; %bb.152:                              ;   in Loop: Header=BB130_149 Depth=2
	s_waitcnt vmcnt(0)
	v_cmp_lt_i16_e32 vcc, -1, v3
	v_cndmask_b32_e32 v4, v29, v30, vcc
	v_xor_b32_sdwa v4, v4, v3 dst_sel:DWORD dst_unused:UNUSED_PAD src0_sel:DWORD src1_sel:WORD_0
	v_cmp_o_f16_e32 vcc, v3, v3
	v_cndmask_b32_e32 v4, v29, v4, vcc
	v_and_b32_e32 v4, s1, v4
	v_cmp_eq_u32_e32 vcc, s2, v4
	s_and_b64 exec, exec, vcc
	s_cbranch_execz .LBB130_148
; %bb.153:                              ;   in Loop: Header=BB130_149 Depth=2
	v_perm_b32 v3, v3, s80, v33
	ds_write_b32 v9, v3 offset:3072
	s_branch .LBB130_148
.LBB130_154:                            ;   in Loop: Header=BB130_21 Depth=1
	s_or_b64 exec, exec, s[22:23]
	v_lshrrev_b32_e32 v34, 16, v3
	s_and_b64 s[14:15], s[24:25], exec
.LBB130_155:                            ;   in Loop: Header=BB130_21 Depth=1
	s_or_b64 exec, exec, s[20:21]
	s_mov_b64 s[24:25], -1
	s_mov_b64 s[22:23], 0
	s_mov_b64 s[20:21], 0
.LBB130_156:                            ;   in Loop: Header=BB130_21 Depth=1
	s_mov_b64 s[30:31], 0
                                        ; implicit-def: $sgpr52
	s_and_saveexec_b64 s[26:27], s[14:15]
	s_cbranch_execz .LBB130_252
; %bb.157:                              ;   in Loop: Header=BB130_21 Depth=1
	s_xor_b64 s[8:9], s[28:29], -1
	s_mov_b64 s[14:15], 0
	s_andn2_b64 vcc, exec, s[8:9]
	s_mov_b32 s45, 1
	s_cbranch_vccnz .LBB130_168
; %bb.158:                              ;   in Loop: Header=BB130_21 Depth=1
	s_cmp_gt_u32 s35, s34
	s_mov_b64 s[14:15], -1
                                        ; implicit-def: $sgpr52
                                        ; implicit-def: $sgpr3
                                        ; implicit-def: $sgpr8
	s_cbranch_scc1 .LBB130_164
; %bb.159:                              ;   in Loop: Header=BB130_21 Depth=1
	ds_read_b32 v2, v9 offset:4104
	s_waitcnt lgkmcnt(0)
	v_cmp_ne_u32_e32 vcc, 0, v2
	s_cbranch_vccnz .LBB130_163
; %bb.160:                              ;   in Loop: Header=BB130_21 Depth=1
	s_mov_b64 s[14:15], exec
	v_readlane_b32 s8, v52, 23
	v_readlane_b32 s9, v52, 24
	s_and_b64 s[8:9], s[14:15], s[8:9]
	s_mov_b64 exec, s[8:9]
	s_cbranch_execz .LBB130_162
; %bb.161:                              ;   in Loop: Header=BB130_21 Depth=1
	v_mov_b32_e32 v2, s34
	ds_write_b32 v9, v2 offset:4108
.LBB130_162:                            ;   in Loop: Header=BB130_21 Depth=1
	s_or_b64 exec, exec, s[14:15]
	s_waitcnt lgkmcnt(0)
	s_barrier
.LBB130_163:                            ;   in Loop: Header=BB130_21 Depth=1
	s_lshl_b32 s3, 1, s43
	s_and_b32 s8, s2, s44
	s_or_b32 s3, s8, s3
	s_or_b32 s8, s1, s51
	s_mov_b64 s[14:15], 0
	s_mov_b32 s52, 8
.LBB130_164:                            ;   in Loop: Header=BB130_21 Depth=1
	s_andn2_b64 vcc, exec, s[14:15]
	s_cbranch_vccnz .LBB130_166
; %bb.165:                              ;   in Loop: Header=BB130_21 Depth=1
	s_sub_i32 s35, s35, s34
	s_mov_b64 s[14:15], -1
	s_mov_b32 s52, 0
	s_mov_b32 s3, s2
	s_mov_b32 s8, s1
.LBB130_166:                            ;   in Loop: Header=BB130_21 Depth=1
	s_mov_b32 s1, s8
	s_mov_b32 s2, s3
	;; [unrolled: 1-line block ×3, first 2 shown]
	s_andn2_b64 vcc, exec, s[14:15]
	s_mov_b64 s[40:41], -1
	s_cbranch_vccz .LBB130_169
.LBB130_167:                            ;   in Loop: Header=BB130_21 Depth=1
                                        ; implicit-def: $sgpr30_sgpr31
                                        ; implicit-def: $sgpr34_sgpr35
                                        ; implicit-def: $sgpr28_sgpr29
	s_branch .LBB130_251
.LBB130_168:                            ;   in Loop: Header=BB130_21 Depth=1
	s_mov_b32 s52, 1
	s_andn2_b64 vcc, exec, s[14:15]
	s_mov_b64 s[40:41], -1
	s_cbranch_vccnz .LBB130_167
.LBB130_169:                            ;   in Loop: Header=BB130_21 Depth=1
	s_cmp_eq_u32 s42, 1
	s_cselect_b64 s[8:9], -1, 0
	s_cmp_eq_u32 s45, 1
	s_cselect_b64 s[14:15], -1, 0
	s_and_b64 s[38:39], s[8:9], s[14:15]
	s_mov_b64 s[14:15], -1
	s_and_b64 vcc, exec, s[38:39]
	s_cbranch_vccz .LBB130_181
; %bb.170:                              ;   in Loop: Header=BB130_21 Depth=1
	ds_read_b32 v2, v9 offset:4104
	s_waitcnt lgkmcnt(0)
	s_barrier
	v_readfirstlane_b32 s3, v2
	s_and_saveexec_b64 s[14:15], s[6:7]
	s_cbranch_execz .LBB130_172
; %bb.171:                              ;   in Loop: Header=BB130_21 Depth=1
	ds_write_b16 v18, v9
.LBB130_172:                            ;   in Loop: Header=BB130_21 Depth=1
	s_or_b64 exec, exec, s[14:15]
	s_lshl_b32 s8, 2, s43
	s_and_b32 s2, s2, s44
	s_or_b32 s2, s2, s8
	s_or_b32 s1, s1, s51
	s_cmp_eq_u32 s3, 0
	s_waitcnt lgkmcnt(0)
	s_barrier
	s_cbranch_scc1 .LBB130_182
; %bb.173:                              ;   in Loop: Header=BB130_21 Depth=1
	v_readlane_b32 s8, v52, 25
	s_add_i32 s8, s3, s8
	v_readlane_b32 s9, v52, 46
	s_mul_hi_u32 s9, s8, s9
	s_mul_i32 s9, s9, s59
	s_sub_i32 s9, s8, s9
	s_sub_i32 s14, s9, s59
	s_cmp_ge_u32 s9, s59
	s_cselect_b32 s9, s14, s9
	s_sub_i32 s14, s9, s59
	s_cmp_ge_u32 s9, s59
	s_cselect_b32 s9, s14, s9
	s_sub_i32 s8, s8, s9
	v_cmp_gt_u32_e32 vcc, s8, v0
	s_mov_b64 s[14:15], 0
                                        ; implicit-def: $vgpr34
	s_and_saveexec_b64 s[28:29], vcc
	s_cbranch_execz .LBB130_184
; %bb.174:                              ;   in Loop: Header=BB130_21 Depth=1
	v_mov_b32_e32 v2, v17
	v_mov_b32_e32 v3, v0
                                        ; implicit-def: $sgpr34_sgpr35
	s_branch .LBB130_176
.LBB130_175:                            ;   in Loop: Header=BB130_176 Depth=2
	s_or_b64 exec, exec, s[14:15]
	s_waitcnt lgkmcnt(0)
	s_barrier
	ds_read_b32 v4, v9 offset:3072
	v_add_u32_e32 v3, s59, v3
	v_cmp_le_u32_e64 s[14:15], s8, v3
	v_add_u32_e32 v2, s13, v2
	s_waitcnt lgkmcnt(0)
	v_cmp_neq_f16_e32 vcc, 0, v4
	s_or_b64 s[14:15], s[14:15], vcc
	s_and_b64 s[14:15], exec, s[14:15]
	s_or_b64 s[30:31], s[14:15], s[30:31]
	s_andn2_b64 s[14:15], s[34:35], exec
	s_and_b64 s[34:35], vcc, exec
	s_or_b64 s[34:35], s[14:15], s[34:35]
	s_barrier
	s_andn2_b64 exec, exec, s[30:31]
	s_cbranch_execz .LBB130_183
.LBB130_176:                            ;   Parent Loop BB130_21 Depth=1
                                        ; =>  This Inner Loop Header: Depth=2
	v_cmp_gt_u32_e32 vcc, s3, v3
	v_mov_b32_e32 v4, 0
	s_and_saveexec_b64 s[14:15], vcc
	s_cbranch_execz .LBB130_178
; %bb.177:                              ;   in Loop: Header=BB130_176 Depth=2
	ds_read_u16 v4, v2
.LBB130_178:                            ;   in Loop: Header=BB130_176 Depth=2
	s_or_b64 exec, exec, s[14:15]
	s_and_saveexec_b64 s[14:15], vcc
	s_cbranch_execz .LBB130_175
; %bb.179:                              ;   in Loop: Header=BB130_176 Depth=2
	s_waitcnt lgkmcnt(0)
	v_cmp_lt_i16_e32 vcc, -1, v4
	v_cndmask_b32_e32 v5, v29, v30, vcc
	v_xor_b32_sdwa v5, v5, v4 dst_sel:DWORD dst_unused:UNUSED_PAD src0_sel:DWORD src1_sel:WORD_0
	v_cmp_o_f16_e32 vcc, v4, v4
	v_cndmask_b32_e32 v5, v29, v5, vcc
	v_and_b32_e32 v5, s1, v5
	v_cmp_eq_u32_e32 vcc, s2, v5
	s_and_b64 exec, exec, vcc
	s_cbranch_execz .LBB130_175
; %bb.180:                              ;   in Loop: Header=BB130_176 Depth=2
	v_perm_b32 v4, v4, s80, v33
	ds_write_b32 v9, v4 offset:3072
	s_branch .LBB130_175
.LBB130_181:                            ;   in Loop: Header=BB130_21 Depth=1
                                        ; implicit-def: $sgpr28_sgpr29
                                        ; implicit-def: $sgpr34_sgpr35
                                        ; implicit-def: $sgpr30_sgpr31
	s_branch .LBB130_195
.LBB130_182:                            ;   in Loop: Header=BB130_21 Depth=1
	s_mov_b64 s[28:29], -1
	s_mov_b64 s[14:15], 0
                                        ; implicit-def: $sgpr30_sgpr31
                                        ; implicit-def: $vgpr34
	s_mov_b64 s[34:35], s[28:29]
	s_cbranch_execnz .LBB130_185
	s_branch .LBB130_195
.LBB130_183:                            ;   in Loop: Header=BB130_21 Depth=1
	s_or_b64 exec, exec, s[30:31]
	v_lshrrev_b32_e32 v34, 16, v4
	s_and_b64 s[14:15], s[34:35], exec
.LBB130_184:                            ;   in Loop: Header=BB130_21 Depth=1
	s_or_b64 exec, exec, s[28:29]
	s_mov_b64 s[30:31], -1
	s_mov_b64 s[28:29], 0
	s_mov_b64 s[34:35], s[28:29]
	s_branch .LBB130_195
.LBB130_185:                            ;   in Loop: Header=BB130_21 Depth=1
	s_mov_b64 s[14:15], 0
                                        ; implicit-def: $vgpr34
	s_mov_b64 s[28:29], exec
	v_readlane_b32 s8, v52, 47
	v_readlane_b32 s9, v52, 48
	s_and_b64 s[8:9], s[28:29], s[8:9]
	s_mov_b64 exec, s[8:9]
	s_cbranch_execz .LBB130_194
; %bb.186:                              ;   in Loop: Header=BB130_21 Depth=1
	s_mov_b64 s[30:31], 0
	v_mov_b32_e32 v8, v6
	v_mov_b32_e32 v2, v0
                                        ; implicit-def: $sgpr34_sgpr35
	s_branch .LBB130_188
.LBB130_187:                            ;   in Loop: Header=BB130_188 Depth=2
	s_or_b64 exec, exec, s[14:15]
	s_waitcnt lgkmcnt(0)
	s_barrier
	s_waitcnt vmcnt(0)
	ds_read_b32 v3, v9 offset:3072
	v_add_u32_e32 v2, s59, v2
	v_cmp_le_u32_e64 s[14:15], s87, v2
	v_add_u32_e32 v8, s91, v8
	s_waitcnt lgkmcnt(0)
	v_cmp_neq_f16_e32 vcc, 0, v3
	s_or_b64 s[8:9], s[14:15], vcc
	s_and_b64 s[8:9], exec, s[8:9]
	s_or_b64 s[30:31], s[8:9], s[30:31]
	s_andn2_b64 s[8:9], s[34:35], exec
	s_and_b64 s[14:15], vcc, exec
	s_or_b64 s[34:35], s[8:9], s[14:15]
	s_barrier
	s_andn2_b64 exec, exec, s[30:31]
	s_cbranch_execz .LBB130_193
.LBB130_188:                            ;   Parent Loop BB130_21 Depth=1
                                        ; =>  This Inner Loop Header: Depth=2
	v_cmp_gt_u32_e32 vcc, s56, v2
	v_mov_b32_e32 v3, 0
	s_and_saveexec_b64 s[36:37], vcc
	s_cbranch_execz .LBB130_190
; %bb.189:                              ;   in Loop: Header=BB130_188 Depth=2
	v_lshlrev_b64 v[4:5], 1, v[8:9]
	v_mov_b32_e32 v3, s90
	v_add_co_u32_e64 v4, s[14:15], s57, v4
	v_addc_co_u32_e64 v5, s[14:15], v3, v5, s[14:15]
	global_load_ushort v3, v[4:5], off
.LBB130_190:                            ;   in Loop: Header=BB130_188 Depth=2
	s_or_b64 exec, exec, s[36:37]
	s_and_saveexec_b64 s[14:15], vcc
	s_cbranch_execz .LBB130_187
; %bb.191:                              ;   in Loop: Header=BB130_188 Depth=2
	s_waitcnt vmcnt(0)
	v_cmp_lt_i16_e32 vcc, -1, v3
	v_cndmask_b32_e32 v4, v29, v30, vcc
	v_xor_b32_sdwa v4, v4, v3 dst_sel:DWORD dst_unused:UNUSED_PAD src0_sel:DWORD src1_sel:WORD_0
	v_cmp_o_f16_e32 vcc, v3, v3
	v_cndmask_b32_e32 v4, v29, v4, vcc
	v_and_b32_e32 v4, s1, v4
	v_cmp_eq_u32_e32 vcc, s2, v4
	s_and_b64 exec, exec, vcc
	s_cbranch_execz .LBB130_187
; %bb.192:                              ;   in Loop: Header=BB130_188 Depth=2
	v_perm_b32 v3, v3, s80, v33
	ds_write_b32 v9, v3 offset:3072
	s_branch .LBB130_187
.LBB130_193:                            ;   in Loop: Header=BB130_21 Depth=1
	s_or_b64 exec, exec, s[30:31]
	v_lshrrev_b32_e32 v34, 16, v3
	s_and_b64 s[14:15], s[34:35], exec
.LBB130_194:                            ;   in Loop: Header=BB130_21 Depth=1
	s_or_b64 exec, exec, s[28:29]
	s_mov_b64 s[34:35], -1
	s_mov_b64 s[28:29], 0
	s_mov_b64 s[30:31], 0
.LBB130_195:                            ;   in Loop: Header=BB130_21 Depth=1
	s_mov_b64 s[40:41], 0
                                        ; implicit-def: $sgpr52
	s_and_saveexec_b64 s[36:37], s[14:15]
	s_cbranch_execz .LBB130_250
; %bb.196:                              ;   in Loop: Header=BB130_21 Depth=1
	s_xor_b64 s[8:9], s[38:39], -1
	s_mov_b64 s[14:15], 0
	s_andn2_b64 vcc, exec, s[8:9]
	s_mov_b32 s3, 1
	s_cbranch_vccnz .LBB130_207
; %bb.197:                              ;   in Loop: Header=BB130_21 Depth=1
	s_cmp_gt_u32 s45, s42
	s_mov_b64 s[14:15], -1
                                        ; implicit-def: $sgpr52
                                        ; implicit-def: $sgpr3
                                        ; implicit-def: $sgpr8
	s_cbranch_scc1 .LBB130_203
; %bb.198:                              ;   in Loop: Header=BB130_21 Depth=1
	ds_read_b32 v2, v9 offset:4104
	s_waitcnt lgkmcnt(0)
	v_cmp_ne_u32_e32 vcc, 0, v2
	s_cbranch_vccnz .LBB130_202
; %bb.199:                              ;   in Loop: Header=BB130_21 Depth=1
	s_mov_b64 s[14:15], exec
	v_readlane_b32 s8, v52, 23
	v_readlane_b32 s9, v52, 24
	s_and_b64 s[8:9], s[14:15], s[8:9]
	s_mov_b64 exec, s[8:9]
	s_cbranch_execz .LBB130_201
; %bb.200:                              ;   in Loop: Header=BB130_21 Depth=1
	v_mov_b32_e32 v2, s42
	ds_write_b32 v9, v2 offset:4108
.LBB130_201:                            ;   in Loop: Header=BB130_21 Depth=1
	s_or_b64 exec, exec, s[14:15]
	s_waitcnt lgkmcnt(0)
	s_barrier
.LBB130_202:                            ;   in Loop: Header=BB130_21 Depth=1
	s_lshl_b32 s3, 2, s43
	s_and_b32 s8, s2, s44
	s_or_b32 s3, s8, s3
	s_or_b32 s8, s1, s51
	s_mov_b64 s[14:15], 0
	s_mov_b32 s52, 8
.LBB130_203:                            ;   in Loop: Header=BB130_21 Depth=1
	s_andn2_b64 vcc, exec, s[14:15]
	s_cbranch_vccnz .LBB130_205
; %bb.204:                              ;   in Loop: Header=BB130_21 Depth=1
	s_sub_i32 s45, s45, s42
	s_mov_b64 s[14:15], -1
	s_mov_b32 s52, 0
	s_mov_b32 s3, s2
	;; [unrolled: 1-line block ×3, first 2 shown]
.LBB130_205:                            ;   in Loop: Header=BB130_21 Depth=1
	s_mov_b32 s1, s8
	s_mov_b32 s2, s3
	;; [unrolled: 1-line block ×3, first 2 shown]
	s_andn2_b64 vcc, exec, s[14:15]
	s_mov_b64 s[48:49], -1
	s_cbranch_vccz .LBB130_208
.LBB130_206:                            ;   in Loop: Header=BB130_21 Depth=1
                                        ; implicit-def: $sgpr14_sgpr15
                                        ; implicit-def: $sgpr42_sgpr43
                                        ; implicit-def: $sgpr40_sgpr41
	s_branch .LBB130_249
.LBB130_207:                            ;   in Loop: Header=BB130_21 Depth=1
	s_mov_b32 s52, 1
	s_andn2_b64 vcc, exec, s[14:15]
	s_mov_b64 s[48:49], -1
	s_cbranch_vccnz .LBB130_206
.LBB130_208:                            ;   in Loop: Header=BB130_21 Depth=1
	s_cmp_eq_u32 s50, 1
	s_cselect_b64 s[8:9], -1, 0
	s_cmp_eq_u32 s3, 1
	s_cselect_b64 s[14:15], -1, 0
	s_and_b64 s[38:39], s[8:9], s[14:15]
	s_mov_b64 s[44:45], -1
	s_and_b64 vcc, exec, s[38:39]
	s_cbranch_vccz .LBB130_220
; %bb.209:                              ;   in Loop: Header=BB130_21 Depth=1
	ds_read_b32 v2, v9 offset:4104
	s_waitcnt lgkmcnt(0)
	s_barrier
	v_readfirstlane_b32 s8, v2
	s_and_saveexec_b64 s[14:15], s[6:7]
	s_cbranch_execz .LBB130_211
; %bb.210:                              ;   in Loop: Header=BB130_21 Depth=1
	ds_write_b16 v18, v9
.LBB130_211:                            ;   in Loop: Header=BB130_21 Depth=1
	s_or_b64 exec, exec, s[14:15]
	s_or_b32 s2, s2, s51
	s_or_b32 s1, s1, s51
	s_cmp_eq_u32 s8, 0
	s_waitcnt lgkmcnt(0)
	s_barrier
	s_cbranch_scc1 .LBB130_221
; %bb.212:                              ;   in Loop: Header=BB130_21 Depth=1
	v_readlane_b32 s9, v52, 25
	s_add_i32 s9, s8, s9
	v_readlane_b32 s14, v52, 46
	s_mul_hi_u32 s14, s9, s14
	s_mul_i32 s14, s14, s59
	s_sub_i32 s14, s9, s14
	s_sub_i32 s15, s14, s59
	s_cmp_ge_u32 s14, s59
	s_cselect_b32 s14, s15, s14
	s_sub_i32 s15, s14, s59
	s_cmp_ge_u32 s14, s59
	s_cselect_b32 s14, s15, s14
	s_sub_i32 s9, s9, s14
	v_cmp_gt_u32_e32 vcc, s9, v0
	s_mov_b64 s[44:45], 0
                                        ; implicit-def: $vgpr34
	s_and_saveexec_b64 s[40:41], vcc
	s_cbranch_execz .LBB130_223
; %bb.213:                              ;   in Loop: Header=BB130_21 Depth=1
	s_mov_b64 s[42:43], 0
	v_mov_b32_e32 v2, v17
	v_mov_b32_e32 v3, v0
                                        ; implicit-def: $sgpr44_sgpr45
	s_branch .LBB130_215
.LBB130_214:                            ;   in Loop: Header=BB130_215 Depth=2
	s_or_b64 exec, exec, s[14:15]
	s_waitcnt lgkmcnt(0)
	s_barrier
	ds_read_b32 v4, v9 offset:3072
	v_add_u32_e32 v3, s59, v3
	v_cmp_le_u32_e64 s[14:15], s9, v3
	v_add_u32_e32 v2, s13, v2
	s_waitcnt lgkmcnt(0)
	v_cmp_neq_f16_e32 vcc, 0, v4
	s_or_b64 s[14:15], s[14:15], vcc
	s_and_b64 s[14:15], exec, s[14:15]
	s_or_b64 s[42:43], s[14:15], s[42:43]
	s_andn2_b64 s[14:15], s[44:45], exec
	s_and_b64 s[44:45], vcc, exec
	s_or_b64 s[44:45], s[14:15], s[44:45]
	s_barrier
	s_andn2_b64 exec, exec, s[42:43]
	s_cbranch_execz .LBB130_222
.LBB130_215:                            ;   Parent Loop BB130_21 Depth=1
                                        ; =>  This Inner Loop Header: Depth=2
	v_cmp_gt_u32_e32 vcc, s8, v3
	v_mov_b32_e32 v4, 0
	s_and_saveexec_b64 s[14:15], vcc
	s_cbranch_execz .LBB130_217
; %bb.216:                              ;   in Loop: Header=BB130_215 Depth=2
	ds_read_u16 v4, v2
.LBB130_217:                            ;   in Loop: Header=BB130_215 Depth=2
	s_or_b64 exec, exec, s[14:15]
	s_and_saveexec_b64 s[14:15], vcc
	s_cbranch_execz .LBB130_214
; %bb.218:                              ;   in Loop: Header=BB130_215 Depth=2
	s_waitcnt lgkmcnt(0)
	v_cmp_lt_i16_e32 vcc, -1, v4
	v_cndmask_b32_e32 v5, v29, v30, vcc
	v_xor_b32_sdwa v5, v5, v4 dst_sel:DWORD dst_unused:UNUSED_PAD src0_sel:DWORD src1_sel:WORD_0
	v_cmp_o_f16_e32 vcc, v4, v4
	v_cndmask_b32_e32 v5, v29, v5, vcc
	v_and_b32_e32 v5, s1, v5
	v_cmp_eq_u32_e32 vcc, s2, v5
	s_and_b64 exec, exec, vcc
	s_cbranch_execz .LBB130_214
; %bb.219:                              ;   in Loop: Header=BB130_215 Depth=2
	v_perm_b32 v4, v4, s80, v33
	ds_write_b32 v9, v4 offset:3072
	s_branch .LBB130_214
.LBB130_220:                            ;   in Loop: Header=BB130_21 Depth=1
                                        ; implicit-def: $sgpr14_sgpr15
                                        ; implicit-def: $sgpr42_sgpr43
                                        ; implicit-def: $sgpr40_sgpr41
	s_branch .LBB130_234
.LBB130_221:                            ;   in Loop: Header=BB130_21 Depth=1
	s_mov_b64 s[14:15], -1
	s_mov_b64 s[44:45], 0
                                        ; implicit-def: $sgpr40_sgpr41
                                        ; implicit-def: $vgpr34
	s_mov_b64 s[42:43], s[14:15]
	s_cbranch_execnz .LBB130_224
	s_branch .LBB130_234
.LBB130_222:                            ;   in Loop: Header=BB130_21 Depth=1
	s_or_b64 exec, exec, s[42:43]
	v_lshrrev_b32_e32 v34, 16, v4
	s_and_b64 s[44:45], s[44:45], exec
.LBB130_223:                            ;   in Loop: Header=BB130_21 Depth=1
	s_or_b64 exec, exec, s[40:41]
	s_mov_b64 s[40:41], -1
	s_mov_b64 s[14:15], 0
	s_mov_b64 s[42:43], s[14:15]
	s_branch .LBB130_234
.LBB130_224:                            ;   in Loop: Header=BB130_21 Depth=1
	s_mov_b64 s[44:45], 0
                                        ; implicit-def: $vgpr34
	s_mov_b64 s[40:41], exec
	v_readlane_b32 s8, v52, 47
	v_readlane_b32 s9, v52, 48
	s_and_b64 s[8:9], s[40:41], s[8:9]
	s_mov_b64 exec, s[8:9]
	s_cbranch_execz .LBB130_233
; %bb.225:                              ;   in Loop: Header=BB130_21 Depth=1
	s_mov_b64 s[42:43], 0
	v_mov_b32_e32 v8, v6
	v_mov_b32_e32 v2, v0
                                        ; implicit-def: $sgpr44_sgpr45
	s_branch .LBB130_227
.LBB130_226:                            ;   in Loop: Header=BB130_227 Depth=2
	s_or_b64 exec, exec, s[14:15]
	s_waitcnt lgkmcnt(0)
	s_barrier
	s_waitcnt vmcnt(0)
	ds_read_b32 v3, v9 offset:3072
	v_add_u32_e32 v2, s59, v2
	v_cmp_le_u32_e64 s[14:15], s87, v2
	v_add_u32_e32 v8, s91, v8
	s_waitcnt lgkmcnt(0)
	v_cmp_neq_f16_e32 vcc, 0, v3
	s_or_b64 s[8:9], s[14:15], vcc
	s_and_b64 s[8:9], exec, s[8:9]
	s_or_b64 s[42:43], s[8:9], s[42:43]
	s_andn2_b64 s[8:9], s[44:45], exec
	s_and_b64 s[14:15], vcc, exec
	s_or_b64 s[44:45], s[8:9], s[14:15]
	s_barrier
	s_andn2_b64 exec, exec, s[42:43]
	s_cbranch_execz .LBB130_232
.LBB130_227:                            ;   Parent Loop BB130_21 Depth=1
                                        ; =>  This Inner Loop Header: Depth=2
	v_cmp_gt_u32_e32 vcc, s56, v2
	v_mov_b32_e32 v3, 0
	s_and_saveexec_b64 s[46:47], vcc
	s_cbranch_execz .LBB130_229
; %bb.228:                              ;   in Loop: Header=BB130_227 Depth=2
	v_lshlrev_b64 v[4:5], 1, v[8:9]
	v_mov_b32_e32 v3, s90
	v_add_co_u32_e64 v4, s[14:15], s57, v4
	v_addc_co_u32_e64 v5, s[14:15], v3, v5, s[14:15]
	global_load_ushort v3, v[4:5], off
.LBB130_229:                            ;   in Loop: Header=BB130_227 Depth=2
	s_or_b64 exec, exec, s[46:47]
	s_and_saveexec_b64 s[14:15], vcc
	s_cbranch_execz .LBB130_226
; %bb.230:                              ;   in Loop: Header=BB130_227 Depth=2
	s_waitcnt vmcnt(0)
	v_cmp_lt_i16_e32 vcc, -1, v3
	v_cndmask_b32_e32 v4, v29, v30, vcc
	v_xor_b32_sdwa v4, v4, v3 dst_sel:DWORD dst_unused:UNUSED_PAD src0_sel:DWORD src1_sel:WORD_0
	v_cmp_o_f16_e32 vcc, v3, v3
	v_cndmask_b32_e32 v4, v29, v4, vcc
	v_and_b32_e32 v4, s1, v4
	v_cmp_eq_u32_e32 vcc, s2, v4
	s_and_b64 exec, exec, vcc
	s_cbranch_execz .LBB130_226
; %bb.231:                              ;   in Loop: Header=BB130_227 Depth=2
	v_perm_b32 v3, v3, s80, v33
	ds_write_b32 v9, v3 offset:3072
	s_branch .LBB130_226
.LBB130_232:                            ;   in Loop: Header=BB130_21 Depth=1
	s_or_b64 exec, exec, s[42:43]
	v_lshrrev_b32_e32 v34, 16, v3
	s_and_b64 s[44:45], s[44:45], exec
.LBB130_233:                            ;   in Loop: Header=BB130_21 Depth=1
	s_or_b64 exec, exec, s[40:41]
	s_mov_b64 s[42:43], -1
	s_mov_b64 s[14:15], 0
	s_mov_b64 s[40:41], 0
.LBB130_234:                            ;   in Loop: Header=BB130_21 Depth=1
	s_mov_b64 s[48:49], 0
                                        ; implicit-def: $sgpr52
	s_and_saveexec_b64 s[46:47], s[44:45]
	s_cbranch_execz .LBB130_248
; %bb.235:                              ;   in Loop: Header=BB130_21 Depth=1
	s_xor_b64 s[8:9], s[38:39], -1
	s_andn2_b64 vcc, exec, s[8:9]
	s_mov_b32 s52, 1
	s_cbranch_vccnz .LBB130_242
; %bb.236:                              ;   in Loop: Header=BB130_21 Depth=1
	s_cmp_gt_u32 s3, s50
	s_cbranch_scc1 .LBB130_243
; %bb.237:                              ;   in Loop: Header=BB130_21 Depth=1
	ds_read_b32 v2, v9 offset:4104
	s_waitcnt lgkmcnt(0)
	v_cmp_ne_u32_e32 vcc, 0, v2
	s_cbranch_vccnz .LBB130_241
; %bb.238:                              ;   in Loop: Header=BB130_21 Depth=1
	s_mov_b64 s[38:39], exec
	v_readlane_b32 s8, v52, 23
	v_readlane_b32 s9, v52, 24
	s_and_b64 s[8:9], s[38:39], s[8:9]
	s_mov_b64 exec, s[8:9]
	s_cbranch_execz .LBB130_240
; %bb.239:                              ;   in Loop: Header=BB130_21 Depth=1
	v_mov_b32_e32 v2, s50
	ds_write_b32 v9, v2 offset:4108
.LBB130_240:                            ;   in Loop: Header=BB130_21 Depth=1
	s_or_b64 exec, exec, s[38:39]
	s_waitcnt lgkmcnt(0)
	s_barrier
.LBB130_241:                            ;   in Loop: Header=BB130_21 Depth=1
	s_or_b32 s8, s2, s51
	s_or_b32 s9, s1, s51
	s_mov_b64 s[38:39], 0
	s_mov_b32 s52, 8
	s_branch .LBB130_244
.LBB130_242:                            ;   in Loop: Header=BB130_21 Depth=1
	s_mov_b32 s3, 1
	s_branch .LBB130_247
.LBB130_243:                            ;   in Loop: Header=BB130_21 Depth=1
	s_mov_b64 s[38:39], -1
                                        ; implicit-def: $sgpr52
                                        ; implicit-def: $sgpr8
                                        ; implicit-def: $sgpr9
.LBB130_244:                            ;   in Loop: Header=BB130_21 Depth=1
	s_andn2_b64 vcc, exec, s[38:39]
	s_cbranch_vccnz .LBB130_246
; %bb.245:                              ;   in Loop: Header=BB130_21 Depth=1
	s_sub_i32 s3, s3, s50
	s_mov_b32 s52, 8
	s_mov_b32 s8, s2
	;; [unrolled: 1-line block ×3, first 2 shown]
.LBB130_246:                            ;   in Loop: Header=BB130_21 Depth=1
	s_mov_b32 s2, s8
	s_mov_b32 s1, s9
.LBB130_247:                            ;   in Loop: Header=BB130_21 Depth=1
	s_mov_b64 s[48:49], exec
.LBB130_248:                            ;   in Loop: Header=BB130_21 Depth=1
	s_or_b64 exec, exec, s[46:47]
.LBB130_249:                            ;   in Loop: Header=BB130_21 Depth=1
	s_andn2_b64 s[8:9], s[28:29], exec
	s_and_b64 s[14:15], s[14:15], exec
	s_or_b64 s[28:29], s[8:9], s[14:15]
	s_andn2_b64 s[8:9], s[34:35], exec
	s_and_b64 s[14:15], s[42:43], exec
	s_or_b64 s[34:35], s[8:9], s[14:15]
	;; [unrolled: 3-line block ×3, first 2 shown]
	s_and_b64 s[40:41], s[48:49], exec
	s_mov_b32 s45, s3
.LBB130_250:                            ;   in Loop: Header=BB130_21 Depth=1
	s_or_b64 exec, exec, s[36:37]
.LBB130_251:                            ;   in Loop: Header=BB130_21 Depth=1
	s_andn2_b64 s[8:9], s[22:23], exec
	s_and_b64 s[14:15], s[28:29], exec
	s_or_b64 s[22:23], s[8:9], s[14:15]
	s_andn2_b64 s[8:9], s[24:25], exec
	s_and_b64 s[14:15], s[34:35], exec
	s_or_b64 s[24:25], s[8:9], s[14:15]
	;; [unrolled: 3-line block ×3, first 2 shown]
	s_and_b64 s[30:31], s[40:41], exec
	s_mov_b32 s35, s45
.LBB130_252:                            ;   in Loop: Header=BB130_21 Depth=1
	s_or_b64 exec, exec, s[26:27]
                                        ; implicit-def: $sgpr3
	s_and_saveexec_b64 s[8:9], s[30:31]
	s_xor_b64 s[14:15], exec, s[8:9]
	s_cbranch_execz .LBB130_19
.LBB130_253:                            ;   in Loop: Header=BB130_21 Depth=1
	s_and_b32 s3, s52, -9
	s_cmp_eq_u32 s3, 0
	s_cbranch_scc1 .LBB130_17
; %bb.254:                              ;   in Loop: Header=BB130_21 Depth=1
	s_mov_b64 s[18:19], -1
                                        ; implicit-def: $sgpr1
                                        ; implicit-def: $sgpr35
                                        ; implicit-def: $sgpr81
                                        ; implicit-def: $sgpr0
	s_mov_b64 s[26:27], -1
	s_branch .LBB130_18
.LBB130_255:
	s_or_b64 exec, exec, s[94:95]
	s_xor_b64 s[8:9], s[62:63], -1
	s_xor_b64 s[0:1], s[68:69], -1
	;; [unrolled: 1-line block ×3, first 2 shown]
	s_mov_b64 s[4:5], 0
	s_and_saveexec_b64 s[2:3], s[0:1]
	s_xor_b64 s[2:3], exec, s[2:3]
	s_cbranch_execnz .LBB130_260
; %bb.256:
	s_andn2_saveexec_b64 s[0:1], s[2:3]
	s_cbranch_execnz .LBB130_273
.LBB130_257:
	s_or_b64 exec, exec, s[0:1]
	s_and_saveexec_b64 s[0:1], s[4:5]
.LBB130_258:
	; divergent unreachable
.LBB130_259:
	s_endpgm
.LBB130_260:
	s_and_saveexec_b64 s[0:1], s[8:9]
	s_xor_b64 s[4:5], exec, s[0:1]
	s_cbranch_execz .LBB130_271
; %bb.261:
	s_and_saveexec_b64 s[0:1], s[6:7]
	s_xor_b64 s[6:7], exec, s[0:1]
; %bb.262:
	v_and_b32_e32 v1, 0x8000, v2
	v_mov_b32_e32 v3, 0x8000
	v_mov_b32_e32 v4, 0xffff
	v_cmp_eq_u32_e32 vcc, 0, v1
	v_cndmask_b32_e32 v1, v3, v4, vcc
	v_xor_b32_e32 v34, v1, v2
; %bb.263:
	s_or_b64 exec, exec, s[6:7]
	v_readlane_b32 s8, v52, 12
	v_readlane_b32 s9, v52, 13
	;; [unrolled: 1-line block ×3, first 2 shown]
	s_mul_i32 s0, s10, s9
	v_readlane_b32 s1, v52, 20
	v_readlane_b32 s9, v52, 15
	s_sub_i32 s0, s1, s0
	s_mul_i32 s1, s9, s8
	s_sub_i32 s1, s10, s1
	s_add_i32 s6, s9, 1
	s_sub_i32 s7, s1, s8
	s_cmp_ge_u32 s1, s8
	s_cselect_b32 s6, s6, s9
	s_cselect_b32 s1, s7, s1
	s_add_i32 s7, s6, 1
	s_cmp_ge_u32 s1, s8
	s_cselect_b32 s1, s7, s6
	v_readlane_b32 s12, v52, 8
	s_mul_i32 s6, s1, s8
	v_readlane_b32 s13, v52, 9
	v_readlane_b32 s14, v52, 10
	s_sub_i32 s6, s10, s6
	s_mul_i32 s0, s0, s14
	s_mul_i32 s6, s6, s13
	s_add_i32 s0, s6, s0
	s_mul_i32 s1, s1, s12
	s_add_i32 s0, s0, s1
	s_mov_b32 s1, 0
	s_lshl_b64 s[0:1], s[0:1], 1
	v_readlane_b32 s6, v52, 0
	v_readlane_b32 s7, v52, 1
	s_add_u32 s0, s6, s0
	s_addc_u32 s1, s7, s1
	v_mov_b32_e32 v7, 0
	v_readlane_b32 s15, v52, 11
	global_store_short v7, v34, s[0:1]
	s_mov_b64 s[6:7], exec
	v_readlane_b32 s0, v52, 21
	v_readlane_b32 s1, v52, 22
	s_and_b64 s[0:1], s[6:7], s[0:1]
	s_mov_b64 exec, s[0:1]
	s_cbranch_execz .LBB130_270
; %bb.264:
	v_cmp_u_f16_e32 vcc, v34, v34
	s_mov_b64 s[8:9], 0
	v_mov_b32_e32 v1, s90
	s_xor_b64 s[12:13], vcc, -1
                                        ; implicit-def: $sgpr10_sgpr11
                                        ; implicit-def: $sgpr16_sgpr17
                                        ; implicit-def: $sgpr14_sgpr15
	s_branch .LBB130_266
.LBB130_265:                            ;   in Loop: Header=BB130_266 Depth=1
	s_or_b64 exec, exec, s[0:1]
	s_and_b64 s[0:1], exec, s[16:17]
	s_or_b64 s[8:9], s[0:1], s[8:9]
	s_andn2_b64 s[0:1], s[10:11], exec
	s_and_b64 s[10:11], s[14:15], exec
	s_or_b64 s[10:11], s[0:1], s[10:11]
	s_andn2_b64 exec, exec, s[8:9]
	s_cbranch_execz .LBB130_268
.LBB130_266:                            ; =>This Inner Loop Header: Depth=1
	v_lshlrev_b64 v[2:3], 1, v[6:7]
	v_add_co_u32_e32 v2, vcc, s57, v2
	v_addc_co_u32_e32 v3, vcc, v1, v3, vcc
	global_load_ushort v3, v[2:3], off
	v_mov_b32_e32 v2, v0
	s_or_b64 s[14:15], s[14:15], exec
	s_or_b64 s[16:17], s[16:17], exec
                                        ; implicit-def: $vgpr0
	s_waitcnt vmcnt(0)
	v_cmp_o_f16_e64 s[0:1], v3, v3
	v_cmp_neq_f16_e32 vcc, v3, v34
	s_or_b64 s[0:1], s[12:13], s[0:1]
	s_and_b64 s[18:19], vcc, s[0:1]
	s_and_saveexec_b64 s[0:1], s[18:19]
	s_cbranch_execz .LBB130_265
; %bb.267:                              ;   in Loop: Header=BB130_266 Depth=1
	v_add_u32_e32 v0, s59, v2
	v_cmp_le_u32_e32 vcc, s56, v0
	s_andn2_b64 s[16:17], s[16:17], exec
	s_and_b64 s[18:19], vcc, exec
	v_add_u32_e32 v6, s91, v6
	s_andn2_b64 s[14:15], s[14:15], exec
	s_or_b64 s[16:17], s[16:17], s[18:19]
	s_branch .LBB130_265
.LBB130_268:
	s_or_b64 exec, exec, s[8:9]
	s_and_saveexec_b64 s[0:1], s[10:11]
	s_xor_b64 s[0:1], exec, s[0:1]
	s_cbranch_execz .LBB130_270
; %bb.269:
	v_readlane_b32 s8, v52, 2
	v_readlane_b32 s16, v52, 16
	;; [unrolled: 1-line block ×6, first 2 shown]
	s_mov_b32 s14, s10
	s_mul_i32 s0, s15, s17
	v_readlane_b32 s1, v52, 20
	s_mov_b64 s[12:13], s[8:9]
	v_readlane_b32 s10, v52, 19
	s_sub_i32 s0, s1, s0
	s_mul_i32 s1, s10, s16
	s_sub_i32 s1, s15, s1
	s_add_i32 s8, s10, 1
	s_sub_i32 s9, s1, s16
	s_cmp_ge_u32 s1, s16
	s_cselect_b32 s8, s8, s10
	s_cselect_b32 s1, s9, s1
	s_add_i32 s9, s8, 1
	s_cmp_ge_u32 s1, s16
	s_cselect_b32 s1, s9, s8
	s_mul_i32 s8, s1, s16
	s_sub_i32 s8, s15, s8
	s_mul_i32 s0, s0, s14
	s_mul_i32 s8, s8, s13
	s_add_i32 s0, s8, s0
	s_mul_i32 s1, s1, s12
	s_add_i32 s0, s0, s1
	s_mov_b32 s1, 0
	s_lshl_b64 s[0:1], s[0:1], 3
	v_readlane_b32 s8, v52, 6
	v_readlane_b32 s9, v52, 7
	s_add_u32 s0, s8, s0
	s_addc_u32 s1, s9, s1
	v_mov_b32_e32 v3, 0
	v_readlane_b32 s11, v52, 5
	global_store_dwordx2 v3, v[2:3], s[0:1]
.LBB130_270:
	s_or_b64 exec, exec, s[6:7]
.LBB130_271:
	s_or_saveexec_b64 s[0:1], s[4:5]
	s_mov_b64 s[4:5], 0
	s_xor_b64 exec, exec, s[0:1]
	s_cbranch_execnz .LBB130_274
.LBB130_272:
	s_or_b64 exec, exec, s[0:1]
	s_and_b64 s[4:5], s[4:5], exec
	s_andn2_saveexec_b64 s[0:1], s[2:3]
	s_cbranch_execz .LBB130_257
.LBB130_273:
	s_or_b64 s[4:5], s[4:5], exec
	s_trap 2
	s_or_b64 exec, exec, s[0:1]
	s_and_saveexec_b64 s[0:1], s[4:5]
	s_cbranch_execnz .LBB130_258
	s_branch .LBB130_259
.LBB130_274:
	s_mov_b64 s[4:5], exec
	s_trap 2
	s_branch .LBB130_272
	.section	.rodata,"a",@progbits
	.p2align	6, 0x0
	.amdhsa_kernel _ZN2at6native12_GLOBAL__N_112gatherMedianIN3c104HalfEjLi3EEEvNS_4cuda6detail10TensorInfoIT_T0_EENS7_IlS9_EENS7_IKS8_S9_EES9_S9_S9_b
		.amdhsa_group_segment_fixed_size 4120
		.amdhsa_private_segment_fixed_size 0
		.amdhsa_kernarg_size 920
		.amdhsa_user_sgpr_count 6
		.amdhsa_user_sgpr_private_segment_buffer 1
		.amdhsa_user_sgpr_dispatch_ptr 0
		.amdhsa_user_sgpr_queue_ptr 0
		.amdhsa_user_sgpr_kernarg_segment_ptr 1
		.amdhsa_user_sgpr_dispatch_id 0
		.amdhsa_user_sgpr_flat_scratch_init 0
		.amdhsa_user_sgpr_kernarg_preload_length 0
		.amdhsa_user_sgpr_kernarg_preload_offset 0
		.amdhsa_user_sgpr_private_segment_size 0
		.amdhsa_uses_dynamic_stack 0
		.amdhsa_system_sgpr_private_segment_wavefront_offset 0
		.amdhsa_system_sgpr_workgroup_id_x 1
		.amdhsa_system_sgpr_workgroup_id_y 1
		.amdhsa_system_sgpr_workgroup_id_z 1
		.amdhsa_system_sgpr_workgroup_info 0
		.amdhsa_system_vgpr_workitem_id 0
		.amdhsa_next_free_vgpr 53
		.amdhsa_next_free_sgpr 96
		.amdhsa_accum_offset 56
		.amdhsa_reserve_vcc 1
		.amdhsa_reserve_flat_scratch 0
		.amdhsa_float_round_mode_32 0
		.amdhsa_float_round_mode_16_64 0
		.amdhsa_float_denorm_mode_32 3
		.amdhsa_float_denorm_mode_16_64 3
		.amdhsa_dx10_clamp 1
		.amdhsa_ieee_mode 1
		.amdhsa_fp16_overflow 0
		.amdhsa_tg_split 0
		.amdhsa_exception_fp_ieee_invalid_op 0
		.amdhsa_exception_fp_denorm_src 0
		.amdhsa_exception_fp_ieee_div_zero 0
		.amdhsa_exception_fp_ieee_overflow 0
		.amdhsa_exception_fp_ieee_underflow 0
		.amdhsa_exception_fp_ieee_inexact 0
		.amdhsa_exception_int_div_zero 0
	.end_amdhsa_kernel
	.section	.text._ZN2at6native12_GLOBAL__N_112gatherMedianIN3c104HalfEjLi3EEEvNS_4cuda6detail10TensorInfoIT_T0_EENS7_IlS9_EENS7_IKS8_S9_EES9_S9_S9_b,"axG",@progbits,_ZN2at6native12_GLOBAL__N_112gatherMedianIN3c104HalfEjLi3EEEvNS_4cuda6detail10TensorInfoIT_T0_EENS7_IlS9_EENS7_IKS8_S9_EES9_S9_S9_b,comdat
.Lfunc_end130:
	.size	_ZN2at6native12_GLOBAL__N_112gatherMedianIN3c104HalfEjLi3EEEvNS_4cuda6detail10TensorInfoIT_T0_EENS7_IlS9_EENS7_IKS8_S9_EES9_S9_S9_b, .Lfunc_end130-_ZN2at6native12_GLOBAL__N_112gatherMedianIN3c104HalfEjLi3EEEvNS_4cuda6detail10TensorInfoIT_T0_EENS7_IlS9_EENS7_IKS8_S9_EES9_S9_S9_b
                                        ; -- End function
	.section	.AMDGPU.csdata,"",@progbits
; Kernel info:
; codeLenInByte = 11360
; NumSgprs: 100
; NumVgprs: 53
; NumAgprs: 0
; TotalNumVgprs: 53
; ScratchSize: 0
; MemoryBound: 0
; FloatMode: 240
; IeeeMode: 1
; LDSByteSize: 4120 bytes/workgroup (compile time only)
; SGPRBlocks: 12
; VGPRBlocks: 6
; NumSGPRsForWavesPerEU: 100
; NumVGPRsForWavesPerEU: 53
; AccumOffset: 56
; Occupancy: 8
; WaveLimiterHint : 1
; COMPUTE_PGM_RSRC2:SCRATCH_EN: 0
; COMPUTE_PGM_RSRC2:USER_SGPR: 6
; COMPUTE_PGM_RSRC2:TRAP_HANDLER: 0
; COMPUTE_PGM_RSRC2:TGID_X_EN: 1
; COMPUTE_PGM_RSRC2:TGID_Y_EN: 1
; COMPUTE_PGM_RSRC2:TGID_Z_EN: 1
; COMPUTE_PGM_RSRC2:TIDIG_COMP_CNT: 0
; COMPUTE_PGM_RSRC3_GFX90A:ACCUM_OFFSET: 13
; COMPUTE_PGM_RSRC3_GFX90A:TG_SPLIT: 0
	.section	.text._ZN2at6native12_GLOBAL__N_112gatherMedianIN3c104HalfEjLin1EEEvNS_4cuda6detail10TensorInfoIT_T0_EENS7_IlS9_EENS7_IKS8_S9_EES9_S9_S9_b,"axG",@progbits,_ZN2at6native12_GLOBAL__N_112gatherMedianIN3c104HalfEjLin1EEEvNS_4cuda6detail10TensorInfoIT_T0_EENS7_IlS9_EENS7_IKS8_S9_EES9_S9_S9_b,comdat
	.globl	_ZN2at6native12_GLOBAL__N_112gatherMedianIN3c104HalfEjLin1EEEvNS_4cuda6detail10TensorInfoIT_T0_EENS7_IlS9_EENS7_IKS8_S9_EES9_S9_S9_b ; -- Begin function _ZN2at6native12_GLOBAL__N_112gatherMedianIN3c104HalfEjLin1EEEvNS_4cuda6detail10TensorInfoIT_T0_EENS7_IlS9_EENS7_IKS8_S9_EES9_S9_S9_b
	.p2align	8
	.type	_ZN2at6native12_GLOBAL__N_112gatherMedianIN3c104HalfEjLin1EEEvNS_4cuda6detail10TensorInfoIT_T0_EENS7_IlS9_EENS7_IKS8_S9_EES9_S9_S9_b,@function
_ZN2at6native12_GLOBAL__N_112gatherMedianIN3c104HalfEjLin1EEEvNS_4cuda6detail10TensorInfoIT_T0_EENS7_IlS9_EENS7_IKS8_S9_EES9_S9_S9_b: ; @_ZN2at6native12_GLOBAL__N_112gatherMedianIN3c104HalfEjLin1EEEvNS_4cuda6detail10TensorInfoIT_T0_EENS7_IlS9_EENS7_IKS8_S9_EES9_S9_S9_b
; %bb.0:
	s_load_dwordx2 s[12:13], s[4:5], 0x298
	s_load_dwordx4 s[56:59], s[4:5], 0x288
	s_add_u32 s10, s4, 0x298
	s_addc_u32 s11, s5, 0
	s_waitcnt lgkmcnt(0)
	s_mul_i32 s0, s13, s8
	s_add_i32 s0, s0, s7
	s_mul_i32 s0, s0, s12
	s_add_i32 s7, s0, s6
	s_cmp_ge_u32 s7, s57
	s_cbranch_scc1 .LBB131_268
; %bb.1:
	s_load_dword s0, s[4:5], 0xd0
	s_mov_b32 s61, 0
	s_mov_b32 s33, s7
	s_waitcnt lgkmcnt(0)
	s_cmp_lt_i32 s0, 2
	s_cbranch_scc1 .LBB131_4
; %bb.2:
	s_add_i32 s60, s0, -1
	s_add_i32 s2, s0, 1
	s_lshl_b64 s[0:1], s[60:61], 2
	s_add_u32 s0, s0, s4
	s_addc_u32 s1, s1, s5
	s_add_u32 s0, s0, 8
	s_addc_u32 s1, s1, 0
	s_mov_b32 s33, s7
.LBB131_3:                              ; =>This Inner Loop Header: Depth=1
	s_load_dword s3, s[0:1], 0x0
	s_load_dword s9, s[0:1], 0x64
	s_mov_b32 s8, s33
	s_waitcnt lgkmcnt(0)
	v_cvt_f32_u32_e32 v1, s3
	s_sub_i32 s13, 0, s3
	v_rcp_iflag_f32_e32 v1, v1
	v_mul_f32_e32 v1, 0x4f7ffffe, v1
	v_cvt_u32_f32_e32 v1, v1
	v_readfirstlane_b32 s14, v1
	s_mul_i32 s13, s13, s14
	s_mul_hi_u32 s13, s14, s13
	s_add_i32 s14, s14, s13
	s_mul_hi_u32 s13, s33, s14
	s_mul_i32 s14, s13, s3
	s_sub_i32 s14, s33, s14
	s_add_i32 s15, s13, 1
	s_sub_i32 s16, s14, s3
	s_cmp_ge_u32 s14, s3
	s_cselect_b32 s13, s15, s13
	s_cselect_b32 s14, s16, s14
	s_add_i32 s15, s13, 1
	s_cmp_ge_u32 s14, s3
	s_cselect_b32 s33, s15, s13
	s_mul_i32 s3, s33, s3
	s_sub_i32 s3, s8, s3
	s_mul_i32 s3, s9, s3
	s_add_i32 s2, s2, -1
	s_add_i32 s61, s3, s61
	s_add_u32 s0, s0, -4
	s_addc_u32 s1, s1, -1
	s_cmp_gt_u32 s2, 2
	s_cbranch_scc1 .LBB131_3
.LBB131_4:
	s_load_dword s2, s[4:5], 0x1a8
	s_add_u32 s0, s4, 0xd8
	s_addc_u32 s1, s5, 0
	s_mov_b32 s63, 0
	s_mov_b32 s57, s7
	s_waitcnt lgkmcnt(0)
	s_cmp_lt_i32 s2, 2
	s_cbranch_scc1 .LBB131_7
; %bb.5:
	s_add_i32 s62, s2, -1
	s_add_i32 s8, s2, 1
	s_lshl_b64 s[2:3], s[62:63], 2
	s_add_u32 s2, s2, s0
	s_addc_u32 s3, s3, s1
	s_add_u32 s2, s2, 8
	s_addc_u32 s3, s3, 0
	s_mov_b32 s57, s7
.LBB131_6:                              ; =>This Inner Loop Header: Depth=1
	s_load_dword s9, s[2:3], 0x0
	s_load_dword s14, s[2:3], 0x64
	s_mov_b32 s13, s57
	s_waitcnt lgkmcnt(0)
	v_cvt_f32_u32_e32 v1, s9
	s_sub_i32 s15, 0, s9
	v_rcp_iflag_f32_e32 v1, v1
	v_mul_f32_e32 v1, 0x4f7ffffe, v1
	v_cvt_u32_f32_e32 v1, v1
	v_readfirstlane_b32 s16, v1
	s_mul_i32 s15, s15, s16
	s_mul_hi_u32 s15, s16, s15
	s_add_i32 s16, s16, s15
	s_mul_hi_u32 s15, s57, s16
	s_mul_i32 s16, s15, s9
	s_sub_i32 s16, s57, s16
	s_add_i32 s17, s15, 1
	s_sub_i32 s18, s16, s9
	s_cmp_ge_u32 s16, s9
	s_cselect_b32 s15, s17, s15
	s_cselect_b32 s16, s18, s16
	s_add_i32 s17, s15, 1
	s_cmp_ge_u32 s16, s9
	s_cselect_b32 s57, s17, s15
	s_mul_i32 s9, s57, s9
	s_sub_i32 s9, s13, s9
	s_mul_i32 s9, s14, s9
	s_add_i32 s8, s8, -1
	s_add_i32 s63, s9, s63
	s_add_u32 s2, s2, -4
	s_addc_u32 s3, s3, -1
	s_cmp_gt_u32 s8, 2
	s_cbranch_scc1 .LBB131_6
.LBB131_7:
	s_load_dword s2, s[4:5], 0x6c
                                        ; implicit-def: $vgpr52 : SGPR spill to VGPR lane
	s_add_u32 s8, s4, 0x1b0
	s_addc_u32 s9, s5, 0
	s_mov_b32 s3, 0
	s_waitcnt lgkmcnt(0)
	v_writelane_b32 v52, s2, 0
	s_load_dword s2, s[4:5], 0x280
	s_waitcnt lgkmcnt(0)
	s_cmp_lt_i32 s2, 2
	s_cbranch_scc1 .LBB131_10
; %bb.8:
	s_add_i32 s13, s2, 1
	s_add_i32 s2, s2, -1
	s_lshl_b64 s[14:15], s[2:3], 2
	s_add_u32 s2, s14, s8
	s_addc_u32 s9, s15, s9
	s_add_u32 s8, s2, 8
	s_addc_u32 s9, s9, 0
.LBB131_9:                              ; =>This Inner Loop Header: Depth=1
	s_load_dword s2, s[8:9], 0x0
	s_load_dword s15, s[8:9], 0x64
	s_mov_b32 s14, s7
	s_waitcnt lgkmcnt(0)
	v_cvt_f32_u32_e32 v1, s2
	s_sub_i32 s7, 0, s2
	v_rcp_iflag_f32_e32 v1, v1
	v_mul_f32_e32 v1, 0x4f7ffffe, v1
	v_cvt_u32_f32_e32 v1, v1
	v_readfirstlane_b32 s16, v1
	s_mul_i32 s7, s7, s16
	s_mul_hi_u32 s7, s16, s7
	s_add_i32 s16, s16, s7
	s_mul_hi_u32 s7, s14, s16
	s_mul_i32 s16, s7, s2
	s_sub_i32 s16, s14, s16
	s_add_i32 s17, s7, 1
	s_sub_i32 s18, s16, s2
	s_cmp_ge_u32 s16, s2
	s_cselect_b32 s7, s17, s7
	s_cselect_b32 s16, s18, s16
	s_add_i32 s17, s7, 1
	s_cmp_ge_u32 s16, s2
	s_cselect_b32 s7, s17, s7
	s_mul_i32 s2, s7, s2
	s_sub_i32 s2, s14, s2
	s_mul_i32 s2, s15, s2
	s_add_i32 s13, s13, -1
	s_add_i32 s3, s2, s3
	s_add_u32 s8, s8, -4
	s_addc_u32 s9, s9, -1
	s_cmp_gt_u32 s13, 2
	s_cbranch_scc1 .LBB131_9
.LBB131_10:
	s_load_dword s0, s[0:1], 0x6c
                                        ; kill: killed $sgpr4 killed $sgpr5
	v_mov_b32_e32 v2, 0
	v_mul_lo_u32 v6, v0, s58
	s_waitcnt lgkmcnt(0)
	v_writelane_b32 v52, s0, 1
	s_load_dword s2, s[4:5], 0x21c
	s_load_dwordx2 s[0:1], s[4:5], 0x0
	s_waitcnt lgkmcnt(0)
	s_mul_i32 s2, s2, s7
	v_writelane_b32 v52, s0, 2
	v_writelane_b32 v52, s1, 3
	s_load_dwordx2 s[0:1], s[4:5], 0xd8
	s_waitcnt lgkmcnt(0)
	v_writelane_b32 v52, s0, 4
	v_writelane_b32 v52, s1, 5
	s_load_dwordx2 s[0:1], s[4:5], 0x1b0
	s_mov_b32 s5, 0
	s_add_i32 s4, s2, s3
	s_lshl_b64 s[2:3], s[4:5], 1
	s_waitcnt lgkmcnt(0)
	s_add_u32 s62, s0, s2
	s_addc_u32 s60, s1, s3
	v_cmp_gt_u32_e64 s[0:1], s56, v0
	s_mov_b64 s[2:3], exec
	v_writelane_b32 v52, s0, 6
	v_writelane_b32 v52, s1, 7
	s_and_b64 s[0:1], s[2:3], s[0:1]
	s_mov_b64 exec, s[0:1]
	s_cbranch_execz .LBB131_14
; %bb.11:
	s_load_dword s0, s[10:11], 0xc
	v_mov_b32_e32 v5, 0
	v_mul_lo_u32 v4, v0, s58
	s_mov_b64 s[4:5], 0
	v_mov_b32_e32 v1, s60
	s_waitcnt lgkmcnt(0)
	s_and_b32 s0, s0, 0xffff
	s_mul_i32 s1, s58, s0
	v_mov_b32_e32 v2, v5
	v_mov_b32_e32 v3, v0
.LBB131_12:                             ; =>This Inner Loop Header: Depth=1
	v_lshlrev_b64 v[8:9], 1, v[4:5]
	v_add_co_u32_e32 v8, vcc, s62, v8
	v_addc_co_u32_e32 v9, vcc, v1, v9, vcc
	global_load_ushort v7, v[8:9], off
	v_add_u32_e32 v3, s0, v3
	v_cmp_le_u32_e32 vcc, s56, v3
	s_or_b64 s[4:5], vcc, s[4:5]
	v_add_u32_e32 v4, s1, v4
	s_waitcnt vmcnt(0)
	v_cmp_u_f16_e32 vcc, v7, v7
	v_addc_co_u32_e32 v2, vcc, 0, v2, vcc
	s_andn2_b64 exec, exec, s[4:5]
	s_cbranch_execnz .LBB131_12
; %bb.13:
	s_or_b64 exec, exec, s[4:5]
.LBB131_14:
	s_or_b64 exec, exec, s[2:3]
	v_cmp_eq_u32_e64 s[0:1], 0, v0
	s_mov_b64 s[4:5], exec
	v_writelane_b32 v52, s0, 8
	v_writelane_b32 v52, s1, 9
	s_and_b64 s[0:1], s[4:5], s[0:1]
	s_mov_b64 exec, s[0:1]
	s_cbranch_execz .LBB131_16
; %bb.15:
	v_mov_b32_e32 v4, 0
	v_mov_b32_e32 v5, v4
	ds_write_b64 v4, v[4:5] offset:4096
.LBB131_16:
	s_or_b64 exec, exec, s[4:5]
	v_cmp_ne_u32_e32 vcc, 0, v2
	s_waitcnt lgkmcnt(0)
	s_barrier
	s_and_saveexec_b64 s[4:5], vcc
	s_cbranch_execz .LBB131_21
; %bb.17:
	s_mov_b64 s[14:15], exec
	v_mov_b32_e32 v1, 0
	s_mov_b64 s[8:9], 0
.LBB131_18:                             ; =>This Inner Loop Header: Depth=1
	s_ff1_i32_b64 s0, s[14:15]
	v_readlane_b32 s2, v2, s0
	v_readlane_b32 s1, v1, s0
	s_add_u32 s8, s8, s2
	s_addc_u32 s9, s9, s1
	s_lshl_b64 s[0:1], 1, s0
	s_andn2_b64 s[14:15], s[14:15], s[0:1]
	s_cmp_lg_u64 s[14:15], 0
	s_cbranch_scc1 .LBB131_18
; %bb.19:
	v_mbcnt_lo_u32_b32 v1, exec_lo, 0
	v_mbcnt_hi_u32_b32 v1, exec_hi, v1
	v_cmp_eq_u32_e32 vcc, 0, v1
	s_and_saveexec_b64 s[0:1], vcc
	s_xor_b64 s[0:1], exec, s[0:1]
	s_cbranch_execz .LBB131_21
; %bb.20:
	v_mov_b32_e32 v1, 0
	v_pk_mov_b32 v[2:3], s[8:9], s[8:9] op_sel:[0,1]
	ds_add_u64 v1, v[2:3] offset:4096
.LBB131_21:
	s_or_b64 exec, exec, s[4:5]
	v_mov_b32_e32 v1, 0
	s_waitcnt lgkmcnt(0)
	s_barrier
	ds_read_b64 v[2:3], v1 offset:4096
	s_bitcmp1_b32 s59, 0
	s_cselect_b64 s[0:1], -1, 0
	s_mov_b32 s75, s56
	s_waitcnt lgkmcnt(0)
	v_cmp_gt_i64_e32 vcc, 1, v[2:3]
	s_or_b64 s[0:1], s[0:1], vcc
	s_andn2_b64 vcc, exec, s[0:1]
	s_cbranch_vccnz .LBB131_23
; %bb.22:
	v_not_b32_e32 v1, v2
	v_not_b32_e32 v2, v3
	v_add_co_u32_e32 v1, vcc, s56, v1
	v_addc_co_u32_e32 v2, vcc, 0, v2, vcc
	v_lshrrev_b32_e32 v3, 31, v2
	v_add_co_u32_e32 v1, vcc, v1, v3
	v_addc_co_u32_e32 v2, vcc, 0, v2, vcc
	v_alignbit_b32 v1, v2, v1, 1
	v_readfirstlane_b32 s0, v1
	s_add_i32 s75, s0, 1
.LBB131_23:
	s_mov_b64 s[4:5], exec
	v_readlane_b32 s0, v52, 8
	v_readlane_b32 s1, v52, 9
	s_and_b64 s[0:1], s[4:5], s[0:1]
	s_mov_b64 exec, s[0:1]
	s_cbranch_execz .LBB131_25
; %bb.24:
	v_mov_b32_e32 v2, 0
	v_mov_b32_e32 v3, s56
	ds_write_b32 v2, v2 offset:4112
	ds_write_b64 v2, v[2:3] offset:4104
.LBB131_25:
	s_or_b64 exec, exec, s[4:5]
	s_waitcnt lgkmcnt(0)
	s_barrier
	s_load_dword s0, s[10:11], 0xc
	v_mbcnt_lo_u32_b32 v1, -1, 0
	v_mbcnt_hi_u32_b32 v13, -1, v1
	v_cmp_gt_u32_e32 vcc, 64, v0
	v_cmp_gt_i32_e64 s[4:5], 4, v13
	s_waitcnt lgkmcnt(0)
	s_and_b32 s59, s0, 0xffff
	s_bfe_u32 s3, s0, 0xa0006
	s_and_b64 s[0:1], vcc, s[4:5]
	v_writelane_b32 v52, s0, 10
	v_writelane_b32 v52, s1, 11
	s_add_i32 s0, s59, -1
	s_lshl_b32 s77, s59, 2
	v_writelane_b32 v52, s0, 12
	s_add_i32 s0, s0, s56
	s_cmpk_gt_u32 s56, 0x600
	s_cselect_b64 s[4:5], -1, 0
	v_writelane_b32 v52, s4, 13
	s_cmp_gt_u32 s59, 63
	v_writelane_b32 v52, s5, 14
	s_cselect_b64 s[4:5], -1, 0
	s_cmp_lt_u32 s6, s12
	v_writelane_b32 v52, s4, 15
	s_cselect_b32 s1, 12, 18
	v_writelane_b32 v52, s5, 16
	s_add_u32 s4, s10, s1
	s_addc_u32 s5, s11, 0
	s_add_i32 s1, s3, -2
	s_lshr_b32 s2, s1, 1
	v_mov_b32_e32 v9, 0
	s_add_i32 s2, s2, 1
	v_writelane_b32 v52, s4, 17
	s_cmpk_gt_u32 s59, 0x7f
	v_mov_b32_e32 v7, v9
	v_writelane_b32 v52, s5, 18
	s_cselect_b64 s[4:5], -1, 0
	v_lshlrev_b64 v[2:3], 1, v[6:7]
	v_writelane_b32 v52, s4, 19
	v_mov_b32_e32 v7, s60
	v_add_co_u32_e32 v10, vcc, s62, v2
	v_writelane_b32 v52, s5, 20
	v_cmp_gt_u32_e64 s[6:7], 2, v0
	v_addc_co_u32_e32 v11, vcc, v7, v3, vcc
	v_lshlrev_b64 v[2:3], v13, -1
	v_writelane_b32 v52, s6, 21
	v_not_b32_e32 v12, v2
	v_cvt_f32_u32_e32 v2, s77
	v_writelane_b32 v52, s7, 22
	s_and_b32 s6, s3, 0x3fe
	s_and_b32 s7, s2, 7
	s_cmp_gt_u32 s1, 13
	s_cselect_b64 s[8:9], -1, 0
	v_writelane_b32 v52, s8, 23
	v_rcp_iflag_f32_e32 v2, v2
	v_writelane_b32 v52, s9, 24
	s_and_b32 s1, s2, -8
	v_writelane_b32 v52, s1, 25
	s_cmp_lg_u32 s7, 0
	v_writelane_b32 v52, s7, 26
	s_cselect_b64 s[8:9], -1, 0
	v_writelane_b32 v52, s8, 27
	v_mul_f32_e32 v2, 0x4f7ffffe, v2
	v_writelane_b32 v52, s9, 28
	v_cvt_u32_f32_e32 v2, v2
	v_writelane_b32 v52, s3, 29
	s_cmp_lg_u32 s6, s3
	v_writelane_b32 v52, s6, 30
	s_cselect_b64 s[2:3], -1, 0
	v_writelane_b32 v52, s2, 31
	v_writelane_b32 v52, s3, 32
	s_sub_i32 s1, 0, s77
	v_readfirstlane_b32 s2, v2
	s_mul_i32 s1, s1, s2
	s_mul_hi_u32 s1, s2, s1
	s_add_i32 s71, s2, s1
	v_cvt_f32_u32_e32 v2, s59
	s_mul_hi_u32 s1, s56, s71
	s_mul_i32 s1, s1, s77
	s_sub_i32 s1, s56, s1
	s_sub_i32 s2, s1, s77
	v_rcp_iflag_f32_e32 v5, v2
	s_cmp_ge_u32 s1, s77
	s_cselect_b32 s1, s2, s1
	s_sub_i32 s2, s1, s77
	s_cmp_ge_u32 s1, s77
	v_mul_f32_e32 v5, 0x4f7ffffe, v5
	s_cselect_b32 s1, s2, s1
	v_cvt_u32_f32_e32 v5, v5
	v_lshlrev_b32_e32 v16, 2, v0
	s_sub_i32 s12, s56, s1
	v_cmp_gt_u32_e64 s[2:3], s12, v16
	v_writelane_b32 v52, s2, 33
	v_writelane_b32 v52, s3, 34
	s_sub_i32 s2, 0, s59
	v_readfirstlane_b32 s3, v5
	s_mul_i32 s2, s2, s3
	s_mul_hi_u32 s2, s3, s2
	s_add_i32 s2, s3, s2
	v_writelane_b32 v52, s2, 35
	s_mul_hi_u32 s2, s0, s2
	s_mul_i32 s2, s2, s59
	s_sub_i32 s2, s0, s2
	s_sub_i32 s3, s2, s59
	v_add_u32_e32 v21, s12, v0
	s_cmp_ge_u32 s2, s59
	v_lshrrev_b32_e32 v1, 4, v0
	v_mul_lo_u32 v8, v21, s58
	s_cselect_b32 s2, s3, s2
	v_and_b32_e32 v19, 60, v1
	v_not_b32_e32 v1, v3
	v_lshlrev_b64 v[2:3], 1, v[8:9]
	s_sub_i32 s3, s2, s59
	v_add_co_u32_e32 v14, vcc, s62, v2
	s_cmp_ge_u32 s2, s59
	v_mul_lo_u32 v2, s58, v16
	s_cselect_b32 s2, s3, s2
	v_add_u32_e32 v22, s58, v2
	v_or_b32_e32 v2, 2, v16
	s_sub_i32 s72, s0, s2
	v_mul_lo_u32 v23, s58, v2
	v_or_b32_e32 v2, 3, v16
	s_add_i32 s0, s59, s56
	v_cmp_gt_u32_e64 s[2:3], s72, v0
	v_mul_lo_u32 v24, s58, v2
	v_add_u32_e32 v2, s0, v0
	v_lshlrev_b32_e32 v17, 1, v0
	v_lshlrev_b32_e32 v4, 2, v13
	v_mov_b32_e32 v8, s60
	v_writelane_b32 v52, s2, 36
	s_mul_i32 s76, s58, s59
	v_subrev_u32_e32 v2, s1, v2
	s_mov_b32 s54, 0
	v_cmp_eq_u32_e64 s[4:5], 0, v13
	v_add_u32_e32 v18, 0xc00, v17
	v_and_b32_e32 v20, 0x100, v4
	v_cmp_gt_u32_e64 s[10:11], s56, v21
	v_addc_co_u32_e32 v15, vcc, v8, v3, vcc
	v_writelane_b32 v52, s3, 37
	s_lshl_b32 s73, s76, 2
	v_lshlrev_b32_e32 v25, 2, v6
	v_mul_lo_u32 v26, s58, v2
	v_lshlrev_b32_e32 v27, 3, v0
	s_lshl_b32 s0, s59, 3
	s_lshl_b32 s1, s59, 1
	v_or_b32_e32 v28, 0xc00, v4
	s_mov_b32 s3, 14
	s_mov_b64 s[86:87], 0
	s_movk_i32 s2, 0x3c00
	v_mov_b32_e32 v29, 0xffff
	v_mov_b32_e32 v30, 0x8000
	v_mov_b32_e32 v31, -1
	v_mov_b32_e32 v32, 0xc00
	v_mov_b32_e32 v33, 0x5040100
	;; [unrolled: 1-line block ×3, first 2 shown]
	s_mov_b32 s78, 0
	s_mov_b32 s74, 0
	;; [unrolled: 1-line block ×3, first 2 shown]
                                        ; implicit-def: $sgpr88_sgpr89
                                        ; implicit-def: $sgpr92_sgpr93
                                        ; implicit-def: $sgpr90_sgpr91
                                        ; implicit-def: $sgpr94_sgpr95
                                        ; implicit-def: $sgpr64_sgpr65
                                        ; implicit-def: $sgpr66_sgpr67
	s_branch .LBB131_30
.LBB131_26:                             ;   in Loop: Header=BB131_30 Depth=1
	s_xor_b32 s78, s78, 1
	s_add_i32 s6, s3, -2
	s_cmp_eq_u32 s3, 0
	s_mov_b64 s[18:19], 0
	s_cselect_b64 s[26:27], -1, 0
	s_mov_b32 s3, s6
.LBB131_27:                             ;   in Loop: Header=BB131_30 Depth=1
	s_andn2_b64 s[6:7], s[22:23], exec
	s_and_b64 s[8:9], s[18:19], exec
	s_or_b64 s[22:23], s[6:7], s[8:9]
	s_andn2_b64 s[24:25], s[24:25], exec
	s_andn2_b64 s[20:21], s[20:21], exec
	s_orn2_b64 s[18:19], s[26:27], exec
	s_mov_b32 s75, s35
.LBB131_28:                             ;   in Loop: Header=BB131_30 Depth=1
	s_or_b64 exec, exec, s[14:15]
	s_andn2_b64 s[6:7], s[66:67], exec
	s_and_b64 s[8:9], s[22:23], exec
	s_or_b64 s[66:67], s[6:7], s[8:9]
	s_andn2_b64 s[6:7], s[64:65], exec
	s_and_b64 s[8:9], s[24:25], exec
	s_or_b64 s[64:65], s[6:7], s[8:9]
	;; [unrolled: 3-line block ×3, first 2 shown]
	s_orn2_b64 s[18:19], s[18:19], exec
.LBB131_29:                             ;   in Loop: Header=BB131_30 Depth=1
	s_or_b64 exec, exec, s[16:17]
	s_and_b64 s[6:7], exec, s[18:19]
	s_or_b64 s[86:87], s[6:7], s[86:87]
	s_andn2_b64 s[6:7], s[90:91], exec
	s_and_b64 s[8:9], s[66:67], exec
	s_or_b64 s[90:91], s[6:7], s[8:9]
	s_andn2_b64 s[6:7], s[92:93], exec
	s_and_b64 s[8:9], s[64:65], exec
	;; [unrolled: 3-line block ×3, first 2 shown]
	v_mov_b32_e32 v2, s74
	s_or_b64 s[88:89], s[6:7], s[8:9]
	s_andn2_b64 exec, exec, s[86:87]
	s_cbranch_execz .LBB131_264
.LBB131_30:                             ; =>This Loop Header: Depth=1
                                        ;     Child Loop BB131_35 Depth 2
                                        ;     Child Loop BB131_53 Depth 2
	;; [unrolled: 1-line block ×17, first 2 shown]
	ds_read_b64 v[2:3], v9 offset:4104
	s_waitcnt lgkmcnt(0)
	v_readfirstlane_b32 s69, v2
	s_cmp_lg_u32 s69, 0
	s_cbranch_scc1 .LBB131_60
; %bb.31:                               ;   in Loop: Header=BB131_30 Depth=1
	v_readlane_b32 s6, v52, 13
	v_readlane_b32 s7, v52, 14
	s_and_b64 vcc, exec, s[6:7]
	s_cbranch_vccz .LBB131_43
; %bb.32:                               ;   in Loop: Header=BB131_30 Depth=1
	s_movk_i32 s6, 0x601
	v_cmp_gt_u32_e32 vcc, s6, v3
	s_mov_b64 s[18:19], 0
	s_mov_b64 s[14:15], 0
	s_cbranch_vccz .LBB131_44
; %bb.33:                               ;   in Loop: Header=BB131_30 Depth=1
	v_readlane_b32 s6, v52, 17
	v_readlane_b32 s7, v52, 18
	s_nop 4
	global_load_ushort v2, v9, s[6:7]
	global_load_ushort v4, v[10:11], off
	s_mov_b64 s[20:21], 0
	s_waitcnt vmcnt(1)
	v_add_u32_e32 v5, v0, v2
	v_mul_lo_u32 v3, s58, v2
	v_mul_lo_u32 v8, s58, v5
	v_mov_b32_e32 v5, v0
	s_branch .LBB131_35
.LBB131_34:                             ;   in Loop: Header=BB131_35 Depth=2
	s_or_b64 exec, exec, s[16:17]
	v_add_u32_e32 v8, v8, v3
	v_mov_b32_e32 v4, v35
	s_andn2_b64 exec, exec, s[20:21]
	s_cbranch_execz .LBB131_45
.LBB131_35:                             ;   Parent Loop BB131_30 Depth=1
                                        ; =>  This Inner Loop Header: Depth=2
	v_add_u32_e32 v5, v5, v2
	v_cmp_gt_u32_e64 s[14:15], s56, v5
	v_cmp_le_u32_e32 vcc, s56, v5
	s_waitcnt lgkmcnt(0)
	v_mov_b32_e32 v36, 0
	v_mov_b32_e32 v35, 0
	s_and_saveexec_b64 s[16:17], s[14:15]
	s_cbranch_execz .LBB131_37
; %bb.36:                               ;   in Loop: Header=BB131_35 Depth=2
	v_lshlrev_b64 v[38:39], 1, v[8:9]
	v_add_co_u32_e64 v38, s[14:15], s62, v38
	v_addc_co_u32_e64 v39, s[14:15], v7, v39, s[14:15]
	global_load_ushort v35, v[38:39], off
.LBB131_37:                             ;   in Loop: Header=BB131_35 Depth=2
	s_or_b64 exec, exec, s[16:17]
	s_waitcnt vmcnt(0)
	v_cmp_lt_i16_e64 s[14:15], -1, v4
	v_cndmask_b32_e64 v37, v29, v30, s[14:15]
	v_xor_b32_sdwa v37, v37, v4 dst_sel:DWORD dst_unused:UNUSED_PAD src0_sel:DWORD src1_sel:WORD_0
	v_cmp_o_f16_e64 s[14:15], v4, v4
	v_cndmask_b32_e64 v37, v29, v37, s[14:15]
	v_and_b32_e32 v37, s13, v37
	v_cmp_eq_u32_e64 s[14:15], s74, v37
	s_cmp_lg_u64 s[14:15], 0
	s_cselect_b64 s[6:7], -1, 0
	s_and_b64 s[6:7], s[4:5], s[6:7]
	s_and_saveexec_b64 s[22:23], s[6:7]
	s_cbranch_execz .LBB131_41
; %bb.38:                               ;   in Loop: Header=BB131_35 Depth=2
	s_mov_b64 s[26:27], exec
	v_mbcnt_lo_u32_b32 v36, s26, 0
	v_mbcnt_hi_u32_b32 v36, s27, v36
	s_bcnt1_i32_b64 s6, s[14:15]
	v_cmp_eq_u32_e64 s[16:17], 0, v36
                                        ; implicit-def: $vgpr37
	s_and_saveexec_b64 s[24:25], s[16:17]
	s_cbranch_execz .LBB131_40
; %bb.39:                               ;   in Loop: Header=BB131_35 Depth=2
	s_bcnt1_i32_b64 s7, s[26:27]
	s_mul_i32 s7, s6, s7
	v_mov_b32_e32 v37, s7
	ds_add_rtn_u32 v37, v9, v37 offset:4112
.LBB131_40:                             ;   in Loop: Header=BB131_35 Depth=2
	s_or_b64 exec, exec, s[24:25]
	s_waitcnt lgkmcnt(0)
	v_readfirstlane_b32 s7, v37
	v_mov_b32_e32 v37, s7
	v_mad_u32_u24 v36, s6, v36, v37
.LBB131_41:                             ;   in Loop: Header=BB131_35 Depth=2
	s_or_b64 exec, exec, s[22:23]
	ds_bpermute_b32 v36, v20, v36
	s_and_b64 s[6:7], exec, vcc
	s_or_b64 s[20:21], s[6:7], s[20:21]
	s_and_saveexec_b64 s[16:17], s[14:15]
	s_cbranch_execz .LBB131_34
; %bb.42:                               ;   in Loop: Header=BB131_35 Depth=2
	v_and_b32_e32 v38, s14, v12
	v_and_b32_e32 v37, s15, v1
	v_bcnt_u32_b32 v38, v38, 0
	v_bcnt_u32_b32 v37, v37, v38
	v_lshlrev_b32_e32 v37, 1, v37
	s_waitcnt lgkmcnt(0)
	v_lshl_add_u32 v36, v36, 1, v37
	ds_write_b16 v36, v4
	s_branch .LBB131_34
.LBB131_43:                             ;   in Loop: Header=BB131_30 Depth=1
	s_mov_b64 s[14:15], 0
                                        ; implicit-def: $sgpr69
	s_cbranch_execnz .LBB131_48
	s_branch .LBB131_58
.LBB131_44:                             ;   in Loop: Header=BB131_30 Depth=1
	s_mov_b32 s69, 0
	s_and_b64 vcc, exec, s[18:19]
	s_cbranch_vccnz .LBB131_48
	s_branch .LBB131_58
.LBB131_45:                             ;   in Loop: Header=BB131_30 Depth=1
	s_or_b64 exec, exec, s[20:21]
	s_waitcnt lgkmcnt(0)
	s_barrier
	s_mov_b64 s[14:15], exec
	v_readlane_b32 s6, v52, 8
	v_readlane_b32 s7, v52, 9
	s_and_b64 s[6:7], s[14:15], s[6:7]
	s_mov_b64 exec, s[6:7]
	s_cbranch_execz .LBB131_47
; %bb.46:                               ;   in Loop: Header=BB131_30 Depth=1
	ds_read_b32 v2, v9 offset:4112
	s_waitcnt lgkmcnt(0)
	ds_write_b32 v9, v2 offset:4104
.LBB131_47:                             ;   in Loop: Header=BB131_30 Depth=1
	s_or_b64 exec, exec, s[14:15]
	s_waitcnt lgkmcnt(0)
	s_barrier
	s_mov_b64 s[14:15], -1
	s_mov_b32 s69, 0
	s_and_b64 vcc, exec, s[18:19]
	s_cbranch_vccz .LBB131_58
.LBB131_48:                             ;   in Loop: Header=BB131_30 Depth=1
	v_mov_b32_e32 v2, 0
	s_mov_b64 s[14:15], exec
	v_readlane_b32 s6, v52, 6
	v_readlane_b32 s7, v52, 7
	s_and_b64 s[6:7], s[14:15], s[6:7]
	s_mov_b64 exec, s[6:7]
	s_cbranch_execz .LBB131_50
; %bb.49:                               ;   in Loop: Header=BB131_30 Depth=1
	global_load_ushort v2, v[10:11], off
.LBB131_50:                             ;   in Loop: Header=BB131_30 Depth=1
	s_or_b64 exec, exec, s[14:15]
	s_mov_b64 s[16:17], exec
	v_readlane_b32 s6, v52, 6
	v_readlane_b32 s7, v52, 7
	s_and_b64 s[6:7], s[16:17], s[6:7]
	s_mov_b64 exec, s[6:7]
	s_cbranch_execz .LBB131_55
; %bb.51:                               ;   in Loop: Header=BB131_30 Depth=1
	v_readlane_b32 s6, v52, 17
	v_readlane_b32 s7, v52, 18
	s_mov_b64 s[18:19], 0
	v_mov_b32_e32 v4, v17
	v_mov_b32_e32 v36, v0
	s_nop 1
	global_load_ushort v3, v9, s[6:7]
	s_waitcnt vmcnt(0)
	v_add_u32_e32 v8, v0, v3
	v_lshlrev_b32_e32 v5, 1, v3
	v_mul_lo_u32 v35, s58, v3
	v_mul_lo_u32 v8, s58, v8
	s_branch .LBB131_53
.LBB131_52:                             ;   in Loop: Header=BB131_53 Depth=2
	s_or_b64 exec, exec, s[20:21]
	s_and_b64 s[6:7], exec, vcc
	s_or_b64 s[18:19], s[6:7], s[18:19]
	ds_write_b16 v4, v2
	v_add_u32_e32 v4, v4, v5
	v_add_u32_e32 v8, v8, v35
	s_waitcnt vmcnt(0)
	v_mov_b32_e32 v2, v37
	s_andn2_b64 exec, exec, s[18:19]
	s_cbranch_execz .LBB131_55
.LBB131_53:                             ;   Parent Loop BB131_30 Depth=1
                                        ; =>  This Inner Loop Header: Depth=2
	v_add_u32_e32 v36, v36, v3
	v_cmp_gt_u32_e64 s[14:15], s56, v36
	v_cmp_le_u32_e32 vcc, s56, v36
	v_mov_b32_e32 v37, 0
	s_and_saveexec_b64 s[20:21], s[14:15]
	s_cbranch_execz .LBB131_52
; %bb.54:                               ;   in Loop: Header=BB131_53 Depth=2
	v_lshlrev_b64 v[38:39], 1, v[8:9]
	v_mov_b32_e32 v37, s60
	v_add_co_u32_e64 v38, s[14:15], s62, v38
	v_addc_co_u32_e64 v39, s[14:15], v37, v39, s[14:15]
	global_load_ushort v37, v[38:39], off
	s_branch .LBB131_52
.LBB131_55:                             ;   in Loop: Header=BB131_30 Depth=1
	s_or_b64 exec, exec, s[16:17]
	s_waitcnt lgkmcnt(0)
	s_barrier
	s_mov_b64 s[14:15], exec
	v_readlane_b32 s6, v52, 8
	v_readlane_b32 s7, v52, 9
	s_and_b64 s[6:7], s[14:15], s[6:7]
	s_mov_b64 exec, s[6:7]
	s_cbranch_execz .LBB131_57
; %bb.56:                               ;   in Loop: Header=BB131_30 Depth=1
	s_waitcnt vmcnt(0)
	v_mov_b32_e32 v2, s56
	ds_write_b32 v9, v2 offset:4104
.LBB131_57:                             ;   in Loop: Header=BB131_30 Depth=1
	s_or_b64 exec, exec, s[14:15]
	s_mov_b64 s[14:15], -1
	s_waitcnt lgkmcnt(0)
	s_barrier
                                        ; implicit-def: $sgpr69
.LBB131_58:                             ;   in Loop: Header=BB131_30 Depth=1
	s_and_b64 vcc, exec, s[14:15]
	s_cbranch_vccz .LBB131_60
; %bb.59:                               ;   in Loop: Header=BB131_30 Depth=1
	s_waitcnt vmcnt(0)
	ds_read_b32 v2, v9 offset:4104
	s_waitcnt lgkmcnt(0)
	v_readfirstlane_b32 s69, v2
.LBB131_60:                             ;   in Loop: Header=BB131_30 Depth=1
	s_cmp_lt_i32 s69, 1
	s_cbranch_scc0 .LBB131_72
; %bb.61:                               ;   in Loop: Header=BB131_30 Depth=1
	s_waitcnt vmcnt(0)
	v_mov_b32_e32 v2, 0
	s_mov_b32 s48, 0
	v_mov_b32_e32 v3, 0
	v_mov_b32_e32 v4, v2
	;; [unrolled: 1-line block ×3, first 2 shown]
	s_mov_b64 s[44:45], exec
	v_readlane_b32 s6, v52, 33
	v_readlane_b32 s7, v52, 34
	s_and_b64 s[6:7], s[44:45], s[6:7]
	s_mov_b64 exec, s[6:7]
	s_cbranch_execz .LBB131_65
; %bb.62:                               ;   in Loop: Header=BB131_30 Depth=1
	s_and_b32 s49, s3, 0xfe
	s_mov_b64 s[46:47], 0
	s_mov_b32 s50, 0
	s_mov_b32 s51, 0
	;; [unrolled: 1-line block ×4, first 2 shown]
	v_mov_b32_e32 v35, v16
.LBB131_63:                             ;   Parent Loop BB131_30 Depth=1
                                        ; =>  This Inner Loop Header: Depth=2
	v_add_u32_e32 v8, s48, v25
	v_lshlrev_b64 v[2:3], 1, v[8:9]
	v_mov_b32_e32 v38, s60
	v_add_u32_e32 v8, s48, v22
	v_add_co_u32_e64 v2, s[14:15], s62, v2
	v_lshlrev_b64 v[4:5], 1, v[8:9]
	v_addc_co_u32_e64 v3, s[14:15], v38, v3, s[14:15]
	v_add_u32_e32 v8, s48, v23
	global_load_ushort v39, v[2:3], off
	v_add_co_u32_e64 v2, s[14:15], s62, v4
	v_lshlrev_b64 v[36:37], 1, v[8:9]
	v_add_u32_e32 v8, s48, v24
	v_addc_co_u32_e64 v3, s[14:15], v38, v5, s[14:15]
	v_lshlrev_b64 v[4:5], 1, v[8:9]
	global_load_ushort v8, v[2:3], off
	v_add_co_u32_e64 v2, s[14:15], s62, v36
	v_addc_co_u32_e64 v3, s[14:15], v38, v37, s[14:15]
	global_load_ushort v36, v[2:3], off
	v_add_co_u32_e64 v2, s[14:15], s62, v4
	v_addc_co_u32_e64 v3, s[14:15], v38, v5, s[14:15]
	global_load_ushort v2, v[2:3], off
	v_add_u32_e32 v35, s77, v35
	v_cmp_le_u32_e32 vcc, s12, v35
	s_add_i32 s48, s48, s73
	s_waitcnt vmcnt(3)
	v_cmp_lt_i16_e64 s[14:15], -1, v39
	v_cndmask_b32_e64 v3, v29, v30, s[14:15]
	v_xor_b32_sdwa v3, v3, v39 dst_sel:DWORD dst_unused:UNUSED_PAD src0_sel:DWORD src1_sel:WORD_0
	s_waitcnt vmcnt(2)
	v_cmp_lt_i16_e64 s[14:15], -1, v8
	v_cndmask_b32_e64 v4, v29, v30, s[14:15]
	v_cmp_o_f16_e64 s[14:15], v39, v39
	v_cndmask_b32_e64 v3, v29, v3, s[14:15]
	v_xor_b32_sdwa v4, v4, v8 dst_sel:DWORD dst_unused:UNUSED_PAD src0_sel:DWORD src1_sel:WORD_0
	s_waitcnt vmcnt(1)
	v_cmp_lt_i16_e64 s[14:15], -1, v36
	v_cndmask_b32_e64 v5, v29, v30, s[14:15]
	v_cmp_o_f16_e64 s[14:15], v8, v8
	v_cndmask_b32_e64 v4, v29, v4, s[14:15]
	v_xor_b32_sdwa v5, v5, v36 dst_sel:DWORD dst_unused:UNUSED_PAD src0_sel:DWORD src1_sel:WORD_0
	s_waitcnt vmcnt(0)
	v_cmp_lt_i16_e64 s[14:15], -1, v2
	v_cndmask_b32_e64 v8, v29, v30, s[14:15]
	v_and_b32_e32 v37, s13, v3
	v_bfe_u32 v3, v3, s49, 2
	v_cmp_o_f16_e64 s[14:15], v36, v36
	v_cndmask_b32_e64 v5, v29, v5, s[14:15]
	v_cmp_eq_u32_e64 s[14:15], s74, v37
	v_cmp_eq_u32_e64 s[16:17], 0, v3
	v_and_b32_e32 v36, s13, v4
	v_bfe_u32 v4, v4, s49, 2
	v_cmp_eq_u32_e64 s[18:19], 1, v3
	s_and_b64 s[6:7], s[14:15], s[16:17]
	v_xor_b32_sdwa v8, v8, v2 dst_sel:DWORD dst_unused:UNUSED_PAD src0_sel:DWORD src1_sel:WORD_0
	v_cmp_eq_u32_e64 s[20:21], 2, v3
	v_cmp_o_f16_e64 s[24:25], v2, v2
	v_cmp_eq_u32_e64 s[26:27], 0, v4
	v_cmp_eq_u32_e64 s[28:29], 1, v4
	v_cmp_eq_u32_e64 s[30:31], 2, v4
	v_cmp_eq_u32_e64 s[34:35], 3, v4
	v_cndmask_b32_e64 v4, 0, 1, s[6:7]
	s_and_b64 s[6:7], s[14:15], s[18:19]
	v_cmp_eq_u32_e64 s[22:23], 3, v3
	v_cndmask_b32_e64 v2, v29, v8, s[24:25]
	v_cndmask_b32_e64 v8, 0, 1, s[6:7]
	s_and_b64 s[6:7], s[14:15], s[20:21]
	v_cmp_eq_u32_e64 s[24:25], s74, v36
	v_cndmask_b32_e64 v36, 0, 1, s[6:7]
	s_and_b64 s[6:7], s[14:15], s[22:23]
	v_cndmask_b32_e64 v37, 0, 1, s[6:7]
	s_and_b64 s[6:7], s[24:25], s[26:27]
	v_and_b32_e32 v3, s13, v5
	v_bfe_u32 v5, v5, s49, 2
	v_cmp_ne_u32_e64 s[36:37], 0, v4
	v_cndmask_b32_e64 v4, 0, 1, s[6:7]
	s_and_b64 s[6:7], s[24:25], s[28:29]
	v_cmp_eq_u32_e64 s[16:17], 0, v5
	v_cmp_eq_u32_e64 s[18:19], 1, v5
	;; [unrolled: 1-line block ×4, first 2 shown]
	v_cndmask_b32_e64 v5, 0, 1, s[6:7]
	s_and_b64 s[6:7], s[24:25], s[30:31]
	v_cmp_eq_u32_e64 s[14:15], s74, v3
	v_cmp_ne_u32_e64 s[26:27], 0, v8
	v_cndmask_b32_e64 v8, 0, 1, s[6:7]
	s_and_b64 s[6:7], s[24:25], s[34:35]
	v_and_b32_e32 v3, s13, v2
	v_bfe_u32 v2, v2, s49, 2
	v_cmp_ne_u32_e64 s[28:29], 0, v36
	v_cndmask_b32_e64 v36, 0, 1, s[6:7]
	s_and_b64 s[6:7], s[14:15], s[16:17]
	v_cmp_eq_u32_e64 s[34:35], 0, v2
	v_cmp_eq_u32_e64 s[38:39], 1, v2
	;; [unrolled: 1-line block ×4, first 2 shown]
	v_cndmask_b32_e64 v2, 0, 1, s[6:7]
	s_and_b64 s[6:7], s[14:15], s[18:19]
	v_cmp_eq_u32_e64 s[24:25], s74, v3
	v_cndmask_b32_e64 v3, 0, 1, s[6:7]
	s_and_b64 s[6:7], s[14:15], s[20:21]
	s_bcnt1_i32_b64 s8, s[36:37]
	v_cmp_ne_u32_e64 s[36:37], 0, v4
	v_cndmask_b32_e64 v4, 0, 1, s[6:7]
	s_and_b64 s[6:7], s[14:15], s[22:23]
	v_cmp_ne_u32_e64 s[16:17], 0, v5
	v_cndmask_b32_e64 v5, 0, 1, s[6:7]
	s_and_b64 s[6:7], s[24:25], s[34:35]
	;; [unrolled: 3-line block ×3, first 2 shown]
	v_cmp_ne_u32_e64 s[30:31], 0, v37
	v_cmp_ne_u32_e64 s[18:19], 0, v8
	s_bcnt1_i32_b64 s23, s[16:17]
	v_cmp_ne_u32_e64 s[16:17], 0, v3
	v_cndmask_b32_e64 v3, 0, 1, s[6:7]
	s_and_b64 s[6:7], s[24:25], s[40:41]
	s_bcnt1_i32_b64 s9, s[26:27]
	s_bcnt1_i32_b64 s26, s[28:29]
	;; [unrolled: 1-line block ×3, first 2 shown]
	v_cmp_ne_u32_e64 s[20:21], 0, v36
	s_bcnt1_i32_b64 s28, s[18:19]
	v_cmp_ne_u32_e64 s[18:19], 0, v4
	v_cndmask_b32_e64 v4, 0, 1, s[6:7]
	s_and_b64 s[6:7], s[24:25], s[42:43]
	s_bcnt1_i32_b64 s22, s[36:37]
	s_add_i32 s8, s53, s8
	s_add_i32 s9, s52, s9
	;; [unrolled: 1-line block ×3, first 2 shown]
	s_bcnt1_i32_b64 s29, s[20:21]
	v_cmp_ne_u32_e64 s[20:21], 0, v5
	v_cndmask_b32_e64 v5, 0, 1, s[6:7]
	s_add_i32 s6, s50, s27
	s_bcnt1_i32_b64 s7, s[14:15]
	v_cmp_ne_u32_e64 s[14:15], 0, v2
	s_add_i32 s8, s8, s22
	s_bcnt1_i32_b64 s22, s[16:17]
	v_cmp_ne_u32_e64 s[16:17], 0, v3
	;; [unrolled: 3-line block ×4, first 2 shown]
	s_add_i32 s6, s6, s29
	s_bcnt1_i32_b64 s14, s[14:15]
	s_add_i32 s7, s8, s7
	s_bcnt1_i32_b64 s8, s[16:17]
	;; [unrolled: 2-line block ×4, first 2 shown]
	s_add_i32 s6, s6, s25
	s_add_i32 s53, s7, s14
	;; [unrolled: 1-line block ×5, first 2 shown]
	s_or_b64 s[46:47], vcc, s[46:47]
	v_mov_b32_e32 v2, s53
	v_mov_b32_e32 v3, s52
	;; [unrolled: 1-line block ×4, first 2 shown]
	s_andn2_b64 exec, exec, s[46:47]
	s_cbranch_execnz .LBB131_63
; %bb.64:                               ;   in Loop: Header=BB131_30 Depth=1
	s_or_b64 exec, exec, s[46:47]
.LBB131_65:                             ;   in Loop: Header=BB131_30 Depth=1
	s_or_b64 exec, exec, s[44:45]
	v_mov_b32_e32 v35, 0
	s_and_saveexec_b64 s[14:15], s[10:11]
	s_cbranch_execz .LBB131_67
; %bb.66:                               ;   in Loop: Header=BB131_30 Depth=1
	global_load_ushort v35, v[14:15], off
.LBB131_67:                             ;   in Loop: Header=BB131_30 Depth=1
	s_or_b64 exec, exec, s[14:15]
	s_mov_b64 s[16:17], 0
	s_mov_b64 s[80:81], 0
	s_and_saveexec_b64 s[18:19], s[10:11]
	s_cbranch_execz .LBB131_74
; %bb.68:                               ;   in Loop: Header=BB131_30 Depth=1
	s_and_b32 s6, s3, 0xfe
	s_mov_b64 s[20:21], 0
	v_mov_b32_e32 v8, v26
	v_mov_b32_e32 v36, v21
	s_branch .LBB131_70
.LBB131_69:                             ;   in Loop: Header=BB131_70 Depth=2
	s_or_b64 exec, exec, s[22:23]
	s_and_b64 s[8:9], exec, vcc
	s_waitcnt vmcnt(0)
	v_cmp_lt_i16_e32 vcc, -1, v35
	v_cndmask_b32_e32 v38, v29, v30, vcc
	v_xor_b32_sdwa v38, v38, v35 dst_sel:DWORD dst_unused:UNUSED_PAD src0_sel:DWORD src1_sel:WORD_0
	v_cmp_o_f16_e32 vcc, v35, v35
	v_cndmask_b32_e32 v35, v29, v38, vcc
	v_and_b32_e32 v38, s13, v35
	v_bfe_u32 v35, v35, s6, 2
	s_or_b64 s[20:21], s[8:9], s[20:21]
	v_cmp_eq_u32_e32 vcc, s74, v38
	v_cmp_eq_u32_e64 s[14:15], 0, v35
	s_and_b64 s[8:9], vcc, s[14:15]
	v_cndmask_b32_e64 v38, 0, 1, s[8:9]
	v_cmp_ne_u32_e64 s[14:15], 0, v38
	s_bcnt1_i32_b64 s7, s[14:15]
	v_cmp_eq_u32_e64 s[14:15], 1, v35
	s_and_b64 s[8:9], vcc, s[14:15]
	v_cndmask_b32_e64 v38, 0, 1, s[8:9]
	v_cmp_ne_u32_e64 s[14:15], 0, v38
	v_add_u32_e32 v2, s7, v2
	s_bcnt1_i32_b64 s7, s[14:15]
	v_cmp_eq_u32_e64 s[14:15], 2, v35
	s_and_b64 s[8:9], vcc, s[14:15]
	v_cndmask_b32_e64 v38, 0, 1, s[8:9]
	v_cmp_ne_u32_e64 s[14:15], 0, v38
	v_add_u32_e32 v3, s7, v3
	s_bcnt1_i32_b64 s7, s[14:15]
	v_cmp_eq_u32_e64 s[14:15], 3, v35
	s_and_b64 s[8:9], vcc, s[14:15]
	v_cndmask_b32_e64 v35, 0, 1, s[8:9]
	v_cmp_ne_u32_e32 vcc, 0, v35
	v_add_u32_e32 v4, s7, v4
	s_bcnt1_i32_b64 s7, vcc
	v_add_u32_e32 v5, s7, v5
	v_add_u32_e32 v8, s76, v8
	v_mov_b32_e32 v35, v37
	s_andn2_b64 exec, exec, s[20:21]
	s_cbranch_execz .LBB131_73
.LBB131_70:                             ;   Parent Loop BB131_30 Depth=1
                                        ; =>  This Inner Loop Header: Depth=2
	v_add_u32_e32 v36, s59, v36
	v_cmp_gt_u32_e64 s[14:15], s56, v36
	v_cmp_le_u32_e32 vcc, s56, v36
	v_mov_b32_e32 v37, 0
	s_and_saveexec_b64 s[22:23], s[14:15]
	s_cbranch_execz .LBB131_69
; %bb.71:                               ;   in Loop: Header=BB131_70 Depth=2
	v_lshlrev_b64 v[38:39], 1, v[8:9]
	v_mov_b32_e32 v37, s60
	v_add_co_u32_e64 v38, s[14:15], s62, v38
	v_addc_co_u32_e64 v39, s[14:15], v37, v39, s[14:15]
	global_load_ushort v37, v[38:39], off
	s_branch .LBB131_69
.LBB131_72:                             ;   in Loop: Header=BB131_30 Depth=1
	s_mov_b64 s[80:81], 0
                                        ; implicit-def: $vgpr5
	s_cbranch_execnz .LBB131_75
	s_branch .LBB131_84
.LBB131_73:                             ;   in Loop: Header=BB131_30 Depth=1
	s_or_b64 exec, exec, s[20:21]
	s_mov_b64 s[80:81], exec
.LBB131_74:                             ;   in Loop: Header=BB131_30 Depth=1
	s_or_b64 exec, exec, s[18:19]
	s_and_b64 vcc, exec, s[16:17]
	s_cbranch_vccz .LBB131_84
.LBB131_75:                             ;   in Loop: Header=BB131_30 Depth=1
	s_mul_hi_u32 s6, s69, s71
	s_mul_i32 s6, s6, s77
	s_sub_i32 s6, s69, s6
	s_sub_i32 s7, s6, s77
	s_cmp_ge_u32 s6, s77
	s_cselect_b32 s6, s7, s6
	s_sub_i32 s7, s6, s77
	s_cmp_ge_u32 s6, s77
	s_cselect_b32 s6, s7, s6
	s_sub_i32 s8, s69, s6
	v_cmp_gt_u32_e32 vcc, s8, v16
	s_mov_b32 s79, 0
	s_waitcnt vmcnt(0)
	v_mov_b32_e32 v2, 0
	v_mov_b32_e32 v3, 0
	;; [unrolled: 1-line block ×4, first 2 shown]
	s_and_saveexec_b64 s[82:83], vcc
	s_cbranch_execz .LBB131_79
; %bb.76:                               ;   in Loop: Header=BB131_30 Depth=1
	s_mov_b32 s70, s54
	s_and_b32 s9, s3, 0xfe
	s_mov_b64 s[84:85], 0
	v_mov_b32_e32 v8, v27
	s_mov_b32 s68, 0
	s_mov_b32 s6, 0
	;; [unrolled: 1-line block ×3, first 2 shown]
	v_mov_b32_e32 v35, v16
.LBB131_77:                             ;   Parent Loop BB131_30 Depth=1
                                        ; =>  This Inner Loop Header: Depth=2
	ds_read_b64 v[2:3], v8
	v_add_u32_e32 v35, s77, v35
	v_cmp_le_u32_e32 vcc, s8, v35
	v_add_u32_e32 v8, s0, v8
	s_waitcnt lgkmcnt(0)
	v_cmp_lt_i16_e64 s[14:15], -1, v2
	v_cndmask_b32_e64 v4, v29, v30, s[14:15]
	v_cmp_gt_i16_sdwa s[14:15], v2, v31 src0_sel:WORD_1 src1_sel:DWORD
	v_cndmask_b32_e64 v5, v29, v30, s[14:15]
	v_cmp_lt_i16_e64 s[14:15], -1, v3
	v_cndmask_b32_e64 v36, v29, v30, s[14:15]
	v_cmp_gt_i16_sdwa s[14:15], v3, v31 src0_sel:WORD_1 src1_sel:DWORD
	v_cndmask_b32_e64 v37, v29, v30, s[14:15]
	v_xor_b32_sdwa v36, v36, v3 dst_sel:DWORD dst_unused:UNUSED_PAD src0_sel:DWORD src1_sel:WORD_0
	v_cmp_o_f16_e64 s[16:17], v3, v3
	v_xor_b32_sdwa v37, v37, v3 dst_sel:DWORD dst_unused:UNUSED_PAD src0_sel:DWORD src1_sel:WORD_1
	v_cmp_o_f16_sdwa s[18:19], v3, v3 src0_sel:WORD_1 src1_sel:WORD_1
	v_xor_b32_sdwa v3, v4, v2 dst_sel:DWORD dst_unused:UNUSED_PAD src0_sel:DWORD src1_sel:WORD_0
	v_cmp_o_f16_e64 s[20:21], v2, v2
	v_xor_b32_sdwa v5, v5, v2 dst_sel:DWORD dst_unused:UNUSED_PAD src0_sel:DWORD src1_sel:WORD_1
	v_cmp_o_f16_sdwa s[14:15], v2, v2 src0_sel:WORD_1 src1_sel:WORD_1
	v_cndmask_b32_e64 v2, v29, v3, s[20:21]
	v_cndmask_b32_e64 v3, v29, v5, s[14:15]
	;; [unrolled: 1-line block ×3, first 2 shown]
	v_and_b32_e32 v36, s13, v2
	v_bfe_u32 v2, v2, s9, 2
	v_cndmask_b32_e64 v5, v29, v37, s[18:19]
	v_and_b32_e32 v37, s13, v3
	v_bfe_u32 v3, v3, s9, 2
	v_cmp_eq_u32_e64 s[14:15], s74, v36
	v_cmp_eq_u32_e64 s[22:23], 0, v2
	v_and_b32_e32 v38, s13, v4
	v_bfe_u32 v4, v4, s9, 2
	v_cmp_eq_u32_e64 s[16:17], s74, v37
	v_cmp_eq_u32_e64 s[24:25], 0, v3
	s_and_b64 s[22:23], s[14:15], s[22:23]
	v_and_b32_e32 v39, s13, v5
	v_bfe_u32 v5, v5, s9, 2
	v_cmp_eq_u32_e64 s[18:19], s74, v38
	v_cmp_eq_u32_e64 s[26:27], 0, v4
	;; [unrolled: 1-line block ×5, first 2 shown]
	v_cndmask_b32_e64 v2, 0, 1, s[22:23]
	s_and_b64 s[22:23], s[16:17], s[24:25]
	v_cmp_eq_u32_e64 s[20:21], s74, v39
	v_cmp_eq_u32_e64 s[28:29], 0, v5
	v_cmp_eq_u32_e64 s[34:35], 1, v3
	v_cmp_eq_u32_e64 s[42:43], 2, v3
	v_cmp_eq_u32_e64 s[50:51], 3, v3
	v_cndmask_b32_e64 v3, 0, 1, s[22:23]
	s_and_b64 s[22:23], s[18:19], s[26:27]
	v_cmp_eq_u32_e64 s[36:37], 1, v4
	v_cmp_eq_u32_e64 s[44:45], 2, v4
	;; [unrolled: 1-line block ×3, first 2 shown]
	v_cndmask_b32_e64 v4, 0, 1, s[22:23]
	s_and_b64 s[22:23], s[20:21], s[28:29]
	v_cmp_eq_u32_e64 s[38:39], 1, v5
	v_cmp_eq_u32_e64 s[46:47], 2, v5
	;; [unrolled: 1-line block ×3, first 2 shown]
	v_cndmask_b32_e64 v5, 0, 1, s[22:23]
	s_and_b64 s[22:23], s[14:15], s[30:31]
	v_cndmask_b32_e64 v36, 0, 1, s[22:23]
	s_and_b64 s[22:23], s[16:17], s[34:35]
	;; [unrolled: 2-line block ×5, first 2 shown]
	s_and_b64 s[14:15], s[14:15], s[48:49]
	v_cndmask_b32_e64 v40, 0, 1, s[22:23]
	s_and_b64 s[22:23], s[16:17], s[42:43]
	v_cndmask_b32_e64 v44, 0, 1, s[14:15]
	;; [unrolled: 2-line block ×7, first 2 shown]
	v_cndmask_b32_e64 v47, 0, 1, s[14:15]
	v_cmp_ne_u32_e64 s[14:15], 0, v2
	v_cmp_ne_u32_e64 s[16:17], 0, v3
	;; [unrolled: 1-line block ×11, first 2 shown]
	s_bcnt1_i32_b64 s14, s[14:15]
	s_bcnt1_i32_b64 s15, s[16:17]
	s_bcnt1_i32_b64 s16, s[18:19]
	s_bcnt1_i32_b64 s17, s[20:21]
	s_bcnt1_i32_b64 s18, s[22:23]
	s_bcnt1_i32_b64 s20, s[26:27]
	s_bcnt1_i32_b64 s22, s[30:31]
	s_bcnt1_i32_b64 s26, s[40:41]
	v_cmp_ne_u32_e64 s[28:29], 0, v39
	v_cmp_ne_u32_e64 s[36:37], 0, v42
	;; [unrolled: 1-line block ×3, first 2 shown]
	s_bcnt1_i32_b64 s19, s[24:25]
	s_bcnt1_i32_b64 s23, s[34:35]
	;; [unrolled: 1-line block ×3, first 2 shown]
	s_add_i32 s7, s7, s14
	s_add_i32 s6, s6, s18
	;; [unrolled: 1-line block ×4, first 2 shown]
	v_cmp_ne_u32_e64 s[38:39], 0, v43
	v_cmp_ne_u32_e64 s[46:47], 0, v47
	s_bcnt1_i32_b64 s21, s[28:29]
	s_bcnt1_i32_b64 s24, s[36:37]
	;; [unrolled: 1-line block ×3, first 2 shown]
	s_add_i32 s7, s7, s15
	s_add_i32 s6, s6, s19
	;; [unrolled: 1-line block ×4, first 2 shown]
	s_bcnt1_i32_b64 s25, s[38:39]
	s_bcnt1_i32_b64 s29, s[46:47]
	s_add_i32 s7, s7, s16
	s_add_i32 s6, s6, s20
	;; [unrolled: 1-line block ×8, first 2 shown]
	s_or_b64 s[84:85], vcc, s[84:85]
	v_mov_b32_e32 v2, s7
	v_mov_b32_e32 v3, s6
	;; [unrolled: 1-line block ×4, first 2 shown]
	s_andn2_b64 exec, exec, s[84:85]
	s_cbranch_execnz .LBB131_77
; %bb.78:                               ;   in Loop: Header=BB131_30 Depth=1
	s_or_b64 exec, exec, s[84:85]
	s_mov_b32 s54, s70
.LBB131_79:                             ;   in Loop: Header=BB131_30 Depth=1
	s_or_b64 exec, exec, s[82:83]
	v_add_u32_e32 v8, s8, v0
	v_cmp_gt_u32_e32 vcc, s69, v8
	s_and_saveexec_b64 s[24:25], vcc
	s_cbranch_execz .LBB131_83
; %bb.80:                               ;   in Loop: Header=BB131_30 Depth=1
	s_and_b32 s6, s3, 0xfe
	v_lshlrev_b32_e32 v35, 1, v8
	s_mov_b64 s[26:27], 0
.LBB131_81:                             ;   Parent Loop BB131_30 Depth=1
                                        ; =>  This Inner Loop Header: Depth=2
	ds_read_u16 v36, v35
	v_add_u32_e32 v8, s59, v8
	v_cmp_le_u32_e32 vcc, s69, v8
	v_add_u32_e32 v35, s1, v35
	s_waitcnt lgkmcnt(0)
	v_cmp_lt_i16_e64 s[14:15], -1, v36
	v_cndmask_b32_e64 v37, v29, v30, s[14:15]
	v_xor_b32_sdwa v37, v37, v36 dst_sel:DWORD dst_unused:UNUSED_PAD src0_sel:DWORD src1_sel:WORD_0
	v_cmp_o_f16_e64 s[14:15], v36, v36
	v_cndmask_b32_e64 v36, v29, v37, s[14:15]
	v_and_b32_e32 v37, s13, v36
	v_bfe_u32 v36, v36, s6, 2
	v_cmp_eq_u32_e64 s[14:15], s74, v37
	v_cmp_eq_u32_e64 s[16:17], 0, v36
	;; [unrolled: 1-line block ×3, first 2 shown]
	s_and_b64 s[8:9], s[14:15], s[16:17]
	v_cmp_eq_u32_e64 s[20:21], 2, v36
	v_cmp_eq_u32_e64 s[22:23], 3, v36
	v_cndmask_b32_e64 v36, 0, 1, s[8:9]
	s_and_b64 s[8:9], s[14:15], s[18:19]
	v_cndmask_b32_e64 v37, 0, 1, s[8:9]
	s_and_b64 s[8:9], s[14:15], s[20:21]
	v_cndmask_b32_e64 v38, 0, 1, s[8:9]
	s_and_b64 s[8:9], s[14:15], s[22:23]
	v_cndmask_b32_e64 v39, 0, 1, s[8:9]
	v_cmp_ne_u32_e64 s[14:15], 0, v36
	v_cmp_ne_u32_e64 s[16:17], 0, v37
	;; [unrolled: 1-line block ×4, first 2 shown]
	s_bcnt1_i32_b64 s7, s[14:15]
	s_bcnt1_i32_b64 s8, s[16:17]
	;; [unrolled: 1-line block ×4, first 2 shown]
	v_add_u32_e32 v2, s7, v2
	v_add_u32_e32 v3, s8, v3
	;; [unrolled: 1-line block ×3, first 2 shown]
	s_or_b64 s[26:27], vcc, s[26:27]
	v_add_u32_e32 v5, s14, v5
	s_andn2_b64 exec, exec, s[26:27]
	s_cbranch_execnz .LBB131_81
; %bb.82:                               ;   in Loop: Header=BB131_30 Depth=1
	s_or_b64 exec, exec, s[26:27]
	s_or_b64 s[80:81], s[80:81], exec
.LBB131_83:                             ;   in Loop: Header=BB131_30 Depth=1
	s_or_b64 exec, exec, s[24:25]
.LBB131_84:                             ;   in Loop: Header=BB131_30 Depth=1
	s_and_saveexec_b64 s[14:15], s[80:81]
	s_or_b64 exec, exec, s[14:15]
	s_lshl_b32 s6, s78, 6
	s_and_saveexec_b64 s[14:15], s[4:5]
	s_cbranch_execz .LBB131_86
; %bb.85:                               ;   in Loop: Header=BB131_30 Depth=1
	v_or_b32_e32 v8, s6, v19
	v_lshlrev_b32_e32 v8, 2, v8
	s_waitcnt vmcnt(0)
	ds_write_b128 v8, v[2:5] offset:3072
.LBB131_86:                             ;   in Loop: Header=BB131_30 Depth=1
	s_or_b64 exec, exec, s[14:15]
	s_waitcnt lgkmcnt(0)
	s_barrier
	s_mov_b64 s[14:15], exec
	v_readlane_b32 s8, v52, 10
	v_readlane_b32 s9, v52, 11
	s_and_b64 s[8:9], s[14:15], s[8:9]
	s_mov_b64 exec, s[8:9]
	s_cbranch_execz .LBB131_100
; %bb.87:                               ;   in Loop: Header=BB131_30 Depth=1
	v_readlane_b32 s8, v52, 15
	v_readlane_b32 s9, v52, 16
	v_add_u32_e32 v4, s6, v13
	s_andn2_b64 vcc, exec, s[8:9]
	s_waitcnt vmcnt(0)
	v_mov_b32_e32 v2, 0
	s_cbranch_vccnz .LBB131_99
; %bb.88:                               ;   in Loop: Header=BB131_30 Depth=1
	v_readlane_b32 s8, v52, 19
	v_readlane_b32 s9, v52, 20
	s_mov_b32 s7, 0
	s_and_b64 vcc, exec, s[8:9]
	v_mov_b32_e32 v2, 0
	s_cbranch_vccz .LBB131_92
; %bb.89:                               ;   in Loop: Header=BB131_30 Depth=1
	v_readlane_b32 s8, v52, 23
	v_readlane_b32 s9, v52, 24
	v_lshl_add_u32 v5, v4, 2, v32
	s_andn2_b64 vcc, exec, s[8:9]
	s_cbranch_vccnz .LBB131_93
; %bb.90:                               ;   in Loop: Header=BB131_30 Depth=1
	s_mov_b32 s17, 1
	s_mov_b32 s16, 0
	v_mov_b32_e32 v2, 0
	v_readlane_b32 s7, v52, 25
	v_mov_b32_e32 v3, 0
.LBB131_91:                             ;   Parent Loop BB131_30 Depth=1
                                        ; =>  This Inner Loop Header: Depth=2
	v_lshl_add_u32 v8, s16, 4, v5
	v_lshl_add_u32 v35, s17, 4, v5
	ds_read2_b32 v[36:37], v8 offset1:8
	ds_read2_b32 v[38:39], v35 offset1:8
	ds_read2_b32 v[40:41], v8 offset0:16 offset1:24
	ds_read2_b32 v[42:43], v35 offset0:16 offset1:24
	;; [unrolled: 1-line block ×6, first 2 shown]
	s_waitcnt lgkmcnt(7)
	v_add3_u32 v2, v36, v2, v37
	s_waitcnt lgkmcnt(6)
	v_add3_u32 v3, v38, v3, v39
	;; [unrolled: 2-line block ×3, first 2 shown]
	v_add3_u32 v2, v40, v2, v41
	s_add_i32 s17, s17, 16
	s_add_i32 s16, s16, 16
	s_add_i32 s7, s7, -8
	s_waitcnt lgkmcnt(3)
	v_add3_u32 v2, v44, v2, v45
	s_waitcnt lgkmcnt(2)
	v_add3_u32 v3, v46, v3, v47
	s_cmp_lg_u32 s7, 0
	s_waitcnt lgkmcnt(0)
	v_add3_u32 v3, v50, v3, v51
	v_add3_u32 v2, v48, v2, v49
	s_cbranch_scc1 .LBB131_91
	s_branch .LBB131_94
.LBB131_92:                             ;   in Loop: Header=BB131_30 Depth=1
	s_cbranch_execnz .LBB131_97
	s_branch .LBB131_99
.LBB131_93:                             ;   in Loop: Header=BB131_30 Depth=1
	s_mov_b32 s55, s54
	v_pk_mov_b32 v[2:3], s[54:55], s[54:55] op_sel:[0,1]
	s_mov_b32 s55, 1
	s_mov_b64 s[16:17], s[54:55]
.LBB131_94:                             ;   in Loop: Header=BB131_30 Depth=1
	v_readlane_b32 s8, v52, 27
	v_readlane_b32 s9, v52, 28
	s_andn2_b64 vcc, exec, s[8:9]
	v_readlane_b32 s7, v52, 26
	s_cbranch_vccnz .LBB131_96
.LBB131_95:                             ;   Parent Loop BB131_30 Depth=1
                                        ; =>  This Inner Loop Header: Depth=2
	v_lshl_add_u32 v8, s16, 4, v5
	v_lshl_add_u32 v35, s17, 4, v5
	ds_read_b32 v35, v35
	ds_read_b32 v8, v8
	s_add_i32 s17, s17, 2
	s_add_i32 s16, s16, 2
	s_add_i32 s7, s7, -1
	s_cmp_lg_u32 s7, 0
	s_waitcnt lgkmcnt(1)
	v_add_u32_e32 v3, v35, v3
	s_waitcnt lgkmcnt(0)
	v_add_u32_e32 v2, v8, v2
	s_cbranch_scc1 .LBB131_95
.LBB131_96:                             ;   in Loop: Header=BB131_30 Depth=1
	v_readlane_b32 s16, v52, 31
	v_add_u32_e32 v2, v2, v3
	v_readlane_b32 s7, v52, 30
	v_readlane_b32 s17, v52, 32
	s_and_b64 vcc, exec, s[16:17]
	s_cbranch_vccz .LBB131_99
.LBB131_97:                             ;   in Loop: Header=BB131_30 Depth=1
	s_lshl_b32 s8, s78, 8
	s_lshl_b32 s9, s7, 4
	s_add_i32 s8, s8, s9
	v_add_u32_e32 v3, s8, v28
	v_readlane_b32 s8, v52, 29
	s_sub_i32 s7, s8, s7
.LBB131_98:                             ;   Parent Loop BB131_30 Depth=1
                                        ; =>  This Inner Loop Header: Depth=2
	ds_read_b32 v5, v3
	s_add_i32 s7, s7, -1
	v_add_u32_e32 v3, 16, v3
	s_cmp_eq_u32 s7, 0
	s_waitcnt lgkmcnt(0)
	v_add_u32_e32 v2, v5, v2
	s_cbranch_scc0 .LBB131_98
.LBB131_99:                             ;   in Loop: Header=BB131_30 Depth=1
	v_lshlrev_b32_e32 v3, 2, v4
	ds_write_b32 v3, v2 offset:3072
.LBB131_100:                            ;   in Loop: Header=BB131_30 Depth=1
	s_or_b64 exec, exec, s[14:15]
	s_lshl_b32 s6, s6, 2
	s_waitcnt vmcnt(0)
	v_mov_b32_e32 v2, s6
	s_waitcnt lgkmcnt(0)
	s_barrier
	ds_read_b128 v[2:5], v2 offset:3072
	s_and_b32 s43, s3, 0xfe
	s_lshl_b32 s51, 3, s43
	s_not_b32 s44, s51
	s_mov_b64 s[18:19], -1
	s_waitcnt lgkmcnt(0)
	v_readfirstlane_b32 s28, v2
	s_cmp_eq_u32 s28, 1
	s_cselect_b64 s[6:7], -1, 0
	s_cmp_eq_u32 s75, 1
	s_cselect_b64 s[8:9], -1, 0
	s_and_b64 s[20:21], s[6:7], s[8:9]
	v_readfirstlane_b32 s34, v3
	v_readfirstlane_b32 s42, v4
	;; [unrolled: 1-line block ×3, first 2 shown]
	s_and_b64 vcc, exec, s[20:21]
	s_cbranch_vccz .LBB131_112
; %bb.101:                              ;   in Loop: Header=BB131_30 Depth=1
	ds_read_b32 v2, v9 offset:4104
	s_waitcnt lgkmcnt(0)
	s_barrier
	v_readfirstlane_b32 s6, v2
	s_mov_b64 s[14:15], exec
	v_readlane_b32 s8, v52, 21
	v_readlane_b32 s9, v52, 22
	s_and_b64 s[8:9], s[14:15], s[8:9]
	s_mov_b64 exec, s[8:9]
	s_cbranch_execz .LBB131_103
; %bb.102:                              ;   in Loop: Header=BB131_30 Depth=1
	ds_write_b16 v18, v9
.LBB131_103:                            ;   in Loop: Header=BB131_30 Depth=1
	s_or_b64 exec, exec, s[14:15]
	s_and_b32 s74, s74, s44
	s_or_b32 s13, s13, s51
	s_cmp_eq_u32 s6, 0
	s_waitcnt lgkmcnt(0)
	s_barrier
	s_cbranch_scc1 .LBB131_113
; %bb.104:                              ;   in Loop: Header=BB131_30 Depth=1
	v_readlane_b32 s7, v52, 12
	s_add_i32 s7, s6, s7
	v_readlane_b32 s8, v52, 35
	s_mul_hi_u32 s8, s7, s8
	s_mul_i32 s8, s8, s59
	s_sub_i32 s8, s7, s8
	s_sub_i32 s9, s8, s59
	s_cmp_ge_u32 s8, s59
	s_cselect_b32 s8, s9, s8
	s_sub_i32 s9, s8, s59
	s_cmp_ge_u32 s8, s59
	s_cselect_b32 s8, s9, s8
	s_sub_i32 s7, s7, s8
	v_cmp_gt_u32_e32 vcc, s7, v0
	s_mov_b64 s[14:15], 0
                                        ; implicit-def: $vgpr34
	s_and_saveexec_b64 s[16:17], vcc
	s_cbranch_execz .LBB131_115
; %bb.105:                              ;   in Loop: Header=BB131_30 Depth=1
	s_mov_b64 s[22:23], 0
	v_mov_b32_e32 v2, v17
	v_mov_b32_e32 v3, v0
                                        ; implicit-def: $sgpr24_sgpr25
	s_branch .LBB131_107
.LBB131_106:                            ;   in Loop: Header=BB131_107 Depth=2
	s_or_b64 exec, exec, s[14:15]
	s_waitcnt lgkmcnt(0)
	s_barrier
	ds_read_b32 v4, v9 offset:3072
	v_add_u32_e32 v3, s59, v3
	v_cmp_le_u32_e64 s[14:15], s7, v3
	v_add_u32_e32 v2, s1, v2
	s_waitcnt lgkmcnt(0)
	v_cmp_neq_f16_e32 vcc, 0, v4
	s_or_b64 s[8:9], s[14:15], vcc
	s_and_b64 s[8:9], exec, s[8:9]
	s_or_b64 s[22:23], s[8:9], s[22:23]
	s_andn2_b64 s[8:9], s[24:25], exec
	s_and_b64 s[14:15], vcc, exec
	s_or_b64 s[24:25], s[8:9], s[14:15]
	s_barrier
	s_andn2_b64 exec, exec, s[22:23]
	s_cbranch_execz .LBB131_114
.LBB131_107:                            ;   Parent Loop BB131_30 Depth=1
                                        ; =>  This Inner Loop Header: Depth=2
	v_cmp_gt_u32_e32 vcc, s6, v3
	v_mov_b32_e32 v4, 0
	s_and_saveexec_b64 s[14:15], vcc
	s_cbranch_execz .LBB131_109
; %bb.108:                              ;   in Loop: Header=BB131_107 Depth=2
	ds_read_u16 v4, v2
.LBB131_109:                            ;   in Loop: Header=BB131_107 Depth=2
	s_or_b64 exec, exec, s[14:15]
	s_and_saveexec_b64 s[14:15], vcc
	s_cbranch_execz .LBB131_106
; %bb.110:                              ;   in Loop: Header=BB131_107 Depth=2
	s_waitcnt lgkmcnt(0)
	v_cmp_lt_i16_e32 vcc, -1, v4
	v_cndmask_b32_e32 v5, v29, v30, vcc
	v_xor_b32_sdwa v5, v5, v4 dst_sel:DWORD dst_unused:UNUSED_PAD src0_sel:DWORD src1_sel:WORD_0
	v_cmp_o_f16_e32 vcc, v4, v4
	v_cndmask_b32_e32 v5, v29, v5, vcc
	v_and_b32_e32 v5, s13, v5
	v_cmp_eq_u32_e32 vcc, s74, v5
	s_and_b64 exec, exec, vcc
	s_cbranch_execz .LBB131_106
; %bb.111:                              ;   in Loop: Header=BB131_107 Depth=2
	v_perm_b32 v4, v4, s2, v33
	ds_write_b32 v9, v4 offset:3072
	s_branch .LBB131_106
.LBB131_112:                            ;   in Loop: Header=BB131_30 Depth=1
	s_mov_b64 s[14:15], -1
                                        ; implicit-def: $sgpr16_sgpr17
                                        ; implicit-def: $sgpr24_sgpr25
                                        ; implicit-def: $sgpr22_sgpr23
	s_branch .LBB131_126
.LBB131_113:                            ;   in Loop: Header=BB131_30 Depth=1
	s_mov_b64 s[16:17], -1
	s_mov_b64 s[14:15], 0
                                        ; implicit-def: $sgpr22_sgpr23
                                        ; implicit-def: $vgpr34
	s_mov_b64 s[24:25], s[16:17]
	s_cbranch_execnz .LBB131_116
	s_branch .LBB131_126
.LBB131_114:                            ;   in Loop: Header=BB131_30 Depth=1
	s_or_b64 exec, exec, s[22:23]
	v_lshrrev_b32_e32 v34, 16, v4
	s_and_b64 s[14:15], s[24:25], exec
.LBB131_115:                            ;   in Loop: Header=BB131_30 Depth=1
	s_or_b64 exec, exec, s[16:17]
	s_mov_b64 s[22:23], -1
	s_mov_b64 s[16:17], 0
	s_mov_b64 s[24:25], s[16:17]
	s_branch .LBB131_126
.LBB131_116:                            ;   in Loop: Header=BB131_30 Depth=1
	s_mov_b64 s[14:15], 0
                                        ; implicit-def: $vgpr34
	s_mov_b64 s[16:17], exec
	v_readlane_b32 s6, v52, 36
	v_readlane_b32 s7, v52, 37
	s_and_b64 s[6:7], s[16:17], s[6:7]
	s_mov_b64 exec, s[6:7]
	s_cbranch_execz .LBB131_125
; %bb.117:                              ;   in Loop: Header=BB131_30 Depth=1
	s_mov_b64 s[22:23], 0
	v_mov_b32_e32 v8, v6
	v_mov_b32_e32 v2, v0
                                        ; implicit-def: $sgpr24_sgpr25
	s_branch .LBB131_119
.LBB131_118:                            ;   in Loop: Header=BB131_119 Depth=2
	s_or_b64 exec, exec, s[14:15]
	s_waitcnt lgkmcnt(0)
	s_barrier
	s_waitcnt vmcnt(0)
	ds_read_b32 v3, v9 offset:3072
	v_add_u32_e32 v2, s59, v2
	v_cmp_le_u32_e64 s[14:15], s72, v2
	v_add_u32_e32 v8, s76, v8
	s_waitcnt lgkmcnt(0)
	v_cmp_neq_f16_e32 vcc, 0, v3
	s_or_b64 s[6:7], s[14:15], vcc
	s_and_b64 s[6:7], exec, s[6:7]
	s_or_b64 s[22:23], s[6:7], s[22:23]
	s_andn2_b64 s[6:7], s[24:25], exec
	s_and_b64 s[8:9], vcc, exec
	s_or_b64 s[24:25], s[6:7], s[8:9]
	s_barrier
	s_andn2_b64 exec, exec, s[22:23]
	s_cbranch_execz .LBB131_124
.LBB131_119:                            ;   Parent Loop BB131_30 Depth=1
                                        ; =>  This Inner Loop Header: Depth=2
	v_cmp_gt_u32_e32 vcc, s56, v2
	v_mov_b32_e32 v3, 0
	s_and_saveexec_b64 s[26:27], vcc
	s_cbranch_execz .LBB131_121
; %bb.120:                              ;   in Loop: Header=BB131_119 Depth=2
	v_lshlrev_b64 v[4:5], 1, v[8:9]
	v_mov_b32_e32 v3, s60
	v_add_co_u32_e64 v4, s[14:15], s62, v4
	v_addc_co_u32_e64 v5, s[14:15], v3, v5, s[14:15]
	global_load_ushort v3, v[4:5], off
.LBB131_121:                            ;   in Loop: Header=BB131_119 Depth=2
	s_or_b64 exec, exec, s[26:27]
	s_and_saveexec_b64 s[14:15], vcc
	s_cbranch_execz .LBB131_118
; %bb.122:                              ;   in Loop: Header=BB131_119 Depth=2
	s_waitcnt vmcnt(0)
	v_cmp_lt_i16_e32 vcc, -1, v3
	v_cndmask_b32_e32 v4, v29, v30, vcc
	v_xor_b32_sdwa v4, v4, v3 dst_sel:DWORD dst_unused:UNUSED_PAD src0_sel:DWORD src1_sel:WORD_0
	v_cmp_o_f16_e32 vcc, v3, v3
	v_cndmask_b32_e32 v4, v29, v4, vcc
	v_and_b32_e32 v4, s13, v4
	v_cmp_eq_u32_e32 vcc, s74, v4
	s_and_b64 exec, exec, vcc
	s_cbranch_execz .LBB131_118
; %bb.123:                              ;   in Loop: Header=BB131_119 Depth=2
	v_perm_b32 v3, v3, s2, v33
	ds_write_b32 v9, v3 offset:3072
	s_branch .LBB131_118
.LBB131_124:                            ;   in Loop: Header=BB131_30 Depth=1
	s_or_b64 exec, exec, s[22:23]
	v_lshrrev_b32_e32 v34, 16, v3
	s_and_b64 s[14:15], s[24:25], exec
.LBB131_125:                            ;   in Loop: Header=BB131_30 Depth=1
	s_or_b64 exec, exec, s[16:17]
	s_mov_b64 s[24:25], -1
	s_mov_b64 s[16:17], 0
	s_mov_b64 s[22:23], 0
.LBB131_126:                            ;   in Loop: Header=BB131_30 Depth=1
	s_andn2_b64 s[6:7], s[66:67], exec
	s_and_b64 s[8:9], s[16:17], exec
	s_or_b64 s[66:67], s[6:7], s[8:9]
	s_andn2_b64 s[6:7], s[64:65], exec
	s_and_b64 s[8:9], s[24:25], exec
	s_or_b64 s[64:65], s[6:7], s[8:9]
	;; [unrolled: 3-line block ×3, first 2 shown]
	s_and_saveexec_b64 s[16:17], s[14:15]
	s_cbranch_execz .LBB131_29
; %bb.127:                              ;   in Loop: Header=BB131_30 Depth=1
	s_xor_b64 s[6:7], s[20:21], -1
	s_mov_b64 s[14:15], 0
	s_andn2_b64 vcc, exec, s[6:7]
	s_mov_b32 s35, 1
	s_cbranch_vccnz .LBB131_138
; %bb.128:                              ;   in Loop: Header=BB131_30 Depth=1
	s_cmp_gt_u32 s75, s28
	s_mov_b64 s[14:15], -1
                                        ; implicit-def: $sgpr53
                                        ; implicit-def: $sgpr6
                                        ; implicit-def: $sgpr7
	s_cbranch_scc1 .LBB131_134
; %bb.129:                              ;   in Loop: Header=BB131_30 Depth=1
	ds_read_b32 v2, v9 offset:4104
	s_waitcnt lgkmcnt(0)
	v_cmp_ne_u32_e32 vcc, 0, v2
	s_cbranch_vccnz .LBB131_133
; %bb.130:                              ;   in Loop: Header=BB131_30 Depth=1
	s_mov_b64 s[14:15], exec
	v_readlane_b32 s6, v52, 8
	v_readlane_b32 s7, v52, 9
	s_and_b64 s[6:7], s[14:15], s[6:7]
	s_mov_b64 exec, s[6:7]
	s_cbranch_execz .LBB131_132
; %bb.131:                              ;   in Loop: Header=BB131_30 Depth=1
	v_mov_b32_e32 v2, s28
	ds_write_b32 v9, v2 offset:4108
.LBB131_132:                            ;   in Loop: Header=BB131_30 Depth=1
	s_or_b64 exec, exec, s[14:15]
	s_waitcnt lgkmcnt(0)
	s_barrier
.LBB131_133:                            ;   in Loop: Header=BB131_30 Depth=1
	s_and_b32 s6, s74, s44
	s_or_b32 s7, s13, s51
	s_mov_b64 s[14:15], 0
	s_mov_b32 s53, 8
.LBB131_134:                            ;   in Loop: Header=BB131_30 Depth=1
	s_andn2_b64 vcc, exec, s[14:15]
	s_cbranch_vccnz .LBB131_136
; %bb.135:                              ;   in Loop: Header=BB131_30 Depth=1
	s_sub_i32 s75, s75, s28
	s_mov_b64 s[14:15], -1
	s_mov_b32 s53, 0
	s_mov_b32 s6, s74
	;; [unrolled: 1-line block ×3, first 2 shown]
.LBB131_136:                            ;   in Loop: Header=BB131_30 Depth=1
	s_mov_b32 s13, s7
	s_mov_b32 s74, s6
	;; [unrolled: 1-line block ×3, first 2 shown]
	s_mov_b64 s[18:19], -1
	s_and_b64 vcc, exec, s[14:15]
	s_cbranch_vccnz .LBB131_139
.LBB131_137:                            ;   in Loop: Header=BB131_30 Depth=1
	s_mov_b64 s[30:31], -1
                                        ; implicit-def: $sgpr20_sgpr21
                                        ; implicit-def: $sgpr24_sgpr25
                                        ; implicit-def: $sgpr22_sgpr23
                                        ; implicit-def: $sgpr75
	s_and_saveexec_b64 s[6:7], s[30:31]
	s_xor_b64 s[14:15], exec, s[6:7]
	s_cbranch_execz .LBB131_28
	s_branch .LBB131_262
.LBB131_138:                            ;   in Loop: Header=BB131_30 Depth=1
	s_mov_b32 s53, 1
	s_mov_b64 s[18:19], -1
	s_and_b64 vcc, exec, s[14:15]
	s_cbranch_vccz .LBB131_137
.LBB131_139:                            ;   in Loop: Header=BB131_30 Depth=1
	s_cmp_eq_u32 s34, 1
	s_cselect_b64 s[6:7], -1, 0
	s_cmp_eq_u32 s35, 1
	s_cselect_b64 s[8:9], -1, 0
	s_and_b64 s[28:29], s[6:7], s[8:9]
	s_mov_b64 s[14:15], -1
	s_and_b64 vcc, exec, s[28:29]
	s_cbranch_vccz .LBB131_151
; %bb.140:                              ;   in Loop: Header=BB131_30 Depth=1
	ds_read_b32 v2, v9 offset:4104
	s_waitcnt lgkmcnt(0)
	s_barrier
	v_readfirstlane_b32 s6, v2
	s_mov_b64 s[14:15], exec
	v_readlane_b32 s8, v52, 21
	v_readlane_b32 s9, v52, 22
	s_and_b64 s[8:9], s[14:15], s[8:9]
	s_mov_b64 exec, s[8:9]
	s_cbranch_execz .LBB131_142
; %bb.141:                              ;   in Loop: Header=BB131_30 Depth=1
	ds_write_b16 v18, v9
.LBB131_142:                            ;   in Loop: Header=BB131_30 Depth=1
	s_or_b64 exec, exec, s[14:15]
	s_lshl_b32 s7, 1, s43
	s_and_b32 s8, s74, s44
	s_or_b32 s74, s8, s7
	s_or_b32 s13, s13, s51
	s_cmp_eq_u32 s6, 0
	s_waitcnt lgkmcnt(0)
	s_barrier
	s_cbranch_scc1 .LBB131_152
; %bb.143:                              ;   in Loop: Header=BB131_30 Depth=1
	v_readlane_b32 s7, v52, 12
	s_add_i32 s7, s6, s7
	v_readlane_b32 s8, v52, 35
	s_mul_hi_u32 s8, s7, s8
	s_mul_i32 s8, s8, s59
	s_sub_i32 s8, s7, s8
	s_sub_i32 s9, s8, s59
	s_cmp_ge_u32 s8, s59
	s_cselect_b32 s8, s9, s8
	s_sub_i32 s9, s8, s59
	s_cmp_ge_u32 s8, s59
	s_cselect_b32 s8, s9, s8
	s_sub_i32 s7, s7, s8
	v_cmp_gt_u32_e32 vcc, s7, v0
	s_mov_b64 s[14:15], 0
                                        ; implicit-def: $vgpr34
	s_and_saveexec_b64 s[20:21], vcc
	s_cbranch_execz .LBB131_154
; %bb.144:                              ;   in Loop: Header=BB131_30 Depth=1
	s_mov_b64 s[22:23], 0
	v_mov_b32_e32 v2, v17
	v_mov_b32_e32 v3, v0
                                        ; implicit-def: $sgpr24_sgpr25
	s_branch .LBB131_146
.LBB131_145:                            ;   in Loop: Header=BB131_146 Depth=2
	s_or_b64 exec, exec, s[14:15]
	s_waitcnt lgkmcnt(0)
	s_barrier
	ds_read_b32 v4, v9 offset:3072
	v_add_u32_e32 v3, s59, v3
	v_cmp_le_u32_e64 s[14:15], s7, v3
	v_add_u32_e32 v2, s1, v2
	s_waitcnt lgkmcnt(0)
	v_cmp_neq_f16_e32 vcc, 0, v4
	s_or_b64 s[8:9], s[14:15], vcc
	s_and_b64 s[8:9], exec, s[8:9]
	s_or_b64 s[22:23], s[8:9], s[22:23]
	s_andn2_b64 s[8:9], s[24:25], exec
	s_and_b64 s[14:15], vcc, exec
	s_or_b64 s[24:25], s[8:9], s[14:15]
	s_barrier
	s_andn2_b64 exec, exec, s[22:23]
	s_cbranch_execz .LBB131_153
.LBB131_146:                            ;   Parent Loop BB131_30 Depth=1
                                        ; =>  This Inner Loop Header: Depth=2
	v_cmp_gt_u32_e32 vcc, s6, v3
	v_mov_b32_e32 v4, 0
	s_and_saveexec_b64 s[14:15], vcc
	s_cbranch_execz .LBB131_148
; %bb.147:                              ;   in Loop: Header=BB131_146 Depth=2
	ds_read_u16 v4, v2
.LBB131_148:                            ;   in Loop: Header=BB131_146 Depth=2
	s_or_b64 exec, exec, s[14:15]
	s_and_saveexec_b64 s[14:15], vcc
	s_cbranch_execz .LBB131_145
; %bb.149:                              ;   in Loop: Header=BB131_146 Depth=2
	s_waitcnt lgkmcnt(0)
	v_cmp_lt_i16_e32 vcc, -1, v4
	v_cndmask_b32_e32 v5, v29, v30, vcc
	v_xor_b32_sdwa v5, v5, v4 dst_sel:DWORD dst_unused:UNUSED_PAD src0_sel:DWORD src1_sel:WORD_0
	v_cmp_o_f16_e32 vcc, v4, v4
	v_cndmask_b32_e32 v5, v29, v5, vcc
	v_and_b32_e32 v5, s13, v5
	v_cmp_eq_u32_e32 vcc, s74, v5
	s_and_b64 exec, exec, vcc
	s_cbranch_execz .LBB131_145
; %bb.150:                              ;   in Loop: Header=BB131_146 Depth=2
	v_perm_b32 v4, v4, s2, v33
	ds_write_b32 v9, v4 offset:3072
	s_branch .LBB131_145
.LBB131_151:                            ;   in Loop: Header=BB131_30 Depth=1
                                        ; implicit-def: $sgpr22_sgpr23
                                        ; implicit-def: $sgpr24_sgpr25
                                        ; implicit-def: $sgpr20_sgpr21
	s_branch .LBB131_165
.LBB131_152:                            ;   in Loop: Header=BB131_30 Depth=1
	s_mov_b64 s[22:23], -1
	s_mov_b64 s[14:15], 0
                                        ; implicit-def: $sgpr20_sgpr21
                                        ; implicit-def: $vgpr34
	s_mov_b64 s[24:25], s[22:23]
	s_cbranch_execnz .LBB131_155
	s_branch .LBB131_165
.LBB131_153:                            ;   in Loop: Header=BB131_30 Depth=1
	s_or_b64 exec, exec, s[22:23]
	v_lshrrev_b32_e32 v34, 16, v4
	s_and_b64 s[14:15], s[24:25], exec
.LBB131_154:                            ;   in Loop: Header=BB131_30 Depth=1
	s_or_b64 exec, exec, s[20:21]
	s_mov_b64 s[20:21], -1
	s_mov_b64 s[22:23], 0
	s_mov_b64 s[24:25], s[22:23]
	s_branch .LBB131_165
.LBB131_155:                            ;   in Loop: Header=BB131_30 Depth=1
	s_mov_b64 s[14:15], 0
                                        ; implicit-def: $vgpr34
	s_mov_b64 s[20:21], exec
	v_readlane_b32 s6, v52, 36
	v_readlane_b32 s7, v52, 37
	s_and_b64 s[6:7], s[20:21], s[6:7]
	s_mov_b64 exec, s[6:7]
	s_cbranch_execz .LBB131_164
; %bb.156:                              ;   in Loop: Header=BB131_30 Depth=1
	s_mov_b64 s[22:23], 0
	v_mov_b32_e32 v8, v6
	v_mov_b32_e32 v2, v0
                                        ; implicit-def: $sgpr24_sgpr25
	s_branch .LBB131_158
.LBB131_157:                            ;   in Loop: Header=BB131_158 Depth=2
	s_or_b64 exec, exec, s[14:15]
	s_waitcnt lgkmcnt(0)
	s_barrier
	s_waitcnt vmcnt(0)
	ds_read_b32 v3, v9 offset:3072
	v_add_u32_e32 v2, s59, v2
	v_cmp_le_u32_e64 s[14:15], s72, v2
	v_add_u32_e32 v8, s76, v8
	s_waitcnt lgkmcnt(0)
	v_cmp_neq_f16_e32 vcc, 0, v3
	s_or_b64 s[6:7], s[14:15], vcc
	s_and_b64 s[6:7], exec, s[6:7]
	s_or_b64 s[22:23], s[6:7], s[22:23]
	s_andn2_b64 s[6:7], s[24:25], exec
	s_and_b64 s[8:9], vcc, exec
	s_or_b64 s[24:25], s[6:7], s[8:9]
	s_barrier
	s_andn2_b64 exec, exec, s[22:23]
	s_cbranch_execz .LBB131_163
.LBB131_158:                            ;   Parent Loop BB131_30 Depth=1
                                        ; =>  This Inner Loop Header: Depth=2
	v_cmp_gt_u32_e32 vcc, s56, v2
	v_mov_b32_e32 v3, 0
	s_and_saveexec_b64 s[26:27], vcc
	s_cbranch_execz .LBB131_160
; %bb.159:                              ;   in Loop: Header=BB131_158 Depth=2
	v_lshlrev_b64 v[4:5], 1, v[8:9]
	v_mov_b32_e32 v3, s60
	v_add_co_u32_e64 v4, s[14:15], s62, v4
	v_addc_co_u32_e64 v5, s[14:15], v3, v5, s[14:15]
	global_load_ushort v3, v[4:5], off
.LBB131_160:                            ;   in Loop: Header=BB131_158 Depth=2
	s_or_b64 exec, exec, s[26:27]
	s_and_saveexec_b64 s[14:15], vcc
	s_cbranch_execz .LBB131_157
; %bb.161:                              ;   in Loop: Header=BB131_158 Depth=2
	s_waitcnt vmcnt(0)
	v_cmp_lt_i16_e32 vcc, -1, v3
	v_cndmask_b32_e32 v4, v29, v30, vcc
	v_xor_b32_sdwa v4, v4, v3 dst_sel:DWORD dst_unused:UNUSED_PAD src0_sel:DWORD src1_sel:WORD_0
	v_cmp_o_f16_e32 vcc, v3, v3
	v_cndmask_b32_e32 v4, v29, v4, vcc
	v_and_b32_e32 v4, s13, v4
	v_cmp_eq_u32_e32 vcc, s74, v4
	s_and_b64 exec, exec, vcc
	s_cbranch_execz .LBB131_157
; %bb.162:                              ;   in Loop: Header=BB131_158 Depth=2
	v_perm_b32 v3, v3, s2, v33
	ds_write_b32 v9, v3 offset:3072
	s_branch .LBB131_157
.LBB131_163:                            ;   in Loop: Header=BB131_30 Depth=1
	s_or_b64 exec, exec, s[22:23]
	v_lshrrev_b32_e32 v34, 16, v3
	s_and_b64 s[14:15], s[24:25], exec
.LBB131_164:                            ;   in Loop: Header=BB131_30 Depth=1
	s_or_b64 exec, exec, s[20:21]
	s_mov_b64 s[24:25], -1
	s_mov_b64 s[22:23], 0
	s_mov_b64 s[20:21], 0
.LBB131_165:                            ;   in Loop: Header=BB131_30 Depth=1
	s_mov_b64 s[30:31], 0
                                        ; implicit-def: $sgpr53
	s_and_saveexec_b64 s[26:27], s[14:15]
	s_cbranch_execz .LBB131_261
; %bb.166:                              ;   in Loop: Header=BB131_30 Depth=1
	s_xor_b64 s[6:7], s[28:29], -1
	s_mov_b64 s[14:15], 0
	s_andn2_b64 vcc, exec, s[6:7]
	s_mov_b32 s45, 1
	s_cbranch_vccnz .LBB131_177
; %bb.167:                              ;   in Loop: Header=BB131_30 Depth=1
	s_cmp_gt_u32 s35, s34
	s_mov_b64 s[14:15], -1
                                        ; implicit-def: $sgpr53
                                        ; implicit-def: $sgpr6
                                        ; implicit-def: $sgpr7
	s_cbranch_scc1 .LBB131_173
; %bb.168:                              ;   in Loop: Header=BB131_30 Depth=1
	ds_read_b32 v2, v9 offset:4104
	s_waitcnt lgkmcnt(0)
	v_cmp_ne_u32_e32 vcc, 0, v2
	s_cbranch_vccnz .LBB131_172
; %bb.169:                              ;   in Loop: Header=BB131_30 Depth=1
	s_mov_b64 s[14:15], exec
	v_readlane_b32 s6, v52, 8
	v_readlane_b32 s7, v52, 9
	s_and_b64 s[6:7], s[14:15], s[6:7]
	s_mov_b64 exec, s[6:7]
	s_cbranch_execz .LBB131_171
; %bb.170:                              ;   in Loop: Header=BB131_30 Depth=1
	v_mov_b32_e32 v2, s34
	ds_write_b32 v9, v2 offset:4108
.LBB131_171:                            ;   in Loop: Header=BB131_30 Depth=1
	s_or_b64 exec, exec, s[14:15]
	s_waitcnt lgkmcnt(0)
	s_barrier
.LBB131_172:                            ;   in Loop: Header=BB131_30 Depth=1
	s_lshl_b32 s6, 1, s43
	s_and_b32 s7, s74, s44
	s_or_b32 s6, s7, s6
	s_or_b32 s7, s13, s51
	s_mov_b64 s[14:15], 0
	s_mov_b32 s53, 8
.LBB131_173:                            ;   in Loop: Header=BB131_30 Depth=1
	s_andn2_b64 vcc, exec, s[14:15]
	s_cbranch_vccnz .LBB131_175
; %bb.174:                              ;   in Loop: Header=BB131_30 Depth=1
	s_sub_i32 s35, s35, s34
	s_mov_b64 s[14:15], -1
	s_mov_b32 s53, 0
	s_mov_b32 s6, s74
	;; [unrolled: 1-line block ×3, first 2 shown]
.LBB131_175:                            ;   in Loop: Header=BB131_30 Depth=1
	s_mov_b32 s13, s7
	s_mov_b32 s74, s6
	;; [unrolled: 1-line block ×3, first 2 shown]
	s_andn2_b64 vcc, exec, s[14:15]
	s_mov_b64 s[40:41], -1
	s_cbranch_vccz .LBB131_178
.LBB131_176:                            ;   in Loop: Header=BB131_30 Depth=1
                                        ; implicit-def: $sgpr30_sgpr31
                                        ; implicit-def: $sgpr34_sgpr35
                                        ; implicit-def: $sgpr28_sgpr29
	s_branch .LBB131_260
.LBB131_177:                            ;   in Loop: Header=BB131_30 Depth=1
	s_mov_b32 s53, 1
	s_andn2_b64 vcc, exec, s[14:15]
	s_mov_b64 s[40:41], -1
	s_cbranch_vccnz .LBB131_176
.LBB131_178:                            ;   in Loop: Header=BB131_30 Depth=1
	s_cmp_eq_u32 s42, 1
	s_cselect_b64 s[6:7], -1, 0
	s_cmp_eq_u32 s45, 1
	s_cselect_b64 s[8:9], -1, 0
	s_and_b64 s[38:39], s[6:7], s[8:9]
	s_mov_b64 s[14:15], -1
	s_and_b64 vcc, exec, s[38:39]
	s_cbranch_vccz .LBB131_190
; %bb.179:                              ;   in Loop: Header=BB131_30 Depth=1
	ds_read_b32 v2, v9 offset:4104
	s_waitcnt lgkmcnt(0)
	s_barrier
	v_readfirstlane_b32 s6, v2
	s_mov_b64 s[14:15], exec
	v_readlane_b32 s8, v52, 21
	v_readlane_b32 s9, v52, 22
	s_and_b64 s[8:9], s[14:15], s[8:9]
	s_mov_b64 exec, s[8:9]
	s_cbranch_execz .LBB131_181
; %bb.180:                              ;   in Loop: Header=BB131_30 Depth=1
	ds_write_b16 v18, v9
.LBB131_181:                            ;   in Loop: Header=BB131_30 Depth=1
	s_or_b64 exec, exec, s[14:15]
	s_lshl_b32 s7, 2, s43
	s_and_b32 s8, s74, s44
	s_or_b32 s74, s8, s7
	s_or_b32 s13, s13, s51
	s_cmp_eq_u32 s6, 0
	s_waitcnt lgkmcnt(0)
	s_barrier
	s_cbranch_scc1 .LBB131_191
; %bb.182:                              ;   in Loop: Header=BB131_30 Depth=1
	v_readlane_b32 s7, v52, 12
	s_add_i32 s7, s6, s7
	v_readlane_b32 s8, v52, 35
	s_mul_hi_u32 s8, s7, s8
	s_mul_i32 s8, s8, s59
	s_sub_i32 s8, s7, s8
	s_sub_i32 s9, s8, s59
	s_cmp_ge_u32 s8, s59
	s_cselect_b32 s8, s9, s8
	s_sub_i32 s9, s8, s59
	s_cmp_ge_u32 s8, s59
	s_cselect_b32 s8, s9, s8
	s_sub_i32 s7, s7, s8
	v_cmp_gt_u32_e32 vcc, s7, v0
	s_mov_b64 s[14:15], 0
                                        ; implicit-def: $vgpr34
	s_and_saveexec_b64 s[28:29], vcc
	s_cbranch_execz .LBB131_193
; %bb.183:                              ;   in Loop: Header=BB131_30 Depth=1
	v_mov_b32_e32 v2, v17
	v_mov_b32_e32 v3, v0
                                        ; implicit-def: $sgpr34_sgpr35
	s_branch .LBB131_185
.LBB131_184:                            ;   in Loop: Header=BB131_185 Depth=2
	s_or_b64 exec, exec, s[14:15]
	s_waitcnt lgkmcnt(0)
	s_barrier
	ds_read_b32 v4, v9 offset:3072
	v_add_u32_e32 v3, s59, v3
	v_cmp_le_u32_e64 s[14:15], s7, v3
	v_add_u32_e32 v2, s1, v2
	s_waitcnt lgkmcnt(0)
	v_cmp_neq_f16_e32 vcc, 0, v4
	s_or_b64 s[8:9], s[14:15], vcc
	s_and_b64 s[8:9], exec, s[8:9]
	s_or_b64 s[30:31], s[8:9], s[30:31]
	s_andn2_b64 s[8:9], s[34:35], exec
	s_and_b64 s[14:15], vcc, exec
	s_or_b64 s[34:35], s[8:9], s[14:15]
	s_barrier
	s_andn2_b64 exec, exec, s[30:31]
	s_cbranch_execz .LBB131_192
.LBB131_185:                            ;   Parent Loop BB131_30 Depth=1
                                        ; =>  This Inner Loop Header: Depth=2
	v_cmp_gt_u32_e32 vcc, s6, v3
	v_mov_b32_e32 v4, 0
	s_and_saveexec_b64 s[14:15], vcc
	s_cbranch_execz .LBB131_187
; %bb.186:                              ;   in Loop: Header=BB131_185 Depth=2
	ds_read_u16 v4, v2
.LBB131_187:                            ;   in Loop: Header=BB131_185 Depth=2
	s_or_b64 exec, exec, s[14:15]
	s_and_saveexec_b64 s[14:15], vcc
	s_cbranch_execz .LBB131_184
; %bb.188:                              ;   in Loop: Header=BB131_185 Depth=2
	s_waitcnt lgkmcnt(0)
	v_cmp_lt_i16_e32 vcc, -1, v4
	v_cndmask_b32_e32 v5, v29, v30, vcc
	v_xor_b32_sdwa v5, v5, v4 dst_sel:DWORD dst_unused:UNUSED_PAD src0_sel:DWORD src1_sel:WORD_0
	v_cmp_o_f16_e32 vcc, v4, v4
	v_cndmask_b32_e32 v5, v29, v5, vcc
	v_and_b32_e32 v5, s13, v5
	v_cmp_eq_u32_e32 vcc, s74, v5
	s_and_b64 exec, exec, vcc
	s_cbranch_execz .LBB131_184
; %bb.189:                              ;   in Loop: Header=BB131_185 Depth=2
	v_perm_b32 v4, v4, s2, v33
	ds_write_b32 v9, v4 offset:3072
	s_branch .LBB131_184
.LBB131_190:                            ;   in Loop: Header=BB131_30 Depth=1
                                        ; implicit-def: $sgpr28_sgpr29
                                        ; implicit-def: $sgpr34_sgpr35
                                        ; implicit-def: $sgpr30_sgpr31
	s_branch .LBB131_204
.LBB131_191:                            ;   in Loop: Header=BB131_30 Depth=1
	s_mov_b64 s[28:29], -1
	s_mov_b64 s[14:15], 0
                                        ; implicit-def: $sgpr30_sgpr31
                                        ; implicit-def: $vgpr34
	s_mov_b64 s[34:35], s[28:29]
	s_cbranch_execnz .LBB131_194
	s_branch .LBB131_204
.LBB131_192:                            ;   in Loop: Header=BB131_30 Depth=1
	s_or_b64 exec, exec, s[30:31]
	v_lshrrev_b32_e32 v34, 16, v4
	s_and_b64 s[14:15], s[34:35], exec
.LBB131_193:                            ;   in Loop: Header=BB131_30 Depth=1
	s_or_b64 exec, exec, s[28:29]
	s_mov_b64 s[30:31], -1
	s_mov_b64 s[28:29], 0
	s_mov_b64 s[34:35], s[28:29]
	s_branch .LBB131_204
.LBB131_194:                            ;   in Loop: Header=BB131_30 Depth=1
	s_mov_b64 s[14:15], 0
                                        ; implicit-def: $vgpr34
	s_mov_b64 s[28:29], exec
	v_readlane_b32 s6, v52, 36
	v_readlane_b32 s7, v52, 37
	s_and_b64 s[6:7], s[28:29], s[6:7]
	s_mov_b64 exec, s[6:7]
	s_cbranch_execz .LBB131_203
; %bb.195:                              ;   in Loop: Header=BB131_30 Depth=1
	s_mov_b64 s[30:31], 0
	v_mov_b32_e32 v8, v6
	v_mov_b32_e32 v2, v0
                                        ; implicit-def: $sgpr34_sgpr35
	s_branch .LBB131_197
.LBB131_196:                            ;   in Loop: Header=BB131_197 Depth=2
	s_or_b64 exec, exec, s[14:15]
	s_waitcnt lgkmcnt(0)
	s_barrier
	s_waitcnt vmcnt(0)
	ds_read_b32 v3, v9 offset:3072
	v_add_u32_e32 v2, s59, v2
	v_cmp_le_u32_e64 s[14:15], s72, v2
	v_add_u32_e32 v8, s76, v8
	s_waitcnt lgkmcnt(0)
	v_cmp_neq_f16_e32 vcc, 0, v3
	s_or_b64 s[6:7], s[14:15], vcc
	s_and_b64 s[6:7], exec, s[6:7]
	s_or_b64 s[30:31], s[6:7], s[30:31]
	s_andn2_b64 s[6:7], s[34:35], exec
	s_and_b64 s[8:9], vcc, exec
	s_or_b64 s[34:35], s[6:7], s[8:9]
	s_barrier
	s_andn2_b64 exec, exec, s[30:31]
	s_cbranch_execz .LBB131_202
.LBB131_197:                            ;   Parent Loop BB131_30 Depth=1
                                        ; =>  This Inner Loop Header: Depth=2
	v_cmp_gt_u32_e32 vcc, s56, v2
	v_mov_b32_e32 v3, 0
	s_and_saveexec_b64 s[36:37], vcc
	s_cbranch_execz .LBB131_199
; %bb.198:                              ;   in Loop: Header=BB131_197 Depth=2
	v_lshlrev_b64 v[4:5], 1, v[8:9]
	v_mov_b32_e32 v3, s60
	v_add_co_u32_e64 v4, s[14:15], s62, v4
	v_addc_co_u32_e64 v5, s[14:15], v3, v5, s[14:15]
	global_load_ushort v3, v[4:5], off
.LBB131_199:                            ;   in Loop: Header=BB131_197 Depth=2
	s_or_b64 exec, exec, s[36:37]
	s_and_saveexec_b64 s[14:15], vcc
	s_cbranch_execz .LBB131_196
; %bb.200:                              ;   in Loop: Header=BB131_197 Depth=2
	s_waitcnt vmcnt(0)
	v_cmp_lt_i16_e32 vcc, -1, v3
	v_cndmask_b32_e32 v4, v29, v30, vcc
	v_xor_b32_sdwa v4, v4, v3 dst_sel:DWORD dst_unused:UNUSED_PAD src0_sel:DWORD src1_sel:WORD_0
	v_cmp_o_f16_e32 vcc, v3, v3
	v_cndmask_b32_e32 v4, v29, v4, vcc
	v_and_b32_e32 v4, s13, v4
	v_cmp_eq_u32_e32 vcc, s74, v4
	s_and_b64 exec, exec, vcc
	s_cbranch_execz .LBB131_196
; %bb.201:                              ;   in Loop: Header=BB131_197 Depth=2
	v_perm_b32 v3, v3, s2, v33
	ds_write_b32 v9, v3 offset:3072
	s_branch .LBB131_196
.LBB131_202:                            ;   in Loop: Header=BB131_30 Depth=1
	s_or_b64 exec, exec, s[30:31]
	v_lshrrev_b32_e32 v34, 16, v3
	s_and_b64 s[14:15], s[34:35], exec
.LBB131_203:                            ;   in Loop: Header=BB131_30 Depth=1
	s_or_b64 exec, exec, s[28:29]
	s_mov_b64 s[34:35], -1
	s_mov_b64 s[28:29], 0
	s_mov_b64 s[30:31], 0
.LBB131_204:                            ;   in Loop: Header=BB131_30 Depth=1
	s_mov_b64 s[40:41], 0
                                        ; implicit-def: $sgpr53
	s_and_saveexec_b64 s[36:37], s[14:15]
	s_cbranch_execz .LBB131_259
; %bb.205:                              ;   in Loop: Header=BB131_30 Depth=1
	s_xor_b64 s[6:7], s[38:39], -1
	s_mov_b64 s[14:15], 0
	s_andn2_b64 vcc, exec, s[6:7]
	s_mov_b32 s52, 1
	s_cbranch_vccnz .LBB131_216
; %bb.206:                              ;   in Loop: Header=BB131_30 Depth=1
	s_cmp_gt_u32 s45, s42
	s_mov_b64 s[14:15], -1
                                        ; implicit-def: $sgpr53
                                        ; implicit-def: $sgpr6
                                        ; implicit-def: $sgpr7
	s_cbranch_scc1 .LBB131_212
; %bb.207:                              ;   in Loop: Header=BB131_30 Depth=1
	ds_read_b32 v2, v9 offset:4104
	s_waitcnt lgkmcnt(0)
	v_cmp_ne_u32_e32 vcc, 0, v2
	s_cbranch_vccnz .LBB131_211
; %bb.208:                              ;   in Loop: Header=BB131_30 Depth=1
	s_mov_b64 s[14:15], exec
	v_readlane_b32 s6, v52, 8
	v_readlane_b32 s7, v52, 9
	s_and_b64 s[6:7], s[14:15], s[6:7]
	s_mov_b64 exec, s[6:7]
	s_cbranch_execz .LBB131_210
; %bb.209:                              ;   in Loop: Header=BB131_30 Depth=1
	v_mov_b32_e32 v2, s42
	ds_write_b32 v9, v2 offset:4108
.LBB131_210:                            ;   in Loop: Header=BB131_30 Depth=1
	s_or_b64 exec, exec, s[14:15]
	s_waitcnt lgkmcnt(0)
	s_barrier
.LBB131_211:                            ;   in Loop: Header=BB131_30 Depth=1
	s_lshl_b32 s6, 2, s43
	s_and_b32 s7, s74, s44
	s_or_b32 s6, s7, s6
	s_or_b32 s7, s13, s51
	s_mov_b64 s[14:15], 0
	s_mov_b32 s53, 8
.LBB131_212:                            ;   in Loop: Header=BB131_30 Depth=1
	s_andn2_b64 vcc, exec, s[14:15]
	s_cbranch_vccnz .LBB131_214
; %bb.213:                              ;   in Loop: Header=BB131_30 Depth=1
	s_sub_i32 s45, s45, s42
	s_mov_b64 s[14:15], -1
	s_mov_b32 s53, 0
	s_mov_b32 s6, s74
	;; [unrolled: 1-line block ×3, first 2 shown]
.LBB131_214:                            ;   in Loop: Header=BB131_30 Depth=1
	s_mov_b32 s13, s7
	s_mov_b32 s74, s6
	;; [unrolled: 1-line block ×3, first 2 shown]
	s_andn2_b64 vcc, exec, s[14:15]
	s_mov_b64 s[48:49], -1
	s_cbranch_vccz .LBB131_217
.LBB131_215:                            ;   in Loop: Header=BB131_30 Depth=1
                                        ; implicit-def: $sgpr14_sgpr15
                                        ; implicit-def: $sgpr42_sgpr43
                                        ; implicit-def: $sgpr40_sgpr41
	s_branch .LBB131_258
.LBB131_216:                            ;   in Loop: Header=BB131_30 Depth=1
	s_mov_b32 s53, 1
	s_andn2_b64 vcc, exec, s[14:15]
	s_mov_b64 s[48:49], -1
	s_cbranch_vccnz .LBB131_215
.LBB131_217:                            ;   in Loop: Header=BB131_30 Depth=1
	s_cmp_eq_u32 s50, 1
	s_cselect_b64 s[6:7], -1, 0
	s_cmp_eq_u32 s52, 1
	s_cselect_b64 s[8:9], -1, 0
	s_and_b64 s[38:39], s[6:7], s[8:9]
	s_mov_b64 s[44:45], -1
	s_and_b64 vcc, exec, s[38:39]
	s_cbranch_vccz .LBB131_229
; %bb.218:                              ;   in Loop: Header=BB131_30 Depth=1
	ds_read_b32 v2, v9 offset:4104
	s_waitcnt lgkmcnt(0)
	s_barrier
	v_readfirstlane_b32 s6, v2
	s_mov_b64 s[14:15], exec
	v_readlane_b32 s8, v52, 21
	v_readlane_b32 s9, v52, 22
	s_and_b64 s[8:9], s[14:15], s[8:9]
	s_mov_b64 exec, s[8:9]
	s_cbranch_execz .LBB131_220
; %bb.219:                              ;   in Loop: Header=BB131_30 Depth=1
	ds_write_b16 v18, v9
.LBB131_220:                            ;   in Loop: Header=BB131_30 Depth=1
	s_or_b64 exec, exec, s[14:15]
	s_or_b32 s74, s74, s51
	s_or_b32 s13, s13, s51
	s_cmp_eq_u32 s6, 0
	s_waitcnt lgkmcnt(0)
	s_barrier
	s_cbranch_scc1 .LBB131_230
; %bb.221:                              ;   in Loop: Header=BB131_30 Depth=1
	v_readlane_b32 s7, v52, 12
	s_add_i32 s7, s6, s7
	v_readlane_b32 s8, v52, 35
	s_mul_hi_u32 s8, s7, s8
	s_mul_i32 s8, s8, s59
	s_sub_i32 s8, s7, s8
	s_sub_i32 s9, s8, s59
	s_cmp_ge_u32 s8, s59
	s_cselect_b32 s8, s9, s8
	s_sub_i32 s9, s8, s59
	s_cmp_ge_u32 s8, s59
	s_cselect_b32 s8, s9, s8
	s_sub_i32 s7, s7, s8
	v_cmp_gt_u32_e32 vcc, s7, v0
	s_mov_b64 s[44:45], 0
                                        ; implicit-def: $vgpr34
	s_and_saveexec_b64 s[40:41], vcc
	s_cbranch_execz .LBB131_232
; %bb.222:                              ;   in Loop: Header=BB131_30 Depth=1
	s_mov_b64 s[42:43], 0
	v_mov_b32_e32 v2, v17
	v_mov_b32_e32 v3, v0
                                        ; implicit-def: $sgpr44_sgpr45
	s_branch .LBB131_224
.LBB131_223:                            ;   in Loop: Header=BB131_224 Depth=2
	s_or_b64 exec, exec, s[14:15]
	s_waitcnt lgkmcnt(0)
	s_barrier
	ds_read_b32 v4, v9 offset:3072
	v_add_u32_e32 v3, s59, v3
	v_cmp_le_u32_e64 s[14:15], s7, v3
	v_add_u32_e32 v2, s1, v2
	s_waitcnt lgkmcnt(0)
	v_cmp_neq_f16_e32 vcc, 0, v4
	s_or_b64 s[8:9], s[14:15], vcc
	s_and_b64 s[8:9], exec, s[8:9]
	s_or_b64 s[42:43], s[8:9], s[42:43]
	s_andn2_b64 s[8:9], s[44:45], exec
	s_and_b64 s[14:15], vcc, exec
	s_or_b64 s[44:45], s[8:9], s[14:15]
	s_barrier
	s_andn2_b64 exec, exec, s[42:43]
	s_cbranch_execz .LBB131_231
.LBB131_224:                            ;   Parent Loop BB131_30 Depth=1
                                        ; =>  This Inner Loop Header: Depth=2
	v_cmp_gt_u32_e32 vcc, s6, v3
	v_mov_b32_e32 v4, 0
	s_and_saveexec_b64 s[14:15], vcc
	s_cbranch_execz .LBB131_226
; %bb.225:                              ;   in Loop: Header=BB131_224 Depth=2
	ds_read_u16 v4, v2
.LBB131_226:                            ;   in Loop: Header=BB131_224 Depth=2
	s_or_b64 exec, exec, s[14:15]
	s_and_saveexec_b64 s[14:15], vcc
	s_cbranch_execz .LBB131_223
; %bb.227:                              ;   in Loop: Header=BB131_224 Depth=2
	s_waitcnt lgkmcnt(0)
	v_cmp_lt_i16_e32 vcc, -1, v4
	v_cndmask_b32_e32 v5, v29, v30, vcc
	v_xor_b32_sdwa v5, v5, v4 dst_sel:DWORD dst_unused:UNUSED_PAD src0_sel:DWORD src1_sel:WORD_0
	v_cmp_o_f16_e32 vcc, v4, v4
	v_cndmask_b32_e32 v5, v29, v5, vcc
	v_and_b32_e32 v5, s13, v5
	v_cmp_eq_u32_e32 vcc, s74, v5
	s_and_b64 exec, exec, vcc
	s_cbranch_execz .LBB131_223
; %bb.228:                              ;   in Loop: Header=BB131_224 Depth=2
	v_perm_b32 v4, v4, s2, v33
	ds_write_b32 v9, v4 offset:3072
	s_branch .LBB131_223
.LBB131_229:                            ;   in Loop: Header=BB131_30 Depth=1
                                        ; implicit-def: $sgpr14_sgpr15
                                        ; implicit-def: $sgpr42_sgpr43
                                        ; implicit-def: $sgpr40_sgpr41
	s_branch .LBB131_243
.LBB131_230:                            ;   in Loop: Header=BB131_30 Depth=1
	s_mov_b64 s[14:15], -1
	s_mov_b64 s[44:45], 0
                                        ; implicit-def: $sgpr40_sgpr41
                                        ; implicit-def: $vgpr34
	s_mov_b64 s[42:43], s[14:15]
	s_cbranch_execnz .LBB131_233
	s_branch .LBB131_243
.LBB131_231:                            ;   in Loop: Header=BB131_30 Depth=1
	s_or_b64 exec, exec, s[42:43]
	v_lshrrev_b32_e32 v34, 16, v4
	s_and_b64 s[44:45], s[44:45], exec
.LBB131_232:                            ;   in Loop: Header=BB131_30 Depth=1
	s_or_b64 exec, exec, s[40:41]
	s_mov_b64 s[40:41], -1
	s_mov_b64 s[14:15], 0
	s_mov_b64 s[42:43], s[14:15]
	s_branch .LBB131_243
.LBB131_233:                            ;   in Loop: Header=BB131_30 Depth=1
	s_mov_b64 s[44:45], 0
                                        ; implicit-def: $vgpr34
	s_mov_b64 s[40:41], exec
	v_readlane_b32 s6, v52, 36
	v_readlane_b32 s7, v52, 37
	s_and_b64 s[6:7], s[40:41], s[6:7]
	s_mov_b64 exec, s[6:7]
	s_cbranch_execz .LBB131_242
; %bb.234:                              ;   in Loop: Header=BB131_30 Depth=1
	s_mov_b64 s[42:43], 0
	v_mov_b32_e32 v8, v6
	v_mov_b32_e32 v2, v0
                                        ; implicit-def: $sgpr44_sgpr45
	s_branch .LBB131_236
.LBB131_235:                            ;   in Loop: Header=BB131_236 Depth=2
	s_or_b64 exec, exec, s[14:15]
	s_waitcnt lgkmcnt(0)
	s_barrier
	s_waitcnt vmcnt(0)
	ds_read_b32 v3, v9 offset:3072
	v_add_u32_e32 v2, s59, v2
	v_cmp_le_u32_e64 s[14:15], s72, v2
	v_add_u32_e32 v8, s76, v8
	s_waitcnt lgkmcnt(0)
	v_cmp_neq_f16_e32 vcc, 0, v3
	s_or_b64 s[6:7], s[14:15], vcc
	s_and_b64 s[6:7], exec, s[6:7]
	s_or_b64 s[42:43], s[6:7], s[42:43]
	s_andn2_b64 s[6:7], s[44:45], exec
	s_and_b64 s[8:9], vcc, exec
	s_or_b64 s[44:45], s[6:7], s[8:9]
	s_barrier
	s_andn2_b64 exec, exec, s[42:43]
	s_cbranch_execz .LBB131_241
.LBB131_236:                            ;   Parent Loop BB131_30 Depth=1
                                        ; =>  This Inner Loop Header: Depth=2
	v_cmp_gt_u32_e32 vcc, s56, v2
	v_mov_b32_e32 v3, 0
	s_and_saveexec_b64 s[46:47], vcc
	s_cbranch_execz .LBB131_238
; %bb.237:                              ;   in Loop: Header=BB131_236 Depth=2
	v_lshlrev_b64 v[4:5], 1, v[8:9]
	v_mov_b32_e32 v3, s60
	v_add_co_u32_e64 v4, s[14:15], s62, v4
	v_addc_co_u32_e64 v5, s[14:15], v3, v5, s[14:15]
	global_load_ushort v3, v[4:5], off
.LBB131_238:                            ;   in Loop: Header=BB131_236 Depth=2
	s_or_b64 exec, exec, s[46:47]
	s_and_saveexec_b64 s[14:15], vcc
	s_cbranch_execz .LBB131_235
; %bb.239:                              ;   in Loop: Header=BB131_236 Depth=2
	s_waitcnt vmcnt(0)
	v_cmp_lt_i16_e32 vcc, -1, v3
	v_cndmask_b32_e32 v4, v29, v30, vcc
	v_xor_b32_sdwa v4, v4, v3 dst_sel:DWORD dst_unused:UNUSED_PAD src0_sel:DWORD src1_sel:WORD_0
	v_cmp_o_f16_e32 vcc, v3, v3
	v_cndmask_b32_e32 v4, v29, v4, vcc
	v_and_b32_e32 v4, s13, v4
	v_cmp_eq_u32_e32 vcc, s74, v4
	s_and_b64 exec, exec, vcc
	s_cbranch_execz .LBB131_235
; %bb.240:                              ;   in Loop: Header=BB131_236 Depth=2
	v_perm_b32 v3, v3, s2, v33
	ds_write_b32 v9, v3 offset:3072
	s_branch .LBB131_235
.LBB131_241:                            ;   in Loop: Header=BB131_30 Depth=1
	s_or_b64 exec, exec, s[42:43]
	v_lshrrev_b32_e32 v34, 16, v3
	s_and_b64 s[44:45], s[44:45], exec
.LBB131_242:                            ;   in Loop: Header=BB131_30 Depth=1
	s_or_b64 exec, exec, s[40:41]
	s_mov_b64 s[42:43], -1
	s_mov_b64 s[14:15], 0
	s_mov_b64 s[40:41], 0
.LBB131_243:                            ;   in Loop: Header=BB131_30 Depth=1
	s_mov_b64 s[48:49], 0
                                        ; implicit-def: $sgpr53
	s_and_saveexec_b64 s[46:47], s[44:45]
	s_cbranch_execz .LBB131_257
; %bb.244:                              ;   in Loop: Header=BB131_30 Depth=1
	s_xor_b64 s[6:7], s[38:39], -1
	s_andn2_b64 vcc, exec, s[6:7]
	s_mov_b32 s53, 1
	s_cbranch_vccnz .LBB131_251
; %bb.245:                              ;   in Loop: Header=BB131_30 Depth=1
	s_cmp_gt_u32 s52, s50
	s_cbranch_scc1 .LBB131_252
; %bb.246:                              ;   in Loop: Header=BB131_30 Depth=1
	ds_read_b32 v2, v9 offset:4104
	s_waitcnt lgkmcnt(0)
	v_cmp_ne_u32_e32 vcc, 0, v2
	s_cbranch_vccnz .LBB131_250
; %bb.247:                              ;   in Loop: Header=BB131_30 Depth=1
	s_mov_b64 s[38:39], exec
	v_readlane_b32 s6, v52, 8
	v_readlane_b32 s7, v52, 9
	s_and_b64 s[6:7], s[38:39], s[6:7]
	s_mov_b64 exec, s[6:7]
	s_cbranch_execz .LBB131_249
; %bb.248:                              ;   in Loop: Header=BB131_30 Depth=1
	v_mov_b32_e32 v2, s50
	ds_write_b32 v9, v2 offset:4108
.LBB131_249:                            ;   in Loop: Header=BB131_30 Depth=1
	s_or_b64 exec, exec, s[38:39]
	s_waitcnt lgkmcnt(0)
	s_barrier
.LBB131_250:                            ;   in Loop: Header=BB131_30 Depth=1
	s_or_b32 s6, s74, s51
	s_or_b32 s7, s13, s51
	s_mov_b64 s[38:39], 0
	s_mov_b32 s53, 8
	s_branch .LBB131_253
.LBB131_251:                            ;   in Loop: Header=BB131_30 Depth=1
	s_mov_b32 s52, 1
	s_branch .LBB131_256
.LBB131_252:                            ;   in Loop: Header=BB131_30 Depth=1
	s_mov_b64 s[38:39], -1
                                        ; implicit-def: $sgpr53
                                        ; implicit-def: $sgpr6
                                        ; implicit-def: $sgpr7
.LBB131_253:                            ;   in Loop: Header=BB131_30 Depth=1
	s_andn2_b64 vcc, exec, s[38:39]
	s_cbranch_vccnz .LBB131_255
; %bb.254:                              ;   in Loop: Header=BB131_30 Depth=1
	s_sub_i32 s52, s52, s50
	s_mov_b32 s53, 8
	s_mov_b32 s6, s74
	;; [unrolled: 1-line block ×3, first 2 shown]
.LBB131_255:                            ;   in Loop: Header=BB131_30 Depth=1
	s_mov_b32 s74, s6
	s_mov_b32 s13, s7
.LBB131_256:                            ;   in Loop: Header=BB131_30 Depth=1
	s_mov_b64 s[48:49], exec
.LBB131_257:                            ;   in Loop: Header=BB131_30 Depth=1
	s_or_b64 exec, exec, s[46:47]
.LBB131_258:                            ;   in Loop: Header=BB131_30 Depth=1
	s_andn2_b64 s[6:7], s[28:29], exec
	s_and_b64 s[8:9], s[14:15], exec
	s_or_b64 s[28:29], s[6:7], s[8:9]
	s_andn2_b64 s[6:7], s[34:35], exec
	s_and_b64 s[8:9], s[42:43], exec
	s_or_b64 s[34:35], s[6:7], s[8:9]
	;; [unrolled: 3-line block ×3, first 2 shown]
	s_and_b64 s[40:41], s[48:49], exec
	s_mov_b32 s45, s52
.LBB131_259:                            ;   in Loop: Header=BB131_30 Depth=1
	s_or_b64 exec, exec, s[36:37]
.LBB131_260:                            ;   in Loop: Header=BB131_30 Depth=1
	s_andn2_b64 s[6:7], s[22:23], exec
	s_and_b64 s[8:9], s[28:29], exec
	s_or_b64 s[22:23], s[6:7], s[8:9]
	s_andn2_b64 s[6:7], s[24:25], exec
	s_and_b64 s[8:9], s[34:35], exec
	s_or_b64 s[24:25], s[6:7], s[8:9]
	;; [unrolled: 3-line block ×3, first 2 shown]
	s_and_b64 s[30:31], s[40:41], exec
	s_mov_b32 s35, s45
.LBB131_261:                            ;   in Loop: Header=BB131_30 Depth=1
	s_or_b64 exec, exec, s[26:27]
                                        ; implicit-def: $sgpr75
	s_and_saveexec_b64 s[6:7], s[30:31]
	s_xor_b64 s[14:15], exec, s[6:7]
	s_cbranch_execz .LBB131_28
.LBB131_262:                            ;   in Loop: Header=BB131_30 Depth=1
	s_and_b32 s6, s53, -9
	s_cmp_eq_u32 s6, 0
	s_cbranch_scc1 .LBB131_26
; %bb.263:                              ;   in Loop: Header=BB131_30 Depth=1
	s_mov_b64 s[18:19], -1
                                        ; implicit-def: $sgpr13
                                        ; implicit-def: $sgpr35
                                        ; implicit-def: $sgpr3
                                        ; implicit-def: $sgpr78
	s_mov_b64 s[26:27], -1
	s_branch .LBB131_27
.LBB131_264:
	s_or_b64 exec, exec, s[86:87]
	s_xor_b64 s[8:9], s[92:93], -1
	s_xor_b64 s[0:1], s[88:89], -1
	;; [unrolled: 1-line block ×3, first 2 shown]
	s_mov_b64 s[4:5], 0
	s_and_saveexec_b64 s[2:3], s[0:1]
	s_xor_b64 s[2:3], exec, s[2:3]
	s_cbranch_execnz .LBB131_269
; %bb.265:
	s_andn2_saveexec_b64 s[0:1], s[2:3]
	s_cbranch_execnz .LBB131_282
.LBB131_266:
	s_or_b64 exec, exec, s[0:1]
	s_and_saveexec_b64 s[0:1], s[4:5]
.LBB131_267:
	; divergent unreachable
.LBB131_268:
	s_endpgm
.LBB131_269:
	s_and_saveexec_b64 s[0:1], s[8:9]
	s_xor_b64 s[4:5], exec, s[0:1]
	s_cbranch_execz .LBB131_280
; %bb.270:
	s_and_saveexec_b64 s[0:1], s[6:7]
	s_xor_b64 s[6:7], exec, s[0:1]
; %bb.271:
	v_and_b32_e32 v1, 0x8000, v2
	v_mov_b32_e32 v3, 0x8000
	v_mov_b32_e32 v4, 0xffff
	v_cmp_eq_u32_e32 vcc, 0, v1
	v_cndmask_b32_e32 v1, v3, v4, vcc
	v_xor_b32_e32 v34, v1, v2
; %bb.272:
	s_or_b64 exec, exec, s[6:7]
	v_readlane_b32 s0, v52, 0
	s_mul_i32 s0, s0, s33
	s_add_i32 s0, s0, s61
	s_mov_b32 s1, 0
	s_lshl_b64 s[0:1], s[0:1], 1
	v_readlane_b32 s6, v52, 2
	v_readlane_b32 s7, v52, 3
	s_add_u32 s0, s6, s0
	s_addc_u32 s1, s7, s1
	v_mov_b32_e32 v7, 0
	global_store_short v7, v34, s[0:1]
	s_mov_b64 s[6:7], exec
	v_readlane_b32 s0, v52, 6
	v_readlane_b32 s1, v52, 7
	s_and_b64 s[0:1], s[6:7], s[0:1]
	s_mov_b64 exec, s[0:1]
	s_cbranch_execz .LBB131_279
; %bb.273:
	v_cmp_u_f16_e32 vcc, v34, v34
	s_mov_b64 s[8:9], 0
	v_mov_b32_e32 v1, s60
	s_xor_b64 s[12:13], vcc, -1
                                        ; implicit-def: $sgpr10_sgpr11
                                        ; implicit-def: $sgpr16_sgpr17
                                        ; implicit-def: $sgpr14_sgpr15
	s_branch .LBB131_275
.LBB131_274:                            ;   in Loop: Header=BB131_275 Depth=1
	s_or_b64 exec, exec, s[0:1]
	s_and_b64 s[0:1], exec, s[16:17]
	s_or_b64 s[8:9], s[0:1], s[8:9]
	s_andn2_b64 s[0:1], s[10:11], exec
	s_and_b64 s[10:11], s[14:15], exec
	s_or_b64 s[10:11], s[0:1], s[10:11]
	s_andn2_b64 exec, exec, s[8:9]
	s_cbranch_execz .LBB131_277
.LBB131_275:                            ; =>This Inner Loop Header: Depth=1
	v_lshlrev_b64 v[2:3], 1, v[6:7]
	v_add_co_u32_e32 v2, vcc, s62, v2
	v_addc_co_u32_e32 v3, vcc, v1, v3, vcc
	global_load_ushort v3, v[2:3], off
	v_mov_b32_e32 v2, v0
	s_or_b64 s[14:15], s[14:15], exec
	s_or_b64 s[16:17], s[16:17], exec
                                        ; implicit-def: $vgpr0
	s_waitcnt vmcnt(0)
	v_cmp_o_f16_e64 s[0:1], v3, v3
	v_cmp_neq_f16_e32 vcc, v3, v34
	s_or_b64 s[0:1], s[12:13], s[0:1]
	s_and_b64 s[18:19], vcc, s[0:1]
	s_and_saveexec_b64 s[0:1], s[18:19]
	s_cbranch_execz .LBB131_274
; %bb.276:                              ;   in Loop: Header=BB131_275 Depth=1
	v_add_u32_e32 v0, s59, v2
	v_cmp_le_u32_e32 vcc, s56, v0
	s_andn2_b64 s[16:17], s[16:17], exec
	s_and_b64 s[18:19], vcc, exec
	v_add_u32_e32 v6, s76, v6
	s_andn2_b64 s[14:15], s[14:15], exec
	s_or_b64 s[16:17], s[16:17], s[18:19]
	s_branch .LBB131_274
.LBB131_277:
	s_or_b64 exec, exec, s[8:9]
	s_and_saveexec_b64 s[0:1], s[10:11]
	s_xor_b64 s[0:1], exec, s[0:1]
	s_cbranch_execz .LBB131_279
; %bb.278:
	v_readlane_b32 s0, v52, 1
	s_mul_i32 s0, s0, s57
	s_add_i32 s0, s0, s63
	s_mov_b32 s1, 0
	s_lshl_b64 s[0:1], s[0:1], 3
	v_readlane_b32 s8, v52, 4
	v_readlane_b32 s9, v52, 5
	s_add_u32 s0, s8, s0
	s_addc_u32 s1, s9, s1
	v_mov_b32_e32 v3, 0
	global_store_dwordx2 v3, v[2:3], s[0:1]
.LBB131_279:
	s_or_b64 exec, exec, s[6:7]
.LBB131_280:
	s_or_saveexec_b64 s[0:1], s[4:5]
	s_mov_b64 s[4:5], 0
	s_xor_b64 exec, exec, s[0:1]
	s_cbranch_execnz .LBB131_283
.LBB131_281:
	s_or_b64 exec, exec, s[0:1]
	s_and_b64 s[4:5], s[4:5], exec
	s_andn2_saveexec_b64 s[0:1], s[2:3]
	s_cbranch_execz .LBB131_266
.LBB131_282:
	s_or_b64 s[4:5], s[4:5], exec
	s_trap 2
	s_or_b64 exec, exec, s[0:1]
	s_and_saveexec_b64 s[0:1], s[4:5]
	s_cbranch_execnz .LBB131_267
	s_branch .LBB131_268
.LBB131_283:
	s_mov_b64 s[4:5], exec
	s_trap 2
	s_branch .LBB131_281
	.section	.rodata,"a",@progbits
	.p2align	6, 0x0
	.amdhsa_kernel _ZN2at6native12_GLOBAL__N_112gatherMedianIN3c104HalfEjLin1EEEvNS_4cuda6detail10TensorInfoIT_T0_EENS7_IlS9_EENS7_IKS8_S9_EES9_S9_S9_b
		.amdhsa_group_segment_fixed_size 4120
		.amdhsa_private_segment_fixed_size 0
		.amdhsa_kernarg_size 920
		.amdhsa_user_sgpr_count 6
		.amdhsa_user_sgpr_private_segment_buffer 1
		.amdhsa_user_sgpr_dispatch_ptr 0
		.amdhsa_user_sgpr_queue_ptr 0
		.amdhsa_user_sgpr_kernarg_segment_ptr 1
		.amdhsa_user_sgpr_dispatch_id 0
		.amdhsa_user_sgpr_flat_scratch_init 0
		.amdhsa_user_sgpr_kernarg_preload_length 0
		.amdhsa_user_sgpr_kernarg_preload_offset 0
		.amdhsa_user_sgpr_private_segment_size 0
		.amdhsa_uses_dynamic_stack 0
		.amdhsa_system_sgpr_private_segment_wavefront_offset 0
		.amdhsa_system_sgpr_workgroup_id_x 1
		.amdhsa_system_sgpr_workgroup_id_y 1
		.amdhsa_system_sgpr_workgroup_id_z 1
		.amdhsa_system_sgpr_workgroup_info 0
		.amdhsa_system_vgpr_workitem_id 0
		.amdhsa_next_free_vgpr 53
		.amdhsa_next_free_sgpr 96
		.amdhsa_accum_offset 56
		.amdhsa_reserve_vcc 1
		.amdhsa_reserve_flat_scratch 0
		.amdhsa_float_round_mode_32 0
		.amdhsa_float_round_mode_16_64 0
		.amdhsa_float_denorm_mode_32 3
		.amdhsa_float_denorm_mode_16_64 3
		.amdhsa_dx10_clamp 1
		.amdhsa_ieee_mode 1
		.amdhsa_fp16_overflow 0
		.amdhsa_tg_split 0
		.amdhsa_exception_fp_ieee_invalid_op 0
		.amdhsa_exception_fp_denorm_src 0
		.amdhsa_exception_fp_ieee_div_zero 0
		.amdhsa_exception_fp_ieee_overflow 0
		.amdhsa_exception_fp_ieee_underflow 0
		.amdhsa_exception_fp_ieee_inexact 0
		.amdhsa_exception_int_div_zero 0
	.end_amdhsa_kernel
	.section	.text._ZN2at6native12_GLOBAL__N_112gatherMedianIN3c104HalfEjLin1EEEvNS_4cuda6detail10TensorInfoIT_T0_EENS7_IlS9_EENS7_IKS8_S9_EES9_S9_S9_b,"axG",@progbits,_ZN2at6native12_GLOBAL__N_112gatherMedianIN3c104HalfEjLin1EEEvNS_4cuda6detail10TensorInfoIT_T0_EENS7_IlS9_EENS7_IKS8_S9_EES9_S9_S9_b,comdat
.Lfunc_end131:
	.size	_ZN2at6native12_GLOBAL__N_112gatherMedianIN3c104HalfEjLin1EEEvNS_4cuda6detail10TensorInfoIT_T0_EENS7_IlS9_EENS7_IKS8_S9_EES9_S9_S9_b, .Lfunc_end131-_ZN2at6native12_GLOBAL__N_112gatherMedianIN3c104HalfEjLin1EEEvNS_4cuda6detail10TensorInfoIT_T0_EENS7_IlS9_EENS7_IKS8_S9_EES9_S9_S9_b
                                        ; -- End function
	.section	.AMDGPU.csdata,"",@progbits
; Kernel info:
; codeLenInByte = 11292
; NumSgprs: 100
; NumVgprs: 53
; NumAgprs: 0
; TotalNumVgprs: 53
; ScratchSize: 0
; MemoryBound: 0
; FloatMode: 240
; IeeeMode: 1
; LDSByteSize: 4120 bytes/workgroup (compile time only)
; SGPRBlocks: 12
; VGPRBlocks: 6
; NumSGPRsForWavesPerEU: 100
; NumVGPRsForWavesPerEU: 53
; AccumOffset: 56
; Occupancy: 8
; WaveLimiterHint : 1
; COMPUTE_PGM_RSRC2:SCRATCH_EN: 0
; COMPUTE_PGM_RSRC2:USER_SGPR: 6
; COMPUTE_PGM_RSRC2:TRAP_HANDLER: 0
; COMPUTE_PGM_RSRC2:TGID_X_EN: 1
; COMPUTE_PGM_RSRC2:TGID_Y_EN: 1
; COMPUTE_PGM_RSRC2:TGID_Z_EN: 1
; COMPUTE_PGM_RSRC2:TIDIG_COMP_CNT: 0
; COMPUTE_PGM_RSRC3_GFX90A:ACCUM_OFFSET: 13
; COMPUTE_PGM_RSRC3_GFX90A:TG_SPLIT: 0
	.section	.text._ZN2at6native12_GLOBAL__N_112gatherMedianIN3c104HalfEmLi1EEEvNS_4cuda6detail10TensorInfoIT_T0_EENS7_IlS9_EENS7_IKS8_S9_EES9_S9_S9_b,"axG",@progbits,_ZN2at6native12_GLOBAL__N_112gatherMedianIN3c104HalfEmLi1EEEvNS_4cuda6detail10TensorInfoIT_T0_EENS7_IlS9_EENS7_IKS8_S9_EES9_S9_S9_b,comdat
	.globl	_ZN2at6native12_GLOBAL__N_112gatherMedianIN3c104HalfEmLi1EEEvNS_4cuda6detail10TensorInfoIT_T0_EENS7_IlS9_EENS7_IKS8_S9_EES9_S9_S9_b ; -- Begin function _ZN2at6native12_GLOBAL__N_112gatherMedianIN3c104HalfEmLi1EEEvNS_4cuda6detail10TensorInfoIT_T0_EENS7_IlS9_EENS7_IKS8_S9_EES9_S9_S9_b
	.p2align	8
	.type	_ZN2at6native12_GLOBAL__N_112gatherMedianIN3c104HalfEmLi1EEEvNS_4cuda6detail10TensorInfoIT_T0_EENS7_IlS9_EENS7_IKS8_S9_EES9_S9_S9_b,@function
_ZN2at6native12_GLOBAL__N_112gatherMedianIN3c104HalfEmLi1EEEvNS_4cuda6detail10TensorInfoIT_T0_EENS7_IlS9_EENS7_IKS8_S9_EES9_S9_S9_b: ; @_ZN2at6native12_GLOBAL__N_112gatherMedianIN3c104HalfEmLi1EEEvNS_4cuda6detail10TensorInfoIT_T0_EENS7_IlS9_EENS7_IKS8_S9_EES9_S9_S9_b
; %bb.0:
	s_load_dwordx4 s[52:55], s[4:5], 0x4e0
	s_load_dwordx2 s[2:3], s[4:5], 0x500
	s_add_u32 s10, s4, 0x500
	s_addc_u32 s11, s5, 0
	s_mov_b32 s1, 0
	s_waitcnt lgkmcnt(0)
	v_mov_b32_e32 v2, s54
	s_mul_i32 s0, s3, s8
	s_add_i32 s0, s0, s7
	s_mul_i32 s0, s0, s2
	v_mov_b32_e32 v3, s55
	s_add_i32 s0, s0, s6
	v_cmp_ge_u64_e32 vcc, s[0:1], v[2:3]
	s_cbranch_vccnz .LBB132_289
; %bb.1:
	s_load_dwordx2 s[64:65], s[4:5], 0x4f0
	s_load_dwordx2 s[8:9], s[4:5], 0x410
	s_mov_b32 s14, s0
	s_load_dwordx2 s[0:1], s[4:5], 0x340
	s_load_dwordx2 s[12:13], s[4:5], 0x270
                                        ; implicit-def: $vgpr52 : SGPR spill to VGPR lane
	v_mov_b32_e32 v1, 0
	v_pk_mov_b32 v[2:3], 0, 0
	s_waitcnt lgkmcnt(0)
	s_mul_i32 s3, s9, s14
	s_mul_hi_u32 s7, s8, s14
	v_writelane_b32 v52, s12, 0
	v_writelane_b32 v52, s13, 1
	s_load_dwordx2 s[12:13], s[4:5], 0x1a0
	s_add_i32 s9, s7, s3
	s_mul_i32 s8, s8, s14
	s_waitcnt lgkmcnt(0)
	v_writelane_b32 v52, s12, 2
	v_writelane_b32 v52, s13, 3
	s_load_dwordx2 s[12:13], s[4:5], 0xd0
	s_waitcnt lgkmcnt(0)
	v_writelane_b32 v52, s12, 4
	v_writelane_b32 v52, s13, 5
	s_load_dwordx2 s[12:13], s[4:5], 0x0
	s_waitcnt lgkmcnt(0)
	v_writelane_b32 v52, s12, 6
	v_writelane_b32 v52, s13, 7
	s_mov_b32 s12, s14
	v_writelane_b32 v52, s12, 8
	v_writelane_b32 v52, s13, 9
	v_cmp_gt_u64_e64 s[14:15], s[52:53], v[0:1]
	s_mov_b64 s[12:13], exec
	v_writelane_b32 v52, s14, 10
	v_writelane_b32 v52, s15, 11
	s_and_b64 s[14:15], s[12:13], s[14:15]
	s_mov_b64 exec, s[14:15]
	s_cbranch_execz .LBB132_5
; %bb.2:
	s_load_dword s3, s[10:11], 0xc
	v_mad_u64_u32 v[2:3], s[14:15], s64, v0, 0
	v_mov_b32_e32 v4, v3
	v_mad_u64_u32 v[4:5], s[14:15], s65, v0, v[4:5]
	s_waitcnt lgkmcnt(0)
	s_and_b32 s3, s3, 0xffff
	s_lshl_b64 s[14:15], s[8:9], 1
	v_mov_b32_e32 v3, v4
	s_add_u32 s14, s0, s14
	v_lshlrev_b64 v[2:3], 1, v[2:3]
	s_addc_u32 s15, s1, s15
	v_mov_b32_e32 v5, s15
	v_add_co_u32_e32 v4, vcc, s14, v2
	s_mul_i32 s14, s65, s3
	s_mul_hi_u32 s15, s64, s3
	s_add_i32 s15, s15, s14
	s_mul_i32 s14, s64, s3
	s_mov_b32 s7, 0
	s_lshl_b64 s[16:17], s[14:15], 1
	v_addc_co_u32_e32 v5, vcc, v5, v3, vcc
	s_mov_b64 s[14:15], 0
	v_pk_mov_b32 v[2:3], 0, 0
	v_mov_b32_e32 v8, s7
	v_mov_b32_e32 v9, s17
	v_pk_mov_b32 v[6:7], v[0:1], v[0:1] op_sel:[0,1]
.LBB132_3:                              ; =>This Inner Loop Header: Depth=1
	global_load_ushort v10, v[4:5], off
	v_add_co_u32_e32 v6, vcc, s3, v6
	v_addc_co_u32_e32 v7, vcc, v7, v8, vcc
	v_add_co_u32_e32 v4, vcc, s16, v4
	v_addc_co_u32_e32 v5, vcc, v5, v9, vcc
	v_cmp_le_u64_e32 vcc, s[52:53], v[6:7]
	s_or_b64 s[14:15], vcc, s[14:15]
	s_waitcnt vmcnt(0)
	v_cmp_u_f16_e32 vcc, v10, v10
	v_cndmask_b32_e64 v10, 0, 1, vcc
	v_add_co_u32_e32 v2, vcc, v2, v10
	v_addc_co_u32_e32 v3, vcc, 0, v3, vcc
	s_andn2_b64 exec, exec, s[14:15]
	s_cbranch_execnz .LBB132_3
; %bb.4:
	s_or_b64 exec, exec, s[14:15]
.LBB132_5:
	s_or_b64 exec, exec, s[12:13]
	v_cmp_eq_u32_e64 s[14:15], 0, v0
	s_mov_b64 s[12:13], exec
	v_writelane_b32 v52, s14, 12
	v_writelane_b32 v52, s15, 13
	s_and_b64 s[14:15], s[12:13], s[14:15]
	s_mov_b64 exec, s[14:15]
	s_cbranch_execz .LBB132_7
; %bb.6:
	v_mov_b32_e32 v4, 0
	v_mov_b32_e32 v5, v4
	ds_write_b64 v4, v[4:5] offset:5136
.LBB132_7:
	s_or_b64 exec, exec, s[12:13]
	s_mov_b64 s[14:15], 0
	v_cmp_ne_u64_e32 vcc, 0, v[2:3]
	s_waitcnt lgkmcnt(0)
	s_barrier
	s_and_saveexec_b64 s[12:13], vcc
	s_cbranch_execz .LBB132_12
; %bb.8:
	s_mov_b64 s[16:17], exec
.LBB132_9:                              ; =>This Inner Loop Header: Depth=1
	s_ff1_i32_b64 s3, s[16:17]
	v_readlane_b32 s18, v2, s3
	v_readlane_b32 s7, v3, s3
	s_add_u32 s14, s14, s18
	s_addc_u32 s15, s15, s7
	s_lshl_b64 s[18:19], 1, s3
	s_andn2_b64 s[16:17], s[16:17], s[18:19]
	s_cmp_lg_u64 s[16:17], 0
	s_cbranch_scc1 .LBB132_9
; %bb.10:
	v_mbcnt_lo_u32_b32 v2, exec_lo, 0
	v_mbcnt_hi_u32_b32 v2, exec_hi, v2
	v_cmp_eq_u32_e32 vcc, 0, v2
	s_and_saveexec_b64 s[16:17], vcc
	s_xor_b64 s[16:17], exec, s[16:17]
	s_cbranch_execz .LBB132_12
; %bb.11:
	v_mov_b32_e32 v4, 0
	v_pk_mov_b32 v[2:3], s[14:15], s[14:15] op_sel:[0,1]
	ds_add_u64 v4, v[2:3] offset:5136
.LBB132_12:
	s_or_b64 exec, exec, s[12:13]
	v_mov_b32_e32 v13, 0
	s_waitcnt lgkmcnt(0)
	s_barrier
	ds_read_b64 v[2:3], v13 offset:5136
	s_waitcnt lgkmcnt(0)
	v_readfirstlane_b32 s12, v2
	v_readfirstlane_b32 s13, v3
	s_mov_b64 s[14:15], exec
	v_readlane_b32 s16, v52, 12
	v_readlane_b32 s17, v52, 13
	s_and_b64 s[16:17], s[14:15], s[16:17]
	s_mov_b64 exec, s[16:17]
	s_cbranch_execz .LBB132_14
; %bb.13:
	v_mov_b32_e32 v2, 0
	v_mov_b32_e32 v4, s52
	;; [unrolled: 1-line block ×4, first 2 shown]
	ds_write_b32 v2, v2 offset:5144
	ds_write_b128 v2, v[2:5] offset:5120
.LBB132_14:
	s_or_b64 exec, exec, s[14:15]
	s_load_dword s3, s[4:5], 0x4f8
	v_cmp_lt_i64_e64 s[4:5], s[12:13], 1
	v_mbcnt_lo_u32_b32 v2, -1, 0
	v_mbcnt_hi_u32_b32 v30, -1, v2
	v_cmp_gt_u32_e32 vcc, 64, v0
	s_waitcnt lgkmcnt(0)
	s_bitcmp1_b32 s3, 0
	s_cselect_b64 s[14:15], -1, 0
	s_not_b64 s[12:13], s[12:13]
	s_or_b64 s[4:5], s[14:15], s[4:5]
	s_add_u32 s12, s12, s52
	s_addc_u32 s13, s13, s53
	s_lshr_b64 s[12:13], s[12:13], 1
	s_add_u32 s3, s12, 1
	s_addc_u32 s7, s13, 0
	s_and_b64 s[4:5], s[4:5], exec
	s_cselect_b32 s73, s7, s53
	s_cselect_b32 s72, s3, s52
	s_lshl_b64 s[4:5], s[8:9], 1
	s_add_u32 s0, s0, s4
	v_cmp_gt_i32_e64 s[8:9], 4, v30
	s_addc_u32 s1, s1, s5
	s_and_b64 s[46:47], vcc, s[8:9]
	v_cmp_gt_u32_e64 s[8:9], 2, v0
	v_mov_b32_e32 v2, 0x600
	v_writelane_b32 v52, s8, 14
	v_mov_b32_e32 v3, 0
	s_barrier
	v_writelane_b32 v52, s9, 15
	v_cmp_gt_u64_e64 s[8:9], s[52:53], v[2:3]
	s_load_dword s3, s[10:11], 0xc
	v_writelane_b32 v52, s8, 16
	v_writelane_b32 v52, s9, 17
	v_mad_u64_u32 v[2:3], s[8:9], v0, s64, 0
	v_mov_b32_e32 v4, v3
	v_mad_u64_u32 v[4:5], s[8:9], v0, s65, v[4:5]
	s_waitcnt lgkmcnt(0)
	s_and_b32 s33, s3, 0xffff
	s_bfe_u32 s7, s3, 0xa0006
	v_cmp_gt_u16_e64 s[8:9], s3, 63
	v_writelane_b32 v52, s8, 18
	s_add_u32 s3, s33, -1
	v_writelane_b32 v52, s9, 19
	s_addc_u32 s8, 0, -1
	s_add_u32 s89, s3, s52
	s_addc_u32 s69, s8, s53
	s_cmp_lt_u32 s6, s2
	s_cselect_b32 s2, 12, 18
	s_add_u32 s48, s10, s2
	v_writelane_b32 v52, s3, 20
	s_addc_u32 s49, s11, 0
	s_add_i32 s2, s7, -1
	s_bfe_u32 s3, s33, 0x30006
	s_cmp_gt_u32 s2, 6
	v_writelane_b32 v52, s8, 21
	s_cselect_b64 s[8:9], -1, 0
	v_mov_b32_e32 v3, v4
	v_writelane_b32 v52, s8, 22
	s_and_b32 s86, s7, 0x3f8
	v_lshlrev_b64 v[4:5], 1, v[2:3]
	v_writelane_b32 v52, s9, 23
	s_cmp_lg_u32 s3, 0
	v_add_co_u32_e32 v10, vcc, s0, v4
	v_lshrrev_b32_e32 v4, 4, v0
	v_writelane_b32 v52, s3, 24
	s_cselect_b64 s[2:3], -1, 0
	v_mov_b32_e32 v6, s1
	v_and_b32_e32 v33, 60, v4
	v_lshlrev_b32_e32 v4, 2, v30
	v_writelane_b32 v52, s2, 25
	v_addc_co_u32_e32 v11, vcc, v6, v5, vcc
	v_and_b32_e32 v34, 0x100, v4
	v_lshlrev_b64 v[4:5], v30, -1
	v_writelane_b32 v52, s3, 26
	s_lshl_b64 s[2:3], s[64:65], 1
	v_lshlrev_b32_e32 v35, 3, v0
	v_not_b32_e32 v17, v5
	v_writelane_b32 v52, s2, 27
	v_or_b32_e32 v5, 6, v35
	v_writelane_b32 v52, s3, 28
	v_mad_u64_u32 v[18:19], s[2:3], s64, v5, 0
	v_not_b32_e32 v16, v4
	v_mov_b32_e32 v4, v19
	v_mad_u64_u32 v[4:5], s[2:3], s65, v5, v[4:5]
	s_lshl_b64 s[2:3], s[64:65], 3
	v_writelane_b32 v52, s2, 29
	v_or_b32_e32 v5, 4, v35
	v_writelane_b32 v52, s3, 30
	v_mad_u64_u32 v[20:21], s[2:3], s64, v5, 0
	v_mov_b32_e32 v19, v4
	v_mov_b32_e32 v4, v21
	v_mad_u64_u32 v[4:5], s[2:3], s65, v5, v[4:5]
	v_or_b32_e32 v5, 2, v35
	v_mad_u64_u32 v[22:23], s[2:3], s64, v5, 0
	v_mov_b32_e32 v21, v4
	v_mov_b32_e32 v4, v23
	v_writelane_b32 v52, s46, 31
	v_mad_u64_u32 v[4:5], s[2:3], s65, v5, v[4:5]
	v_writelane_b32 v52, s47, 32
	s_mul_i32 s2, s65, s33
	s_mul_hi_u32 s3, s64, s33
	v_writelane_b32 v52, s48, 33
	s_mov_b32 s71, 0
	v_cmp_eq_u32_e64 s[4:5], 0, v30
	v_lshlrev_b32_e32 v31, 1, v0
	v_lshlrev_b64 v[24:25], 3, v[2:3]
	v_mov_b32_e32 v2, 0xc00
	s_add_i32 s3, s3, s2
	s_mul_i32 s2, s64, s33
	v_writelane_b32 v52, s49, 34
	v_mov_b32_e32 v15, 0
	v_add_u32_e32 v32, 0xc00, v31
	v_lshlrev_b32_e32 v14, 2, v0
	s_mov_b32 s88, s71
	v_mov_b32_e32 v23, v4
	v_lshl_or_b32 v36, v30, 3, v2
	s_lshl_b32 s87, s33, 1
	s_lshl_b64 s[66:67], s[2:3], 1
	s_mov_b32 s51, 14
	s_mov_b64 s[90:91], 0
	s_movk_i32 s50, 0x3c00
	v_mov_b32_e32 v37, 0xffff
	v_mov_b32_e32 v38, 0x8000
	;; [unrolled: 1-line block ×3, first 2 shown]
	v_mov_b32_e32 v40, -1
	v_mov_b32_e32 v41, 0x5040100
	v_mov_b32_e32 v42, 0
	s_mov_b32 s74, 0
	s_mov_b32 s80, 0
	;; [unrolled: 1-line block ×3, first 2 shown]
	v_writelane_b32 v52, s4, 35
                                        ; implicit-def: $sgpr94_sgpr95
                                        ; implicit-def: $sgpr58_sgpr59
                                        ; implicit-def: $sgpr56_sgpr57
                                        ; implicit-def: $sgpr60_sgpr61
                                        ; implicit-def: $sgpr62_sgpr63
                                        ; implicit-def: $sgpr92_sgpr93
	v_writelane_b32 v52, s5, 36
	s_branch .LBB132_19
.LBB132_15:                             ;   in Loop: Header=BB132_19 Depth=1
	s_xor_b32 s74, s74, 1
	s_add_i32 s10, s51, -2
	s_cmp_eq_u32 s51, 0
	s_mov_b64 s[6:7], 0
	s_cselect_b64 s[8:9], -1, 0
	s_mov_b32 s51, s10
.LBB132_16:                             ;   in Loop: Header=BB132_19 Depth=1
	s_andn2_b64 s[10:11], s[20:21], exec
	s_and_b64 s[6:7], s[6:7], exec
	s_or_b64 s[20:21], s[10:11], s[6:7]
	s_andn2_b64 s[22:23], s[22:23], exec
	s_andn2_b64 s[18:19], s[18:19], exec
	s_orn2_b64 s[14:15], s[8:9], exec
.LBB132_17:                             ;   in Loop: Header=BB132_19 Depth=1
	s_or_b64 exec, exec, s[2:3]
	s_andn2_b64 s[2:3], s[92:93], exec
	s_and_b64 s[6:7], s[20:21], exec
	s_or_b64 s[92:93], s[2:3], s[6:7]
	s_andn2_b64 s[2:3], s[62:63], exec
	s_and_b64 s[6:7], s[22:23], exec
	s_or_b64 s[62:63], s[2:3], s[6:7]
	;; [unrolled: 3-line block ×3, first 2 shown]
	s_orn2_b64 s[18:19], s[14:15], exec
.LBB132_18:                             ;   in Loop: Header=BB132_19 Depth=1
	s_or_b64 exec, exec, s[12:13]
	s_and_b64 s[2:3], exec, s[18:19]
	s_or_b64 s[90:91], s[2:3], s[90:91]
	s_andn2_b64 s[2:3], s[56:57], exec
	s_and_b64 s[6:7], s[92:93], exec
	s_or_b64 s[56:57], s[2:3], s[6:7]
	s_andn2_b64 s[2:3], s[58:59], exec
	s_and_b64 s[6:7], s[62:63], exec
	;; [unrolled: 3-line block ×3, first 2 shown]
	v_mov_b32_e32 v2, s80
	s_or_b64 s[94:95], s[2:3], s[6:7]
	s_andn2_b64 exec, exec, s[90:91]
	s_cbranch_execz .LBB132_285
.LBB132_19:                             ; =>This Loop Header: Depth=1
                                        ;     Child Loop BB132_24 Depth 2
                                        ;     Child Loop BB132_39 Depth 2
	;; [unrolled: 1-line block ×16, first 2 shown]
	ds_read_b128 v[2:5], v13 offset:5120
	s_waitcnt lgkmcnt(0)
	v_readfirstlane_b32 s83, v3
	v_readfirstlane_b32 s82, v2
	s_cmp_lg_u64 s[82:83], 0
	s_cbranch_scc1 .LBB132_46
; %bb.20:                               ;   in Loop: Header=BB132_19 Depth=1
	v_readlane_b32 s2, v52, 16
	v_readlane_b32 s3, v52, 17
	s_and_b64 vcc, exec, s[2:3]
	s_cbranch_vccz .LBB132_32
; %bb.21:                               ;   in Loop: Header=BB132_19 Depth=1
	s_mov_b64 s[2:3], 0x601
	v_cmp_gt_u64_e32 vcc, s[2:3], v[4:5]
	s_mov_b64 s[82:83], 0
	s_mov_b64 s[2:3], 0
	s_cbranch_vccz .LBB132_33
; %bb.22:                               ;   in Loop: Header=BB132_19 Depth=1
	global_load_ushort v6, v13, s[48:49]
	global_load_ushort v7, v[10:11], off
	v_readlane_b32 s10, v52, 27
	v_pk_mov_b32 v[2:3], s[0:1], s[0:1] op_sel:[0,1]
	v_readlane_b32 s11, v52, 28
	s_waitcnt vmcnt(1)
	v_readfirstlane_b32 s6, v6
	s_and_b32 s6, 0xffff, s6
	v_add_u32_e32 v5, s6, v0
	s_mul_i32 s8, s11, s6
	s_mul_hi_u32 s9, s10, s6
	s_mul_i32 s16, s10, s6
	v_mad_u64_u32 v[2:3], s[6:7], s10, v5, v[2:3]
	v_mov_b32_e32 v4, v3
	v_mad_u64_u32 v[4:5], s[6:7], s11, v5, v[4:5]
	s_add_i32 s17, s9, s8
	v_mov_b32_e32 v3, v4
	v_pk_mov_b32 v[4:5], v[0:1], v[0:1] op_sel:[0,1]
	s_branch .LBB132_24
.LBB132_23:                             ;   in Loop: Header=BB132_24 Depth=2
	s_or_b64 exec, exec, s[6:7]
	v_mov_b32_e32 v7, s17
	v_add_co_u32_e32 v2, vcc, s16, v2
	v_addc_co_u32_e32 v3, vcc, v3, v7, vcc
	v_mov_b32_e32 v7, v8
	s_andn2_b64 exec, exec, s[2:3]
	s_cbranch_execz .LBB132_149
.LBB132_24:                             ;   Parent Loop BB132_19 Depth=1
                                        ; =>  This Inner Loop Header: Depth=2
	v_add_co_u32_sdwa v4, vcc, v4, v6 dst_sel:DWORD dst_unused:UNUSED_PAD src0_sel:DWORD src1_sel:WORD_0
	v_addc_co_u32_e32 v5, vcc, 0, v5, vcc
	v_cmp_gt_u64_e64 s[6:7], s[52:53], v[4:5]
	v_cmp_le_u64_e32 vcc, s[52:53], v[4:5]
	s_waitcnt lgkmcnt(0)
	v_mov_b32_e32 v9, 0
	v_mov_b32_e32 v8, 0
	s_and_saveexec_b64 s[8:9], s[6:7]
	s_cbranch_execz .LBB132_26
; %bb.25:                               ;   in Loop: Header=BB132_24 Depth=2
	global_load_ushort v8, v[2:3], off
.LBB132_26:                             ;   in Loop: Header=BB132_24 Depth=2
	s_or_b64 exec, exec, s[8:9]
	s_waitcnt vmcnt(0)
	v_cmp_lt_i16_e64 s[6:7], -1, v7
	v_cndmask_b32_e64 v12, v37, v38, s[6:7]
	v_xor_b32_sdwa v12, v12, v7 dst_sel:DWORD dst_unused:UNUSED_PAD src0_sel:DWORD src1_sel:WORD_0
	v_cmp_o_f16_e64 s[6:7], v7, v7
	v_cndmask_b32_e64 v12, v37, v12, s[6:7]
	v_and_b32_e32 v12, s81, v12
	v_cmp_eq_u32_e64 s[10:11], s80, v12
	s_cmp_lg_u64 s[10:11], 0
	s_cselect_b64 s[6:7], -1, 0
	s_and_b64 s[6:7], s[4:5], s[6:7]
	s_and_saveexec_b64 s[8:9], s[6:7]
	s_cbranch_execz .LBB132_30
; %bb.27:                               ;   in Loop: Header=BB132_24 Depth=2
	s_mov_b64 s[14:15], exec
	v_mbcnt_lo_u32_b32 v9, s14, 0
	v_mbcnt_hi_u32_b32 v9, s15, v9
	s_bcnt1_i32_b64 s18, s[10:11]
	v_cmp_eq_u32_e64 s[6:7], 0, v9
                                        ; implicit-def: $vgpr12
	s_and_saveexec_b64 s[12:13], s[6:7]
	s_cbranch_execz .LBB132_29
; %bb.28:                               ;   in Loop: Header=BB132_24 Depth=2
	s_bcnt1_i32_b64 s6, s[14:15]
	s_mul_i32 s6, s18, s6
	v_mov_b32_e32 v12, s6
	ds_add_rtn_u32 v12, v13, v12 offset:5144
.LBB132_29:                             ;   in Loop: Header=BB132_24 Depth=2
	s_or_b64 exec, exec, s[12:13]
	s_waitcnt lgkmcnt(0)
	v_readfirstlane_b32 s6, v12
	v_mov_b32_e32 v12, s6
	v_mad_u32_u24 v9, s18, v9, v12
.LBB132_30:                             ;   in Loop: Header=BB132_24 Depth=2
	s_or_b64 exec, exec, s[8:9]
	ds_bpermute_b32 v9, v34, v9
	s_and_b64 s[6:7], exec, vcc
	s_or_b64 s[2:3], s[6:7], s[2:3]
	s_and_saveexec_b64 s[6:7], s[10:11]
	s_cbranch_execz .LBB132_23
; %bb.31:                               ;   in Loop: Header=BB132_24 Depth=2
	v_and_b32_e32 v26, s10, v16
	v_and_b32_e32 v12, s11, v17
	v_bcnt_u32_b32 v26, v26, 0
	v_bcnt_u32_b32 v12, v12, v26
	v_lshlrev_b32_e32 v12, 1, v12
	s_waitcnt lgkmcnt(0)
	v_lshl_add_u32 v9, v9, 1, v12
	ds_write_b16 v9, v7
	s_branch .LBB132_23
.LBB132_32:                             ;   in Loop: Header=BB132_19 Depth=1
	s_mov_b64 s[82:83], -1
	s_mov_b64 s[2:3], 0
.LBB132_33:                             ;   in Loop: Header=BB132_19 Depth=1
	s_and_b64 vcc, exec, s[82:83]
	s_cbranch_vccz .LBB132_44
.LBB132_34:                             ;   in Loop: Header=BB132_19 Depth=1
	v_mov_b32_e32 v6, 0
	s_mov_b64 s[2:3], exec
	v_readlane_b32 s6, v52, 10
	v_readlane_b32 s7, v52, 11
	s_and_b64 s[6:7], s[2:3], s[6:7]
	s_mov_b64 exec, s[6:7]
	s_cbranch_execz .LBB132_36
; %bb.35:                               ;   in Loop: Header=BB132_19 Depth=1
	global_load_ushort v6, v[10:11], off
.LBB132_36:                             ;   in Loop: Header=BB132_19 Depth=1
	s_or_b64 exec, exec, s[2:3]
	s_mov_b64 s[2:3], exec
	v_readlane_b32 s6, v52, 10
	v_readlane_b32 s7, v52, 11
	s_and_b64 s[6:7], s[2:3], s[6:7]
	s_mov_b64 exec, s[6:7]
	s_cbranch_execz .LBB132_41
; %bb.37:                               ;   in Loop: Header=BB132_19 Depth=1
	global_load_ushort v7, v13, s[48:49]
	v_readlane_b32 s14, v52, 27
	v_pk_mov_b32 v[2:3], s[0:1], s[0:1] op_sel:[0,1]
	v_readlane_b32 s15, v52, 28
	s_mov_b64 s[8:9], 0
	v_mov_b32_e32 v8, v31
	s_waitcnt vmcnt(0)
	v_readfirstlane_b32 s6, v7
	s_and_b32 s6, 0xffff, s6
	v_add_u32_e32 v5, s6, v0
	s_lshl_b32 s12, s6, 1
	s_mul_i32 s10, s15, s6
	s_mul_hi_u32 s11, s14, s6
	s_mul_i32 s13, s14, s6
	v_mad_u64_u32 v[2:3], s[6:7], s14, v5, v[2:3]
	v_mov_b32_e32 v4, v3
	v_mad_u64_u32 v[4:5], s[6:7], s15, v5, v[4:5]
	s_add_i32 s14, s11, s10
	v_mov_b32_e32 v3, v4
	v_pk_mov_b32 v[4:5], v[0:1], v[0:1] op_sel:[0,1]
	s_branch .LBB132_39
.LBB132_38:                             ;   in Loop: Header=BB132_39 Depth=2
	s_or_b64 exec, exec, s[10:11]
	s_and_b64 s[6:7], exec, vcc
	ds_write_b16 v8, v6
	v_mov_b32_e32 v6, s14
	v_add_co_u32_e32 v2, vcc, s13, v2
	s_or_b64 s[8:9], s[6:7], s[8:9]
	v_add_u32_e32 v8, s12, v8
	v_addc_co_u32_e32 v3, vcc, v3, v6, vcc
	s_waitcnt vmcnt(0)
	v_mov_b32_e32 v6, v9
	s_andn2_b64 exec, exec, s[8:9]
	s_cbranch_execz .LBB132_41
.LBB132_39:                             ;   Parent Loop BB132_19 Depth=1
                                        ; =>  This Inner Loop Header: Depth=2
	v_add_co_u32_sdwa v4, vcc, v4, v7 dst_sel:DWORD dst_unused:UNUSED_PAD src0_sel:DWORD src1_sel:WORD_0
	v_addc_co_u32_e32 v5, vcc, 0, v5, vcc
	v_cmp_gt_u64_e64 s[6:7], s[52:53], v[4:5]
	v_cmp_le_u64_e32 vcc, s[52:53], v[4:5]
	v_mov_b32_e32 v9, 0
	s_and_saveexec_b64 s[10:11], s[6:7]
	s_cbranch_execz .LBB132_38
; %bb.40:                               ;   in Loop: Header=BB132_39 Depth=2
	global_load_ushort v9, v[2:3], off
	s_branch .LBB132_38
.LBB132_41:                             ;   in Loop: Header=BB132_19 Depth=1
	s_or_b64 exec, exec, s[2:3]
	s_waitcnt lgkmcnt(0)
	s_barrier
	s_mov_b64 s[2:3], exec
	v_readlane_b32 s6, v52, 12
	v_readlane_b32 s7, v52, 13
	s_and_b64 s[6:7], s[2:3], s[6:7]
	s_mov_b64 exec, s[6:7]
	s_cbranch_execz .LBB132_43
; %bb.42:                               ;   in Loop: Header=BB132_19 Depth=1
	v_pk_mov_b32 v[2:3], s[52:53], s[52:53] op_sel:[0,1]
	ds_write_b64 v13, v[2:3] offset:5120
.LBB132_43:                             ;   in Loop: Header=BB132_19 Depth=1
	s_or_b64 exec, exec, s[2:3]
	s_mov_b64 s[2:3], -1
	s_waitcnt lgkmcnt(0)
	s_barrier
                                        ; implicit-def: $sgpr82_sgpr83
.LBB132_44:                             ;   in Loop: Header=BB132_19 Depth=1
	s_and_b64 vcc, exec, s[2:3]
	s_cbranch_vccz .LBB132_46
; %bb.45:                               ;   in Loop: Header=BB132_19 Depth=1
	ds_read_b64 v[2:3], v13 offset:5120
	s_waitcnt lgkmcnt(0)
	v_readfirstlane_b32 s82, v2
.LBB132_46:                             ;   in Loop: Header=BB132_19 Depth=1
	s_cmp_lt_i32 s82, 1
	s_cbranch_scc0 .LBB132_61
; %bb.47:                               ;   in Loop: Header=BB132_19 Depth=1
	global_load_ushort v2, v13, s[48:49]
	s_mov_b32 s2, s71
	s_waitcnt vmcnt(0)
	v_readfirstlane_b32 s3, v2
	s_and_b32 s70, s3, 0xffff
	s_lshl_b32 s78, s70, 2
	s_mov_b32 s3, s53
	s_cmp_lg_u64 s[2:3], 0
	s_cbranch_scc0 .LBB132_81
; %bb.48:                               ;   in Loop: Header=BB132_19 Depth=1
	v_cvt_f32_u32_e32 v2, s78
	s_sub_u32 s2, 0, s78
	s_subb_u32 s3, 0, 0
	v_mac_f32_e32 v2, 0, v39
	v_rcp_f32_e32 v2, v2
	v_mul_f32_e32 v2, 0x5f7ffffc, v2
	v_mul_f32_e32 v3, 0x2f800000, v2
	v_trunc_f32_e32 v3, v3
	v_mac_f32_e32 v2, 0xcf800000, v3
	v_cvt_u32_f32_e32 v3, v3
	v_cvt_u32_f32_e32 v2, v2
	v_readfirstlane_b32 s6, v3
	v_readfirstlane_b32 s7, v2
	s_mul_i32 s8, s2, s6
	s_mul_hi_u32 s10, s2, s7
	s_mul_i32 s9, s3, s7
	s_add_i32 s8, s10, s8
	s_mul_i32 s11, s2, s7
	s_add_i32 s8, s8, s9
	s_mul_hi_u32 s10, s7, s11
	s_mul_hi_u32 s9, s7, s8
	s_mul_i32 s7, s7, s8
	s_add_u32 s7, s10, s7
	s_addc_u32 s9, 0, s9
	s_mul_hi_u32 s12, s6, s11
	s_mul_i32 s11, s6, s11
	s_add_u32 s7, s7, s11
	s_mul_hi_u32 s10, s6, s8
	s_addc_u32 s7, s9, s12
	s_addc_u32 s9, s10, 0
	s_mul_i32 s8, s6, s8
	s_add_u32 s7, s7, s8
	s_addc_u32 s8, 0, s9
	v_add_co_u32_e32 v2, vcc, s7, v2
	s_cmp_lg_u64 vcc, 0
	s_addc_u32 s6, s6, s8
	v_readfirstlane_b32 s8, v2
	s_mul_i32 s7, s2, s6
	s_mul_hi_u32 s9, s2, s8
	s_add_i32 s7, s9, s7
	s_mul_i32 s3, s3, s8
	s_add_i32 s7, s7, s3
	s_mul_i32 s2, s2, s8
	s_mul_hi_u32 s9, s6, s2
	s_mul_i32 s10, s6, s2
	s_mul_i32 s12, s8, s7
	s_mul_hi_u32 s2, s8, s2
	s_mul_hi_u32 s11, s8, s7
	s_add_u32 s2, s2, s12
	s_addc_u32 s8, 0, s11
	s_add_u32 s2, s2, s10
	s_mul_hi_u32 s3, s6, s7
	s_addc_u32 s2, s8, s9
	s_addc_u32 s3, s3, 0
	s_mul_i32 s7, s6, s7
	s_add_u32 s2, s2, s7
	s_addc_u32 s3, 0, s3
	v_add_co_u32_e32 v2, vcc, s2, v2
	s_cmp_lg_u64 vcc, 0
	s_addc_u32 s2, s6, s3
	v_readfirstlane_b32 s7, v2
	s_mul_i32 s6, s52, s2
	s_mul_hi_u32 s8, s52, s7
	s_mul_hi_u32 s3, s52, s2
	s_add_u32 s6, s8, s6
	s_addc_u32 s3, 0, s3
	s_mul_hi_u32 s9, s53, s7
	s_mul_i32 s7, s53, s7
	s_add_u32 s6, s6, s7
	s_mul_hi_u32 s8, s53, s2
	s_addc_u32 s3, s3, s9
	s_addc_u32 s6, s8, 0
	s_mul_i32 s2, s53, s2
	s_add_u32 s2, s3, s2
	s_addc_u32 s3, 0, s6
	s_mul_hi_u32 s6, s78, s2
	s_mul_i32 s2, s78, s2
	s_mul_i32 s3, s78, s3
	v_mov_b32_e32 v2, s2
	s_add_i32 s6, s6, s3
	v_sub_co_u32_e32 v2, vcc, s52, v2
	s_cmp_lg_u64 vcc, 0
	s_subb_u32 s2, s53, s6
	v_subrev_co_u32_e32 v3, vcc, s78, v2
	s_cmp_lg_u64 vcc, 0
	s_subb_u32 s3, s2, 0
	v_subrev_co_u32_e32 v4, vcc, s78, v3
	s_cmp_lg_u64 vcc, 0
	s_subb_u32 s6, s3, 0
	v_cmp_le_u32_e32 vcc, s78, v3
	s_cmp_eq_u32 s3, 0
	v_cndmask_b32_e64 v5, 0, -1, vcc
	s_cselect_b64 vcc, -1, 0
	v_cndmask_b32_e32 v5, -1, v5, vcc
	v_mov_b32_e32 v6, s3
	v_mov_b32_e32 v7, s6
	v_cmp_ne_u32_e32 vcc, 0, v5
	v_cndmask_b32_e32 v5, v6, v7, vcc
	v_cndmask_b32_e32 v4, v3, v4, vcc
	v_cmp_le_u32_e32 vcc, s78, v2
	s_cmp_eq_u32 s2, 0
	v_cndmask_b32_e64 v3, 0, -1, vcc
	s_cselect_b64 vcc, -1, 0
	v_cndmask_b32_e32 v3, -1, v3, vcc
	v_mov_b32_e32 v6, s2
	v_cmp_ne_u32_e32 vcc, 0, v3
	v_cndmask_b32_e32 v3, v6, v5, vcc
	v_cndmask_b32_e32 v2, v2, v4, vcc
	s_cbranch_execnz .LBB132_50
.LBB132_49:                             ;   in Loop: Header=BB132_19 Depth=1
	v_cvt_f32_u32_e32 v2, s78
	s_sub_i32 s2, 0, s78
	v_rcp_iflag_f32_e32 v2, v2
	v_mul_f32_e32 v2, 0x4f7ffffe, v2
	v_cvt_u32_f32_e32 v2, v2
	v_mul_lo_u32 v3, s2, v2
	v_mul_hi_u32 v3, v2, v3
	v_add_u32_e32 v2, v2, v3
	v_mul_hi_u32 v2, s52, v2
	v_mul_lo_u32 v2, v2, s78
	v_sub_u32_e32 v2, s52, v2
	v_subrev_u32_e32 v3, s78, v2
	v_cmp_le_u32_e32 vcc, s78, v2
	v_cndmask_b32_e32 v2, v2, v3, vcc
	v_subrev_u32_e32 v3, s78, v2
	v_cmp_le_u32_e32 vcc, s78, v2
	v_cndmask_b32_e32 v12, v2, v3, vcc
	v_pk_mov_b32 v[2:3], v[12:13], v[12:13] op_sel:[0,1]
.LBB132_50:                             ;   in Loop: Header=BB132_19 Depth=1
	v_mov_b32_e32 v4, s53
	v_sub_co_u32_e32 v26, vcc, s52, v2
	v_subb_co_u32_e32 v27, vcc, v4, v3, vcc
	v_pk_mov_b32 v[2:3], 0, 0
	v_cmp_gt_u64_e32 vcc, v[26:27], v[14:15]
	s_mov_b64 s[54:55], 0
	v_pk_mov_b32 v[4:5], v[2:3], v[2:3] op_sel:[0,1]
	v_pk_mov_b32 v[6:7], v[2:3], v[2:3] op_sel:[0,1]
	;; [unrolled: 1-line block ×3, first 2 shown]
	s_and_saveexec_b64 s[84:85], vcc
	s_cbranch_execz .LBB132_54
; %bb.51:                               ;   in Loop: Header=BB132_19 Depth=1
	v_readlane_b32 s6, v52, 29
	v_readlane_b32 s7, v52, 30
	s_mul_i32 s2, s7, s70
	s_mul_hi_u32 s3, s6, s70
	s_mov_b64 s[4:5], s[72:73]
	s_mov_b32 s75, s69
	s_mov_b32 s73, s89
	;; [unrolled: 1-line block ×3, first 2 shown]
	s_and_b32 s83, s51, 0xfe
	s_add_i32 s72, s3, s2
	s_mul_i32 s89, s6, s70
	s_mov_b64 s[68:69], s[0:1]
	s_mov_b64 s[8:9], 0
	;; [unrolled: 1-line block ×5, first 2 shown]
	v_pk_mov_b32 v[28:29], v[14:15], v[14:15] op_sel:[0,1]
.LBB132_52:                             ;   Parent Loop BB132_19 Depth=1
                                        ; =>  This Inner Loop Header: Depth=2
	v_add_co_u32_e64 v28, s[6:7], s78, v28
	v_addc_co_u32_e64 v29, s[6:7], 0, v29, s[6:7]
	v_mov_b32_e32 v7, s69
	v_add_co_u32_e32 v2, vcc, s68, v22
	v_add_co_u32_e64 v8, s[6:7], s68, v24
	v_add_co_u32_e64 v4, s[10:11], s68, v20
	v_add_co_u32_e64 v6, s[12:13], s68, v18
	v_addc_co_u32_e64 v9, s[6:7], v7, v25, s[6:7]
	v_addc_co_u32_e32 v3, vcc, v7, v23, vcc
	v_addc_co_u32_e64 v5, vcc, v7, v21, s[10:11]
	v_addc_co_u32_e64 v7, vcc, v7, v19, s[12:13]
	global_load_ushort v8, v[8:9], off
	s_nop 0
	global_load_ushort v2, v[2:3], off
	s_nop 0
	;; [unrolled: 2-line block ×3, first 2 shown]
	global_load_ushort v4, v[6:7], off
	v_cmp_ge_u64_e32 vcc, v[28:29], v[26:27]
	s_waitcnt vmcnt(3)
	v_cmp_lt_i16_e64 s[6:7], -1, v8
	v_cndmask_b32_e64 v5, v37, v38, s[6:7]
	s_waitcnt vmcnt(2)
	v_cmp_lt_i16_e64 s[6:7], -1, v2
	v_cndmask_b32_e64 v6, v37, v38, s[6:7]
	;; [unrolled: 3-line block ×4, first 2 shown]
	v_xor_b32_sdwa v6, v6, v2 dst_sel:DWORD dst_unused:UNUSED_PAD src0_sel:DWORD src1_sel:WORD_0
	v_cmp_o_f16_e64 s[6:7], v2, v2
	v_xor_b32_sdwa v2, v7, v3 dst_sel:DWORD dst_unused:UNUSED_PAD src0_sel:DWORD src1_sel:WORD_0
	v_cmp_o_f16_e64 s[10:11], v3, v3
	;; [unrolled: 2-line block ×4, first 2 shown]
	v_cndmask_b32_e64 v4, v37, v4, s[14:15]
	v_cndmask_b32_e64 v5, v37, v6, s[6:7]
	v_and_b32_e32 v6, s81, v4
	v_bfe_u32 v4, v4, s83, 2
	v_cndmask_b32_e64 v2, v37, v2, s[10:11]
	v_and_b32_e32 v7, s81, v5
	v_bfe_u32 v5, v5, s83, 2
	v_cmp_eq_u32_e64 s[16:17], s80, v6
	v_cmp_eq_u32_e64 s[6:7], 0, v4
	v_cndmask_b32_e64 v3, v37, v3, s[12:13]
	v_and_b32_e32 v8, s81, v2
	v_bfe_u32 v2, v2, s83, 2
	v_cmp_eq_u32_e64 s[14:15], s80, v7
	v_cmp_eq_u32_e64 s[28:29], 0, v5
	s_and_b64 s[6:7], s[16:17], s[6:7]
	v_and_b32_e32 v9, s81, v3
	v_bfe_u32 v3, v3, s83, 2
	v_cmp_eq_u32_e64 s[12:13], s80, v8
	v_cmp_eq_u32_e64 s[30:31], 0, v2
	;; [unrolled: 1-line block ×5, first 2 shown]
	v_cndmask_b32_e64 v2, 0, 1, s[6:7]
	s_and_b64 s[6:7], s[14:15], s[28:29]
	v_cmp_eq_u32_e64 s[10:11], s80, v9
	v_cmp_eq_u32_e64 s[34:35], 0, v3
	;; [unrolled: 1-line block ×5, first 2 shown]
	v_cndmask_b32_e64 v3, 0, 1, s[6:7]
	s_and_b64 s[6:7], s[12:13], s[30:31]
	v_cmp_eq_u32_e64 s[36:37], 1, v4
	v_cmp_eq_u32_e64 s[44:45], 2, v4
	;; [unrolled: 1-line block ×3, first 2 shown]
	v_cndmask_b32_e64 v4, 0, 1, s[6:7]
	s_and_b64 s[6:7], s[10:11], s[34:35]
	v_cmp_eq_u32_e64 s[38:39], 1, v5
	v_cmp_eq_u32_e64 s[46:47], 2, v5
	v_cmp_eq_u32_e64 s[22:23], 3, v5
	v_cndmask_b32_e64 v5, 0, 1, s[6:7]
	v_cmp_ne_u32_e64 s[6:7], 0, v2
	v_cmp_ne_u32_e64 s[28:29], 0, v3
	v_cmp_ne_u32_e64 s[30:31], 0, v4
	v_cmp_ne_u32_e64 s[34:35], 0, v5
	s_bcnt1_i32_b64 s6, s[6:7]
	s_bcnt1_i32_b64 s7, s[28:29]
	s_bcnt1_i32_b64 s28, s[30:31]
	s_bcnt1_i32_b64 s29, s[34:35]
	s_add_u32 s6, s6, s26
	s_addc_u32 s26, 0, s27
	s_add_u32 s6, s6, s7
	s_addc_u32 s7, s26, 0
	s_add_u32 s6, s6, s28
	s_addc_u32 s7, s7, 0
	s_add_u32 s26, s6, s29
	s_addc_u32 s27, s7, 0
	s_and_b64 s[6:7], s[16:17], s[36:37]
	v_cndmask_b32_e64 v4, 0, 1, s[6:7]
	s_and_b64 s[6:7], s[14:15], s[38:39]
	v_cndmask_b32_e64 v5, 0, 1, s[6:7]
	s_and_b64 s[6:7], s[12:13], s[40:41]
	v_cndmask_b32_e64 v6, 0, 1, s[6:7]
	s_and_b64 s[6:7], s[10:11], s[42:43]
	v_cndmask_b32_e64 v7, 0, 1, s[6:7]
	v_cmp_ne_u32_e64 s[6:7], 0, v4
	v_cmp_ne_u32_e64 s[28:29], 0, v5
	v_cmp_ne_u32_e64 s[30:31], 0, v6
	v_cmp_ne_u32_e64 s[34:35], 0, v7
	s_bcnt1_i32_b64 s6, s[6:7]
	s_bcnt1_i32_b64 s7, s[28:29]
	s_bcnt1_i32_b64 s28, s[30:31]
	s_bcnt1_i32_b64 s29, s[34:35]
	s_add_u32 s6, s6, s76
	s_addc_u32 s30, 0, s77
	s_add_u32 s6, s6, s7
	s_addc_u32 s7, s30, 0
	s_add_u32 s6, s6, s28
	s_addc_u32 s7, s7, 0
	s_add_u32 s76, s6, s29
	s_addc_u32 s77, s7, 0
	s_and_b64 s[6:7], s[16:17], s[44:45]
	v_cndmask_b32_e64 v6, 0, 1, s[6:7]
	s_and_b64 s[6:7], s[14:15], s[46:47]
	v_cndmask_b32_e64 v7, 0, 1, s[6:7]
	s_and_b64 s[6:7], s[12:13], s[48:49]
	v_cndmask_b32_e64 v8, 0, 1, s[6:7]
	s_and_b64 s[6:7], s[10:11], s[50:51]
	;; [unrolled: 24-line block ×3, first 2 shown]
	v_cndmask_b32_e64 v43, 0, 1, s[6:7]
	v_cmp_ne_u32_e64 s[6:7], 0, v8
	v_cmp_ne_u32_e64 s[10:11], 0, v9
	;; [unrolled: 1-line block ×4, first 2 shown]
	s_bcnt1_i32_b64 s6, s[6:7]
	s_bcnt1_i32_b64 s7, s[10:11]
	;; [unrolled: 1-line block ×4, first 2 shown]
	s_add_u32 s6, s6, s8
	s_addc_u32 s8, 0, s9
	s_add_u32 s6, s6, s7
	s_addc_u32 s7, s8, 0
	;; [unrolled: 2-line block ×5, first 2 shown]
	v_pk_mov_b32 v[2:3], s[26:27], s[26:27] op_sel:[0,1]
	v_pk_mov_b32 v[4:5], s[76:77], s[76:77] op_sel:[0,1]
	;; [unrolled: 1-line block ×3, first 2 shown]
	s_or_b64 s[54:55], vcc, s[54:55]
	v_pk_mov_b32 v[8:9], s[8:9], s[8:9] op_sel:[0,1]
	s_andn2_b64 exec, exec, s[54:55]
	s_cbranch_execnz .LBB132_52
; %bb.53:                               ;   in Loop: Header=BB132_19 Depth=1
	s_or_b64 exec, exec, s[54:55]
	v_readlane_b32 s46, v52, 31
	s_mov_b32 s89, s73
	v_readlane_b32 s48, v52, 33
	s_mov_b64 s[72:73], s[4:5]
	v_readlane_b32 s4, v52, 35
	v_readlane_b32 s47, v52, 32
	;; [unrolled: 1-line block ×3, first 2 shown]
	s_movk_i32 s50, 0x3c00
	s_mov_b32 s51, s79
	s_mov_b32 s69, s75
	v_readlane_b32 s5, v52, 36
.LBB132_54:                             ;   in Loop: Header=BB132_19 Depth=1
	s_or_b64 exec, exec, s[84:85]
	v_add_co_u32_e32 v26, vcc, v26, v0
	v_addc_co_u32_e32 v27, vcc, 0, v27, vcc
	v_cmp_gt_u64_e32 vcc, s[52:53], v[26:27]
	v_mov_b32_e32 v12, 0
	s_and_saveexec_b64 s[2:3], vcc
	s_cbranch_execz .LBB132_56
; %bb.55:                               ;   in Loop: Header=BB132_19 Depth=1
	v_mul_lo_u32 v12, v27, s64
	v_mul_lo_u32 v43, v26, s65
	v_mad_u64_u32 v[28:29], s[6:7], v26, s64, 0
	v_add3_u32 v29, v29, v43, v12
	v_lshlrev_b64 v[28:29], 1, v[28:29]
	v_mov_b32_e32 v12, s1
	v_add_co_u32_e64 v28, s[6:7], s0, v28
	v_addc_co_u32_e64 v29, s[6:7], v12, v29, s[6:7]
	global_load_ushort v12, v[28:29], off
.LBB132_56:                             ;   in Loop: Header=BB132_19 Depth=1
	s_or_b64 exec, exec, s[2:3]
	s_and_saveexec_b64 s[2:3], vcc
	s_cbranch_execz .LBB132_63
; %bb.57:                               ;   in Loop: Header=BB132_19 Depth=1
	s_and_b32 s12, s51, 0xfe
	s_mov_b64 s[8:9], 0
	s_branch .LBB132_59
.LBB132_58:                             ;   in Loop: Header=BB132_59 Depth=2
	s_or_b64 exec, exec, s[10:11]
	s_and_b64 s[6:7], exec, vcc
	s_waitcnt vmcnt(0)
	v_cmp_lt_i16_e32 vcc, -1, v12
	v_cndmask_b32_e32 v29, v37, v38, vcc
	v_xor_b32_sdwa v29, v29, v12 dst_sel:DWORD dst_unused:UNUSED_PAD src0_sel:DWORD src1_sel:WORD_0
	v_cmp_o_f16_e32 vcc, v12, v12
	v_cndmask_b32_e32 v12, v37, v29, vcc
	v_and_b32_e32 v29, s81, v12
	v_bfe_u32 v12, v12, s12, 2
	s_or_b64 s[8:9], s[6:7], s[8:9]
	v_cmp_eq_u32_e32 vcc, s80, v29
	v_cmp_eq_u32_e64 s[6:7], 0, v12
	s_and_b64 s[6:7], vcc, s[6:7]
	v_cndmask_b32_e64 v29, 0, 1, s[6:7]
	v_cmp_ne_u32_e64 s[6:7], 0, v29
	s_bcnt1_i32_b64 s6, s[6:7]
	v_add_co_u32_e64 v2, s[6:7], s6, v2
	v_addc_co_u32_e64 v3, s[6:7], 0, v3, s[6:7]
	v_cmp_eq_u32_e64 s[6:7], 1, v12
	s_and_b64 s[6:7], vcc, s[6:7]
	v_cndmask_b32_e64 v29, 0, 1, s[6:7]
	v_cmp_ne_u32_e64 s[6:7], 0, v29
	s_bcnt1_i32_b64 s6, s[6:7]
	v_add_co_u32_e64 v4, s[6:7], s6, v4
	v_addc_co_u32_e64 v5, s[6:7], 0, v5, s[6:7]
	;; [unrolled: 7-line block ×3, first 2 shown]
	v_cmp_eq_u32_e64 s[6:7], 3, v12
	s_and_b64 s[6:7], vcc, s[6:7]
	v_cndmask_b32_e64 v12, 0, 1, s[6:7]
	v_cmp_ne_u32_e32 vcc, 0, v12
	s_bcnt1_i32_b64 s6, vcc
	v_add_co_u32_e32 v8, vcc, s6, v8
	v_addc_co_u32_e32 v9, vcc, 0, v9, vcc
	v_mov_b32_e32 v12, v28
	s_andn2_b64 exec, exec, s[8:9]
	s_cbranch_execz .LBB132_62
.LBB132_59:                             ;   Parent Loop BB132_19 Depth=1
                                        ; =>  This Inner Loop Header: Depth=2
	v_mov_b32_e32 v28, s71
	v_add_co_u32_e32 v26, vcc, s70, v26
	v_addc_co_u32_e32 v27, vcc, v27, v28, vcc
	v_cmp_gt_u64_e64 s[6:7], s[52:53], v[26:27]
	v_cmp_le_u64_e32 vcc, s[52:53], v[26:27]
	v_mov_b32_e32 v28, 0
	s_and_saveexec_b64 s[10:11], s[6:7]
	s_cbranch_execz .LBB132_58
; %bb.60:                               ;   in Loop: Header=BB132_59 Depth=2
	v_mul_lo_u32 v43, v27, s64
	v_mul_lo_u32 v44, v26, s65
	v_mad_u64_u32 v[28:29], s[6:7], v26, s64, 0
	v_add3_u32 v29, v29, v44, v43
	v_lshlrev_b64 v[28:29], 1, v[28:29]
	v_mov_b32_e32 v43, s1
	v_add_co_u32_e64 v28, s[6:7], s0, v28
	v_addc_co_u32_e64 v29, s[6:7], v43, v29, s[6:7]
	global_load_ushort v28, v[28:29], off
	s_branch .LBB132_58
.LBB132_61:                             ;   in Loop: Header=BB132_19 Depth=1
                                        ; implicit-def: $vgpr8_vgpr9
                                        ; implicit-def: $vgpr4_vgpr5
	s_cbranch_execnz .LBB132_64
	s_branch .LBB132_73
.LBB132_62:                             ;   in Loop: Header=BB132_19 Depth=1
	s_or_b64 exec, exec, s[8:9]
.LBB132_63:                             ;   in Loop: Header=BB132_19 Depth=1
	s_or_b64 exec, exec, s[2:3]
	s_branch .LBB132_73
.LBB132_64:                             ;   in Loop: Header=BB132_19 Depth=1
	global_load_ushort v8, v13, s[48:49]
	s_mov_b64 s[54:55], 0
	s_waitcnt vmcnt(0)
	v_readfirstlane_b32 s2, v8
	s_and_b32 s2, 0xffff, s2
	s_lshl_b32 s78, s2, 2
	v_cvt_f32_u32_e32 v2, s78
	s_sub_i32 s2, 0, s78
	v_and_b32_e32 v28, 0xffff, v8
	v_rcp_iflag_f32_e32 v6, v2
	v_pk_mov_b32 v[2:3], 0, 0
	v_pk_mov_b32 v[4:5], v[2:3], v[2:3] op_sel:[0,1]
	v_mul_f32_e32 v6, 0x4f7ffffe, v6
	v_cvt_u32_f32_e32 v9, v6
	v_pk_mov_b32 v[6:7], v[2:3], v[2:3] op_sel:[0,1]
	v_readfirstlane_b32 s3, v9
	s_mul_i32 s2, s2, s3
	s_mul_hi_u32 s2, s3, s2
	s_add_i32 s3, s3, s2
	s_mul_hi_u32 s2, s82, s3
	s_mul_i32 s2, s2, s78
	s_sub_i32 s2, s82, s2
	s_sub_i32 s3, s2, s78
	s_cmp_ge_u32 s2, s78
	s_cselect_b32 s2, s3, s2
	s_sub_i32 s3, s2, s78
	s_cmp_ge_u32 s2, s78
	s_cselect_b32 s2, s3, s2
	s_sub_i32 s70, s82, s2
	v_cmp_gt_u32_e32 vcc, s70, v14
	v_pk_mov_b32 v[8:9], v[2:3], v[2:3] op_sel:[0,1]
	s_and_saveexec_b64 s[2:3], vcc
	s_cbranch_execz .LBB132_68
; %bb.65:                               ;   in Loop: Header=BB132_19 Depth=1
	s_mov_b64 s[4:5], s[72:73]
	s_mov_b32 s75, s69
	s_mov_b32 s73, s51
	s_and_b32 s72, s51, 0xfe
	v_lshlrev_b32_e32 v12, 3, v28
	v_mov_b32_e32 v29, v35
	s_mov_b64 s[8:9], 0
	s_mov_b64 s[26:27], 0
	;; [unrolled: 1-line block ×4, first 2 shown]
	v_pk_mov_b32 v[26:27], v[14:15], v[14:15] op_sel:[0,1]
.LBB132_66:                             ;   Parent Loop BB132_19 Depth=1
                                        ; =>  This Inner Loop Header: Depth=2
	ds_read_b64 v[2:3], v29
	v_add_co_u32_e32 v26, vcc, s78, v26
	v_addc_co_u32_e32 v27, vcc, 0, v27, vcc
	s_waitcnt lgkmcnt(0)
	v_cmp_lt_i16_e64 s[6:7], -1, v2
	v_cndmask_b32_e64 v4, v37, v38, s[6:7]
	v_cmp_gt_i16_sdwa s[6:7], v2, v40 src0_sel:WORD_1 src1_sel:DWORD
	v_cndmask_b32_e64 v5, v37, v38, s[6:7]
	v_cmp_lt_i16_e64 s[6:7], -1, v3
	v_cndmask_b32_e64 v6, v37, v38, s[6:7]
	v_cmp_gt_i16_sdwa s[6:7], v3, v40 src0_sel:WORD_1 src1_sel:DWORD
	v_cndmask_b32_e64 v7, v37, v38, s[6:7]
	v_xor_b32_sdwa v6, v6, v3 dst_sel:DWORD dst_unused:UNUSED_PAD src0_sel:DWORD src1_sel:WORD_0
	v_cmp_o_f16_e64 s[10:11], v3, v3
	v_xor_b32_sdwa v7, v7, v3 dst_sel:DWORD dst_unused:UNUSED_PAD src0_sel:DWORD src1_sel:WORD_1
	v_cmp_o_f16_sdwa s[12:13], v3, v3 src0_sel:WORD_1 src1_sel:WORD_1
	v_xor_b32_sdwa v3, v4, v2 dst_sel:DWORD dst_unused:UNUSED_PAD src0_sel:DWORD src1_sel:WORD_0
	v_cmp_o_f16_e64 s[14:15], v2, v2
	v_xor_b32_sdwa v5, v5, v2 dst_sel:DWORD dst_unused:UNUSED_PAD src0_sel:DWORD src1_sel:WORD_1
	v_cmp_o_f16_sdwa s[6:7], v2, v2 src0_sel:WORD_1 src1_sel:WORD_1
	v_cndmask_b32_e64 v2, v37, v3, s[14:15]
	v_cndmask_b32_e64 v3, v37, v5, s[6:7]
	;; [unrolled: 1-line block ×3, first 2 shown]
	v_and_b32_e32 v6, s81, v2
	v_bfe_u32 v2, v2, s72, 2
	v_cndmask_b32_e64 v5, v37, v7, s[12:13]
	v_and_b32_e32 v7, s81, v3
	v_bfe_u32 v3, v3, s72, 2
	v_cmp_eq_u32_e64 s[16:17], s80, v6
	v_cmp_eq_u32_e64 s[6:7], 0, v2
	v_and_b32_e32 v8, s81, v4
	v_bfe_u32 v4, v4, s72, 2
	v_cmp_eq_u32_e64 s[14:15], s80, v7
	v_cmp_eq_u32_e64 s[28:29], 0, v3
	s_and_b64 s[6:7], s[16:17], s[6:7]
	v_and_b32_e32 v9, s81, v5
	v_bfe_u32 v5, v5, s72, 2
	v_cmp_eq_u32_e64 s[12:13], s80, v8
	v_cmp_eq_u32_e64 s[30:31], 0, v4
	;; [unrolled: 1-line block ×5, first 2 shown]
	v_cndmask_b32_e64 v2, 0, 1, s[6:7]
	s_and_b64 s[6:7], s[14:15], s[28:29]
	v_cmp_eq_u32_e64 s[10:11], s80, v9
	v_cmp_eq_u32_e64 s[34:35], 0, v5
	;; [unrolled: 1-line block ×5, first 2 shown]
	v_cndmask_b32_e64 v3, 0, 1, s[6:7]
	s_and_b64 s[6:7], s[12:13], s[30:31]
	v_cmp_eq_u32_e64 s[40:41], 1, v4
	v_cmp_eq_u32_e64 s[48:49], 2, v4
	;; [unrolled: 1-line block ×3, first 2 shown]
	v_cndmask_b32_e64 v4, 0, 1, s[6:7]
	s_and_b64 s[6:7], s[10:11], s[34:35]
	v_cmp_eq_u32_e64 s[42:43], 1, v5
	v_cmp_eq_u32_e64 s[50:51], 2, v5
	;; [unrolled: 1-line block ×3, first 2 shown]
	v_cndmask_b32_e64 v5, 0, 1, s[6:7]
	v_cmp_ne_u32_e64 s[6:7], 0, v2
	v_cmp_ne_u32_e64 s[28:29], 0, v3
	v_cmp_ne_u32_e64 s[30:31], 0, v4
	v_cmp_ne_u32_e64 s[34:35], 0, v5
	s_bcnt1_i32_b64 s6, s[6:7]
	s_bcnt1_i32_b64 s7, s[28:29]
	s_bcnt1_i32_b64 s28, s[30:31]
	s_bcnt1_i32_b64 s29, s[34:35]
	s_add_u32 s6, s6, s76
	s_addc_u32 s30, 0, s77
	s_add_u32 s6, s6, s7
	s_addc_u32 s7, s30, 0
	s_add_u32 s6, s6, s28
	s_addc_u32 s7, s7, 0
	s_add_u32 s76, s6, s29
	s_addc_u32 s77, s7, 0
	s_and_b64 s[6:7], s[16:17], s[36:37]
	v_cndmask_b32_e64 v4, 0, 1, s[6:7]
	s_and_b64 s[6:7], s[14:15], s[38:39]
	v_cndmask_b32_e64 v5, 0, 1, s[6:7]
	s_and_b64 s[6:7], s[12:13], s[40:41]
	v_cndmask_b32_e64 v6, 0, 1, s[6:7]
	s_and_b64 s[6:7], s[10:11], s[42:43]
	v_cndmask_b32_e64 v7, 0, 1, s[6:7]
	v_cmp_ne_u32_e64 s[6:7], 0, v4
	v_cmp_ne_u32_e64 s[28:29], 0, v5
	v_cmp_ne_u32_e64 s[30:31], 0, v6
	v_cmp_ne_u32_e64 s[34:35], 0, v7
	s_bcnt1_i32_b64 s6, s[6:7]
	s_bcnt1_i32_b64 s7, s[28:29]
	s_bcnt1_i32_b64 s28, s[30:31]
	s_bcnt1_i32_b64 s29, s[34:35]
	s_add_u32 s6, s6, s68
	s_addc_u32 s30, 0, s69
	s_add_u32 s6, s6, s7
	s_addc_u32 s7, s30, 0
	s_add_u32 s6, s6, s28
	s_addc_u32 s7, s7, 0
	s_add_u32 s68, s6, s29
	s_addc_u32 s69, s7, 0
	s_and_b64 s[6:7], s[16:17], s[44:45]
	v_cndmask_b32_e64 v6, 0, 1, s[6:7]
	s_and_b64 s[6:7], s[14:15], s[46:47]
	v_cndmask_b32_e64 v7, 0, 1, s[6:7]
	s_and_b64 s[6:7], s[12:13], s[48:49]
	v_cndmask_b32_e64 v8, 0, 1, s[6:7]
	s_and_b64 s[6:7], s[10:11], s[50:51]
	;; [unrolled: 24-line block ×3, first 2 shown]
	v_cndmask_b32_e64 v44, 0, 1, s[6:7]
	v_cmp_ne_u32_e64 s[6:7], 0, v8
	v_cmp_ne_u32_e64 s[10:11], 0, v9
	;; [unrolled: 1-line block ×4, first 2 shown]
	s_bcnt1_i32_b64 s6, s[6:7]
	s_bcnt1_i32_b64 s7, s[10:11]
	;; [unrolled: 1-line block ×4, first 2 shown]
	s_add_u32 s6, s6, s8
	s_addc_u32 s8, 0, s9
	s_add_u32 s6, s6, s7
	s_addc_u32 s7, s8, 0
	;; [unrolled: 2-line block ×3, first 2 shown]
	s_add_u32 s8, s6, s11
	v_cmp_le_u64_e32 vcc, s[70:71], v[26:27]
	s_addc_u32 s9, s7, 0
	v_add_u32_e32 v29, v29, v12
	v_pk_mov_b32 v[2:3], s[76:77], s[76:77] op_sel:[0,1]
	v_pk_mov_b32 v[4:5], s[68:69], s[68:69] op_sel:[0,1]
	;; [unrolled: 1-line block ×3, first 2 shown]
	s_or_b64 s[54:55], vcc, s[54:55]
	v_pk_mov_b32 v[8:9], s[8:9], s[8:9] op_sel:[0,1]
	s_andn2_b64 exec, exec, s[54:55]
	s_cbranch_execnz .LBB132_66
; %bb.67:                               ;   in Loop: Header=BB132_19 Depth=1
	s_or_b64 exec, exec, s[54:55]
	v_readlane_b32 s46, v52, 31
	v_readlane_b32 s48, v52, 33
	s_mov_b32 s51, s73
	s_mov_b64 s[72:73], s[4:5]
	v_readlane_b32 s4, v52, 35
	v_readlane_b32 s47, v52, 32
	;; [unrolled: 1-line block ×3, first 2 shown]
	s_movk_i32 s50, 0x3c00
	s_mov_b32 s69, s75
	v_readlane_b32 s5, v52, 36
.LBB132_68:                             ;   in Loop: Header=BB132_19 Depth=1
	s_or_b64 exec, exec, s[2:3]
	v_add_u32_e32 v12, s70, v0
	v_cmp_gt_u32_e32 vcc, s82, v12
	s_and_saveexec_b64 s[2:3], vcc
	s_cbranch_execz .LBB132_72
; %bb.69:                               ;   in Loop: Header=BB132_19 Depth=1
	s_and_b32 s70, s82, 0x7fffffff
	s_and_b32 s18, s51, 0xfe
	v_lshlrev_b32_e32 v29, 1, v12
	v_lshlrev_b32_e32 v43, 1, v28
	s_mov_b64 s[8:9], 0
	v_pk_mov_b32 v[26:27], v[12:13], v[12:13] op_sel:[0,1]
.LBB132_70:                             ;   Parent Loop BB132_19 Depth=1
                                        ; =>  This Inner Loop Header: Depth=2
	ds_read_u16 v12, v29
	v_add_co_u32_e32 v26, vcc, v26, v28
	v_addc_co_u32_e32 v27, vcc, 0, v27, vcc
	s_waitcnt lgkmcnt(0)
	v_cmp_lt_i16_e64 s[6:7], -1, v12
	v_cndmask_b32_e64 v44, v37, v38, s[6:7]
	v_xor_b32_sdwa v44, v44, v12 dst_sel:DWORD dst_unused:UNUSED_PAD src0_sel:DWORD src1_sel:WORD_0
	v_cmp_o_f16_e64 s[6:7], v12, v12
	v_cndmask_b32_e64 v12, v37, v44, s[6:7]
	v_and_b32_e32 v44, s81, v12
	v_bfe_u32 v12, v12, s18, 2
	v_cmp_eq_u32_e64 s[6:7], s80, v44
	v_cmp_eq_u32_e64 s[10:11], 0, v12
	;; [unrolled: 1-line block ×3, first 2 shown]
	s_and_b64 s[10:11], s[6:7], s[10:11]
	v_cmp_eq_u32_e64 s[14:15], 2, v12
	v_cmp_eq_u32_e64 s[16:17], 3, v12
	v_cndmask_b32_e64 v12, 0, 1, s[10:11]
	s_and_b64 s[10:11], s[6:7], s[12:13]
	v_cndmask_b32_e64 v44, 0, 1, s[10:11]
	s_and_b64 s[10:11], s[6:7], s[14:15]
	s_and_b64 s[6:7], s[6:7], s[16:17]
	v_cndmask_b32_e64 v46, 0, 1, s[6:7]
	v_cmp_ne_u32_e64 s[6:7], 0, v12
	s_bcnt1_i32_b64 s6, s[6:7]
	v_cndmask_b32_e64 v45, 0, 1, s[10:11]
	v_cmp_ne_u32_e64 s[10:11], 0, v44
	v_add_co_u32_e64 v2, s[6:7], s6, v2
	s_bcnt1_i32_b64 s10, s[10:11]
	v_addc_co_u32_e64 v3, s[6:7], 0, v3, s[6:7]
	v_cmp_ne_u32_e64 s[12:13], 0, v45
	v_cmp_ne_u32_e64 s[14:15], 0, v46
	v_add_co_u32_e64 v4, s[6:7], s10, v4
	v_cmp_le_u64_e32 vcc, s[70:71], v[26:27]
	s_bcnt1_i32_b64 s11, s[12:13]
	s_bcnt1_i32_b64 s12, s[14:15]
	v_addc_co_u32_e64 v5, s[6:7], 0, v5, s[6:7]
	v_add_co_u32_e64 v6, s[6:7], s11, v6
	s_or_b64 s[8:9], vcc, s[8:9]
	v_add_co_u32_e32 v8, vcc, s12, v8
	v_add_u32_e32 v29, v29, v43
	v_addc_co_u32_e64 v7, s[6:7], 0, v7, s[6:7]
	v_addc_co_u32_e32 v9, vcc, 0, v9, vcc
	s_andn2_b64 exec, exec, s[8:9]
	s_cbranch_execnz .LBB132_70
; %bb.71:                               ;   in Loop: Header=BB132_19 Depth=1
	s_or_b64 exec, exec, s[8:9]
.LBB132_72:                             ;   in Loop: Header=BB132_19 Depth=1
	s_or_b64 exec, exec, s[2:3]
.LBB132_73:                             ;   in Loop: Header=BB132_19 Depth=1
	s_lshl_b32 s6, s74, 6
	s_and_saveexec_b64 s[2:3], s[4:5]
	s_cbranch_execz .LBB132_75
; %bb.74:                               ;   in Loop: Header=BB132_19 Depth=1
	s_waitcnt vmcnt(0)
	v_or_b32_e32 v12, s6, v33
	v_lshlrev_b32_e32 v12, 3, v12
	ds_write_b128 v12, v[2:5] offset:3072
	ds_write_b128 v12, v[6:9] offset:3088
.LBB132_75:                             ;   in Loop: Header=BB132_19 Depth=1
	s_or_b64 exec, exec, s[2:3]
	s_waitcnt lgkmcnt(0)
	s_barrier
	s_and_saveexec_b64 s[2:3], s[46:47]
	s_cbranch_execz .LBB132_87
; %bb.76:                               ;   in Loop: Header=BB132_19 Depth=1
	v_readlane_b32 s8, v52, 18
	v_readlane_b32 s9, v52, 19
	s_andn2_b64 vcc, exec, s[8:9]
	v_pk_mov_b32 v[2:3], 0, 0
	s_cbranch_vccnz .LBB132_86
; %bb.77:                               ;   in Loop: Header=BB132_19 Depth=1
	v_readlane_b32 s8, v52, 22
	v_readlane_b32 s9, v52, 23
	s_andn2_b64 vcc, exec, s[8:9]
	s_cbranch_vccnz .LBB132_82
; %bb.78:                               ;   in Loop: Header=BB132_19 Depth=1
	v_lshl_add_u32 v4, s74, 9, v36
	s_mov_b32 s7, 0
	v_pk_mov_b32 v[2:3], 0, 0
.LBB132_79:                             ;   Parent Loop BB132_19 Depth=1
                                        ; =>  This Inner Loop Header: Depth=2
	s_waitcnt vmcnt(0)
	ds_read2_b64 v[6:9], v4 offset1:4
	ds_read2_b64 v[26:29], v4 offset0:8 offset1:12
	ds_read2_b64 v[44:47], v4 offset0:16 offset1:20
	;; [unrolled: 1-line block ×3, first 2 shown]
	s_add_i32 s7, s7, 8
	s_waitcnt lgkmcnt(3)
	v_add_co_u32_e32 v2, vcc, v6, v2
	v_addc_co_u32_e32 v3, vcc, v7, v3, vcc
	v_add_co_u32_e32 v2, vcc, v8, v2
	v_addc_co_u32_e32 v3, vcc, v9, v3, vcc
	s_waitcnt lgkmcnt(2)
	v_add_co_u32_e32 v2, vcc, v26, v2
	v_addc_co_u32_e32 v3, vcc, v27, v3, vcc
	v_add_co_u32_e32 v2, vcc, v28, v2
	v_addc_co_u32_e32 v3, vcc, v29, v3, vcc
	;; [unrolled: 5-line block ×3, first 2 shown]
	s_waitcnt lgkmcnt(0)
	v_add_co_u32_e32 v2, vcc, v48, v2
	v_addc_co_u32_e32 v3, vcc, v49, v3, vcc
	v_add_co_u32_e32 v2, vcc, v50, v2
	v_add_u32_e32 v4, 0x100, v4
	s_cmp_eq_u32 s86, s7
	v_addc_co_u32_e32 v3, vcc, v51, v3, vcc
	s_cbranch_scc0 .LBB132_79
; %bb.80:                               ;   in Loop: Header=BB132_19 Depth=1
	s_mov_b32 s7, s86
	s_branch .LBB132_83
.LBB132_81:                             ;   in Loop: Header=BB132_19 Depth=1
                                        ; implicit-def: $vgpr2_vgpr3
	s_branch .LBB132_49
.LBB132_82:                             ;   in Loop: Header=BB132_19 Depth=1
	s_mov_b32 s7, 0
	v_pk_mov_b32 v[2:3], 0, 0
.LBB132_83:                             ;   in Loop: Header=BB132_19 Depth=1
	v_readlane_b32 s8, v52, 25
	v_readlane_b32 s9, v52, 26
	s_andn2_b64 vcc, exec, s[8:9]
	s_cbranch_vccnz .LBB132_86
; %bb.84:                               ;   in Loop: Header=BB132_19 Depth=1
	s_lshl_b32 s8, s74, 9
	s_lshl_b32 s7, s7, 5
	s_add_i32 s8, s8, s7
	v_add_u32_e32 v4, s8, v36
	v_readlane_b32 s7, v52, 24
.LBB132_85:                             ;   Parent Loop BB132_19 Depth=1
                                        ; =>  This Inner Loop Header: Depth=2
	s_waitcnt vmcnt(0)
	ds_read_b64 v[6:7], v4
	s_add_i32 s7, s7, -1
	v_add_u32_e32 v4, 32, v4
	s_cmp_lg_u32 s7, 0
	s_waitcnt lgkmcnt(0)
	v_add_co_u32_e32 v2, vcc, v6, v2
	v_addc_co_u32_e32 v3, vcc, v7, v3, vcc
	s_cbranch_scc1 .LBB132_85
.LBB132_86:                             ;   in Loop: Header=BB132_19 Depth=1
	v_add_lshl_u32 v4, s6, v30, 3
	ds_write_b64 v4, v[2:3] offset:3072
.LBB132_87:                             ;   in Loop: Header=BB132_19 Depth=1
	s_or_b64 exec, exec, s[2:3]
	s_lshl_b32 s2, s6, 3
	s_waitcnt vmcnt(0)
	v_mov_b32_e32 v6, s2
	s_waitcnt lgkmcnt(0)
	s_barrier
	ds_read_b128 v[2:5], v6 offset:3072
	ds_read_b128 v[6:9], v6 offset:3088
	s_and_b32 s40, s51, 0xfe
	s_lshl_b32 s44, 3, s40
	s_not_b32 s41, s44
	s_waitcnt lgkmcnt(1)
	v_readfirstlane_b32 s15, v3
	v_readfirstlane_b32 s14, v2
	s_cmp_eq_u64 s[14:15], 1
	s_cselect_b64 s[2:3], -1, 0
	s_cmp_eq_u64 s[72:73], 1
	s_cselect_b64 s[6:7], -1, 0
	s_and_b64 s[20:21], s[2:3], s[6:7]
	v_readfirstlane_b32 s28, v4
	v_readfirstlane_b32 s29, v5
	s_waitcnt lgkmcnt(0)
	v_readfirstlane_b32 s16, v6
	v_readfirstlane_b32 s17, v7
	;; [unrolled: 1-line block ×4, first 2 shown]
	s_mov_b64 s[18:19], -1
	s_and_b64 vcc, exec, s[20:21]
	s_cbranch_vccz .LBB132_102
; %bb.88:                               ;   in Loop: Header=BB132_19 Depth=1
	ds_read_b64 v[2:3], v13 offset:5120
	s_waitcnt lgkmcnt(0)
	s_barrier
	v_readfirstlane_b32 s2, v2
	v_readfirstlane_b32 s3, v3
	s_mov_b64 s[6:7], exec
	v_readlane_b32 s8, v52, 14
	v_readlane_b32 s9, v52, 15
	s_and_b64 s[8:9], s[6:7], s[8:9]
	s_mov_b64 exec, s[8:9]
	s_cbranch_execz .LBB132_90
; %bb.89:                               ;   in Loop: Header=BB132_19 Depth=1
	ds_write_b16 v32, v15
.LBB132_90:                             ;   in Loop: Header=BB132_19 Depth=1
	s_or_b64 exec, exec, s[6:7]
	s_and_b32 s80, s80, s41
	s_or_b32 s81, s81, s44
	s_cmp_eq_u64 s[2:3], 0
	s_waitcnt lgkmcnt(0)
	s_barrier
	s_cbranch_scc1 .LBB132_103
; %bb.91:                               ;   in Loop: Header=BB132_19 Depth=1
	v_readlane_b32 s6, v52, 20
	s_add_u32 s12, s6, s2
	v_readlane_b32 s6, v52, 21
	s_addc_u32 s7, s6, s3
	s_mov_b32 s6, s71
	s_cmp_lg_u64 s[6:7], 0
	s_cbranch_scc0 .LBB132_148
; %bb.92:                               ;   in Loop: Header=BB132_19 Depth=1
	v_cvt_f32_u32_e32 v2, s33
	s_sub_u32 s6, 0, s33
	s_subb_u32 s8, 0, 0
	v_mac_f32_e32 v2, 0, v39
	v_rcp_f32_e32 v2, v2
	v_mul_f32_e32 v2, 0x5f7ffffc, v2
	v_mul_f32_e32 v3, 0x2f800000, v2
	v_trunc_f32_e32 v3, v3
	v_mac_f32_e32 v2, 0xcf800000, v3
	v_cvt_u32_f32_e32 v3, v3
	v_cvt_u32_f32_e32 v2, v2
	v_readfirstlane_b32 s9, v3
	v_readfirstlane_b32 s13, v2
	s_mul_i32 s22, s6, s9
	s_mul_hi_u32 s24, s6, s13
	s_mul_i32 s23, s8, s13
	s_add_i32 s22, s24, s22
	s_mul_i32 s25, s6, s13
	s_add_i32 s22, s22, s23
	s_mul_hi_u32 s24, s13, s25
	s_mul_hi_u32 s23, s13, s22
	s_mul_i32 s13, s13, s22
	s_add_u32 s13, s24, s13
	s_addc_u32 s23, 0, s23
	s_mul_hi_u32 s26, s9, s25
	s_mul_i32 s25, s9, s25
	s_add_u32 s13, s13, s25
	s_mul_hi_u32 s24, s9, s22
	s_addc_u32 s13, s23, s26
	s_addc_u32 s23, s24, 0
	s_mul_i32 s22, s9, s22
	s_add_u32 s13, s13, s22
	s_addc_u32 s22, 0, s23
	v_add_co_u32_e32 v2, vcc, s13, v2
	s_cmp_lg_u64 vcc, 0
	s_addc_u32 s9, s9, s22
	v_readfirstlane_b32 s22, v2
	s_mul_i32 s13, s6, s9
	s_mul_hi_u32 s23, s6, s22
	s_add_i32 s13, s23, s13
	s_mul_i32 s8, s8, s22
	s_add_i32 s13, s13, s8
	s_mul_i32 s6, s6, s22
	s_mul_hi_u32 s23, s9, s6
	s_mul_i32 s24, s9, s6
	s_mul_i32 s26, s22, s13
	s_mul_hi_u32 s6, s22, s6
	s_mul_hi_u32 s25, s22, s13
	s_add_u32 s6, s6, s26
	s_addc_u32 s22, 0, s25
	s_add_u32 s6, s6, s24
	s_mul_hi_u32 s8, s9, s13
	s_addc_u32 s6, s22, s23
	s_addc_u32 s8, s8, 0
	s_mul_i32 s13, s9, s13
	s_add_u32 s6, s6, s13
	s_addc_u32 s8, 0, s8
	v_add_co_u32_e32 v2, vcc, s6, v2
	s_cmp_lg_u64 vcc, 0
	s_addc_u32 s6, s9, s8
	v_readfirstlane_b32 s13, v2
	s_mul_i32 s9, s12, s6
	s_mul_hi_u32 s22, s12, s13
	s_mul_hi_u32 s8, s12, s6
	s_add_u32 s9, s22, s9
	s_addc_u32 s8, 0, s8
	s_mul_hi_u32 s23, s7, s13
	s_mul_i32 s13, s7, s13
	s_add_u32 s9, s9, s13
	s_mul_hi_u32 s22, s7, s6
	s_addc_u32 s8, s8, s23
	s_addc_u32 s9, s22, 0
	s_mul_i32 s6, s7, s6
	s_add_u32 s6, s8, s6
	s_addc_u32 s8, 0, s9
	s_mul_hi_u32 s9, s33, s6
	s_mul_i32 s6, s33, s6
	s_mul_i32 s8, s33, s8
	v_mov_b32_e32 v2, s6
	s_add_i32 s9, s9, s8
	v_sub_co_u32_e32 v2, vcc, s12, v2
	s_cmp_lg_u64 vcc, 0
	s_subb_u32 s6, s7, s9
	v_subrev_co_u32_e32 v3, vcc, s33, v2
	s_cmp_lg_u64 vcc, 0
	s_subb_u32 s8, s6, 0
	v_subrev_co_u32_e32 v4, vcc, s33, v3
	s_cmp_lg_u64 vcc, 0
	s_subb_u32 s9, s8, 0
	v_cmp_le_u32_e32 vcc, s33, v3
	s_cmp_eq_u32 s8, 0
	v_cndmask_b32_e64 v5, 0, -1, vcc
	s_cselect_b64 vcc, -1, 0
	v_cndmask_b32_e32 v5, -1, v5, vcc
	v_mov_b32_e32 v6, s8
	v_mov_b32_e32 v7, s9
	v_cmp_ne_u32_e32 vcc, 0, v5
	v_cndmask_b32_e32 v5, v6, v7, vcc
	v_cndmask_b32_e32 v4, v3, v4, vcc
	v_cmp_le_u32_e32 vcc, s33, v2
	s_cmp_eq_u32 s6, 0
	v_cndmask_b32_e64 v3, 0, -1, vcc
	s_cselect_b64 vcc, -1, 0
	v_cndmask_b32_e32 v3, -1, v3, vcc
	v_mov_b32_e32 v6, s6
	v_cmp_ne_u32_e32 vcc, 0, v3
	v_cndmask_b32_e32 v3, v6, v5, vcc
	v_cndmask_b32_e32 v2, v2, v4, vcc
	s_cbranch_execnz .LBB132_94
.LBB132_93:                             ;   in Loop: Header=BB132_19 Depth=1
	v_cvt_f32_u32_e32 v2, s33
	s_sub_i32 s6, 0, s33
	v_rcp_iflag_f32_e32 v2, v2
	v_mul_f32_e32 v2, 0x4f7ffffe, v2
	v_cvt_u32_f32_e32 v2, v2
	v_mul_lo_u32 v3, s6, v2
	v_mul_hi_u32 v3, v2, v3
	v_add_u32_e32 v2, v2, v3
	v_mul_hi_u32 v2, s12, v2
	v_mul_lo_u32 v2, v2, s33
	v_sub_u32_e32 v2, s12, v2
	v_subrev_u32_e32 v3, s33, v2
	v_cmp_le_u32_e32 vcc, s33, v2
	v_cndmask_b32_e32 v2, v2, v3, vcc
	v_subrev_u32_e32 v3, s33, v2
	v_cmp_le_u32_e32 vcc, s33, v2
	v_cndmask_b32_e32 v12, v2, v3, vcc
	v_pk_mov_b32 v[2:3], v[12:13], v[12:13] op_sel:[0,1]
.LBB132_94:                             ;   in Loop: Header=BB132_19 Depth=1
	v_mov_b32_e32 v4, s7
	v_sub_co_u32_e32 v2, vcc, s12, v2
	v_subb_co_u32_e32 v3, vcc, v4, v3, vcc
	v_cmp_gt_u64_e32 vcc, v[2:3], v[0:1]
	s_mov_b64 s[6:7], 0
                                        ; implicit-def: $vgpr42
	s_and_saveexec_b64 s[8:9], vcc
	s_cbranch_execz .LBB132_105
; %bb.95:                               ;   in Loop: Header=BB132_19 Depth=1
	s_mov_b64 s[12:13], 0
	v_mov_b32_e32 v6, v31
	v_pk_mov_b32 v[4:5], v[0:1], v[0:1] op_sel:[0,1]
                                        ; implicit-def: $sgpr22_sgpr23
	s_branch .LBB132_97
.LBB132_96:                             ;   in Loop: Header=BB132_97 Depth=2
	s_or_b64 exec, exec, s[6:7]
	s_waitcnt lgkmcnt(0)
	s_barrier
	ds_read_b32 v7, v13 offset:3072
	v_mov_b32_e32 v8, s88
	v_add_co_u32_e64 v4, s[6:7], s33, v4
	v_addc_co_u32_e64 v5, s[6:7], v5, v8, s[6:7]
	s_waitcnt lgkmcnt(0)
	v_cmp_neq_f16_e32 vcc, 0, v7
	v_cmp_ge_u64_e64 s[6:7], v[4:5], v[2:3]
	s_or_b64 s[6:7], s[6:7], vcc
	s_and_b64 s[6:7], exec, s[6:7]
	s_or_b64 s[12:13], s[6:7], s[12:13]
	s_andn2_b64 s[6:7], s[22:23], exec
	s_and_b64 s[22:23], vcc, exec
	v_add_u32_e32 v6, s87, v6
	s_or_b64 s[22:23], s[6:7], s[22:23]
	s_barrier
	s_andn2_b64 exec, exec, s[12:13]
	s_cbranch_execz .LBB132_104
.LBB132_97:                             ;   Parent Loop BB132_19 Depth=1
                                        ; =>  This Inner Loop Header: Depth=2
	v_cmp_gt_u64_e32 vcc, s[2:3], v[4:5]
	v_mov_b32_e32 v7, 0
	s_and_saveexec_b64 s[6:7], vcc
	s_cbranch_execz .LBB132_99
; %bb.98:                               ;   in Loop: Header=BB132_97 Depth=2
	ds_read_u16 v7, v6
.LBB132_99:                             ;   in Loop: Header=BB132_97 Depth=2
	s_or_b64 exec, exec, s[6:7]
	s_and_saveexec_b64 s[6:7], vcc
	s_cbranch_execz .LBB132_96
; %bb.100:                              ;   in Loop: Header=BB132_97 Depth=2
	s_waitcnt lgkmcnt(0)
	v_cmp_lt_i16_e32 vcc, -1, v7
	v_cndmask_b32_e32 v8, v37, v38, vcc
	v_xor_b32_sdwa v8, v8, v7 dst_sel:DWORD dst_unused:UNUSED_PAD src0_sel:DWORD src1_sel:WORD_0
	v_cmp_o_f16_e32 vcc, v7, v7
	v_cndmask_b32_e32 v8, v37, v8, vcc
	v_and_b32_e32 v8, s81, v8
	v_cmp_eq_u32_e32 vcc, s80, v8
	s_and_b64 exec, exec, vcc
	s_cbranch_execz .LBB132_96
; %bb.101:                              ;   in Loop: Header=BB132_97 Depth=2
	v_perm_b32 v7, v7, s50, v41
	ds_write_b32 v13, v7 offset:3072
	s_branch .LBB132_96
.LBB132_102:                            ;   in Loop: Header=BB132_19 Depth=1
	s_mov_b64 s[6:7], -1
                                        ; implicit-def: $sgpr2_sgpr3
                                        ; implicit-def: $sgpr12_sgpr13
                                        ; implicit-def: $sgpr8_sgpr9
	s_branch .LBB132_119
.LBB132_103:                            ;   in Loop: Header=BB132_19 Depth=1
	s_mov_b64 s[2:3], -1
	s_mov_b64 s[6:7], 0
                                        ; implicit-def: $sgpr8_sgpr9
                                        ; implicit-def: $vgpr42
	s_mov_b64 s[12:13], s[2:3]
	s_cbranch_execnz .LBB132_106
	s_branch .LBB132_119
.LBB132_104:                            ;   in Loop: Header=BB132_19 Depth=1
	s_or_b64 exec, exec, s[12:13]
	v_lshrrev_b32_e32 v42, 16, v7
	s_and_b64 s[6:7], s[22:23], exec
.LBB132_105:                            ;   in Loop: Header=BB132_19 Depth=1
	s_or_b64 exec, exec, s[8:9]
	s_mov_b64 s[8:9], -1
	s_mov_b64 s[2:3], 0
	s_mov_b64 s[12:13], s[2:3]
	s_branch .LBB132_119
.LBB132_106:                            ;   in Loop: Header=BB132_19 Depth=1
	s_mov_b32 s68, s71
	s_cmp_lg_u64 s[68:69], 0
	s_cbranch_scc0 .LBB132_152
; %bb.107:                              ;   in Loop: Header=BB132_19 Depth=1
	v_cvt_f32_u32_e32 v2, s33
	s_sub_u32 s2, 0, s33
	s_subb_u32 s3, 0, 0
	v_mac_f32_e32 v2, 0, v39
	v_rcp_f32_e32 v2, v2
	v_mul_f32_e32 v2, 0x5f7ffffc, v2
	v_mul_f32_e32 v3, 0x2f800000, v2
	v_trunc_f32_e32 v3, v3
	v_mac_f32_e32 v2, 0xcf800000, v3
	v_cvt_u32_f32_e32 v3, v3
	v_cvt_u32_f32_e32 v2, v2
	v_readfirstlane_b32 s6, v3
	v_readfirstlane_b32 s7, v2
	s_mul_i32 s8, s2, s6
	s_mul_hi_u32 s12, s2, s7
	s_mul_i32 s9, s3, s7
	s_add_i32 s8, s12, s8
	s_mul_i32 s13, s2, s7
	s_add_i32 s8, s8, s9
	s_mul_hi_u32 s12, s7, s13
	s_mul_hi_u32 s9, s7, s8
	s_mul_i32 s7, s7, s8
	s_add_u32 s7, s12, s7
	s_addc_u32 s9, 0, s9
	s_mul_hi_u32 s22, s6, s13
	s_mul_i32 s13, s6, s13
	s_add_u32 s7, s7, s13
	s_mul_hi_u32 s12, s6, s8
	s_addc_u32 s7, s9, s22
	s_addc_u32 s9, s12, 0
	s_mul_i32 s8, s6, s8
	s_add_u32 s7, s7, s8
	s_addc_u32 s8, 0, s9
	v_add_co_u32_e32 v2, vcc, s7, v2
	s_cmp_lg_u64 vcc, 0
	s_addc_u32 s6, s6, s8
	v_readfirstlane_b32 s8, v2
	s_mul_i32 s7, s2, s6
	s_mul_hi_u32 s9, s2, s8
	s_add_i32 s7, s9, s7
	s_mul_i32 s3, s3, s8
	s_add_i32 s7, s7, s3
	s_mul_i32 s2, s2, s8
	s_mul_hi_u32 s9, s6, s2
	s_mul_i32 s12, s6, s2
	s_mul_i32 s22, s8, s7
	s_mul_hi_u32 s2, s8, s2
	s_mul_hi_u32 s13, s8, s7
	s_add_u32 s2, s2, s22
	s_addc_u32 s8, 0, s13
	s_add_u32 s2, s2, s12
	s_mul_hi_u32 s3, s6, s7
	s_addc_u32 s2, s8, s9
	s_addc_u32 s3, s3, 0
	s_mul_i32 s7, s6, s7
	s_add_u32 s2, s2, s7
	s_addc_u32 s3, 0, s3
	v_add_co_u32_e32 v2, vcc, s2, v2
	s_cmp_lg_u64 vcc, 0
	s_addc_u32 s2, s6, s3
	v_readfirstlane_b32 s7, v2
	s_mul_i32 s6, s89, s2
	s_mul_hi_u32 s8, s89, s7
	s_mul_hi_u32 s3, s89, s2
	s_add_u32 s6, s8, s6
	s_addc_u32 s3, 0, s3
	s_mul_hi_u32 s9, s69, s7
	s_mul_i32 s7, s69, s7
	s_add_u32 s6, s6, s7
	s_mul_hi_u32 s8, s69, s2
	s_addc_u32 s3, s3, s9
	s_addc_u32 s6, s8, 0
	s_mul_i32 s2, s69, s2
	s_add_u32 s2, s3, s2
	s_addc_u32 s3, 0, s6
	s_mul_hi_u32 s6, s33, s2
	s_mul_i32 s2, s33, s2
	s_mul_i32 s3, s33, s3
	v_mov_b32_e32 v2, s2
	s_add_i32 s6, s6, s3
	v_sub_co_u32_e32 v2, vcc, s89, v2
	s_cmp_lg_u64 vcc, 0
	s_subb_u32 s2, s69, s6
	v_subrev_co_u32_e32 v3, vcc, s33, v2
	s_cmp_lg_u64 vcc, 0
	s_subb_u32 s3, s2, 0
	v_subrev_co_u32_e32 v4, vcc, s33, v3
	s_cmp_lg_u64 vcc, 0
	s_subb_u32 s6, s3, 0
	v_cmp_le_u32_e32 vcc, s33, v3
	s_cmp_eq_u32 s3, 0
	v_cndmask_b32_e64 v5, 0, -1, vcc
	s_cselect_b64 vcc, -1, 0
	v_cndmask_b32_e32 v5, -1, v5, vcc
	v_mov_b32_e32 v6, s3
	v_mov_b32_e32 v7, s6
	v_cmp_ne_u32_e32 vcc, 0, v5
	v_cndmask_b32_e32 v5, v6, v7, vcc
	v_cndmask_b32_e32 v4, v3, v4, vcc
	v_cmp_le_u32_e32 vcc, s33, v2
	s_cmp_eq_u32 s2, 0
	v_cndmask_b32_e64 v3, 0, -1, vcc
	s_cselect_b64 vcc, -1, 0
	v_cndmask_b32_e32 v3, -1, v3, vcc
	v_mov_b32_e32 v6, s2
	v_cmp_ne_u32_e32 vcc, 0, v3
	v_cndmask_b32_e32 v3, v6, v5, vcc
	v_cndmask_b32_e32 v2, v2, v4, vcc
	s_cbranch_execnz .LBB132_109
.LBB132_108:                            ;   in Loop: Header=BB132_19 Depth=1
	v_cvt_f32_u32_e32 v2, s33
	s_sub_i32 s2, 0, s33
	v_rcp_iflag_f32_e32 v2, v2
	v_mul_f32_e32 v2, 0x4f7ffffe, v2
	v_cvt_u32_f32_e32 v2, v2
	v_mul_lo_u32 v3, s2, v2
	v_mul_hi_u32 v3, v2, v3
	v_add_u32_e32 v2, v2, v3
	v_mul_hi_u32 v2, s89, v2
	v_mul_lo_u32 v2, v2, s33
	v_sub_u32_e32 v2, s89, v2
	v_subrev_u32_e32 v3, s33, v2
	v_cmp_le_u32_e32 vcc, s33, v2
	v_cndmask_b32_e32 v2, v2, v3, vcc
	v_subrev_u32_e32 v3, s33, v2
	v_cmp_le_u32_e32 vcc, s33, v2
	v_cndmask_b32_e32 v12, v2, v3, vcc
	v_pk_mov_b32 v[2:3], v[12:13], v[12:13] op_sel:[0,1]
.LBB132_109:                            ;   in Loop: Header=BB132_19 Depth=1
	v_mov_b32_e32 v4, s69
	v_sub_co_u32_e32 v2, vcc, s89, v2
	v_subb_co_u32_e32 v3, vcc, v4, v3, vcc
	v_cmp_gt_u64_e32 vcc, v[2:3], v[0:1]
	s_mov_b64 s[6:7], 0
                                        ; implicit-def: $vgpr42
	s_and_saveexec_b64 s[2:3], vcc
	s_cbranch_execz .LBB132_118
; %bb.110:                              ;   in Loop: Header=BB132_19 Depth=1
	s_mov_b64 s[8:9], 0
	v_pk_mov_b32 v[4:5], v[10:11], v[10:11] op_sel:[0,1]
	v_pk_mov_b32 v[6:7], v[0:1], v[0:1] op_sel:[0,1]
                                        ; implicit-def: $sgpr12_sgpr13
	s_branch .LBB132_112
.LBB132_111:                            ;   in Loop: Header=BB132_112 Depth=2
	s_or_b64 exec, exec, s[6:7]
	s_waitcnt lgkmcnt(0)
	s_barrier
	s_waitcnt vmcnt(0)
	ds_read_b32 v8, v13 offset:3072
	v_mov_b32_e32 v9, s88
	v_add_co_u32_e64 v6, s[6:7], s33, v6
	v_addc_co_u32_e64 v7, s[6:7], v7, v9, s[6:7]
	s_waitcnt lgkmcnt(0)
	v_cmp_neq_f16_e32 vcc, 0, v8
	v_cmp_ge_u64_e64 s[6:7], v[6:7], v[2:3]
	s_or_b64 s[22:23], s[6:7], vcc
	v_mov_b32_e32 v9, s67
	v_add_co_u32_e64 v4, s[6:7], s66, v4
	v_addc_co_u32_e64 v5, s[6:7], v5, v9, s[6:7]
	s_and_b64 s[6:7], exec, s[22:23]
	s_or_b64 s[8:9], s[6:7], s[8:9]
	s_andn2_b64 s[6:7], s[12:13], exec
	s_and_b64 s[12:13], vcc, exec
	s_or_b64 s[12:13], s[6:7], s[12:13]
	s_barrier
	s_andn2_b64 exec, exec, s[8:9]
	s_cbranch_execz .LBB132_117
.LBB132_112:                            ;   Parent Loop BB132_19 Depth=1
                                        ; =>  This Inner Loop Header: Depth=2
	v_cmp_gt_u64_e32 vcc, s[52:53], v[6:7]
	v_mov_b32_e32 v8, 0
	s_and_saveexec_b64 s[6:7], vcc
	s_cbranch_execz .LBB132_114
; %bb.113:                              ;   in Loop: Header=BB132_112 Depth=2
	global_load_ushort v8, v[4:5], off
.LBB132_114:                            ;   in Loop: Header=BB132_112 Depth=2
	s_or_b64 exec, exec, s[6:7]
	s_and_saveexec_b64 s[6:7], vcc
	s_cbranch_execz .LBB132_111
; %bb.115:                              ;   in Loop: Header=BB132_112 Depth=2
	s_waitcnt vmcnt(0)
	v_cmp_lt_i16_e32 vcc, -1, v8
	v_cndmask_b32_e32 v9, v37, v38, vcc
	v_xor_b32_sdwa v9, v9, v8 dst_sel:DWORD dst_unused:UNUSED_PAD src0_sel:DWORD src1_sel:WORD_0
	v_cmp_o_f16_e32 vcc, v8, v8
	v_cndmask_b32_e32 v9, v37, v9, vcc
	v_and_b32_e32 v9, s81, v9
	v_cmp_eq_u32_e32 vcc, s80, v9
	s_and_b64 exec, exec, vcc
	s_cbranch_execz .LBB132_111
; %bb.116:                              ;   in Loop: Header=BB132_112 Depth=2
	v_perm_b32 v8, v8, s50, v41
	ds_write_b32 v13, v8 offset:3072
	s_branch .LBB132_111
.LBB132_117:                            ;   in Loop: Header=BB132_19 Depth=1
	s_or_b64 exec, exec, s[8:9]
	v_lshrrev_b32_e32 v42, 16, v8
	s_and_b64 s[6:7], s[12:13], exec
.LBB132_118:                            ;   in Loop: Header=BB132_19 Depth=1
	s_or_b64 exec, exec, s[2:3]
	s_mov_b64 s[12:13], -1
	s_mov_b64 s[2:3], 0
	s_mov_b64 s[8:9], 0
.LBB132_119:                            ;   in Loop: Header=BB132_19 Depth=1
	s_andn2_b64 s[22:23], s[92:93], exec
	s_and_b64 s[2:3], s[2:3], exec
	s_or_b64 s[92:93], s[22:23], s[2:3]
	s_andn2_b64 s[2:3], s[62:63], exec
	s_and_b64 s[12:13], s[12:13], exec
	s_or_b64 s[62:63], s[2:3], s[12:13]
	;; [unrolled: 3-line block ×3, first 2 shown]
	s_and_saveexec_b64 s[12:13], s[6:7]
	s_cbranch_execz .LBB132_18
; %bb.120:                              ;   in Loop: Header=BB132_19 Depth=1
	s_xor_b64 s[2:3], s[20:21], -1
	s_andn2_b64 vcc, exec, s[2:3]
	s_mov_b32 s45, 1
	s_cbranch_vccnz .LBB132_131
; %bb.121:                              ;   in Loop: Header=BB132_19 Depth=1
	v_pk_mov_b32 v[2:3], s[14:15], s[14:15] op_sel:[0,1]
	v_cmp_gt_u64_e32 vcc, s[72:73], v[2:3]
	s_mov_b64 s[2:3], -1
                                        ; implicit-def: $sgpr45
                                        ; implicit-def: $sgpr6
                                        ; implicit-def: $sgpr7
	s_cbranch_vccnz .LBB132_127
; %bb.122:                              ;   in Loop: Header=BB132_19 Depth=1
	ds_read_b64 v[2:3], v13 offset:5120
	s_waitcnt lgkmcnt(0)
	v_cmp_ne_u64_e32 vcc, 0, v[2:3]
	s_cbranch_vccnz .LBB132_126
; %bb.123:                              ;   in Loop: Header=BB132_19 Depth=1
	s_mov_b64 s[2:3], exec
	v_readlane_b32 s6, v52, 12
	v_readlane_b32 s7, v52, 13
	s_and_b64 s[6:7], s[2:3], s[6:7]
	s_mov_b64 exec, s[6:7]
	s_cbranch_execz .LBB132_125
; %bb.124:                              ;   in Loop: Header=BB132_19 Depth=1
	v_pk_mov_b32 v[2:3], s[14:15], s[14:15] op_sel:[0,1]
	ds_write_b64 v13, v[2:3] offset:5128
.LBB132_125:                            ;   in Loop: Header=BB132_19 Depth=1
	s_or_b64 exec, exec, s[2:3]
	s_waitcnt lgkmcnt(0)
	s_barrier
.LBB132_126:                            ;   in Loop: Header=BB132_19 Depth=1
	s_and_b32 s6, s80, s41
	s_or_b32 s7, s81, s44
	s_mov_b64 s[2:3], 0
	s_mov_b32 s45, 8
.LBB132_127:                            ;   in Loop: Header=BB132_19 Depth=1
	s_andn2_b64 vcc, exec, s[2:3]
	s_cbranch_vccnz .LBB132_129
; %bb.128:                              ;   in Loop: Header=BB132_19 Depth=1
	s_sub_u32 s72, s72, s14
	s_subb_u32 s73, s73, s15
	s_mov_b64 s[2:3], -1
	s_mov_b32 s45, 0
	s_mov_b32 s6, s80
	;; [unrolled: 1-line block ×3, first 2 shown]
.LBB132_129:                            ;   in Loop: Header=BB132_19 Depth=1
	s_mov_b32 s81, s7
	s_mov_b32 s80, s6
	s_mov_b64 s[14:15], -1
	s_and_b64 vcc, exec, s[2:3]
	s_cbranch_vccnz .LBB132_132
.LBB132_130:                            ;   in Loop: Header=BB132_19 Depth=1
	s_mov_b64 s[2:3], -1
                                        ; implicit-def: $sgpr18_sgpr19
                                        ; implicit-def: $sgpr22_sgpr23
                                        ; implicit-def: $sgpr20_sgpr21
	s_and_saveexec_b64 s[6:7], s[2:3]
	s_xor_b64 s[2:3], exec, s[6:7]
	s_cbranch_execz .LBB132_17
	s_branch .LBB132_281
.LBB132_131:                            ;   in Loop: Header=BB132_19 Depth=1
	s_mov_b64 s[72:73], 1
	s_mov_b64 s[14:15], -1
	s_branch .LBB132_130
.LBB132_132:                            ;   in Loop: Header=BB132_19 Depth=1
	s_cmp_eq_u64 s[28:29], 1
	s_cselect_b64 s[2:3], -1, 0
	s_cmp_eq_u64 s[72:73], 1
	s_cselect_b64 s[6:7], -1, 0
	s_and_b64 s[30:31], s[2:3], s[6:7]
	s_mov_b64 s[6:7], -1
	s_and_b64 vcc, exec, s[30:31]
	s_cbranch_vccz .LBB132_147
; %bb.133:                              ;   in Loop: Header=BB132_19 Depth=1
	ds_read_b64 v[2:3], v13 offset:5120
	s_waitcnt lgkmcnt(0)
	s_barrier
	v_readfirstlane_b32 s2, v2
	v_readfirstlane_b32 s3, v3
	s_mov_b64 s[6:7], exec
	v_readlane_b32 s8, v52, 14
	v_readlane_b32 s9, v52, 15
	s_and_b64 s[8:9], s[6:7], s[8:9]
	s_mov_b64 exec, s[8:9]
	s_cbranch_execz .LBB132_135
; %bb.134:                              ;   in Loop: Header=BB132_19 Depth=1
	ds_write_b16 v32, v15
.LBB132_135:                            ;   in Loop: Header=BB132_19 Depth=1
	s_or_b64 exec, exec, s[6:7]
	s_lshl_b32 s6, 1, s40
	s_and_b32 s7, s80, s41
	s_or_b32 s80, s7, s6
	s_or_b32 s81, s81, s44
	s_cmp_eq_u64 s[2:3], 0
	s_waitcnt lgkmcnt(0)
	s_barrier
	s_cbranch_scc1 .LBB132_153
; %bb.136:                              ;   in Loop: Header=BB132_19 Depth=1
	v_readlane_b32 s6, v52, 20
	s_add_u32 s18, s6, s2
	v_readlane_b32 s6, v52, 21
	s_addc_u32 s7, s6, s3
	s_mov_b32 s6, s71
	s_cmp_lg_u64 s[6:7], 0
	s_cbranch_scc0 .LBB132_198
; %bb.137:                              ;   in Loop: Header=BB132_19 Depth=1
	v_cvt_f32_u32_e32 v2, s33
	s_sub_u32 s6, 0, s33
	s_subb_u32 s8, 0, 0
	v_mac_f32_e32 v2, 0, v39
	v_rcp_f32_e32 v2, v2
	v_mul_f32_e32 v2, 0x5f7ffffc, v2
	v_mul_f32_e32 v3, 0x2f800000, v2
	v_trunc_f32_e32 v3, v3
	v_mac_f32_e32 v2, 0xcf800000, v3
	v_cvt_u32_f32_e32 v3, v3
	v_cvt_u32_f32_e32 v2, v2
	v_readfirstlane_b32 s9, v3
	v_readfirstlane_b32 s19, v2
	s_mul_i32 s20, s6, s9
	s_mul_hi_u32 s22, s6, s19
	s_mul_i32 s21, s8, s19
	s_add_i32 s20, s22, s20
	s_mul_i32 s23, s6, s19
	s_add_i32 s20, s20, s21
	s_mul_hi_u32 s22, s19, s23
	s_mul_hi_u32 s21, s19, s20
	s_mul_i32 s19, s19, s20
	s_add_u32 s19, s22, s19
	s_addc_u32 s21, 0, s21
	s_mul_hi_u32 s24, s9, s23
	s_mul_i32 s23, s9, s23
	s_add_u32 s19, s19, s23
	s_mul_hi_u32 s22, s9, s20
	s_addc_u32 s19, s21, s24
	s_addc_u32 s21, s22, 0
	s_mul_i32 s20, s9, s20
	s_add_u32 s19, s19, s20
	s_addc_u32 s20, 0, s21
	v_add_co_u32_e32 v2, vcc, s19, v2
	s_cmp_lg_u64 vcc, 0
	s_addc_u32 s9, s9, s20
	v_readfirstlane_b32 s20, v2
	s_mul_i32 s19, s6, s9
	s_mul_hi_u32 s21, s6, s20
	s_add_i32 s19, s21, s19
	s_mul_i32 s8, s8, s20
	s_add_i32 s19, s19, s8
	s_mul_i32 s6, s6, s20
	s_mul_hi_u32 s21, s9, s6
	s_mul_i32 s22, s9, s6
	s_mul_i32 s24, s20, s19
	s_mul_hi_u32 s6, s20, s6
	s_mul_hi_u32 s23, s20, s19
	s_add_u32 s6, s6, s24
	s_addc_u32 s20, 0, s23
	s_add_u32 s6, s6, s22
	s_mul_hi_u32 s8, s9, s19
	s_addc_u32 s6, s20, s21
	s_addc_u32 s8, s8, 0
	s_mul_i32 s19, s9, s19
	s_add_u32 s6, s6, s19
	s_addc_u32 s8, 0, s8
	v_add_co_u32_e32 v2, vcc, s6, v2
	s_cmp_lg_u64 vcc, 0
	s_addc_u32 s6, s9, s8
	v_readfirstlane_b32 s19, v2
	s_mul_i32 s9, s18, s6
	s_mul_hi_u32 s20, s18, s19
	s_mul_hi_u32 s8, s18, s6
	s_add_u32 s9, s20, s9
	s_addc_u32 s8, 0, s8
	s_mul_hi_u32 s21, s7, s19
	s_mul_i32 s19, s7, s19
	s_add_u32 s9, s9, s19
	s_mul_hi_u32 s20, s7, s6
	s_addc_u32 s8, s8, s21
	s_addc_u32 s9, s20, 0
	s_mul_i32 s6, s7, s6
	s_add_u32 s6, s8, s6
	s_addc_u32 s8, 0, s9
	s_mul_hi_u32 s9, s33, s6
	s_mul_i32 s6, s33, s6
	s_mul_i32 s8, s33, s8
	v_mov_b32_e32 v2, s6
	s_add_i32 s9, s9, s8
	v_sub_co_u32_e32 v2, vcc, s18, v2
	s_cmp_lg_u64 vcc, 0
	s_subb_u32 s6, s7, s9
	v_subrev_co_u32_e32 v3, vcc, s33, v2
	s_cmp_lg_u64 vcc, 0
	s_subb_u32 s8, s6, 0
	v_subrev_co_u32_e32 v4, vcc, s33, v3
	s_cmp_lg_u64 vcc, 0
	s_subb_u32 s9, s8, 0
	v_cmp_le_u32_e32 vcc, s33, v3
	s_cmp_eq_u32 s8, 0
	v_cndmask_b32_e64 v5, 0, -1, vcc
	s_cselect_b64 vcc, -1, 0
	v_cndmask_b32_e32 v5, -1, v5, vcc
	v_mov_b32_e32 v6, s8
	v_mov_b32_e32 v7, s9
	v_cmp_ne_u32_e32 vcc, 0, v5
	v_cndmask_b32_e32 v5, v6, v7, vcc
	v_cndmask_b32_e32 v4, v3, v4, vcc
	v_cmp_le_u32_e32 vcc, s33, v2
	s_cmp_eq_u32 s6, 0
	v_cndmask_b32_e64 v3, 0, -1, vcc
	s_cselect_b64 vcc, -1, 0
	v_cndmask_b32_e32 v3, -1, v3, vcc
	v_mov_b32_e32 v6, s6
	v_cmp_ne_u32_e32 vcc, 0, v3
	v_cndmask_b32_e32 v3, v6, v5, vcc
	v_cndmask_b32_e32 v2, v2, v4, vcc
	s_cbranch_execnz .LBB132_139
.LBB132_138:                            ;   in Loop: Header=BB132_19 Depth=1
	v_cvt_f32_u32_e32 v2, s33
	s_sub_i32 s6, 0, s33
	v_rcp_iflag_f32_e32 v2, v2
	v_mul_f32_e32 v2, 0x4f7ffffe, v2
	v_cvt_u32_f32_e32 v2, v2
	v_mul_lo_u32 v3, s6, v2
	v_mul_hi_u32 v3, v2, v3
	v_add_u32_e32 v2, v2, v3
	v_mul_hi_u32 v2, s18, v2
	v_mul_lo_u32 v2, v2, s33
	v_sub_u32_e32 v2, s18, v2
	v_subrev_u32_e32 v3, s33, v2
	v_cmp_le_u32_e32 vcc, s33, v2
	v_cndmask_b32_e32 v2, v2, v3, vcc
	v_subrev_u32_e32 v3, s33, v2
	v_cmp_le_u32_e32 vcc, s33, v2
	v_cndmask_b32_e32 v12, v2, v3, vcc
	v_pk_mov_b32 v[2:3], v[12:13], v[12:13] op_sel:[0,1]
.LBB132_139:                            ;   in Loop: Header=BB132_19 Depth=1
	v_mov_b32_e32 v4, s7
	v_sub_co_u32_e32 v2, vcc, s18, v2
	v_subb_co_u32_e32 v3, vcc, v4, v3, vcc
	v_cmp_gt_u64_e32 vcc, v[2:3], v[0:1]
	s_mov_b64 s[6:7], 0
                                        ; implicit-def: $vgpr42
	s_and_saveexec_b64 s[8:9], vcc
	s_cbranch_execz .LBB132_155
; %bb.140:                              ;   in Loop: Header=BB132_19 Depth=1
	s_mov_b64 s[18:19], 0
	v_mov_b32_e32 v6, v31
	v_pk_mov_b32 v[4:5], v[0:1], v[0:1] op_sel:[0,1]
                                        ; implicit-def: $sgpr20_sgpr21
	s_branch .LBB132_142
.LBB132_141:                            ;   in Loop: Header=BB132_142 Depth=2
	s_or_b64 exec, exec, s[6:7]
	s_waitcnt lgkmcnt(0)
	s_barrier
	ds_read_b32 v7, v13 offset:3072
	v_mov_b32_e32 v8, s88
	v_add_co_u32_e64 v4, s[6:7], s33, v4
	v_addc_co_u32_e64 v5, s[6:7], v5, v8, s[6:7]
	s_waitcnt lgkmcnt(0)
	v_cmp_neq_f16_e32 vcc, 0, v7
	v_cmp_ge_u64_e64 s[6:7], v[4:5], v[2:3]
	s_or_b64 s[6:7], s[6:7], vcc
	s_and_b64 s[6:7], exec, s[6:7]
	s_or_b64 s[18:19], s[6:7], s[18:19]
	s_andn2_b64 s[6:7], s[20:21], exec
	s_and_b64 s[20:21], vcc, exec
	v_add_u32_e32 v6, s87, v6
	s_or_b64 s[20:21], s[6:7], s[20:21]
	s_barrier
	s_andn2_b64 exec, exec, s[18:19]
	s_cbranch_execz .LBB132_154
.LBB132_142:                            ;   Parent Loop BB132_19 Depth=1
                                        ; =>  This Inner Loop Header: Depth=2
	v_cmp_gt_u64_e32 vcc, s[2:3], v[4:5]
	v_mov_b32_e32 v7, 0
	s_and_saveexec_b64 s[6:7], vcc
	s_cbranch_execz .LBB132_144
; %bb.143:                              ;   in Loop: Header=BB132_142 Depth=2
	ds_read_u16 v7, v6
.LBB132_144:                            ;   in Loop: Header=BB132_142 Depth=2
	s_or_b64 exec, exec, s[6:7]
	s_and_saveexec_b64 s[6:7], vcc
	s_cbranch_execz .LBB132_141
; %bb.145:                              ;   in Loop: Header=BB132_142 Depth=2
	s_waitcnt lgkmcnt(0)
	v_cmp_lt_i16_e32 vcc, -1, v7
	v_cndmask_b32_e32 v8, v37, v38, vcc
	v_xor_b32_sdwa v8, v8, v7 dst_sel:DWORD dst_unused:UNUSED_PAD src0_sel:DWORD src1_sel:WORD_0
	v_cmp_o_f16_e32 vcc, v7, v7
	v_cndmask_b32_e32 v8, v37, v8, vcc
	v_and_b32_e32 v8, s81, v8
	v_cmp_eq_u32_e32 vcc, s80, v8
	s_and_b64 exec, exec, vcc
	s_cbranch_execz .LBB132_141
; %bb.146:                              ;   in Loop: Header=BB132_142 Depth=2
	v_perm_b32 v7, v7, s50, v41
	ds_write_b32 v13, v7 offset:3072
	s_branch .LBB132_141
.LBB132_147:                            ;   in Loop: Header=BB132_19 Depth=1
                                        ; implicit-def: $sgpr20_sgpr21
                                        ; implicit-def: $sgpr22_sgpr23
                                        ; implicit-def: $sgpr18_sgpr19
	s_branch .LBB132_169
.LBB132_148:                            ;   in Loop: Header=BB132_19 Depth=1
                                        ; implicit-def: $vgpr2_vgpr3
	s_branch .LBB132_93
.LBB132_149:                            ;   in Loop: Header=BB132_19 Depth=1
	s_or_b64 exec, exec, s[2:3]
	s_waitcnt lgkmcnt(0)
	s_barrier
	s_mov_b64 s[2:3], exec
	v_readlane_b32 s6, v52, 12
	v_readlane_b32 s7, v52, 13
	s_and_b64 s[6:7], s[2:3], s[6:7]
	s_mov_b64 exec, s[6:7]
	s_cbranch_execz .LBB132_151
; %bb.150:                              ;   in Loop: Header=BB132_19 Depth=1
	ds_read_b32 v2, v13 offset:5144
	s_waitcnt lgkmcnt(0)
	v_ashrrev_i32_e32 v3, 31, v2
	ds_write_b64 v13, v[2:3] offset:5120
.LBB132_151:                            ;   in Loop: Header=BB132_19 Depth=1
	s_or_b64 exec, exec, s[2:3]
	s_waitcnt lgkmcnt(0)
	s_barrier
	s_mov_b64 s[2:3], -1
	s_and_b64 vcc, exec, s[82:83]
	s_cbranch_vccnz .LBB132_34
	s_branch .LBB132_44
.LBB132_152:                            ;   in Loop: Header=BB132_19 Depth=1
                                        ; implicit-def: $vgpr2_vgpr3
	s_branch .LBB132_108
.LBB132_153:                            ;   in Loop: Header=BB132_19 Depth=1
	s_mov_b64 s[20:21], -1
	s_mov_b64 s[6:7], 0
                                        ; implicit-def: $sgpr18_sgpr19
                                        ; implicit-def: $vgpr42
	s_mov_b64 s[22:23], s[20:21]
	s_cbranch_execnz .LBB132_156
	s_branch .LBB132_169
.LBB132_154:                            ;   in Loop: Header=BB132_19 Depth=1
	s_or_b64 exec, exec, s[18:19]
	v_lshrrev_b32_e32 v42, 16, v7
	s_and_b64 s[6:7], s[20:21], exec
.LBB132_155:                            ;   in Loop: Header=BB132_19 Depth=1
	s_or_b64 exec, exec, s[8:9]
	s_mov_b64 s[18:19], -1
	s_mov_b64 s[20:21], 0
	s_mov_b64 s[22:23], s[20:21]
	s_branch .LBB132_169
.LBB132_156:                            ;   in Loop: Header=BB132_19 Depth=1
	s_mov_b32 s68, s71
	s_cmp_lg_u64 s[68:69], 0
	s_cbranch_scc0 .LBB132_199
; %bb.157:                              ;   in Loop: Header=BB132_19 Depth=1
	v_cvt_f32_u32_e32 v2, s33
	s_sub_u32 s2, 0, s33
	s_subb_u32 s3, 0, 0
	v_mac_f32_e32 v2, 0, v39
	v_rcp_f32_e32 v2, v2
	v_mul_f32_e32 v2, 0x5f7ffffc, v2
	v_mul_f32_e32 v3, 0x2f800000, v2
	v_trunc_f32_e32 v3, v3
	v_mac_f32_e32 v2, 0xcf800000, v3
	v_cvt_u32_f32_e32 v3, v3
	v_cvt_u32_f32_e32 v2, v2
	v_readfirstlane_b32 s6, v3
	v_readfirstlane_b32 s7, v2
	s_mul_i32 s8, s2, s6
	s_mul_hi_u32 s18, s2, s7
	s_mul_i32 s9, s3, s7
	s_add_i32 s8, s18, s8
	s_mul_i32 s19, s2, s7
	s_add_i32 s8, s8, s9
	s_mul_hi_u32 s18, s7, s19
	s_mul_hi_u32 s9, s7, s8
	s_mul_i32 s7, s7, s8
	s_add_u32 s7, s18, s7
	s_addc_u32 s9, 0, s9
	s_mul_hi_u32 s20, s6, s19
	s_mul_i32 s19, s6, s19
	s_add_u32 s7, s7, s19
	s_mul_hi_u32 s18, s6, s8
	s_addc_u32 s7, s9, s20
	s_addc_u32 s9, s18, 0
	s_mul_i32 s8, s6, s8
	s_add_u32 s7, s7, s8
	s_addc_u32 s8, 0, s9
	v_add_co_u32_e32 v2, vcc, s7, v2
	s_cmp_lg_u64 vcc, 0
	s_addc_u32 s6, s6, s8
	v_readfirstlane_b32 s8, v2
	s_mul_i32 s7, s2, s6
	s_mul_hi_u32 s9, s2, s8
	s_add_i32 s7, s9, s7
	s_mul_i32 s3, s3, s8
	s_add_i32 s7, s7, s3
	s_mul_i32 s2, s2, s8
	s_mul_hi_u32 s9, s6, s2
	s_mul_i32 s18, s6, s2
	s_mul_i32 s20, s8, s7
	s_mul_hi_u32 s2, s8, s2
	s_mul_hi_u32 s19, s8, s7
	s_add_u32 s2, s2, s20
	s_addc_u32 s8, 0, s19
	s_add_u32 s2, s2, s18
	s_mul_hi_u32 s3, s6, s7
	s_addc_u32 s2, s8, s9
	s_addc_u32 s3, s3, 0
	s_mul_i32 s7, s6, s7
	s_add_u32 s2, s2, s7
	s_addc_u32 s3, 0, s3
	v_add_co_u32_e32 v2, vcc, s2, v2
	s_cmp_lg_u64 vcc, 0
	s_addc_u32 s2, s6, s3
	v_readfirstlane_b32 s7, v2
	s_mul_i32 s6, s89, s2
	s_mul_hi_u32 s8, s89, s7
	s_mul_hi_u32 s3, s89, s2
	s_add_u32 s6, s8, s6
	s_addc_u32 s3, 0, s3
	s_mul_hi_u32 s9, s69, s7
	s_mul_i32 s7, s69, s7
	s_add_u32 s6, s6, s7
	s_mul_hi_u32 s8, s69, s2
	s_addc_u32 s3, s3, s9
	s_addc_u32 s6, s8, 0
	s_mul_i32 s2, s69, s2
	s_add_u32 s2, s3, s2
	s_addc_u32 s3, 0, s6
	s_mul_hi_u32 s6, s33, s2
	s_mul_i32 s2, s33, s2
	s_mul_i32 s3, s33, s3
	v_mov_b32_e32 v2, s2
	s_add_i32 s6, s6, s3
	v_sub_co_u32_e32 v2, vcc, s89, v2
	s_cmp_lg_u64 vcc, 0
	s_subb_u32 s2, s69, s6
	v_subrev_co_u32_e32 v3, vcc, s33, v2
	s_cmp_lg_u64 vcc, 0
	s_subb_u32 s3, s2, 0
	v_subrev_co_u32_e32 v4, vcc, s33, v3
	s_cmp_lg_u64 vcc, 0
	s_subb_u32 s6, s3, 0
	v_cmp_le_u32_e32 vcc, s33, v3
	s_cmp_eq_u32 s3, 0
	v_cndmask_b32_e64 v5, 0, -1, vcc
	s_cselect_b64 vcc, -1, 0
	v_cndmask_b32_e32 v5, -1, v5, vcc
	v_mov_b32_e32 v6, s3
	v_mov_b32_e32 v7, s6
	v_cmp_ne_u32_e32 vcc, 0, v5
	v_cndmask_b32_e32 v5, v6, v7, vcc
	v_cndmask_b32_e32 v4, v3, v4, vcc
	v_cmp_le_u32_e32 vcc, s33, v2
	s_cmp_eq_u32 s2, 0
	v_cndmask_b32_e64 v3, 0, -1, vcc
	s_cselect_b64 vcc, -1, 0
	v_cndmask_b32_e32 v3, -1, v3, vcc
	v_mov_b32_e32 v6, s2
	v_cmp_ne_u32_e32 vcc, 0, v3
	v_cndmask_b32_e32 v3, v6, v5, vcc
	v_cndmask_b32_e32 v2, v2, v4, vcc
	s_cbranch_execnz .LBB132_159
.LBB132_158:                            ;   in Loop: Header=BB132_19 Depth=1
	v_cvt_f32_u32_e32 v2, s33
	s_sub_i32 s2, 0, s33
	v_rcp_iflag_f32_e32 v2, v2
	v_mul_f32_e32 v2, 0x4f7ffffe, v2
	v_cvt_u32_f32_e32 v2, v2
	v_mul_lo_u32 v3, s2, v2
	v_mul_hi_u32 v3, v2, v3
	v_add_u32_e32 v2, v2, v3
	v_mul_hi_u32 v2, s89, v2
	v_mul_lo_u32 v2, v2, s33
	v_sub_u32_e32 v2, s89, v2
	v_subrev_u32_e32 v3, s33, v2
	v_cmp_le_u32_e32 vcc, s33, v2
	v_cndmask_b32_e32 v2, v2, v3, vcc
	v_subrev_u32_e32 v3, s33, v2
	v_cmp_le_u32_e32 vcc, s33, v2
	v_cndmask_b32_e32 v12, v2, v3, vcc
	v_pk_mov_b32 v[2:3], v[12:13], v[12:13] op_sel:[0,1]
.LBB132_159:                            ;   in Loop: Header=BB132_19 Depth=1
	v_mov_b32_e32 v4, s69
	v_sub_co_u32_e32 v2, vcc, s89, v2
	v_subb_co_u32_e32 v3, vcc, v4, v3, vcc
	v_cmp_gt_u64_e32 vcc, v[2:3], v[0:1]
	s_mov_b64 s[6:7], 0
                                        ; implicit-def: $vgpr42
	s_and_saveexec_b64 s[2:3], vcc
	s_cbranch_execz .LBB132_168
; %bb.160:                              ;   in Loop: Header=BB132_19 Depth=1
	s_mov_b64 s[8:9], 0
	v_pk_mov_b32 v[4:5], v[10:11], v[10:11] op_sel:[0,1]
	v_pk_mov_b32 v[6:7], v[0:1], v[0:1] op_sel:[0,1]
                                        ; implicit-def: $sgpr18_sgpr19
	s_branch .LBB132_162
.LBB132_161:                            ;   in Loop: Header=BB132_162 Depth=2
	s_or_b64 exec, exec, s[6:7]
	s_waitcnt lgkmcnt(0)
	s_barrier
	s_waitcnt vmcnt(0)
	ds_read_b32 v8, v13 offset:3072
	v_mov_b32_e32 v9, s88
	v_add_co_u32_e64 v6, s[6:7], s33, v6
	v_addc_co_u32_e64 v7, s[6:7], v7, v9, s[6:7]
	s_waitcnt lgkmcnt(0)
	v_cmp_neq_f16_e32 vcc, 0, v8
	v_cmp_ge_u64_e64 s[6:7], v[6:7], v[2:3]
	s_or_b64 s[20:21], s[6:7], vcc
	v_mov_b32_e32 v9, s67
	v_add_co_u32_e64 v4, s[6:7], s66, v4
	v_addc_co_u32_e64 v5, s[6:7], v5, v9, s[6:7]
	s_and_b64 s[6:7], exec, s[20:21]
	s_or_b64 s[8:9], s[6:7], s[8:9]
	s_andn2_b64 s[6:7], s[18:19], exec
	s_and_b64 s[18:19], vcc, exec
	s_or_b64 s[18:19], s[6:7], s[18:19]
	s_barrier
	s_andn2_b64 exec, exec, s[8:9]
	s_cbranch_execz .LBB132_167
.LBB132_162:                            ;   Parent Loop BB132_19 Depth=1
                                        ; =>  This Inner Loop Header: Depth=2
	v_cmp_gt_u64_e32 vcc, s[52:53], v[6:7]
	v_mov_b32_e32 v8, 0
	s_and_saveexec_b64 s[6:7], vcc
	s_cbranch_execz .LBB132_164
; %bb.163:                              ;   in Loop: Header=BB132_162 Depth=2
	global_load_ushort v8, v[4:5], off
.LBB132_164:                            ;   in Loop: Header=BB132_162 Depth=2
	s_or_b64 exec, exec, s[6:7]
	s_and_saveexec_b64 s[6:7], vcc
	s_cbranch_execz .LBB132_161
; %bb.165:                              ;   in Loop: Header=BB132_162 Depth=2
	s_waitcnt vmcnt(0)
	v_cmp_lt_i16_e32 vcc, -1, v8
	v_cndmask_b32_e32 v9, v37, v38, vcc
	v_xor_b32_sdwa v9, v9, v8 dst_sel:DWORD dst_unused:UNUSED_PAD src0_sel:DWORD src1_sel:WORD_0
	v_cmp_o_f16_e32 vcc, v8, v8
	v_cndmask_b32_e32 v9, v37, v9, vcc
	v_and_b32_e32 v9, s81, v9
	v_cmp_eq_u32_e32 vcc, s80, v9
	s_and_b64 exec, exec, vcc
	s_cbranch_execz .LBB132_161
; %bb.166:                              ;   in Loop: Header=BB132_162 Depth=2
	v_perm_b32 v8, v8, s50, v41
	ds_write_b32 v13, v8 offset:3072
	s_branch .LBB132_161
.LBB132_167:                            ;   in Loop: Header=BB132_19 Depth=1
	s_or_b64 exec, exec, s[8:9]
	v_lshrrev_b32_e32 v42, 16, v8
	s_and_b64 s[6:7], s[18:19], exec
.LBB132_168:                            ;   in Loop: Header=BB132_19 Depth=1
	s_or_b64 exec, exec, s[2:3]
	s_mov_b64 s[22:23], -1
	s_mov_b64 s[20:21], 0
	s_mov_b64 s[18:19], 0
.LBB132_169:                            ;   in Loop: Header=BB132_19 Depth=1
	s_mov_b64 s[2:3], 0
                                        ; implicit-def: $sgpr45
	s_and_saveexec_b64 s[24:25], s[6:7]
	s_cbranch_execz .LBB132_280
; %bb.170:                              ;   in Loop: Header=BB132_19 Depth=1
	s_xor_b64 s[2:3], s[30:31], -1
	s_andn2_b64 vcc, exec, s[2:3]
	s_mov_b32 s45, 1
	s_cbranch_vccnz .LBB132_181
; %bb.171:                              ;   in Loop: Header=BB132_19 Depth=1
	v_pk_mov_b32 v[2:3], s[28:29], s[28:29] op_sel:[0,1]
	v_cmp_gt_u64_e32 vcc, s[72:73], v[2:3]
	s_mov_b64 s[2:3], -1
                                        ; implicit-def: $sgpr45
                                        ; implicit-def: $sgpr6
                                        ; implicit-def: $sgpr7
	s_cbranch_vccnz .LBB132_177
; %bb.172:                              ;   in Loop: Header=BB132_19 Depth=1
	ds_read_b64 v[2:3], v13 offset:5120
	s_waitcnt lgkmcnt(0)
	v_cmp_ne_u64_e32 vcc, 0, v[2:3]
	s_cbranch_vccnz .LBB132_176
; %bb.173:                              ;   in Loop: Header=BB132_19 Depth=1
	s_mov_b64 s[2:3], exec
	v_readlane_b32 s6, v52, 12
	v_readlane_b32 s7, v52, 13
	s_and_b64 s[6:7], s[2:3], s[6:7]
	s_mov_b64 exec, s[6:7]
	s_cbranch_execz .LBB132_175
; %bb.174:                              ;   in Loop: Header=BB132_19 Depth=1
	v_pk_mov_b32 v[2:3], s[28:29], s[28:29] op_sel:[0,1]
	ds_write_b64 v13, v[2:3] offset:5128
.LBB132_175:                            ;   in Loop: Header=BB132_19 Depth=1
	s_or_b64 exec, exec, s[2:3]
	s_waitcnt lgkmcnt(0)
	s_barrier
.LBB132_176:                            ;   in Loop: Header=BB132_19 Depth=1
	s_lshl_b32 s2, 1, s40
	s_and_b32 s3, s80, s41
	s_or_b32 s6, s3, s2
	s_or_b32 s7, s81, s44
	s_mov_b64 s[2:3], 0
	s_mov_b32 s45, 8
.LBB132_177:                            ;   in Loop: Header=BB132_19 Depth=1
	s_andn2_b64 vcc, exec, s[2:3]
	s_cbranch_vccnz .LBB132_179
; %bb.178:                              ;   in Loop: Header=BB132_19 Depth=1
	s_sub_u32 s72, s72, s28
	s_subb_u32 s73, s73, s29
	s_mov_b64 s[2:3], -1
	s_mov_b32 s45, 0
	s_mov_b32 s6, s80
	;; [unrolled: 1-line block ×3, first 2 shown]
.LBB132_179:                            ;   in Loop: Header=BB132_19 Depth=1
	s_mov_b32 s81, s7
	s_mov_b32 s80, s6
	s_andn2_b64 vcc, exec, s[2:3]
	s_mov_b64 s[2:3], -1
	s_cbranch_vccz .LBB132_182
.LBB132_180:                            ;   in Loop: Header=BB132_19 Depth=1
                                        ; implicit-def: $sgpr30_sgpr31
                                        ; implicit-def: $sgpr34_sgpr35
                                        ; implicit-def: $sgpr28_sgpr29
	s_branch .LBB132_279
.LBB132_181:                            ;   in Loop: Header=BB132_19 Depth=1
	s_mov_b64 s[72:73], 1
	s_mov_b64 s[2:3], -1
	s_cbranch_execnz .LBB132_180
.LBB132_182:                            ;   in Loop: Header=BB132_19 Depth=1
	s_cmp_eq_u64 s[16:17], 1
	s_cselect_b64 s[2:3], -1, 0
	s_cmp_eq_u64 s[72:73], 1
	s_cselect_b64 s[6:7], -1, 0
	s_and_b64 s[38:39], s[2:3], s[6:7]
	s_mov_b64 s[6:7], -1
	s_and_b64 vcc, exec, s[38:39]
	s_cbranch_vccz .LBB132_197
; %bb.183:                              ;   in Loop: Header=BB132_19 Depth=1
	ds_read_b64 v[2:3], v13 offset:5120
	s_waitcnt lgkmcnt(0)
	s_barrier
	v_readfirstlane_b32 s2, v2
	v_readfirstlane_b32 s3, v3
	s_mov_b64 s[6:7], exec
	v_readlane_b32 s8, v52, 14
	v_readlane_b32 s9, v52, 15
	s_and_b64 s[8:9], s[6:7], s[8:9]
	s_mov_b64 exec, s[8:9]
	s_cbranch_execz .LBB132_185
; %bb.184:                              ;   in Loop: Header=BB132_19 Depth=1
	ds_write_b16 v32, v15
.LBB132_185:                            ;   in Loop: Header=BB132_19 Depth=1
	s_or_b64 exec, exec, s[6:7]
	s_lshl_b32 s6, 2, s40
	s_and_b32 s7, s80, s41
	s_or_b32 s80, s7, s6
	s_or_b32 s81, s81, s44
	s_cmp_eq_u64 s[2:3], 0
	s_waitcnt lgkmcnt(0)
	s_barrier
	s_cbranch_scc1 .LBB132_200
; %bb.186:                              ;   in Loop: Header=BB132_19 Depth=1
	v_readlane_b32 s6, v52, 20
	s_add_u32 s26, s6, s2
	v_readlane_b32 s6, v52, 21
	s_addc_u32 s7, s6, s3
	s_mov_b32 s6, s71
	s_cmp_lg_u64 s[6:7], 0
	s_cbranch_scc0 .LBB132_245
; %bb.187:                              ;   in Loop: Header=BB132_19 Depth=1
	v_cvt_f32_u32_e32 v2, s33
	s_sub_u32 s6, 0, s33
	s_subb_u32 s8, 0, 0
	v_mac_f32_e32 v2, 0, v39
	v_rcp_f32_e32 v2, v2
	v_mul_f32_e32 v2, 0x5f7ffffc, v2
	v_mul_f32_e32 v3, 0x2f800000, v2
	v_trunc_f32_e32 v3, v3
	v_mac_f32_e32 v2, 0xcf800000, v3
	v_cvt_u32_f32_e32 v3, v3
	v_cvt_u32_f32_e32 v2, v2
	v_readfirstlane_b32 s9, v3
	v_readfirstlane_b32 s27, v2
	s_mul_i32 s28, s6, s9
	s_mul_hi_u32 s30, s6, s27
	s_mul_i32 s29, s8, s27
	s_add_i32 s28, s30, s28
	s_mul_i32 s31, s6, s27
	s_add_i32 s28, s28, s29
	s_mul_hi_u32 s30, s27, s31
	s_mul_hi_u32 s29, s27, s28
	s_mul_i32 s27, s27, s28
	s_add_u32 s27, s30, s27
	s_addc_u32 s29, 0, s29
	s_mul_hi_u32 s34, s9, s31
	s_mul_i32 s31, s9, s31
	s_add_u32 s27, s27, s31
	s_mul_hi_u32 s30, s9, s28
	s_addc_u32 s27, s29, s34
	s_addc_u32 s29, s30, 0
	s_mul_i32 s28, s9, s28
	s_add_u32 s27, s27, s28
	s_addc_u32 s28, 0, s29
	v_add_co_u32_e32 v2, vcc, s27, v2
	s_cmp_lg_u64 vcc, 0
	s_addc_u32 s9, s9, s28
	v_readfirstlane_b32 s28, v2
	s_mul_i32 s27, s6, s9
	s_mul_hi_u32 s29, s6, s28
	s_add_i32 s27, s29, s27
	s_mul_i32 s8, s8, s28
	s_add_i32 s27, s27, s8
	s_mul_i32 s6, s6, s28
	s_mul_hi_u32 s29, s9, s6
	s_mul_i32 s30, s9, s6
	s_mul_i32 s34, s28, s27
	s_mul_hi_u32 s6, s28, s6
	s_mul_hi_u32 s31, s28, s27
	s_add_u32 s6, s6, s34
	s_addc_u32 s28, 0, s31
	s_add_u32 s6, s6, s30
	s_mul_hi_u32 s8, s9, s27
	s_addc_u32 s6, s28, s29
	s_addc_u32 s8, s8, 0
	s_mul_i32 s27, s9, s27
	s_add_u32 s6, s6, s27
	s_addc_u32 s8, 0, s8
	v_add_co_u32_e32 v2, vcc, s6, v2
	s_cmp_lg_u64 vcc, 0
	s_addc_u32 s6, s9, s8
	v_readfirstlane_b32 s27, v2
	s_mul_i32 s9, s26, s6
	s_mul_hi_u32 s28, s26, s27
	s_mul_hi_u32 s8, s26, s6
	s_add_u32 s9, s28, s9
	s_addc_u32 s8, 0, s8
	s_mul_hi_u32 s29, s7, s27
	s_mul_i32 s27, s7, s27
	s_add_u32 s9, s9, s27
	s_mul_hi_u32 s28, s7, s6
	s_addc_u32 s8, s8, s29
	s_addc_u32 s9, s28, 0
	s_mul_i32 s6, s7, s6
	s_add_u32 s6, s8, s6
	s_addc_u32 s8, 0, s9
	s_mul_hi_u32 s9, s33, s6
	s_mul_i32 s6, s33, s6
	s_mul_i32 s8, s33, s8
	v_mov_b32_e32 v2, s6
	s_add_i32 s9, s9, s8
	v_sub_co_u32_e32 v2, vcc, s26, v2
	s_cmp_lg_u64 vcc, 0
	s_subb_u32 s6, s7, s9
	v_subrev_co_u32_e32 v3, vcc, s33, v2
	s_cmp_lg_u64 vcc, 0
	s_subb_u32 s8, s6, 0
	v_subrev_co_u32_e32 v4, vcc, s33, v3
	s_cmp_lg_u64 vcc, 0
	s_subb_u32 s9, s8, 0
	v_cmp_le_u32_e32 vcc, s33, v3
	s_cmp_eq_u32 s8, 0
	v_cndmask_b32_e64 v5, 0, -1, vcc
	s_cselect_b64 vcc, -1, 0
	v_cndmask_b32_e32 v5, -1, v5, vcc
	v_mov_b32_e32 v6, s8
	v_mov_b32_e32 v7, s9
	v_cmp_ne_u32_e32 vcc, 0, v5
	v_cndmask_b32_e32 v5, v6, v7, vcc
	v_cndmask_b32_e32 v4, v3, v4, vcc
	v_cmp_le_u32_e32 vcc, s33, v2
	s_cmp_eq_u32 s6, 0
	v_cndmask_b32_e64 v3, 0, -1, vcc
	s_cselect_b64 vcc, -1, 0
	v_cndmask_b32_e32 v3, -1, v3, vcc
	v_mov_b32_e32 v6, s6
	v_cmp_ne_u32_e32 vcc, 0, v3
	v_cndmask_b32_e32 v3, v6, v5, vcc
	v_cndmask_b32_e32 v2, v2, v4, vcc
	s_cbranch_execnz .LBB132_189
.LBB132_188:                            ;   in Loop: Header=BB132_19 Depth=1
	v_cvt_f32_u32_e32 v2, s33
	s_sub_i32 s6, 0, s33
	v_rcp_iflag_f32_e32 v2, v2
	v_mul_f32_e32 v2, 0x4f7ffffe, v2
	v_cvt_u32_f32_e32 v2, v2
	v_mul_lo_u32 v3, s6, v2
	v_mul_hi_u32 v3, v2, v3
	v_add_u32_e32 v2, v2, v3
	v_mul_hi_u32 v2, s26, v2
	v_mul_lo_u32 v2, v2, s33
	v_sub_u32_e32 v2, s26, v2
	v_subrev_u32_e32 v3, s33, v2
	v_cmp_le_u32_e32 vcc, s33, v2
	v_cndmask_b32_e32 v2, v2, v3, vcc
	v_subrev_u32_e32 v3, s33, v2
	v_cmp_le_u32_e32 vcc, s33, v2
	v_cndmask_b32_e32 v12, v2, v3, vcc
	v_pk_mov_b32 v[2:3], v[12:13], v[12:13] op_sel:[0,1]
.LBB132_189:                            ;   in Loop: Header=BB132_19 Depth=1
	v_mov_b32_e32 v4, s7
	v_sub_co_u32_e32 v2, vcc, s26, v2
	v_subb_co_u32_e32 v3, vcc, v4, v3, vcc
	v_cmp_gt_u64_e32 vcc, v[2:3], v[0:1]
	s_mov_b64 s[6:7], 0
                                        ; implicit-def: $vgpr42
	s_and_saveexec_b64 s[8:9], vcc
	s_cbranch_execz .LBB132_202
; %bb.190:                              ;   in Loop: Header=BB132_19 Depth=1
	s_mov_b64 s[26:27], 0
	v_mov_b32_e32 v6, v31
	v_pk_mov_b32 v[4:5], v[0:1], v[0:1] op_sel:[0,1]
                                        ; implicit-def: $sgpr28_sgpr29
	s_branch .LBB132_192
.LBB132_191:                            ;   in Loop: Header=BB132_192 Depth=2
	s_or_b64 exec, exec, s[6:7]
	s_waitcnt lgkmcnt(0)
	s_barrier
	ds_read_b32 v7, v13 offset:3072
	v_mov_b32_e32 v8, s88
	v_add_co_u32_e64 v4, s[6:7], s33, v4
	v_addc_co_u32_e64 v5, s[6:7], v5, v8, s[6:7]
	s_waitcnt lgkmcnt(0)
	v_cmp_neq_f16_e32 vcc, 0, v7
	v_cmp_ge_u64_e64 s[6:7], v[4:5], v[2:3]
	s_or_b64 s[6:7], s[6:7], vcc
	s_and_b64 s[6:7], exec, s[6:7]
	s_or_b64 s[26:27], s[6:7], s[26:27]
	s_andn2_b64 s[6:7], s[28:29], exec
	s_and_b64 s[28:29], vcc, exec
	v_add_u32_e32 v6, s87, v6
	s_or_b64 s[28:29], s[6:7], s[28:29]
	s_barrier
	s_andn2_b64 exec, exec, s[26:27]
	s_cbranch_execz .LBB132_201
.LBB132_192:                            ;   Parent Loop BB132_19 Depth=1
                                        ; =>  This Inner Loop Header: Depth=2
	v_cmp_gt_u64_e32 vcc, s[2:3], v[4:5]
	v_mov_b32_e32 v7, 0
	s_and_saveexec_b64 s[6:7], vcc
	s_cbranch_execz .LBB132_194
; %bb.193:                              ;   in Loop: Header=BB132_192 Depth=2
	ds_read_u16 v7, v6
.LBB132_194:                            ;   in Loop: Header=BB132_192 Depth=2
	s_or_b64 exec, exec, s[6:7]
	s_and_saveexec_b64 s[6:7], vcc
	s_cbranch_execz .LBB132_191
; %bb.195:                              ;   in Loop: Header=BB132_192 Depth=2
	s_waitcnt lgkmcnt(0)
	v_cmp_lt_i16_e32 vcc, -1, v7
	v_cndmask_b32_e32 v8, v37, v38, vcc
	v_xor_b32_sdwa v8, v8, v7 dst_sel:DWORD dst_unused:UNUSED_PAD src0_sel:DWORD src1_sel:WORD_0
	v_cmp_o_f16_e32 vcc, v7, v7
	v_cndmask_b32_e32 v8, v37, v8, vcc
	v_and_b32_e32 v8, s81, v8
	v_cmp_eq_u32_e32 vcc, s80, v8
	s_and_b64 exec, exec, vcc
	s_cbranch_execz .LBB132_191
; %bb.196:                              ;   in Loop: Header=BB132_192 Depth=2
	v_perm_b32 v7, v7, s50, v41
	ds_write_b32 v13, v7 offset:3072
	s_branch .LBB132_191
.LBB132_197:                            ;   in Loop: Header=BB132_19 Depth=1
                                        ; implicit-def: $sgpr28_sgpr29
                                        ; implicit-def: $sgpr34_sgpr35
                                        ; implicit-def: $sgpr30_sgpr31
	s_branch .LBB132_216
.LBB132_198:                            ;   in Loop: Header=BB132_19 Depth=1
                                        ; implicit-def: $vgpr2_vgpr3
	s_branch .LBB132_138
.LBB132_199:                            ;   in Loop: Header=BB132_19 Depth=1
                                        ; implicit-def: $vgpr2_vgpr3
	s_branch .LBB132_158
.LBB132_200:                            ;   in Loop: Header=BB132_19 Depth=1
	s_mov_b64 s[28:29], -1
	s_mov_b64 s[6:7], 0
                                        ; implicit-def: $sgpr30_sgpr31
                                        ; implicit-def: $vgpr42
	s_mov_b64 s[34:35], s[28:29]
	s_cbranch_execnz .LBB132_203
	s_branch .LBB132_216
.LBB132_201:                            ;   in Loop: Header=BB132_19 Depth=1
	s_or_b64 exec, exec, s[26:27]
	v_lshrrev_b32_e32 v42, 16, v7
	s_and_b64 s[6:7], s[28:29], exec
.LBB132_202:                            ;   in Loop: Header=BB132_19 Depth=1
	s_or_b64 exec, exec, s[8:9]
	s_mov_b64 s[30:31], -1
	s_mov_b64 s[28:29], 0
	s_mov_b64 s[34:35], s[28:29]
	s_branch .LBB132_216
.LBB132_203:                            ;   in Loop: Header=BB132_19 Depth=1
	s_mov_b32 s68, s71
	s_cmp_lg_u64 s[68:69], 0
	s_cbranch_scc0 .LBB132_246
; %bb.204:                              ;   in Loop: Header=BB132_19 Depth=1
	v_cvt_f32_u32_e32 v2, s33
	s_sub_u32 s2, 0, s33
	s_subb_u32 s3, 0, 0
	v_mac_f32_e32 v2, 0, v39
	v_rcp_f32_e32 v2, v2
	v_mul_f32_e32 v2, 0x5f7ffffc, v2
	v_mul_f32_e32 v3, 0x2f800000, v2
	v_trunc_f32_e32 v3, v3
	v_mac_f32_e32 v2, 0xcf800000, v3
	v_cvt_u32_f32_e32 v3, v3
	v_cvt_u32_f32_e32 v2, v2
	v_readfirstlane_b32 s6, v3
	v_readfirstlane_b32 s7, v2
	s_mul_i32 s8, s2, s6
	s_mul_hi_u32 s26, s2, s7
	s_mul_i32 s9, s3, s7
	s_add_i32 s8, s26, s8
	s_mul_i32 s27, s2, s7
	s_add_i32 s8, s8, s9
	s_mul_hi_u32 s26, s7, s27
	s_mul_hi_u32 s9, s7, s8
	s_mul_i32 s7, s7, s8
	s_add_u32 s7, s26, s7
	s_addc_u32 s9, 0, s9
	s_mul_hi_u32 s28, s6, s27
	s_mul_i32 s27, s6, s27
	s_add_u32 s7, s7, s27
	s_mul_hi_u32 s26, s6, s8
	s_addc_u32 s7, s9, s28
	s_addc_u32 s9, s26, 0
	s_mul_i32 s8, s6, s8
	s_add_u32 s7, s7, s8
	s_addc_u32 s8, 0, s9
	v_add_co_u32_e32 v2, vcc, s7, v2
	s_cmp_lg_u64 vcc, 0
	s_addc_u32 s6, s6, s8
	v_readfirstlane_b32 s8, v2
	s_mul_i32 s7, s2, s6
	s_mul_hi_u32 s9, s2, s8
	s_add_i32 s7, s9, s7
	s_mul_i32 s3, s3, s8
	s_add_i32 s7, s7, s3
	s_mul_i32 s2, s2, s8
	s_mul_hi_u32 s9, s6, s2
	s_mul_i32 s26, s6, s2
	s_mul_i32 s28, s8, s7
	s_mul_hi_u32 s2, s8, s2
	s_mul_hi_u32 s27, s8, s7
	s_add_u32 s2, s2, s28
	s_addc_u32 s8, 0, s27
	s_add_u32 s2, s2, s26
	s_mul_hi_u32 s3, s6, s7
	s_addc_u32 s2, s8, s9
	s_addc_u32 s3, s3, 0
	s_mul_i32 s7, s6, s7
	s_add_u32 s2, s2, s7
	s_addc_u32 s3, 0, s3
	v_add_co_u32_e32 v2, vcc, s2, v2
	s_cmp_lg_u64 vcc, 0
	s_addc_u32 s2, s6, s3
	v_readfirstlane_b32 s7, v2
	s_mul_i32 s6, s89, s2
	s_mul_hi_u32 s8, s89, s7
	s_mul_hi_u32 s3, s89, s2
	s_add_u32 s6, s8, s6
	s_addc_u32 s3, 0, s3
	s_mul_hi_u32 s9, s69, s7
	s_mul_i32 s7, s69, s7
	s_add_u32 s6, s6, s7
	s_mul_hi_u32 s8, s69, s2
	s_addc_u32 s3, s3, s9
	s_addc_u32 s6, s8, 0
	s_mul_i32 s2, s69, s2
	s_add_u32 s2, s3, s2
	s_addc_u32 s3, 0, s6
	s_mul_hi_u32 s6, s33, s2
	s_mul_i32 s2, s33, s2
	s_mul_i32 s3, s33, s3
	v_mov_b32_e32 v2, s2
	s_add_i32 s6, s6, s3
	v_sub_co_u32_e32 v2, vcc, s89, v2
	s_cmp_lg_u64 vcc, 0
	s_subb_u32 s2, s69, s6
	v_subrev_co_u32_e32 v3, vcc, s33, v2
	s_cmp_lg_u64 vcc, 0
	s_subb_u32 s3, s2, 0
	v_subrev_co_u32_e32 v4, vcc, s33, v3
	s_cmp_lg_u64 vcc, 0
	s_subb_u32 s6, s3, 0
	v_cmp_le_u32_e32 vcc, s33, v3
	s_cmp_eq_u32 s3, 0
	v_cndmask_b32_e64 v5, 0, -1, vcc
	s_cselect_b64 vcc, -1, 0
	v_cndmask_b32_e32 v5, -1, v5, vcc
	v_mov_b32_e32 v6, s3
	v_mov_b32_e32 v7, s6
	v_cmp_ne_u32_e32 vcc, 0, v5
	v_cndmask_b32_e32 v5, v6, v7, vcc
	v_cndmask_b32_e32 v4, v3, v4, vcc
	v_cmp_le_u32_e32 vcc, s33, v2
	s_cmp_eq_u32 s2, 0
	v_cndmask_b32_e64 v3, 0, -1, vcc
	s_cselect_b64 vcc, -1, 0
	v_cndmask_b32_e32 v3, -1, v3, vcc
	v_mov_b32_e32 v6, s2
	v_cmp_ne_u32_e32 vcc, 0, v3
	v_cndmask_b32_e32 v3, v6, v5, vcc
	v_cndmask_b32_e32 v2, v2, v4, vcc
	s_cbranch_execnz .LBB132_206
.LBB132_205:                            ;   in Loop: Header=BB132_19 Depth=1
	v_cvt_f32_u32_e32 v2, s33
	s_sub_i32 s2, 0, s33
	v_rcp_iflag_f32_e32 v2, v2
	v_mul_f32_e32 v2, 0x4f7ffffe, v2
	v_cvt_u32_f32_e32 v2, v2
	v_mul_lo_u32 v3, s2, v2
	v_mul_hi_u32 v3, v2, v3
	v_add_u32_e32 v2, v2, v3
	v_mul_hi_u32 v2, s89, v2
	v_mul_lo_u32 v2, v2, s33
	v_sub_u32_e32 v2, s89, v2
	v_subrev_u32_e32 v3, s33, v2
	v_cmp_le_u32_e32 vcc, s33, v2
	v_cndmask_b32_e32 v2, v2, v3, vcc
	v_subrev_u32_e32 v3, s33, v2
	v_cmp_le_u32_e32 vcc, s33, v2
	v_cndmask_b32_e32 v12, v2, v3, vcc
	v_pk_mov_b32 v[2:3], v[12:13], v[12:13] op_sel:[0,1]
.LBB132_206:                            ;   in Loop: Header=BB132_19 Depth=1
	v_mov_b32_e32 v4, s69
	v_sub_co_u32_e32 v2, vcc, s89, v2
	v_subb_co_u32_e32 v3, vcc, v4, v3, vcc
	v_cmp_gt_u64_e32 vcc, v[2:3], v[0:1]
	s_mov_b64 s[6:7], 0
                                        ; implicit-def: $vgpr42
	s_and_saveexec_b64 s[2:3], vcc
	s_cbranch_execz .LBB132_215
; %bb.207:                              ;   in Loop: Header=BB132_19 Depth=1
	s_mov_b64 s[8:9], 0
	v_pk_mov_b32 v[4:5], v[10:11], v[10:11] op_sel:[0,1]
	v_pk_mov_b32 v[6:7], v[0:1], v[0:1] op_sel:[0,1]
                                        ; implicit-def: $sgpr26_sgpr27
	s_branch .LBB132_209
.LBB132_208:                            ;   in Loop: Header=BB132_209 Depth=2
	s_or_b64 exec, exec, s[6:7]
	s_waitcnt lgkmcnt(0)
	s_barrier
	s_waitcnt vmcnt(0)
	ds_read_b32 v8, v13 offset:3072
	v_mov_b32_e32 v9, s88
	v_add_co_u32_e64 v6, s[6:7], s33, v6
	v_addc_co_u32_e64 v7, s[6:7], v7, v9, s[6:7]
	s_waitcnt lgkmcnt(0)
	v_cmp_neq_f16_e32 vcc, 0, v8
	v_cmp_ge_u64_e64 s[6:7], v[6:7], v[2:3]
	s_or_b64 s[28:29], s[6:7], vcc
	v_mov_b32_e32 v9, s67
	v_add_co_u32_e64 v4, s[6:7], s66, v4
	v_addc_co_u32_e64 v5, s[6:7], v5, v9, s[6:7]
	s_and_b64 s[6:7], exec, s[28:29]
	s_or_b64 s[8:9], s[6:7], s[8:9]
	s_andn2_b64 s[6:7], s[26:27], exec
	s_and_b64 s[26:27], vcc, exec
	s_or_b64 s[26:27], s[6:7], s[26:27]
	s_barrier
	s_andn2_b64 exec, exec, s[8:9]
	s_cbranch_execz .LBB132_214
.LBB132_209:                            ;   Parent Loop BB132_19 Depth=1
                                        ; =>  This Inner Loop Header: Depth=2
	v_cmp_gt_u64_e32 vcc, s[52:53], v[6:7]
	v_mov_b32_e32 v8, 0
	s_and_saveexec_b64 s[6:7], vcc
	s_cbranch_execz .LBB132_211
; %bb.210:                              ;   in Loop: Header=BB132_209 Depth=2
	global_load_ushort v8, v[4:5], off
.LBB132_211:                            ;   in Loop: Header=BB132_209 Depth=2
	s_or_b64 exec, exec, s[6:7]
	s_and_saveexec_b64 s[6:7], vcc
	s_cbranch_execz .LBB132_208
; %bb.212:                              ;   in Loop: Header=BB132_209 Depth=2
	s_waitcnt vmcnt(0)
	v_cmp_lt_i16_e32 vcc, -1, v8
	v_cndmask_b32_e32 v9, v37, v38, vcc
	v_xor_b32_sdwa v9, v9, v8 dst_sel:DWORD dst_unused:UNUSED_PAD src0_sel:DWORD src1_sel:WORD_0
	v_cmp_o_f16_e32 vcc, v8, v8
	v_cndmask_b32_e32 v9, v37, v9, vcc
	v_and_b32_e32 v9, s81, v9
	v_cmp_eq_u32_e32 vcc, s80, v9
	s_and_b64 exec, exec, vcc
	s_cbranch_execz .LBB132_208
; %bb.213:                              ;   in Loop: Header=BB132_209 Depth=2
	v_perm_b32 v8, v8, s50, v41
	ds_write_b32 v13, v8 offset:3072
	s_branch .LBB132_208
.LBB132_214:                            ;   in Loop: Header=BB132_19 Depth=1
	s_or_b64 exec, exec, s[8:9]
	v_lshrrev_b32_e32 v42, 16, v8
	s_and_b64 s[6:7], s[26:27], exec
.LBB132_215:                            ;   in Loop: Header=BB132_19 Depth=1
	s_or_b64 exec, exec, s[2:3]
	s_mov_b64 s[34:35], -1
	s_mov_b64 s[28:29], 0
	s_mov_b64 s[30:31], 0
.LBB132_216:                            ;   in Loop: Header=BB132_19 Depth=1
	s_mov_b64 s[2:3], 0
                                        ; implicit-def: $sgpr45
	s_and_saveexec_b64 s[36:37], s[6:7]
	s_cbranch_execz .LBB132_278
; %bb.217:                              ;   in Loop: Header=BB132_19 Depth=1
	s_xor_b64 s[2:3], s[38:39], -1
	s_andn2_b64 vcc, exec, s[2:3]
	s_mov_b32 s45, 1
	s_cbranch_vccnz .LBB132_228
; %bb.218:                              ;   in Loop: Header=BB132_19 Depth=1
	v_pk_mov_b32 v[2:3], s[16:17], s[16:17] op_sel:[0,1]
	v_cmp_gt_u64_e32 vcc, s[72:73], v[2:3]
	s_mov_b64 s[2:3], -1
                                        ; implicit-def: $sgpr45
                                        ; implicit-def: $sgpr6
                                        ; implicit-def: $sgpr7
	s_cbranch_vccnz .LBB132_224
; %bb.219:                              ;   in Loop: Header=BB132_19 Depth=1
	ds_read_b64 v[2:3], v13 offset:5120
	s_waitcnt lgkmcnt(0)
	v_cmp_ne_u64_e32 vcc, 0, v[2:3]
	s_cbranch_vccnz .LBB132_223
; %bb.220:                              ;   in Loop: Header=BB132_19 Depth=1
	s_mov_b64 s[2:3], exec
	v_readlane_b32 s6, v52, 12
	v_readlane_b32 s7, v52, 13
	s_and_b64 s[6:7], s[2:3], s[6:7]
	s_mov_b64 exec, s[6:7]
	s_cbranch_execz .LBB132_222
; %bb.221:                              ;   in Loop: Header=BB132_19 Depth=1
	v_pk_mov_b32 v[2:3], s[16:17], s[16:17] op_sel:[0,1]
	ds_write_b64 v13, v[2:3] offset:5128
.LBB132_222:                            ;   in Loop: Header=BB132_19 Depth=1
	s_or_b64 exec, exec, s[2:3]
	s_waitcnt lgkmcnt(0)
	s_barrier
.LBB132_223:                            ;   in Loop: Header=BB132_19 Depth=1
	s_lshl_b32 s2, 2, s40
	s_and_b32 s3, s80, s41
	s_or_b32 s6, s3, s2
	s_or_b32 s7, s81, s44
	s_mov_b64 s[2:3], 0
	s_mov_b32 s45, 8
.LBB132_224:                            ;   in Loop: Header=BB132_19 Depth=1
	s_andn2_b64 vcc, exec, s[2:3]
	s_cbranch_vccnz .LBB132_226
; %bb.225:                              ;   in Loop: Header=BB132_19 Depth=1
	s_sub_u32 s72, s72, s16
	s_subb_u32 s73, s73, s17
	s_mov_b64 s[2:3], -1
	s_mov_b32 s45, 0
	s_mov_b32 s6, s80
	;; [unrolled: 1-line block ×3, first 2 shown]
.LBB132_226:                            ;   in Loop: Header=BB132_19 Depth=1
	s_mov_b32 s81, s7
	s_mov_b32 s80, s6
	s_andn2_b64 vcc, exec, s[2:3]
	s_mov_b64 s[40:41], -1
	s_cbranch_vccz .LBB132_229
.LBB132_227:                            ;   in Loop: Header=BB132_19 Depth=1
                                        ; implicit-def: $sgpr2_sgpr3
                                        ; implicit-def: $sgpr8_sgpr9
                                        ; implicit-def: $sgpr6_sgpr7
	s_branch .LBB132_277
.LBB132_228:                            ;   in Loop: Header=BB132_19 Depth=1
	s_mov_b64 s[72:73], 1
	s_mov_b64 s[40:41], -1
	s_cbranch_execnz .LBB132_227
.LBB132_229:                            ;   in Loop: Header=BB132_19 Depth=1
	s_cmp_eq_u64 s[10:11], 1
	s_cselect_b64 s[2:3], -1, 0
	s_cmp_eq_u64 s[72:73], 1
	s_cselect_b64 s[6:7], -1, 0
	s_and_b64 s[16:17], s[2:3], s[6:7]
	s_mov_b64 s[26:27], -1
	s_and_b64 vcc, exec, s[16:17]
	s_cbranch_vccz .LBB132_244
; %bb.230:                              ;   in Loop: Header=BB132_19 Depth=1
	ds_read_b64 v[2:3], v13 offset:5120
	s_waitcnt lgkmcnt(0)
	s_barrier
	v_readfirstlane_b32 s2, v2
	v_readfirstlane_b32 s3, v3
	s_mov_b64 s[6:7], exec
	v_readlane_b32 s8, v52, 14
	v_readlane_b32 s9, v52, 15
	s_and_b64 s[8:9], s[6:7], s[8:9]
	s_mov_b64 exec, s[8:9]
	s_cbranch_execz .LBB132_232
; %bb.231:                              ;   in Loop: Header=BB132_19 Depth=1
	ds_write_b16 v32, v15
.LBB132_232:                            ;   in Loop: Header=BB132_19 Depth=1
	s_or_b64 exec, exec, s[6:7]
	s_or_b32 s80, s80, s44
	s_or_b32 s81, s81, s44
	s_cmp_eq_u64 s[2:3], 0
	s_waitcnt lgkmcnt(0)
	s_barrier
	s_cbranch_scc1 .LBB132_247
; %bb.233:                              ;   in Loop: Header=BB132_19 Depth=1
	v_readlane_b32 s6, v52, 20
	s_add_u32 s26, s6, s2
	v_readlane_b32 s6, v52, 21
	s_addc_u32 s7, s6, s3
	s_mov_b32 s6, s71
	s_cmp_lg_u64 s[6:7], 0
	s_cbranch_scc0 .LBB132_283
; %bb.234:                              ;   in Loop: Header=BB132_19 Depth=1
	v_cvt_f32_u32_e32 v2, s33
	s_sub_u32 s6, 0, s33
	s_subb_u32 s8, 0, 0
	v_mac_f32_e32 v2, 0, v39
	v_rcp_f32_e32 v2, v2
	v_mul_f32_e32 v2, 0x5f7ffffc, v2
	v_mul_f32_e32 v3, 0x2f800000, v2
	v_trunc_f32_e32 v3, v3
	v_mac_f32_e32 v2, 0xcf800000, v3
	v_cvt_u32_f32_e32 v3, v3
	v_cvt_u32_f32_e32 v2, v2
	v_readfirstlane_b32 s9, v3
	v_readfirstlane_b32 s27, v2
	s_mul_i32 s38, s6, s9
	s_mul_hi_u32 s40, s6, s27
	s_mul_i32 s39, s8, s27
	s_add_i32 s38, s40, s38
	s_mul_i32 s41, s6, s27
	s_add_i32 s38, s38, s39
	s_mul_hi_u32 s40, s27, s41
	s_mul_hi_u32 s39, s27, s38
	s_mul_i32 s27, s27, s38
	s_add_u32 s27, s40, s27
	s_addc_u32 s39, 0, s39
	s_mul_hi_u32 s42, s9, s41
	s_mul_i32 s41, s9, s41
	s_add_u32 s27, s27, s41
	s_mul_hi_u32 s40, s9, s38
	s_addc_u32 s27, s39, s42
	s_addc_u32 s39, s40, 0
	s_mul_i32 s38, s9, s38
	s_add_u32 s27, s27, s38
	s_addc_u32 s38, 0, s39
	v_add_co_u32_e32 v2, vcc, s27, v2
	s_cmp_lg_u64 vcc, 0
	s_addc_u32 s9, s9, s38
	v_readfirstlane_b32 s38, v2
	s_mul_i32 s27, s6, s9
	s_mul_hi_u32 s39, s6, s38
	s_add_i32 s27, s39, s27
	s_mul_i32 s8, s8, s38
	s_add_i32 s27, s27, s8
	s_mul_i32 s6, s6, s38
	s_mul_hi_u32 s39, s9, s6
	s_mul_i32 s40, s9, s6
	s_mul_i32 s42, s38, s27
	s_mul_hi_u32 s6, s38, s6
	s_mul_hi_u32 s41, s38, s27
	s_add_u32 s6, s6, s42
	s_addc_u32 s38, 0, s41
	s_add_u32 s6, s6, s40
	s_mul_hi_u32 s8, s9, s27
	s_addc_u32 s6, s38, s39
	s_addc_u32 s8, s8, 0
	s_mul_i32 s27, s9, s27
	s_add_u32 s6, s6, s27
	s_addc_u32 s8, 0, s8
	v_add_co_u32_e32 v2, vcc, s6, v2
	s_cmp_lg_u64 vcc, 0
	s_addc_u32 s6, s9, s8
	v_readfirstlane_b32 s27, v2
	s_mul_i32 s9, s26, s6
	s_mul_hi_u32 s38, s26, s27
	s_mul_hi_u32 s8, s26, s6
	s_add_u32 s9, s38, s9
	s_addc_u32 s8, 0, s8
	s_mul_hi_u32 s39, s7, s27
	s_mul_i32 s27, s7, s27
	s_add_u32 s9, s9, s27
	s_mul_hi_u32 s38, s7, s6
	s_addc_u32 s8, s8, s39
	s_addc_u32 s9, s38, 0
	s_mul_i32 s6, s7, s6
	s_add_u32 s6, s8, s6
	s_addc_u32 s8, 0, s9
	s_mul_hi_u32 s9, s33, s6
	s_mul_i32 s6, s33, s6
	s_mul_i32 s8, s33, s8
	v_mov_b32_e32 v2, s6
	s_add_i32 s9, s9, s8
	v_sub_co_u32_e32 v2, vcc, s26, v2
	s_cmp_lg_u64 vcc, 0
	s_subb_u32 s6, s7, s9
	v_subrev_co_u32_e32 v3, vcc, s33, v2
	s_cmp_lg_u64 vcc, 0
	s_subb_u32 s8, s6, 0
	v_subrev_co_u32_e32 v4, vcc, s33, v3
	s_cmp_lg_u64 vcc, 0
	s_subb_u32 s9, s8, 0
	v_cmp_le_u32_e32 vcc, s33, v3
	s_cmp_eq_u32 s8, 0
	v_cndmask_b32_e64 v5, 0, -1, vcc
	s_cselect_b64 vcc, -1, 0
	v_cndmask_b32_e32 v5, -1, v5, vcc
	v_mov_b32_e32 v6, s8
	v_mov_b32_e32 v7, s9
	v_cmp_ne_u32_e32 vcc, 0, v5
	v_cndmask_b32_e32 v5, v6, v7, vcc
	v_cndmask_b32_e32 v4, v3, v4, vcc
	v_cmp_le_u32_e32 vcc, s33, v2
	s_cmp_eq_u32 s6, 0
	v_cndmask_b32_e64 v3, 0, -1, vcc
	s_cselect_b64 vcc, -1, 0
	v_cndmask_b32_e32 v3, -1, v3, vcc
	v_mov_b32_e32 v6, s6
	v_cmp_ne_u32_e32 vcc, 0, v3
	v_cndmask_b32_e32 v3, v6, v5, vcc
	v_cndmask_b32_e32 v2, v2, v4, vcc
	s_cbranch_execnz .LBB132_236
.LBB132_235:                            ;   in Loop: Header=BB132_19 Depth=1
	v_cvt_f32_u32_e32 v2, s33
	s_sub_i32 s6, 0, s33
	v_rcp_iflag_f32_e32 v2, v2
	v_mul_f32_e32 v2, 0x4f7ffffe, v2
	v_cvt_u32_f32_e32 v2, v2
	v_mul_lo_u32 v3, s6, v2
	v_mul_hi_u32 v3, v2, v3
	v_add_u32_e32 v2, v2, v3
	v_mul_hi_u32 v2, s26, v2
	v_mul_lo_u32 v2, v2, s33
	v_sub_u32_e32 v2, s26, v2
	v_subrev_u32_e32 v3, s33, v2
	v_cmp_le_u32_e32 vcc, s33, v2
	v_cndmask_b32_e32 v2, v2, v3, vcc
	v_subrev_u32_e32 v3, s33, v2
	v_cmp_le_u32_e32 vcc, s33, v2
	v_cndmask_b32_e32 v12, v2, v3, vcc
	v_pk_mov_b32 v[2:3], v[12:13], v[12:13] op_sel:[0,1]
.LBB132_236:                            ;   in Loop: Header=BB132_19 Depth=1
	v_mov_b32_e32 v4, s7
	v_sub_co_u32_e32 v2, vcc, s26, v2
	v_subb_co_u32_e32 v3, vcc, v4, v3, vcc
	v_cmp_gt_u64_e32 vcc, v[2:3], v[0:1]
	s_mov_b64 s[26:27], 0
                                        ; implicit-def: $vgpr42
	s_and_saveexec_b64 s[8:9], vcc
	s_cbranch_execz .LBB132_249
; %bb.237:                              ;   in Loop: Header=BB132_19 Depth=1
	v_mov_b32_e32 v6, v31
	v_pk_mov_b32 v[4:5], v[0:1], v[0:1] op_sel:[0,1]
                                        ; implicit-def: $sgpr38_sgpr39
	s_branch .LBB132_239
.LBB132_238:                            ;   in Loop: Header=BB132_239 Depth=2
	s_or_b64 exec, exec, s[6:7]
	s_waitcnt lgkmcnt(0)
	s_barrier
	ds_read_b32 v7, v13 offset:3072
	v_mov_b32_e32 v8, s88
	v_add_co_u32_e64 v4, s[6:7], s33, v4
	v_addc_co_u32_e64 v5, s[6:7], v5, v8, s[6:7]
	s_waitcnt lgkmcnt(0)
	v_cmp_neq_f16_e32 vcc, 0, v7
	v_cmp_ge_u64_e64 s[6:7], v[4:5], v[2:3]
	s_or_b64 s[6:7], s[6:7], vcc
	s_and_b64 s[6:7], exec, s[6:7]
	s_or_b64 s[26:27], s[6:7], s[26:27]
	s_andn2_b64 s[6:7], s[38:39], exec
	s_and_b64 s[38:39], vcc, exec
	v_add_u32_e32 v6, s87, v6
	s_or_b64 s[38:39], s[6:7], s[38:39]
	s_barrier
	s_andn2_b64 exec, exec, s[26:27]
	s_cbranch_execz .LBB132_248
.LBB132_239:                            ;   Parent Loop BB132_19 Depth=1
                                        ; =>  This Inner Loop Header: Depth=2
	v_cmp_gt_u64_e32 vcc, s[2:3], v[4:5]
	v_mov_b32_e32 v7, 0
	s_and_saveexec_b64 s[6:7], vcc
	s_cbranch_execz .LBB132_241
; %bb.240:                              ;   in Loop: Header=BB132_239 Depth=2
	ds_read_u16 v7, v6
.LBB132_241:                            ;   in Loop: Header=BB132_239 Depth=2
	s_or_b64 exec, exec, s[6:7]
	s_and_saveexec_b64 s[6:7], vcc
	s_cbranch_execz .LBB132_238
; %bb.242:                              ;   in Loop: Header=BB132_239 Depth=2
	s_waitcnt lgkmcnt(0)
	v_cmp_lt_i16_e32 vcc, -1, v7
	v_cndmask_b32_e32 v8, v37, v38, vcc
	v_xor_b32_sdwa v8, v8, v7 dst_sel:DWORD dst_unused:UNUSED_PAD src0_sel:DWORD src1_sel:WORD_0
	v_cmp_o_f16_e32 vcc, v7, v7
	v_cndmask_b32_e32 v8, v37, v8, vcc
	v_and_b32_e32 v8, s81, v8
	v_cmp_eq_u32_e32 vcc, s80, v8
	s_and_b64 exec, exec, vcc
	s_cbranch_execz .LBB132_238
; %bb.243:                              ;   in Loop: Header=BB132_239 Depth=2
	v_perm_b32 v7, v7, s50, v41
	ds_write_b32 v13, v7 offset:3072
	s_branch .LBB132_238
.LBB132_244:                            ;   in Loop: Header=BB132_19 Depth=1
                                        ; implicit-def: $sgpr2_sgpr3
                                        ; implicit-def: $sgpr8_sgpr9
                                        ; implicit-def: $sgpr6_sgpr7
	s_branch .LBB132_263
.LBB132_245:                            ;   in Loop: Header=BB132_19 Depth=1
                                        ; implicit-def: $vgpr2_vgpr3
	s_branch .LBB132_188
.LBB132_246:                            ;   in Loop: Header=BB132_19 Depth=1
                                        ; implicit-def: $vgpr2_vgpr3
	s_branch .LBB132_205
.LBB132_247:                            ;   in Loop: Header=BB132_19 Depth=1
	s_mov_b64 s[2:3], -1
	s_mov_b64 s[26:27], 0
                                        ; implicit-def: $sgpr6_sgpr7
                                        ; implicit-def: $vgpr42
	s_mov_b64 s[8:9], s[2:3]
	s_cbranch_execnz .LBB132_250
	s_branch .LBB132_263
.LBB132_248:                            ;   in Loop: Header=BB132_19 Depth=1
	s_or_b64 exec, exec, s[26:27]
	v_lshrrev_b32_e32 v42, 16, v7
	s_and_b64 s[26:27], s[38:39], exec
.LBB132_249:                            ;   in Loop: Header=BB132_19 Depth=1
	s_or_b64 exec, exec, s[8:9]
	s_mov_b64 s[6:7], -1
	s_mov_b64 s[2:3], 0
	s_mov_b64 s[8:9], s[2:3]
	s_branch .LBB132_263
.LBB132_250:                            ;   in Loop: Header=BB132_19 Depth=1
	s_mov_b32 s68, s71
	s_cmp_lg_u64 s[68:69], 0
	s_cbranch_scc0 .LBB132_284
; %bb.251:                              ;   in Loop: Header=BB132_19 Depth=1
	v_cvt_f32_u32_e32 v2, s33
	s_sub_u32 s2, 0, s33
	s_subb_u32 s3, 0, 0
	v_mac_f32_e32 v2, 0, v39
	v_rcp_f32_e32 v2, v2
	v_mul_f32_e32 v2, 0x5f7ffffc, v2
	v_mul_f32_e32 v3, 0x2f800000, v2
	v_trunc_f32_e32 v3, v3
	v_mac_f32_e32 v2, 0xcf800000, v3
	v_cvt_u32_f32_e32 v3, v3
	v_cvt_u32_f32_e32 v2, v2
	v_readfirstlane_b32 s6, v3
	v_readfirstlane_b32 s7, v2
	s_mul_i32 s8, s2, s6
	s_mul_hi_u32 s26, s2, s7
	s_mul_i32 s9, s3, s7
	s_add_i32 s8, s26, s8
	s_mul_i32 s27, s2, s7
	s_add_i32 s8, s8, s9
	s_mul_hi_u32 s26, s7, s27
	s_mul_hi_u32 s9, s7, s8
	s_mul_i32 s7, s7, s8
	s_add_u32 s7, s26, s7
	s_addc_u32 s9, 0, s9
	s_mul_hi_u32 s38, s6, s27
	s_mul_i32 s27, s6, s27
	s_add_u32 s7, s7, s27
	s_mul_hi_u32 s26, s6, s8
	s_addc_u32 s7, s9, s38
	s_addc_u32 s9, s26, 0
	s_mul_i32 s8, s6, s8
	s_add_u32 s7, s7, s8
	s_addc_u32 s8, 0, s9
	v_add_co_u32_e32 v2, vcc, s7, v2
	s_cmp_lg_u64 vcc, 0
	s_addc_u32 s6, s6, s8
	v_readfirstlane_b32 s8, v2
	s_mul_i32 s7, s2, s6
	s_mul_hi_u32 s9, s2, s8
	s_add_i32 s7, s9, s7
	s_mul_i32 s3, s3, s8
	s_add_i32 s7, s7, s3
	s_mul_i32 s2, s2, s8
	s_mul_hi_u32 s9, s6, s2
	s_mul_i32 s26, s6, s2
	s_mul_i32 s38, s8, s7
	s_mul_hi_u32 s2, s8, s2
	s_mul_hi_u32 s27, s8, s7
	s_add_u32 s2, s2, s38
	s_addc_u32 s8, 0, s27
	s_add_u32 s2, s2, s26
	s_mul_hi_u32 s3, s6, s7
	s_addc_u32 s2, s8, s9
	s_addc_u32 s3, s3, 0
	s_mul_i32 s7, s6, s7
	s_add_u32 s2, s2, s7
	s_addc_u32 s3, 0, s3
	v_add_co_u32_e32 v2, vcc, s2, v2
	s_cmp_lg_u64 vcc, 0
	s_addc_u32 s2, s6, s3
	v_readfirstlane_b32 s7, v2
	s_mul_i32 s6, s89, s2
	s_mul_hi_u32 s8, s89, s7
	s_mul_hi_u32 s3, s89, s2
	s_add_u32 s6, s8, s6
	s_addc_u32 s3, 0, s3
	s_mul_hi_u32 s9, s69, s7
	s_mul_i32 s7, s69, s7
	s_add_u32 s6, s6, s7
	s_mul_hi_u32 s8, s69, s2
	s_addc_u32 s3, s3, s9
	s_addc_u32 s6, s8, 0
	s_mul_i32 s2, s69, s2
	s_add_u32 s2, s3, s2
	s_addc_u32 s3, 0, s6
	s_mul_hi_u32 s6, s33, s2
	s_mul_i32 s2, s33, s2
	s_mul_i32 s3, s33, s3
	v_mov_b32_e32 v2, s2
	s_add_i32 s6, s6, s3
	v_sub_co_u32_e32 v2, vcc, s89, v2
	s_cmp_lg_u64 vcc, 0
	s_subb_u32 s2, s69, s6
	v_subrev_co_u32_e32 v3, vcc, s33, v2
	s_cmp_lg_u64 vcc, 0
	s_subb_u32 s3, s2, 0
	v_subrev_co_u32_e32 v4, vcc, s33, v3
	s_cmp_lg_u64 vcc, 0
	s_subb_u32 s6, s3, 0
	v_cmp_le_u32_e32 vcc, s33, v3
	s_cmp_eq_u32 s3, 0
	v_cndmask_b32_e64 v5, 0, -1, vcc
	s_cselect_b64 vcc, -1, 0
	v_cndmask_b32_e32 v5, -1, v5, vcc
	v_mov_b32_e32 v6, s3
	v_mov_b32_e32 v7, s6
	v_cmp_ne_u32_e32 vcc, 0, v5
	v_cndmask_b32_e32 v5, v6, v7, vcc
	v_cndmask_b32_e32 v4, v3, v4, vcc
	v_cmp_le_u32_e32 vcc, s33, v2
	s_cmp_eq_u32 s2, 0
	v_cndmask_b32_e64 v3, 0, -1, vcc
	s_cselect_b64 vcc, -1, 0
	v_cndmask_b32_e32 v3, -1, v3, vcc
	v_mov_b32_e32 v6, s2
	v_cmp_ne_u32_e32 vcc, 0, v3
	v_cndmask_b32_e32 v3, v6, v5, vcc
	v_cndmask_b32_e32 v2, v2, v4, vcc
	s_cbranch_execnz .LBB132_253
.LBB132_252:                            ;   in Loop: Header=BB132_19 Depth=1
	v_cvt_f32_u32_e32 v2, s33
	s_sub_i32 s2, 0, s33
	v_rcp_iflag_f32_e32 v2, v2
	v_mul_f32_e32 v2, 0x4f7ffffe, v2
	v_cvt_u32_f32_e32 v2, v2
	v_mul_lo_u32 v3, s2, v2
	v_mul_hi_u32 v3, v2, v3
	v_add_u32_e32 v2, v2, v3
	v_mul_hi_u32 v2, s89, v2
	v_mul_lo_u32 v2, v2, s33
	v_sub_u32_e32 v2, s89, v2
	v_subrev_u32_e32 v3, s33, v2
	v_cmp_le_u32_e32 vcc, s33, v2
	v_cndmask_b32_e32 v2, v2, v3, vcc
	v_subrev_u32_e32 v3, s33, v2
	v_cmp_le_u32_e32 vcc, s33, v2
	v_cndmask_b32_e32 v12, v2, v3, vcc
	v_pk_mov_b32 v[2:3], v[12:13], v[12:13] op_sel:[0,1]
.LBB132_253:                            ;   in Loop: Header=BB132_19 Depth=1
	v_mov_b32_e32 v4, s69
	v_sub_co_u32_e32 v2, vcc, s89, v2
	v_subb_co_u32_e32 v3, vcc, v4, v3, vcc
	v_cmp_gt_u64_e32 vcc, v[2:3], v[0:1]
	s_mov_b64 s[26:27], 0
                                        ; implicit-def: $vgpr42
	s_and_saveexec_b64 s[2:3], vcc
	s_cbranch_execz .LBB132_262
; %bb.254:                              ;   in Loop: Header=BB132_19 Depth=1
	s_mov_b64 s[8:9], 0
	v_pk_mov_b32 v[4:5], v[10:11], v[10:11] op_sel:[0,1]
	v_pk_mov_b32 v[6:7], v[0:1], v[0:1] op_sel:[0,1]
                                        ; implicit-def: $sgpr26_sgpr27
	s_branch .LBB132_256
.LBB132_255:                            ;   in Loop: Header=BB132_256 Depth=2
	s_or_b64 exec, exec, s[6:7]
	s_waitcnt lgkmcnt(0)
	s_barrier
	s_waitcnt vmcnt(0)
	ds_read_b32 v8, v13 offset:3072
	v_mov_b32_e32 v9, s88
	v_add_co_u32_e64 v6, s[6:7], s33, v6
	v_addc_co_u32_e64 v7, s[6:7], v7, v9, s[6:7]
	s_waitcnt lgkmcnt(0)
	v_cmp_neq_f16_e32 vcc, 0, v8
	v_cmp_ge_u64_e64 s[6:7], v[6:7], v[2:3]
	s_or_b64 s[38:39], s[6:7], vcc
	v_mov_b32_e32 v9, s67
	v_add_co_u32_e64 v4, s[6:7], s66, v4
	v_addc_co_u32_e64 v5, s[6:7], v5, v9, s[6:7]
	s_and_b64 s[6:7], exec, s[38:39]
	s_or_b64 s[8:9], s[6:7], s[8:9]
	s_andn2_b64 s[6:7], s[26:27], exec
	s_and_b64 s[26:27], vcc, exec
	s_or_b64 s[26:27], s[6:7], s[26:27]
	s_barrier
	s_andn2_b64 exec, exec, s[8:9]
	s_cbranch_execz .LBB132_261
.LBB132_256:                            ;   Parent Loop BB132_19 Depth=1
                                        ; =>  This Inner Loop Header: Depth=2
	v_cmp_gt_u64_e32 vcc, s[52:53], v[6:7]
	v_mov_b32_e32 v8, 0
	s_and_saveexec_b64 s[6:7], vcc
	s_cbranch_execz .LBB132_258
; %bb.257:                              ;   in Loop: Header=BB132_256 Depth=2
	global_load_ushort v8, v[4:5], off
.LBB132_258:                            ;   in Loop: Header=BB132_256 Depth=2
	s_or_b64 exec, exec, s[6:7]
	s_and_saveexec_b64 s[6:7], vcc
	s_cbranch_execz .LBB132_255
; %bb.259:                              ;   in Loop: Header=BB132_256 Depth=2
	s_waitcnt vmcnt(0)
	v_cmp_lt_i16_e32 vcc, -1, v8
	v_cndmask_b32_e32 v9, v37, v38, vcc
	v_xor_b32_sdwa v9, v9, v8 dst_sel:DWORD dst_unused:UNUSED_PAD src0_sel:DWORD src1_sel:WORD_0
	v_cmp_o_f16_e32 vcc, v8, v8
	v_cndmask_b32_e32 v9, v37, v9, vcc
	v_and_b32_e32 v9, s81, v9
	v_cmp_eq_u32_e32 vcc, s80, v9
	s_and_b64 exec, exec, vcc
	s_cbranch_execz .LBB132_255
; %bb.260:                              ;   in Loop: Header=BB132_256 Depth=2
	v_perm_b32 v8, v8, s50, v41
	ds_write_b32 v13, v8 offset:3072
	s_branch .LBB132_255
.LBB132_261:                            ;   in Loop: Header=BB132_19 Depth=1
	s_or_b64 exec, exec, s[8:9]
	v_lshrrev_b32_e32 v42, 16, v8
	s_and_b64 s[26:27], s[26:27], exec
.LBB132_262:                            ;   in Loop: Header=BB132_19 Depth=1
	s_or_b64 exec, exec, s[2:3]
	s_mov_b64 s[8:9], -1
	s_mov_b64 s[2:3], 0
	s_mov_b64 s[6:7], 0
.LBB132_263:                            ;   in Loop: Header=BB132_19 Depth=1
	s_mov_b64 s[40:41], 0
                                        ; implicit-def: $sgpr45
                                        ; implicit-def: $sgpr42_sgpr43
	s_and_saveexec_b64 s[38:39], s[26:27]
	s_cbranch_execz .LBB132_276
; %bb.264:                              ;   in Loop: Header=BB132_19 Depth=1
	s_xor_b64 s[16:17], s[16:17], -1
	s_mov_b64 s[42:43], 1
	s_andn2_b64 vcc, exec, s[16:17]
	s_mov_b32 s45, 1
	s_cbranch_vccnz .LBB132_275
; %bb.265:                              ;   in Loop: Header=BB132_19 Depth=1
	v_pk_mov_b32 v[2:3], s[10:11], s[10:11] op_sel:[0,1]
	v_cmp_gt_u64_e32 vcc, s[72:73], v[2:3]
	s_cbranch_vccnz .LBB132_271
; %bb.266:                              ;   in Loop: Header=BB132_19 Depth=1
	ds_read_b64 v[2:3], v13 offset:5120
	s_waitcnt lgkmcnt(0)
	v_cmp_ne_u64_e32 vcc, 0, v[2:3]
	s_cbranch_vccnz .LBB132_270
; %bb.267:                              ;   in Loop: Header=BB132_19 Depth=1
	s_mov_b64 s[16:17], exec
	v_readlane_b32 s26, v52, 12
	v_readlane_b32 s27, v52, 13
	s_and_b64 s[26:27], s[16:17], s[26:27]
	s_mov_b64 exec, s[26:27]
	s_cbranch_execz .LBB132_269
; %bb.268:                              ;   in Loop: Header=BB132_19 Depth=1
	v_pk_mov_b32 v[2:3], s[10:11], s[10:11] op_sel:[0,1]
	ds_write_b64 v13, v[2:3] offset:5128
.LBB132_269:                            ;   in Loop: Header=BB132_19 Depth=1
	s_or_b64 exec, exec, s[16:17]
	s_waitcnt lgkmcnt(0)
	s_barrier
.LBB132_270:                            ;   in Loop: Header=BB132_19 Depth=1
	s_or_b32 s26, s80, s44
	s_or_b32 s27, s81, s44
	s_mov_b64 s[16:17], 0
	s_mov_b32 s45, 8
	s_branch .LBB132_272
.LBB132_271:                            ;   in Loop: Header=BB132_19 Depth=1
	s_mov_b64 s[16:17], -1
                                        ; implicit-def: $sgpr45
                                        ; implicit-def: $sgpr26
                                        ; implicit-def: $sgpr27
.LBB132_272:                            ;   in Loop: Header=BB132_19 Depth=1
	s_andn2_b64 vcc, exec, s[16:17]
	s_cbranch_vccnz .LBB132_274
; %bb.273:                              ;   in Loop: Header=BB132_19 Depth=1
	s_sub_u32 s72, s72, s10
	s_subb_u32 s73, s73, s11
	s_mov_b32 s45, 8
	s_mov_b32 s26, s80
	;; [unrolled: 1-line block ×3, first 2 shown]
.LBB132_274:                            ;   in Loop: Header=BB132_19 Depth=1
	s_mov_b64 s[42:43], s[72:73]
	s_mov_b32 s80, s26
	s_mov_b32 s81, s27
.LBB132_275:                            ;   in Loop: Header=BB132_19 Depth=1
	s_mov_b64 s[40:41], exec
.LBB132_276:                            ;   in Loop: Header=BB132_19 Depth=1
	s_or_b64 exec, exec, s[38:39]
	s_mov_b64 s[72:73], s[42:43]
.LBB132_277:                            ;   in Loop: Header=BB132_19 Depth=1
	s_andn2_b64 s[10:11], s[28:29], exec
	s_and_b64 s[2:3], s[2:3], exec
	s_or_b64 s[28:29], s[10:11], s[2:3]
	s_andn2_b64 s[2:3], s[34:35], exec
	s_and_b64 s[8:9], s[8:9], exec
	s_or_b64 s[34:35], s[2:3], s[8:9]
	;; [unrolled: 3-line block ×3, first 2 shown]
	s_and_b64 s[2:3], s[40:41], exec
.LBB132_278:                            ;   in Loop: Header=BB132_19 Depth=1
	s_or_b64 exec, exec, s[36:37]
.LBB132_279:                            ;   in Loop: Header=BB132_19 Depth=1
	s_andn2_b64 s[6:7], s[20:21], exec
	s_and_b64 s[8:9], s[28:29], exec
	s_or_b64 s[20:21], s[6:7], s[8:9]
	s_andn2_b64 s[6:7], s[22:23], exec
	s_and_b64 s[8:9], s[34:35], exec
	s_or_b64 s[22:23], s[6:7], s[8:9]
	;; [unrolled: 3-line block ×3, first 2 shown]
	s_and_b64 s[2:3], s[2:3], exec
.LBB132_280:                            ;   in Loop: Header=BB132_19 Depth=1
	s_or_b64 exec, exec, s[24:25]
	s_and_saveexec_b64 s[6:7], s[2:3]
	s_xor_b64 s[2:3], exec, s[6:7]
	s_cbranch_execz .LBB132_17
.LBB132_281:                            ;   in Loop: Header=BB132_19 Depth=1
	s_and_b32 s6, s45, -9
	s_cmp_eq_u32 s6, 0
	s_cbranch_scc1 .LBB132_15
; %bb.282:                              ;   in Loop: Header=BB132_19 Depth=1
	s_mov_b64 s[6:7], -1
                                        ; implicit-def: $sgpr81
                                        ; implicit-def: $sgpr72_sgpr73
                                        ; implicit-def: $sgpr51
                                        ; implicit-def: $sgpr74
	s_mov_b64 s[8:9], -1
	s_branch .LBB132_16
.LBB132_283:                            ;   in Loop: Header=BB132_19 Depth=1
                                        ; implicit-def: $vgpr2_vgpr3
	s_branch .LBB132_235
.LBB132_284:                            ;   in Loop: Header=BB132_19 Depth=1
                                        ; implicit-def: $vgpr2_vgpr3
	s_branch .LBB132_252
.LBB132_285:
	s_or_b64 exec, exec, s[90:91]
	s_xor_b64 s[4:5], s[58:59], -1
	s_xor_b64 s[2:3], s[94:95], -1
	;; [unrolled: 1-line block ×3, first 2 shown]
	s_mov_b64 s[0:1], 0
	s_and_saveexec_b64 s[8:9], s[2:3]
	s_xor_b64 s[2:3], exec, s[8:9]
	s_cbranch_execnz .LBB132_290
; %bb.286:
	s_andn2_saveexec_b64 s[2:3], s[2:3]
	s_cbranch_execnz .LBB132_303
.LBB132_287:
	s_or_b64 exec, exec, s[2:3]
	s_and_saveexec_b64 s[2:3], s[0:1]
.LBB132_288:
	; divergent unreachable
.LBB132_289:
	s_endpgm
.LBB132_290:
	s_and_saveexec_b64 s[0:1], s[4:5]
	s_xor_b64 s[4:5], exec, s[0:1]
	s_cbranch_execz .LBB132_301
; %bb.291:
	s_and_saveexec_b64 s[0:1], s[6:7]
	s_xor_b64 s[0:1], exec, s[0:1]
; %bb.292:
	v_and_b32_e32 v3, 0x8000, v2
	v_mov_b32_e32 v4, 0x8000
	v_mov_b32_e32 v5, 0xffff
	v_cmp_eq_u32_e32 vcc, 0, v3
	v_cndmask_b32_e32 v3, v4, v5, vcc
	v_xor_b32_e32 v42, v3, v2
; %bb.293:
	s_or_b64 exec, exec, s[0:1]
	v_readlane_b32 s0, v52, 8
	v_readlane_b32 s8, v52, 4
	;; [unrolled: 1-line block ×3, first 2 shown]
	s_mov_b32 s6, s0
	v_readlane_b32 s9, v52, 5
	s_mul_i32 s0, s9, s0
	s_mul_hi_u32 s1, s8, s6
	s_add_i32 s1, s1, s0
	s_mul_i32 s0, s8, s6
	s_lshl_b64 s[0:1], s[0:1], 1
	v_readlane_b32 s6, v52, 6
	v_readlane_b32 s7, v52, 7
	s_add_u32 s0, s6, s0
	s_addc_u32 s1, s7, s1
	v_mov_b32_e32 v2, 0
	global_store_short v2, v42, s[0:1]
	s_mov_b64 s[6:7], exec
	v_readlane_b32 s0, v52, 10
	v_readlane_b32 s1, v52, 11
	s_and_b64 s[0:1], s[6:7], s[0:1]
	s_mov_b64 exec, s[0:1]
	s_cbranch_execz .LBB132_300
; %bb.294:
	v_cmp_u_f16_e32 vcc, v42, v42
	s_mov_b64 s[8:9], 0
	s_xor_b64 s[12:13], vcc, -1
                                        ; implicit-def: $sgpr10_sgpr11
                                        ; implicit-def: $sgpr16_sgpr17
                                        ; implicit-def: $sgpr14_sgpr15
	s_branch .LBB132_296
.LBB132_295:                            ;   in Loop: Header=BB132_296 Depth=1
	s_or_b64 exec, exec, s[0:1]
	s_and_b64 s[0:1], exec, s[16:17]
	s_or_b64 s[8:9], s[0:1], s[8:9]
	s_andn2_b64 s[0:1], s[10:11], exec
	s_and_b64 s[10:11], s[14:15], exec
	s_or_b64 s[10:11], s[0:1], s[10:11]
	s_andn2_b64 exec, exec, s[8:9]
	s_cbranch_execz .LBB132_298
.LBB132_296:                            ; =>This Inner Loop Header: Depth=1
	global_load_ushort v4, v[10:11], off
	v_pk_mov_b32 v[2:3], v[0:1], v[0:1] op_sel:[0,1]
	s_or_b64 s[14:15], s[14:15], exec
	s_or_b64 s[16:17], s[16:17], exec
                                        ; implicit-def: $vgpr0_vgpr1
	s_waitcnt vmcnt(0)
	v_cmp_o_f16_e64 s[0:1], v4, v4
	v_cmp_neq_f16_e32 vcc, v4, v42
	s_or_b64 s[0:1], s[12:13], s[0:1]
	s_and_b64 s[18:19], vcc, s[0:1]
	s_and_saveexec_b64 s[0:1], s[18:19]
	s_cbranch_execz .LBB132_295
; %bb.297:                              ;   in Loop: Header=BB132_296 Depth=1
	v_mov_b32_e32 v1, s88
	v_add_co_u32_e32 v0, vcc, s33, v2
	v_addc_co_u32_e32 v1, vcc, v3, v1, vcc
	v_mov_b32_e32 v4, s67
	v_add_co_u32_e32 v10, vcc, s66, v10
	v_addc_co_u32_e32 v11, vcc, v11, v4, vcc
	v_cmp_le_u64_e32 vcc, s[52:53], v[0:1]
	s_andn2_b64 s[16:17], s[16:17], exec
	s_and_b64 s[18:19], vcc, exec
	s_andn2_b64 s[14:15], s[14:15], exec
	s_or_b64 s[16:17], s[16:17], s[18:19]
	s_branch .LBB132_295
.LBB132_298:
	s_or_b64 exec, exec, s[8:9]
	s_and_saveexec_b64 s[0:1], s[10:11]
	s_xor_b64 s[0:1], exec, s[0:1]
	s_cbranch_execz .LBB132_300
; %bb.299:
	v_readlane_b32 s0, v52, 8
	v_readlane_b32 s10, v52, 0
	;; [unrolled: 1-line block ×3, first 2 shown]
	s_mov_b32 s8, s0
	v_readlane_b32 s11, v52, 1
	s_mul_i32 s0, s11, s0
	s_mul_hi_u32 s1, s10, s8
	s_add_i32 s1, s1, s0
	s_mul_i32 s0, s10, s8
	s_lshl_b64 s[0:1], s[0:1], 3
	v_readlane_b32 s8, v52, 2
	v_readlane_b32 s9, v52, 3
	s_add_u32 s0, s8, s0
	s_addc_u32 s1, s9, s1
	v_mov_b32_e32 v0, 0
	global_store_dwordx2 v0, v[2:3], s[0:1]
.LBB132_300:
	s_or_b64 exec, exec, s[6:7]
.LBB132_301:
	s_or_saveexec_b64 s[0:1], s[4:5]
	s_mov_b64 s[4:5], 0
	s_xor_b64 exec, exec, s[0:1]
	s_cbranch_execnz .LBB132_304
.LBB132_302:
	s_or_b64 exec, exec, s[0:1]
	s_and_b64 s[0:1], s[4:5], exec
	s_andn2_saveexec_b64 s[2:3], s[2:3]
	s_cbranch_execz .LBB132_287
.LBB132_303:
	s_or_b64 s[0:1], s[0:1], exec
	s_trap 2
	s_or_b64 exec, exec, s[2:3]
	s_and_saveexec_b64 s[2:3], s[0:1]
	s_cbranch_execnz .LBB132_288
	s_branch .LBB132_289
.LBB132_304:
	s_mov_b64 s[4:5], exec
	s_trap 2
	s_branch .LBB132_302
	.section	.rodata,"a",@progbits
	.p2align	6, 0x0
	.amdhsa_kernel _ZN2at6native12_GLOBAL__N_112gatherMedianIN3c104HalfEmLi1EEEvNS_4cuda6detail10TensorInfoIT_T0_EENS7_IlS9_EENS7_IKS8_S9_EES9_S9_S9_b
		.amdhsa_group_segment_fixed_size 5152
		.amdhsa_private_segment_fixed_size 0
		.amdhsa_kernarg_size 1536
		.amdhsa_user_sgpr_count 6
		.amdhsa_user_sgpr_private_segment_buffer 1
		.amdhsa_user_sgpr_dispatch_ptr 0
		.amdhsa_user_sgpr_queue_ptr 0
		.amdhsa_user_sgpr_kernarg_segment_ptr 1
		.amdhsa_user_sgpr_dispatch_id 0
		.amdhsa_user_sgpr_flat_scratch_init 0
		.amdhsa_user_sgpr_kernarg_preload_length 0
		.amdhsa_user_sgpr_kernarg_preload_offset 0
		.amdhsa_user_sgpr_private_segment_size 0
		.amdhsa_uses_dynamic_stack 0
		.amdhsa_system_sgpr_private_segment_wavefront_offset 0
		.amdhsa_system_sgpr_workgroup_id_x 1
		.amdhsa_system_sgpr_workgroup_id_y 1
		.amdhsa_system_sgpr_workgroup_id_z 1
		.amdhsa_system_sgpr_workgroup_info 0
		.amdhsa_system_vgpr_workitem_id 0
		.amdhsa_next_free_vgpr 53
		.amdhsa_next_free_sgpr 96
		.amdhsa_accum_offset 56
		.amdhsa_reserve_vcc 1
		.amdhsa_reserve_flat_scratch 0
		.amdhsa_float_round_mode_32 0
		.amdhsa_float_round_mode_16_64 0
		.amdhsa_float_denorm_mode_32 3
		.amdhsa_float_denorm_mode_16_64 3
		.amdhsa_dx10_clamp 1
		.amdhsa_ieee_mode 1
		.amdhsa_fp16_overflow 0
		.amdhsa_tg_split 0
		.amdhsa_exception_fp_ieee_invalid_op 0
		.amdhsa_exception_fp_denorm_src 0
		.amdhsa_exception_fp_ieee_div_zero 0
		.amdhsa_exception_fp_ieee_overflow 0
		.amdhsa_exception_fp_ieee_underflow 0
		.amdhsa_exception_fp_ieee_inexact 0
		.amdhsa_exception_int_div_zero 0
	.end_amdhsa_kernel
	.section	.text._ZN2at6native12_GLOBAL__N_112gatherMedianIN3c104HalfEmLi1EEEvNS_4cuda6detail10TensorInfoIT_T0_EENS7_IlS9_EENS7_IKS8_S9_EES9_S9_S9_b,"axG",@progbits,_ZN2at6native12_GLOBAL__N_112gatherMedianIN3c104HalfEmLi1EEEvNS_4cuda6detail10TensorInfoIT_T0_EENS7_IlS9_EENS7_IKS8_S9_EES9_S9_S9_b,comdat
.Lfunc_end132:
	.size	_ZN2at6native12_GLOBAL__N_112gatherMedianIN3c104HalfEmLi1EEEvNS_4cuda6detail10TensorInfoIT_T0_EENS7_IlS9_EENS7_IKS8_S9_EES9_S9_S9_b, .Lfunc_end132-_ZN2at6native12_GLOBAL__N_112gatherMedianIN3c104HalfEmLi1EEEvNS_4cuda6detail10TensorInfoIT_T0_EENS7_IlS9_EENS7_IKS8_S9_EES9_S9_S9_b
                                        ; -- End function
	.section	.AMDGPU.csdata,"",@progbits
; Kernel info:
; codeLenInByte = 16320
; NumSgprs: 100
; NumVgprs: 53
; NumAgprs: 0
; TotalNumVgprs: 53
; ScratchSize: 0
; MemoryBound: 0
; FloatMode: 240
; IeeeMode: 1
; LDSByteSize: 5152 bytes/workgroup (compile time only)
; SGPRBlocks: 12
; VGPRBlocks: 6
; NumSGPRsForWavesPerEU: 100
; NumVGPRsForWavesPerEU: 53
; AccumOffset: 56
; Occupancy: 8
; WaveLimiterHint : 1
; COMPUTE_PGM_RSRC2:SCRATCH_EN: 0
; COMPUTE_PGM_RSRC2:USER_SGPR: 6
; COMPUTE_PGM_RSRC2:TRAP_HANDLER: 0
; COMPUTE_PGM_RSRC2:TGID_X_EN: 1
; COMPUTE_PGM_RSRC2:TGID_Y_EN: 1
; COMPUTE_PGM_RSRC2:TGID_Z_EN: 1
; COMPUTE_PGM_RSRC2:TIDIG_COMP_CNT: 0
; COMPUTE_PGM_RSRC3_GFX90A:ACCUM_OFFSET: 13
; COMPUTE_PGM_RSRC3_GFX90A:TG_SPLIT: 0
	.section	.text._ZN2at6native12_GLOBAL__N_112gatherMedianIN3c104HalfEmLi2EEEvNS_4cuda6detail10TensorInfoIT_T0_EENS7_IlS9_EENS7_IKS8_S9_EES9_S9_S9_b,"axG",@progbits,_ZN2at6native12_GLOBAL__N_112gatherMedianIN3c104HalfEmLi2EEEvNS_4cuda6detail10TensorInfoIT_T0_EENS7_IlS9_EENS7_IKS8_S9_EES9_S9_S9_b,comdat
	.globl	_ZN2at6native12_GLOBAL__N_112gatherMedianIN3c104HalfEmLi2EEEvNS_4cuda6detail10TensorInfoIT_T0_EENS7_IlS9_EENS7_IKS8_S9_EES9_S9_S9_b ; -- Begin function _ZN2at6native12_GLOBAL__N_112gatherMedianIN3c104HalfEmLi2EEEvNS_4cuda6detail10TensorInfoIT_T0_EENS7_IlS9_EENS7_IKS8_S9_EES9_S9_S9_b
	.p2align	8
	.type	_ZN2at6native12_GLOBAL__N_112gatherMedianIN3c104HalfEmLi2EEEvNS_4cuda6detail10TensorInfoIT_T0_EENS7_IlS9_EENS7_IKS8_S9_EES9_S9_S9_b,@function
_ZN2at6native12_GLOBAL__N_112gatherMedianIN3c104HalfEmLi2EEEvNS_4cuda6detail10TensorInfoIT_T0_EENS7_IlS9_EENS7_IKS8_S9_EES9_S9_S9_b: ; @_ZN2at6native12_GLOBAL__N_112gatherMedianIN3c104HalfEmLi2EEEvNS_4cuda6detail10TensorInfoIT_T0_EENS7_IlS9_EENS7_IKS8_S9_EES9_S9_S9_b
; %bb.0:
	s_load_dwordx4 s[52:55], s[4:5], 0x4e0
	s_load_dwordx2 s[10:11], s[4:5], 0x500
	s_add_u32 s12, s4, 0x500
	s_addc_u32 s13, s5, 0
	s_mov_b32 s19, 0
	s_waitcnt lgkmcnt(0)
	v_mov_b32_e32 v2, s54
	s_mul_i32 s0, s11, s8
	s_add_i32 s0, s0, s7
	s_mul_i32 s0, s0, s10
	v_mov_b32_e32 v3, s55
	s_add_i32 s18, s0, s6
	v_cmp_ge_u64_e32 vcc, s[18:19], v[2:3]
	s_cbranch_vccnz .LBB133_295
; %bb.1:
	s_load_dwordx2 s[20:21], s[4:5], 0x10
	s_load_dwordx2 s[68:69], s[4:5], 0x4f0
	;; [unrolled: 1-line block ×4, first 2 shown]
                                        ; implicit-def: $vgpr44 : SGPR spill to VGPR lane
	s_mov_b64 s[22:23], 0
	s_waitcnt lgkmcnt(0)
	v_pk_mov_b32 v[2:3], s[20:21], s[20:21] op_sel:[0,1]
	v_cmp_lt_u64_e32 vcc, s[18:19], v[2:3]
	s_and_b64 vcc, exec, vcc
	v_writelane_b32 v44, s0, 0
	v_writelane_b32 v44, s1, 1
	s_mov_b64 s[0:1], 0
	v_writelane_b32 v44, s0, 2
	v_writelane_b32 v44, s1, 3
	s_cbranch_vccnz .LBB133_3
; %bb.2:
	v_cvt_f32_u32_e32 v1, s20
	s_sub_i32 s0, 0, s20
	v_rcp_iflag_f32_e32 v1, v1
	v_mul_f32_e32 v1, 0x4f7ffffe, v1
	v_cvt_u32_f32_e32 v1, v1
	v_readfirstlane_b32 s1, v1
	s_mul_i32 s0, s0, s1
	s_mul_hi_u32 s0, s1, s0
	s_add_i32 s1, s1, s0
	s_mul_hi_u32 s0, s18, s1
	s_mul_i32 s2, s0, s20
	s_sub_i32 s2, s18, s2
	s_add_i32 s1, s0, 1
	s_sub_i32 s3, s2, s20
	s_cmp_ge_u32 s2, s20
	s_cselect_b32 s0, s1, s0
	s_cselect_b32 s2, s3, s2
	s_add_i32 s1, s0, 1
	s_cmp_ge_u32 s2, s20
	s_cselect_b32 s22, s1, s0
.LBB133_3:
	s_load_dwordx2 s[14:15], s[4:5], 0x340
	s_load_dwordx2 s[0:1], s[4:5], 0x1b0
	s_waitcnt lgkmcnt(0)
	v_pk_mov_b32 v[2:3], s[0:1], s[0:1] op_sel:[0,1]
	v_cmp_lt_u64_e32 vcc, s[18:19], v[2:3]
	s_cbranch_vccnz .LBB133_5
; %bb.4:
	s_load_dwordx2 s[16:17], s[4:5], 0x1b0
	s_waitcnt lgkmcnt(0)
	v_cvt_f32_u32_e32 v1, s16
	s_sub_i32 s0, 0, s16
	v_rcp_iflag_f32_e32 v1, v1
	v_mul_f32_e32 v1, 0x4f7ffffe, v1
	v_cvt_u32_f32_e32 v1, v1
	v_readfirstlane_b32 s1, v1
	s_mul_i32 s0, s0, s1
	s_mul_hi_u32 s0, s1, s0
	s_add_i32 s1, s1, s0
	s_mul_hi_u32 s0, s18, s1
	s_mul_i32 s2, s0, s16
	s_sub_i32 s2, s18, s2
	s_add_i32 s1, s0, 1
	s_sub_i32 s3, s2, s16
	s_cmp_ge_u32 s2, s16
	s_cselect_b32 s0, s1, s0
	s_cselect_b32 s2, s3, s2
	s_add_i32 s1, s0, 1
	s_cmp_ge_u32 s2, s16
	s_cselect_b32 s0, s1, s0
	v_writelane_b32 v44, s0, 2
	v_writelane_b32 v44, s1, 3
.LBB133_5:
	s_load_dwordx4 s[0:3], s[4:5], 0x410
	v_writelane_b32 v44, s22, 4
	v_pk_mov_b32 v[2:3], s[8:9], s[8:9] op_sel:[0,1]
	v_writelane_b32 v44, s23, 5
	v_cmp_lt_u64_e32 vcc, s[18:19], v[2:3]
	v_writelane_b32 v44, s20, 6
	s_mov_b64 s[16:17], 0
	v_writelane_b32 v44, s21, 7
	s_cbranch_vccnz .LBB133_7
; %bb.6:
	v_cvt_f32_u32_e32 v1, s8
	s_sub_i32 s7, 0, s8
	v_rcp_iflag_f32_e32 v1, v1
	v_mul_f32_e32 v1, 0x4f7ffffe, v1
	v_cvt_u32_f32_e32 v1, v1
	v_readfirstlane_b32 s11, v1
	s_mul_i32 s7, s7, s11
	s_mul_hi_u32 s7, s11, s7
	s_add_i32 s11, s11, s7
	s_mul_hi_u32 s7, s18, s11
	s_mul_i32 s16, s7, s8
	s_sub_i32 s16, s18, s16
	s_add_i32 s11, s7, 1
	s_sub_i32 s17, s16, s8
	s_cmp_ge_u32 s16, s8
	s_cselect_b32 s7, s11, s7
	s_cselect_b32 s16, s17, s16
	s_add_i32 s11, s7, 1
	s_cmp_ge_u32 s16, s8
	s_cselect_b32 s16, s11, s7
.LBB133_7:
	s_load_dwordx2 s[20:21], s[4:5], 0x1a0
	s_mul_i32 s7, s16, s9
	s_mul_hi_u32 s9, s16, s8
	s_add_i32 s9, s9, s7
	s_mul_i32 s7, s16, s8
	s_waitcnt lgkmcnt(0)
	v_writelane_b32 v44, s20, 8
	v_writelane_b32 v44, s21, 9
	s_load_dwordx2 s[20:21], s[4:5], 0x0
	s_mov_b32 s8, s18
	s_sub_u32 s7, s18, s7
	s_mul_i32 s3, s7, s3
	s_mul_i32 s1, s16, s1
	s_waitcnt lgkmcnt(0)
	v_writelane_b32 v44, s20, 10
	v_writelane_b32 v44, s21, 11
	;; [unrolled: 1-line block ×4, first 2 shown]
	s_subb_u32 s8, 0, s9
	s_mul_hi_u32 s9, s7, s2
	s_mul_i32 s8, s8, s2
	s_mul_i32 s2, s7, s2
	s_mul_hi_u32 s7, s16, s0
	s_add_i32 s3, s9, s3
	s_add_i32 s1, s7, s1
	s_mul_i32 s0, s16, s0
	s_add_i32 s3, s3, s8
	s_lshl_b64 s[0:1], s[0:1], 1
	s_add_u32 s7, s14, s0
	s_addc_u32 s8, s15, s1
	s_lshl_b64 s[0:1], s[2:3], 1
	s_add_u32 s33, s7, s0
	s_addc_u32 s55, s8, s1
	v_mov_b32_e32 v1, 0
	v_pk_mov_b32 v[2:3], 0, 0
	v_cmp_gt_u64_e64 s[0:1], s[52:53], v[0:1]
	s_mov_b64 s[2:3], exec
	v_writelane_b32 v44, s0, 14
	v_writelane_b32 v44, s1, 15
	s_and_b64 s[0:1], s[2:3], s[0:1]
	s_mov_b64 exec, s[0:1]
	s_cbranch_execz .LBB133_11
; %bb.8:
	s_load_dword s0, s[12:13], 0xc
	s_mov_b32 s1, 0
	s_mov_b64 s[8:9], 0
	v_pk_mov_b32 v[2:3], 0, 0
	v_mov_b32_e32 v6, s55
	s_waitcnt lgkmcnt(0)
	s_and_b32 s0, s0, 0xffff
	v_mov_b32_e32 v7, s1
	v_pk_mov_b32 v[4:5], v[0:1], v[0:1] op_sel:[0,1]
.LBB133_9:                              ; =>This Inner Loop Header: Depth=1
	v_mul_lo_u32 v10, v5, s68
	v_mul_lo_u32 v11, v4, s69
	v_mad_u64_u32 v[8:9], s[14:15], v4, s68, 0
	v_add3_u32 v9, v9, v11, v10
	v_lshlrev_b64 v[8:9], 1, v[8:9]
	v_add_co_u32_e32 v8, vcc, s33, v8
	v_addc_co_u32_e32 v9, vcc, v6, v9, vcc
	global_load_ushort v8, v[8:9], off
	v_add_co_u32_e32 v4, vcc, s0, v4
	v_addc_co_u32_e32 v5, vcc, v5, v7, vcc
	v_cmp_le_u64_e32 vcc, s[52:53], v[4:5]
	s_or_b64 s[8:9], vcc, s[8:9]
	s_waitcnt vmcnt(0)
	v_cmp_u_f16_e32 vcc, v8, v8
	v_cndmask_b32_e64 v8, 0, 1, vcc
	v_add_co_u32_e32 v2, vcc, v2, v8
	v_addc_co_u32_e32 v3, vcc, 0, v3, vcc
	s_andn2_b64 exec, exec, s[8:9]
	s_cbranch_execnz .LBB133_9
; %bb.10:
	s_or_b64 exec, exec, s[8:9]
.LBB133_11:
	s_or_b64 exec, exec, s[2:3]
	s_load_dwordx4 s[0:3], s[4:5], 0x270
	s_waitcnt lgkmcnt(0)
	v_writelane_b32 v44, s0, 18
	v_writelane_b32 v44, s1, 19
	;; [unrolled: 1-line block ×4, first 2 shown]
	s_load_dwordx4 s[0:3], s[4:5], 0xd0
	s_waitcnt lgkmcnt(0)
	v_writelane_b32 v44, s0, 22
	v_writelane_b32 v44, s1, 23
	;; [unrolled: 1-line block ×4, first 2 shown]
	v_cmp_eq_u32_e64 s[0:1], 0, v0
	s_mov_b64 s[8:9], exec
	v_writelane_b32 v44, s0, 16
	v_writelane_b32 v44, s1, 17
	s_and_b64 s[0:1], s[8:9], s[0:1]
	s_mov_b64 exec, s[0:1]
	s_cbranch_execz .LBB133_13
; %bb.12:
	v_mov_b32_e32 v4, 0
	v_mov_b32_e32 v5, v4
	ds_write_b64 v4, v[4:5] offset:5136
.LBB133_13:
	s_or_b64 exec, exec, s[8:9]
	s_mov_b64 s[14:15], 0
	v_cmp_ne_u64_e32 vcc, 0, v[2:3]
	s_waitcnt lgkmcnt(0)
	s_barrier
	s_and_saveexec_b64 s[8:9], vcc
	s_cbranch_execz .LBB133_18
; %bb.14:
	s_mov_b64 s[16:17], exec
.LBB133_15:                             ; =>This Inner Loop Header: Depth=1
	s_ff1_i32_b64 s0, s[16:17]
	v_readlane_b32 s2, v2, s0
	v_readlane_b32 s1, v3, s0
	s_add_u32 s14, s14, s2
	s_addc_u32 s15, s15, s1
	s_lshl_b64 s[0:1], 1, s0
	s_andn2_b64 s[16:17], s[16:17], s[0:1]
	s_cmp_lg_u64 s[16:17], 0
	s_cbranch_scc1 .LBB133_15
; %bb.16:
	v_mbcnt_lo_u32_b32 v2, exec_lo, 0
	v_mbcnt_hi_u32_b32 v2, exec_hi, v2
	v_cmp_eq_u32_e32 vcc, 0, v2
	s_and_saveexec_b64 s[0:1], vcc
	s_xor_b64 s[0:1], exec, s[0:1]
	s_cbranch_execz .LBB133_18
; %bb.17:
	v_mov_b32_e32 v4, 0
	v_pk_mov_b32 v[2:3], s[14:15], s[14:15] op_sel:[0,1]
	ds_add_u64 v4, v[2:3] offset:5136
.LBB133_18:
	s_or_b64 exec, exec, s[8:9]
	v_mov_b32_e32 v11, 0
	s_waitcnt lgkmcnt(0)
	s_barrier
	ds_read_b64 v[2:3], v11 offset:5136
	s_waitcnt lgkmcnt(0)
	v_readfirstlane_b32 s8, v2
	v_readfirstlane_b32 s9, v3
	s_mov_b64 s[14:15], exec
	v_readlane_b32 s0, v44, 16
	v_readlane_b32 s1, v44, 17
	s_and_b64 s[0:1], s[14:15], s[0:1]
	s_mov_b64 exec, s[0:1]
	s_cbranch_execz .LBB133_20
; %bb.19:
	v_mov_b32_e32 v2, 0
	v_mov_b32_e32 v4, s52
	;; [unrolled: 1-line block ×4, first 2 shown]
	ds_write_b32 v2, v2 offset:5144
	ds_write_b128 v2, v[2:5] offset:5120
.LBB133_20:
	s_or_b64 exec, exec, s[14:15]
	s_load_dword s2, s[4:5], 0x4f8
	v_cmp_lt_i64_e64 s[0:1], s[8:9], 1
	v_mbcnt_lo_u32_b32 v2, -1, 0
	v_mbcnt_hi_u32_b32 v22, -1, v2
	v_mov_b32_e32 v2, 0x600
	s_waitcnt lgkmcnt(0)
	s_bitcmp1_b32 s2, 0
	s_cselect_b64 s[2:3], -1, 0
	s_not_b64 s[4:5], s[8:9]
	s_or_b64 s[0:1], s[2:3], s[0:1]
	s_add_u32 s2, s4, s52
	s_addc_u32 s3, s5, s53
	s_lshr_b64 s[2:3], s[2:3], 1
	s_add_u32 s2, s2, 1
	s_addc_u32 s3, s3, 0
	s_and_b64 s[0:1], s[0:1], exec
	v_cmp_gt_u32_e64 s[0:1], 2, v0
	v_writelane_b32 v44, s0, 26
	v_mov_b32_e32 v3, 0
	v_writelane_b32 v44, s1, 27
	v_cmp_gt_u64_e64 s[0:1], s[52:53], v[2:3]
	v_writelane_b32 v44, s0, 28
	v_writelane_b32 v44, s1, 29
	v_mad_u64_u32 v[2:3], s[0:1], v0, s68, 0
	v_mov_b32_e32 v4, v3
	v_mad_u64_u32 v[4:5], s[0:1], v0, s69, v[4:5]
	s_barrier
	s_load_dword s0, s[12:13], 0xc
	v_cmp_gt_u32_e32 vcc, 64, v0
	v_cmp_gt_i32_e64 s[8:9], 4, v22
	s_cselect_b32 s83, s3, s53
	s_cselect_b32 s82, s2, s52
	s_and_b64 s[74:75], vcc, s[8:9]
	s_waitcnt lgkmcnt(0)
	s_and_b32 s54, s0, 0xffff
	s_bfe_u32 s1, s0, 0xa0006
	v_cmp_gt_u16_e64 s[2:3], s0, 63
	v_writelane_b32 v44, s2, 30
	s_add_u32 s0, s54, -1
	v_writelane_b32 v44, s3, 31
	s_addc_u32 s2, 0, -1
	s_add_u32 s3, s0, s52
	s_addc_u32 s87, s2, s53
	s_cmp_lt_u32 s6, s10
	v_writelane_b32 v44, s0, 32
	s_cselect_b32 s0, 12, 18
	s_add_u32 s88, s12, s0
	v_writelane_b32 v44, s2, 33
	s_addc_u32 s89, s13, 0
	s_add_i32 s0, s1, -1
	s_bfe_u32 s2, s54, 0x30006
	s_cmp_gt_u32 s0, 6
	v_mov_b32_e32 v3, v4
	s_cselect_b64 s[6:7], -1, 0
	v_lshlrev_b64 v[2:3], 1, v[2:3]
	v_writelane_b32 v44, s6, 34
	s_and_b32 s85, s1, 0x3f8
	v_add_co_u32_e32 v14, vcc, s33, v2
	v_lshrrev_b32_e32 v2, 4, v0
	v_writelane_b32 v44, s7, 35
	s_cmp_lg_u32 s2, 0
	v_mov_b32_e32 v25, s55
	v_and_b32_e32 v26, 60, v2
	v_lshlrev_b32_e32 v2, 2, v22
	v_writelane_b32 v44, s2, 36
	s_cselect_b64 s[0:1], -1, 0
	v_addc_co_u32_e32 v15, vcc, v25, v3, vcc
	v_and_b32_e32 v27, 0x100, v2
	v_lshlrev_b64 v[2:3], v22, -1
	v_writelane_b32 v44, s0, 37
	s_mov_b32 s79, 0
	v_lshlrev_b32_e32 v23, 1, v0
	v_not_b32_e32 v16, v2
	v_writelane_b32 v44, s1, 38
	v_mov_b32_e32 v2, 0xc00
	v_mov_b32_e32 v13, 0
	v_cmp_eq_u32_e64 s[4:5], 0, v22
	v_add_u32_e32 v24, 0xc00, v23
	v_lshlrev_b32_e32 v12, 2, v0
	v_not_b32_e32 v17, v3
	s_mov_b32 s84, s79
	v_lshlrev_b32_e32 v28, 3, v0
	v_lshl_or_b32 v29, v22, 3, v2
	s_lshl_b32 s2, s54, 1
	s_mov_b32 s1, 14
	s_mov_b64 s[94:95], 0
	s_movk_i32 s0, 0x3c00
	v_mov_b32_e32 v30, 0xffff
	v_mov_b32_e32 v31, 0x8000
	;; [unrolled: 1-line block ×3, first 2 shown]
	v_mov_b32_e32 v33, -1
	v_mov_b32_e32 v34, 0x5040100
	v_mov_b32_e32 v35, 0
	s_mov_b32 s26, 0
	s_mov_b32 s80, 0
	;; [unrolled: 1-line block ×3, first 2 shown]
	v_writelane_b32 v44, s74, 39
                                        ; implicit-def: $sgpr56_sgpr57
                                        ; implicit-def: $sgpr76_sgpr77
                                        ; implicit-def: $sgpr58_sgpr59
                                        ; implicit-def: $sgpr60_sgpr61
                                        ; implicit-def: $sgpr62_sgpr63
                                        ; implicit-def: $sgpr66_sgpr67
	v_writelane_b32 v44, s75, 40
	s_branch .LBB133_25
.LBB133_21:                             ;   in Loop: Header=BB133_25 Depth=1
	s_xor_b32 s26, s26, 1
	s_add_i32 s14, s1, -2
	s_cmp_eq_u32 s1, 0
	s_mov_b64 s[8:9], 0
	s_cselect_b64 s[10:11], -1, 0
	s_mov_b32 s1, s14
.LBB133_22:                             ;   in Loop: Header=BB133_25 Depth=1
	s_andn2_b64 s[14:15], s[20:21], exec
	s_and_b64 s[8:9], s[8:9], exec
	s_or_b64 s[20:21], s[14:15], s[8:9]
	s_andn2_b64 s[22:23], s[22:23], exec
	s_andn2_b64 s[18:19], s[18:19], exec
	s_orn2_b64 s[14:15], s[10:11], exec
.LBB133_23:                             ;   in Loop: Header=BB133_25 Depth=1
	s_or_b64 exec, exec, s[6:7]
	s_andn2_b64 s[6:7], s[66:67], exec
	s_and_b64 s[8:9], s[20:21], exec
	s_or_b64 s[66:67], s[6:7], s[8:9]
	s_andn2_b64 s[6:7], s[62:63], exec
	s_and_b64 s[8:9], s[22:23], exec
	s_or_b64 s[62:63], s[6:7], s[8:9]
	;; [unrolled: 3-line block ×3, first 2 shown]
	s_orn2_b64 s[18:19], s[14:15], exec
.LBB133_24:                             ;   in Loop: Header=BB133_25 Depth=1
	s_or_b64 exec, exec, s[12:13]
	s_and_b64 s[6:7], exec, s[18:19]
	s_or_b64 s[94:95], s[6:7], s[94:95]
	s_andn2_b64 s[6:7], s[58:59], exec
	s_and_b64 s[8:9], s[66:67], exec
	s_or_b64 s[58:59], s[6:7], s[8:9]
	s_andn2_b64 s[6:7], s[76:77], exec
	s_and_b64 s[8:9], s[62:63], exec
	s_or_b64 s[76:77], s[6:7], s[8:9]
	s_andn2_b64 s[6:7], s[56:57], exec
	s_and_b64 s[8:9], s[60:61], exec
	v_mov_b32_e32 v2, s80
	s_or_b64 s[56:57], s[6:7], s[8:9]
	s_andn2_b64 exec, exec, s[94:95]
	s_cbranch_execz .LBB133_291
.LBB133_25:                             ; =>This Loop Header: Depth=1
                                        ;     Child Loop BB133_30 Depth 2
                                        ;     Child Loop BB133_45 Depth 2
	;; [unrolled: 1-line block ×16, first 2 shown]
	ds_read_b128 v[2:5], v11 offset:5120
	s_waitcnt lgkmcnt(0)
	v_readfirstlane_b32 s65, v3
	v_readfirstlane_b32 s64, v2
	s_cmp_lg_u64 s[64:65], 0
	s_cbranch_scc1 .LBB133_52
; %bb.26:                               ;   in Loop: Header=BB133_25 Depth=1
	v_readlane_b32 s6, v44, 28
	v_readlane_b32 s7, v44, 29
	s_and_b64 vcc, exec, s[6:7]
	s_cbranch_vccz .LBB133_38
; %bb.27:                               ;   in Loop: Header=BB133_25 Depth=1
	s_mov_b64 s[6:7], 0x601
	v_cmp_gt_u64_e32 vcc, s[6:7], v[4:5]
	s_mov_b64 s[64:65], 0
	s_mov_b64 s[6:7], 0
	s_cbranch_vccz .LBB133_39
; %bb.28:                               ;   in Loop: Header=BB133_25 Depth=1
	global_load_ushort v5, v[14:15], off
	global_load_ushort v4, v11, s[88:89]
	s_mov_b64 s[8:9], 0
	v_pk_mov_b32 v[2:3], v[0:1], v[0:1] op_sel:[0,1]
	s_branch .LBB133_30
.LBB133_29:                             ;   in Loop: Header=BB133_30 Depth=2
	s_or_b64 exec, exec, s[6:7]
	s_waitcnt vmcnt(0)
	v_mov_b32_e32 v5, v6
	s_andn2_b64 exec, exec, s[8:9]
	s_cbranch_execz .LBB133_155
.LBB133_30:                             ;   Parent Loop BB133_25 Depth=1
                                        ; =>  This Inner Loop Header: Depth=2
	s_waitcnt vmcnt(0)
	v_add_co_u32_sdwa v2, vcc, v2, v4 dst_sel:DWORD dst_unused:UNUSED_PAD src0_sel:DWORD src1_sel:WORD_0
	v_addc_co_u32_e32 v3, vcc, 0, v3, vcc
	v_cmp_gt_u64_e64 s[6:7], s[52:53], v[2:3]
	v_cmp_le_u64_e32 vcc, s[52:53], v[2:3]
	s_waitcnt lgkmcnt(0)
	v_mov_b32_e32 v7, 0
	v_mov_b32_e32 v6, 0
	s_and_saveexec_b64 s[10:11], s[6:7]
	s_cbranch_execz .LBB133_32
; %bb.31:                               ;   in Loop: Header=BB133_30 Depth=2
	v_mul_lo_u32 v6, v3, s68
	v_mul_lo_u32 v10, v2, s69
	v_mad_u64_u32 v[8:9], s[6:7], v2, s68, 0
	v_add3_u32 v9, v9, v10, v6
	v_lshlrev_b64 v[8:9], 1, v[8:9]
	v_add_co_u32_e64 v8, s[6:7], s33, v8
	v_addc_co_u32_e64 v9, s[6:7], v25, v9, s[6:7]
	global_load_ushort v6, v[8:9], off
.LBB133_32:                             ;   in Loop: Header=BB133_30 Depth=2
	s_or_b64 exec, exec, s[10:11]
	v_cmp_lt_i16_e64 s[6:7], -1, v5
	v_cndmask_b32_e64 v8, v30, v31, s[6:7]
	v_xor_b32_sdwa v8, v8, v5 dst_sel:DWORD dst_unused:UNUSED_PAD src0_sel:DWORD src1_sel:WORD_0
	v_cmp_o_f16_e64 s[6:7], v5, v5
	v_cndmask_b32_e64 v8, v30, v8, s[6:7]
	v_and_b32_e32 v8, s27, v8
	v_cmp_eq_u32_e64 s[10:11], s80, v8
	s_cmp_lg_u64 s[10:11], 0
	s_cselect_b64 s[6:7], -1, 0
	s_and_b64 s[6:7], s[4:5], s[6:7]
	s_and_saveexec_b64 s[12:13], s[6:7]
	s_cbranch_execz .LBB133_36
; %bb.33:                               ;   in Loop: Header=BB133_30 Depth=2
	s_mov_b64 s[16:17], exec
	v_mbcnt_lo_u32_b32 v7, s16, 0
	v_mbcnt_hi_u32_b32 v7, s17, v7
	s_bcnt1_i32_b64 s18, s[10:11]
	v_cmp_eq_u32_e64 s[6:7], 0, v7
                                        ; implicit-def: $vgpr8
	s_and_saveexec_b64 s[14:15], s[6:7]
	s_cbranch_execz .LBB133_35
; %bb.34:                               ;   in Loop: Header=BB133_30 Depth=2
	s_bcnt1_i32_b64 s6, s[16:17]
	s_mul_i32 s6, s18, s6
	v_mov_b32_e32 v8, s6
	ds_add_rtn_u32 v8, v11, v8 offset:5144
.LBB133_35:                             ;   in Loop: Header=BB133_30 Depth=2
	s_or_b64 exec, exec, s[14:15]
	s_waitcnt lgkmcnt(0)
	v_readfirstlane_b32 s6, v8
	v_mov_b32_e32 v8, s6
	v_mad_u32_u24 v7, s18, v7, v8
.LBB133_36:                             ;   in Loop: Header=BB133_30 Depth=2
	s_or_b64 exec, exec, s[12:13]
	ds_bpermute_b32 v7, v27, v7
	s_and_b64 s[6:7], exec, vcc
	s_or_b64 s[8:9], s[6:7], s[8:9]
	s_and_saveexec_b64 s[6:7], s[10:11]
	s_cbranch_execz .LBB133_29
; %bb.37:                               ;   in Loop: Header=BB133_30 Depth=2
	v_and_b32_e32 v9, s10, v16
	v_and_b32_e32 v8, s11, v17
	v_bcnt_u32_b32 v9, v9, 0
	v_bcnt_u32_b32 v8, v8, v9
	v_lshlrev_b32_e32 v8, 1, v8
	s_waitcnt lgkmcnt(0)
	v_lshl_add_u32 v7, v7, 1, v8
	ds_write_b16 v7, v5
	s_branch .LBB133_29
.LBB133_38:                             ;   in Loop: Header=BB133_25 Depth=1
	s_mov_b64 s[64:65], -1
	s_mov_b64 s[6:7], 0
.LBB133_39:                             ;   in Loop: Header=BB133_25 Depth=1
	s_and_b64 vcc, exec, s[64:65]
	s_cbranch_vccz .LBB133_50
.LBB133_40:                             ;   in Loop: Header=BB133_25 Depth=1
	v_mov_b32_e32 v4, 0
	s_mov_b64 s[6:7], exec
	v_readlane_b32 s8, v44, 14
	v_readlane_b32 s9, v44, 15
	s_and_b64 s[8:9], s[6:7], s[8:9]
	s_mov_b64 exec, s[8:9]
	s_cbranch_execz .LBB133_42
; %bb.41:                               ;   in Loop: Header=BB133_25 Depth=1
	global_load_ushort v4, v[14:15], off
.LBB133_42:                             ;   in Loop: Header=BB133_25 Depth=1
	s_or_b64 exec, exec, s[6:7]
	s_mov_b64 s[8:9], exec
	v_readlane_b32 s6, v44, 14
	v_readlane_b32 s7, v44, 15
	s_and_b64 s[6:7], s[8:9], s[6:7]
	s_mov_b64 exec, s[6:7]
	s_cbranch_execz .LBB133_47
; %bb.43:                               ;   in Loop: Header=BB133_25 Depth=1
	global_load_ushort v2, v11, s[88:89]
	s_mov_b64 s[10:11], 0
	v_mov_b32_e32 v5, v23
	s_waitcnt vmcnt(0)
	v_and_b32_e32 v6, 0xffff, v2
	v_lshlrev_b32_e32 v7, 1, v6
	v_pk_mov_b32 v[2:3], v[0:1], v[0:1] op_sel:[0,1]
	s_branch .LBB133_45
.LBB133_44:                             ;   in Loop: Header=BB133_45 Depth=2
	s_or_b64 exec, exec, s[12:13]
	s_and_b64 s[6:7], exec, vcc
	s_or_b64 s[10:11], s[6:7], s[10:11]
	ds_write_b16 v5, v4
	v_add_u32_e32 v5, v5, v7
	s_waitcnt vmcnt(0)
	v_mov_b32_e32 v4, v8
	s_andn2_b64 exec, exec, s[10:11]
	s_cbranch_execz .LBB133_47
.LBB133_45:                             ;   Parent Loop BB133_25 Depth=1
                                        ; =>  This Inner Loop Header: Depth=2
	v_add_co_u32_e32 v2, vcc, v2, v6
	v_addc_co_u32_e32 v3, vcc, 0, v3, vcc
	v_cmp_gt_u64_e64 s[6:7], s[52:53], v[2:3]
	v_cmp_le_u64_e32 vcc, s[52:53], v[2:3]
	v_mov_b32_e32 v8, 0
	s_and_saveexec_b64 s[12:13], s[6:7]
	s_cbranch_execz .LBB133_44
; %bb.46:                               ;   in Loop: Header=BB133_45 Depth=2
	v_mul_lo_u32 v10, v3, s68
	v_mul_lo_u32 v18, v2, s69
	v_mad_u64_u32 v[8:9], s[6:7], v2, s68, 0
	v_add3_u32 v9, v9, v18, v10
	v_lshlrev_b64 v[8:9], 1, v[8:9]
	v_mov_b32_e32 v10, s55
	v_add_co_u32_e64 v8, s[6:7], s33, v8
	v_addc_co_u32_e64 v9, s[6:7], v10, v9, s[6:7]
	global_load_ushort v8, v[8:9], off
	s_branch .LBB133_44
.LBB133_47:                             ;   in Loop: Header=BB133_25 Depth=1
	s_or_b64 exec, exec, s[8:9]
	s_waitcnt lgkmcnt(0)
	s_barrier
	s_mov_b64 s[6:7], exec
	v_readlane_b32 s8, v44, 16
	v_readlane_b32 s9, v44, 17
	s_and_b64 s[8:9], s[6:7], s[8:9]
	s_mov_b64 exec, s[8:9]
	s_cbranch_execz .LBB133_49
; %bb.48:                               ;   in Loop: Header=BB133_25 Depth=1
	v_pk_mov_b32 v[2:3], s[52:53], s[52:53] op_sel:[0,1]
	ds_write_b64 v11, v[2:3] offset:5120
.LBB133_49:                             ;   in Loop: Header=BB133_25 Depth=1
	s_or_b64 exec, exec, s[6:7]
	s_mov_b64 s[6:7], -1
	s_waitcnt lgkmcnt(0)
	s_barrier
                                        ; implicit-def: $sgpr64_sgpr65
.LBB133_50:                             ;   in Loop: Header=BB133_25 Depth=1
	s_and_b64 vcc, exec, s[6:7]
	s_cbranch_vccz .LBB133_52
; %bb.51:                               ;   in Loop: Header=BB133_25 Depth=1
	ds_read_b64 v[2:3], v11 offset:5120
	s_waitcnt lgkmcnt(0)
	v_readfirstlane_b32 s64, v2
.LBB133_52:                             ;   in Loop: Header=BB133_25 Depth=1
	s_cmp_lt_i32 s64, 1
	s_cbranch_scc0 .LBB133_67
; %bb.53:                               ;   in Loop: Header=BB133_25 Depth=1
	global_load_ushort v36, v11, s[88:89]
	s_mov_b32 s6, s79
	s_waitcnt vmcnt(0)
	v_readfirstlane_b32 s7, v36
	s_and_b32 s7, 0xffff, s7
	s_lshl_b32 s65, s7, 2
	s_mov_b32 s7, s53
	s_cmp_lg_u64 s[6:7], 0
	s_cbranch_scc0 .LBB133_87
; %bb.54:                               ;   in Loop: Header=BB133_25 Depth=1
	v_cvt_f32_u32_e32 v2, s65
	s_sub_u32 s6, 0, s65
	s_subb_u32 s7, 0, 0
	v_mac_f32_e32 v2, 0, v32
	v_rcp_f32_e32 v2, v2
	v_mul_f32_e32 v2, 0x5f7ffffc, v2
	v_mul_f32_e32 v3, 0x2f800000, v2
	v_trunc_f32_e32 v3, v3
	v_mac_f32_e32 v2, 0xcf800000, v3
	v_cvt_u32_f32_e32 v3, v3
	v_cvt_u32_f32_e32 v2, v2
	v_readfirstlane_b32 s8, v3
	v_readfirstlane_b32 s9, v2
	s_mul_i32 s10, s6, s8
	s_mul_hi_u32 s12, s6, s9
	s_mul_i32 s11, s7, s9
	s_add_i32 s10, s12, s10
	s_mul_i32 s13, s6, s9
	s_add_i32 s10, s10, s11
	s_mul_hi_u32 s12, s9, s13
	s_mul_hi_u32 s11, s9, s10
	s_mul_i32 s9, s9, s10
	s_add_u32 s9, s12, s9
	s_addc_u32 s11, 0, s11
	s_mul_hi_u32 s14, s8, s13
	s_mul_i32 s13, s8, s13
	s_add_u32 s9, s9, s13
	s_mul_hi_u32 s12, s8, s10
	s_addc_u32 s9, s11, s14
	s_addc_u32 s11, s12, 0
	s_mul_i32 s10, s8, s10
	s_add_u32 s9, s9, s10
	s_addc_u32 s10, 0, s11
	v_add_co_u32_e32 v2, vcc, s9, v2
	s_cmp_lg_u64 vcc, 0
	s_addc_u32 s8, s8, s10
	v_readfirstlane_b32 s10, v2
	s_mul_i32 s9, s6, s8
	s_mul_hi_u32 s11, s6, s10
	s_add_i32 s9, s11, s9
	s_mul_i32 s7, s7, s10
	s_add_i32 s9, s9, s7
	s_mul_i32 s6, s6, s10
	s_mul_hi_u32 s11, s8, s6
	s_mul_i32 s12, s8, s6
	s_mul_i32 s14, s10, s9
	s_mul_hi_u32 s6, s10, s6
	s_mul_hi_u32 s13, s10, s9
	s_add_u32 s6, s6, s14
	s_addc_u32 s10, 0, s13
	s_add_u32 s6, s6, s12
	s_mul_hi_u32 s7, s8, s9
	s_addc_u32 s6, s10, s11
	s_addc_u32 s7, s7, 0
	s_mul_i32 s9, s8, s9
	s_add_u32 s6, s6, s9
	s_addc_u32 s7, 0, s7
	v_add_co_u32_e32 v2, vcc, s6, v2
	s_cmp_lg_u64 vcc, 0
	s_addc_u32 s6, s8, s7
	v_readfirstlane_b32 s9, v2
	s_mul_i32 s8, s52, s6
	s_mul_hi_u32 s10, s52, s9
	s_mul_hi_u32 s7, s52, s6
	s_add_u32 s8, s10, s8
	s_addc_u32 s7, 0, s7
	s_mul_hi_u32 s11, s53, s9
	s_mul_i32 s9, s53, s9
	s_add_u32 s8, s8, s9
	s_mul_hi_u32 s10, s53, s6
	s_addc_u32 s7, s7, s11
	s_addc_u32 s8, s10, 0
	s_mul_i32 s6, s53, s6
	s_add_u32 s6, s7, s6
	s_addc_u32 s7, 0, s8
	s_mul_hi_u32 s8, s65, s6
	s_mul_i32 s6, s65, s6
	s_mul_i32 s7, s65, s7
	v_mov_b32_e32 v2, s6
	s_add_i32 s8, s8, s7
	v_sub_co_u32_e32 v2, vcc, s52, v2
	s_cmp_lg_u64 vcc, 0
	s_subb_u32 s6, s53, s8
	v_subrev_co_u32_e32 v3, vcc, s65, v2
	s_cmp_lg_u64 vcc, 0
	s_subb_u32 s7, s6, 0
	v_subrev_co_u32_e32 v4, vcc, s65, v3
	s_cmp_lg_u64 vcc, 0
	s_subb_u32 s8, s7, 0
	v_cmp_le_u32_e32 vcc, s65, v3
	s_cmp_eq_u32 s7, 0
	v_cndmask_b32_e64 v5, 0, -1, vcc
	s_cselect_b64 vcc, -1, 0
	v_cndmask_b32_e32 v5, -1, v5, vcc
	v_mov_b32_e32 v6, s7
	v_mov_b32_e32 v7, s8
	v_cmp_ne_u32_e32 vcc, 0, v5
	v_cndmask_b32_e32 v5, v6, v7, vcc
	v_cndmask_b32_e32 v4, v3, v4, vcc
	v_cmp_le_u32_e32 vcc, s65, v2
	s_cmp_eq_u32 s6, 0
	v_cndmask_b32_e64 v3, 0, -1, vcc
	s_cselect_b64 vcc, -1, 0
	v_cndmask_b32_e32 v3, -1, v3, vcc
	v_mov_b32_e32 v6, s6
	v_cmp_ne_u32_e32 vcc, 0, v3
	v_cndmask_b32_e32 v3, v6, v5, vcc
	v_cndmask_b32_e32 v2, v2, v4, vcc
	s_cbranch_execnz .LBB133_56
.LBB133_55:                             ;   in Loop: Header=BB133_25 Depth=1
	v_cvt_f32_u32_e32 v2, s65
	s_sub_i32 s6, 0, s65
	v_rcp_iflag_f32_e32 v2, v2
	v_mul_f32_e32 v2, 0x4f7ffffe, v2
	v_cvt_u32_f32_e32 v2, v2
	v_mul_lo_u32 v3, s6, v2
	v_mul_hi_u32 v3, v2, v3
	v_add_u32_e32 v2, v2, v3
	v_mul_hi_u32 v2, s52, v2
	v_mul_lo_u32 v2, v2, s65
	v_sub_u32_e32 v2, s52, v2
	v_subrev_u32_e32 v3, s65, v2
	v_cmp_le_u32_e32 vcc, s65, v2
	v_cndmask_b32_e32 v2, v2, v3, vcc
	v_subrev_u32_e32 v3, s65, v2
	v_cmp_le_u32_e32 vcc, s65, v2
	v_cndmask_b32_e32 v10, v2, v3, vcc
	v_pk_mov_b32 v[2:3], v[10:11], v[10:11] op_sel:[0,1]
.LBB133_56:                             ;   in Loop: Header=BB133_25 Depth=1
	v_mov_b32_e32 v4, s53
	v_sub_co_u32_e32 v18, vcc, s52, v2
	v_subb_co_u32_e32 v19, vcc, v4, v3, vcc
	v_pk_mov_b32 v[2:3], 0, 0
	v_cmp_gt_u64_e32 vcc, v[18:19], v[12:13]
	s_mov_b64 s[72:73], 0
	v_pk_mov_b32 v[4:5], v[2:3], v[2:3] op_sel:[0,1]
	v_pk_mov_b32 v[6:7], v[2:3], v[2:3] op_sel:[0,1]
	;; [unrolled: 1-line block ×3, first 2 shown]
	s_and_saveexec_b64 s[50:51], vcc
	s_cbranch_execz .LBB133_60
; %bb.57:                               ;   in Loop: Header=BB133_25 Depth=1
	s_and_b32 s78, s1, 0xfe
	s_mov_b64 s[74:75], 0
	s_mov_b64 s[70:71], 0
	;; [unrolled: 1-line block ×4, first 2 shown]
	v_pk_mov_b32 v[20:21], v[12:13], v[12:13] op_sel:[0,1]
.LBB133_58:                             ;   Parent Loop BB133_25 Depth=1
                                        ; =>  This Inner Loop Header: Depth=2
	v_mul_lo_u32 v4, v21, s68
	v_mul_lo_u32 v5, v20, s69
	v_mad_u64_u32 v[2:3], s[6:7], v20, s68, 0
	v_add3_u32 v3, v3, v5, v4
	v_lshlrev_b64 v[2:3], 1, v[2:3]
	v_mov_b32_e32 v6, s55
	v_add_co_u32_e64 v2, s[6:7], s33, v2
	s_lshl_b64 s[8:9], s[68:69], 1
	v_addc_co_u32_e64 v3, s[6:7], v6, v3, s[6:7]
	v_mov_b32_e32 v4, s9
	global_load_ushort v5, v[2:3], off
	v_add_co_u32_e64 v2, s[6:7], s8, v2
	v_addc_co_u32_e64 v3, s[6:7], v3, v4, s[6:7]
	global_load_ushort v6, v[2:3], off
	v_add_co_u32_e64 v2, s[6:7], s8, v2
	v_addc_co_u32_e64 v3, s[6:7], v3, v4, s[6:7]
	;; [unrolled: 3-line block ×3, first 2 shown]
	global_load_ushort v2, v[2:3], off
	v_add_co_u32_e32 v20, vcc, s65, v20
	v_addc_co_u32_e32 v21, vcc, 0, v21, vcc
	v_cmp_ge_u64_e32 vcc, v[20:21], v[18:19]
	s_waitcnt vmcnt(3)
	v_cmp_lt_i16_e64 s[6:7], -1, v5
	v_cndmask_b32_e64 v3, v30, v31, s[6:7]
	v_xor_b32_sdwa v3, v3, v5 dst_sel:DWORD dst_unused:UNUSED_PAD src0_sel:DWORD src1_sel:WORD_0
	s_waitcnt vmcnt(2)
	v_cmp_lt_i16_e64 s[6:7], -1, v6
	v_cndmask_b32_e64 v4, v30, v31, s[6:7]
	v_cmp_o_f16_e64 s[6:7], v5, v5
	v_cndmask_b32_e64 v3, v30, v3, s[6:7]
	v_xor_b32_sdwa v4, v4, v6 dst_sel:DWORD dst_unused:UNUSED_PAD src0_sel:DWORD src1_sel:WORD_0
	s_waitcnt vmcnt(1)
	v_cmp_lt_i16_e64 s[6:7], -1, v7
	v_cndmask_b32_e64 v5, v30, v31, s[6:7]
	v_cmp_o_f16_e64 s[6:7], v6, v6
	v_cndmask_b32_e64 v4, v30, v4, s[6:7]
	v_xor_b32_sdwa v5, v5, v7 dst_sel:DWORD dst_unused:UNUSED_PAD src0_sel:DWORD src1_sel:WORD_0
	s_waitcnt vmcnt(0)
	v_cmp_lt_i16_e64 s[6:7], -1, v2
	v_cndmask_b32_e64 v6, v30, v31, s[6:7]
	v_and_b32_e32 v8, s27, v3
	v_bfe_u32 v3, v3, s78, 2
	v_cmp_o_f16_e64 s[6:7], v7, v7
	v_cndmask_b32_e64 v5, v30, v5, s[6:7]
	v_xor_b32_sdwa v6, v6, v2 dst_sel:DWORD dst_unused:UNUSED_PAD src0_sel:DWORD src1_sel:WORD_0
	v_cmp_eq_u32_e64 s[10:11], s80, v8
	v_cmp_eq_u32_e64 s[6:7], 0, v3
	v_cmp_o_f16_e64 s[12:13], v2, v2
	v_and_b32_e32 v7, s27, v4
	v_bfe_u32 v4, v4, s78, 2
	v_cmp_eq_u32_e64 s[28:29], 1, v3
	v_cmp_eq_u32_e64 s[30:31], 2, v3
	;; [unrolled: 1-line block ×3, first 2 shown]
	v_cndmask_b32_e64 v2, v30, v6, s[12:13]
	v_and_b32_e32 v3, s27, v5
	v_bfe_u32 v5, v5, s78, 2
	s_and_b64 s[6:7], s[10:11], s[6:7]
	v_cmp_eq_u32_e64 s[12:13], s80, v7
	v_cmp_eq_u32_e64 s[22:23], 0, v4
	;; [unrolled: 1-line block ×5, first 2 shown]
	v_cndmask_b32_e64 v4, 0, 1, s[6:7]
	v_cmp_eq_u32_e64 s[18:19], s80, v3
	v_and_b32_e32 v3, s27, v2
	v_bfe_u32 v2, v2, s78, 2
	v_cmp_eq_u32_e64 s[6:7], 0, v5
	s_and_b64 s[8:9], s[12:13], s[22:23]
	v_cmp_eq_u32_e64 s[22:23], s80, v3
	v_cmp_eq_u32_e64 s[44:45], 0, v2
	s_and_b64 s[6:7], s[18:19], s[6:7]
	v_cmp_ne_u32_e64 s[42:43], 0, v4
	v_cndmask_b32_e64 v4, 0, 1, s[8:9]
	v_cmp_eq_u32_e64 s[46:47], 1, v2
	v_cmp_eq_u32_e64 s[48:49], 2, v2
	v_cmp_eq_u32_e64 s[24:25], 3, v2
	v_cndmask_b32_e64 v2, 0, 1, s[6:7]
	s_and_b64 s[8:9], s[22:23], s[44:45]
	v_cmp_ne_u32_e64 s[6:7], 0, v2
	v_cndmask_b32_e64 v2, 0, 1, s[8:9]
	s_bcnt1_i32_b64 s81, s[42:43]
	v_cmp_ne_u32_e64 s[42:43], 0, v4
	s_bcnt1_i32_b64 s8, s[6:7]
	v_cmp_ne_u32_e64 s[6:7], 0, v2
	s_bcnt1_i32_b64 s42, s[42:43]
	s_bcnt1_i32_b64 s6, s[6:7]
	s_add_u32 s7, s81, s92
	s_addc_u32 s9, 0, s93
	s_add_u32 s7, s7, s42
	s_addc_u32 s9, s9, 0
	;; [unrolled: 2-line block ×4, first 2 shown]
	s_and_b64 s[6:7], s[10:11], s[28:29]
	v_cmp_eq_u32_e64 s[38:39], 1, v5
	v_cndmask_b32_e64 v4, 0, 1, s[6:7]
	s_and_b64 s[6:7], s[12:13], s[34:35]
	v_cmp_eq_u32_e64 s[40:41], 2, v5
	v_cmp_eq_u32_e64 s[20:21], 3, v5
	v_cndmask_b32_e64 v5, 0, 1, s[6:7]
	s_and_b64 s[6:7], s[18:19], s[38:39]
	v_cndmask_b32_e64 v6, 0, 1, s[6:7]
	s_and_b64 s[6:7], s[22:23], s[46:47]
	v_cndmask_b32_e64 v7, 0, 1, s[6:7]
	v_cmp_ne_u32_e64 s[6:7], 0, v4
	v_cmp_ne_u32_e64 s[28:29], 0, v5
	;; [unrolled: 1-line block ×4, first 2 shown]
	s_bcnt1_i32_b64 s6, s[6:7]
	s_bcnt1_i32_b64 s7, s[28:29]
	;; [unrolled: 1-line block ×4, first 2 shown]
	s_add_u32 s6, s6, s90
	s_addc_u32 s28, 0, s91
	s_add_u32 s6, s6, s7
	s_addc_u32 s7, s28, 0
	;; [unrolled: 2-line block ×4, first 2 shown]
	s_and_b64 s[6:7], s[10:11], s[30:31]
	v_cndmask_b32_e64 v6, 0, 1, s[6:7]
	s_and_b64 s[6:7], s[12:13], s[36:37]
	v_cndmask_b32_e64 v7, 0, 1, s[6:7]
	;; [unrolled: 2-line block ×4, first 2 shown]
	v_cmp_ne_u32_e64 s[6:7], 0, v6
	v_cmp_ne_u32_e64 s[28:29], 0, v7
	;; [unrolled: 1-line block ×4, first 2 shown]
	s_bcnt1_i32_b64 s6, s[6:7]
	s_bcnt1_i32_b64 s7, s[28:29]
	;; [unrolled: 1-line block ×4, first 2 shown]
	s_add_u32 s6, s6, s70
	s_addc_u32 s28, 0, s71
	s_add_u32 s6, s6, s7
	s_addc_u32 s7, s28, 0
	;; [unrolled: 2-line block ×4, first 2 shown]
	s_and_b64 s[6:7], s[10:11], s[14:15]
	v_cndmask_b32_e64 v8, 0, 1, s[6:7]
	s_and_b64 s[6:7], s[12:13], s[16:17]
	v_cndmask_b32_e64 v9, 0, 1, s[6:7]
	;; [unrolled: 2-line block ×4, first 2 shown]
	v_cmp_ne_u32_e64 s[6:7], 0, v8
	v_cmp_ne_u32_e64 s[10:11], 0, v9
	;; [unrolled: 1-line block ×4, first 2 shown]
	s_bcnt1_i32_b64 s6, s[6:7]
	s_bcnt1_i32_b64 s7, s[10:11]
	;; [unrolled: 1-line block ×4, first 2 shown]
	s_add_u32 s6, s6, s74
	s_addc_u32 s10, 0, s75
	s_add_u32 s6, s6, s7
	s_addc_u32 s7, s10, 0
	;; [unrolled: 2-line block ×4, first 2 shown]
	v_pk_mov_b32 v[2:3], s[92:93], s[92:93] op_sel:[0,1]
	v_pk_mov_b32 v[4:5], s[90:91], s[90:91] op_sel:[0,1]
	;; [unrolled: 1-line block ×3, first 2 shown]
	s_or_b64 s[72:73], vcc, s[72:73]
	v_pk_mov_b32 v[8:9], s[74:75], s[74:75] op_sel:[0,1]
	s_andn2_b64 exec, exec, s[72:73]
	s_cbranch_execnz .LBB133_58
; %bb.59:                               ;   in Loop: Header=BB133_25 Depth=1
	s_or_b64 exec, exec, s[72:73]
	v_readlane_b32 s74, v44, 39
	v_readlane_b32 s75, v44, 40
.LBB133_60:                             ;   in Loop: Header=BB133_25 Depth=1
	s_or_b64 exec, exec, s[50:51]
	v_add_co_u32_e32 v18, vcc, v18, v0
	v_addc_co_u32_e32 v19, vcc, 0, v19, vcc
	v_cmp_gt_u64_e32 vcc, s[52:53], v[18:19]
	v_mov_b32_e32 v10, 0
	s_and_saveexec_b64 s[8:9], vcc
	s_cbranch_execz .LBB133_62
; %bb.61:                               ;   in Loop: Header=BB133_25 Depth=1
	v_mul_lo_u32 v10, v19, s68
	v_mul_lo_u32 v37, v18, s69
	v_mad_u64_u32 v[20:21], s[6:7], v18, s68, 0
	v_add3_u32 v21, v21, v37, v10
	v_lshlrev_b64 v[20:21], 1, v[20:21]
	v_mov_b32_e32 v10, s55
	v_add_co_u32_e64 v20, s[6:7], s33, v20
	v_addc_co_u32_e64 v21, s[6:7], v10, v21, s[6:7]
	global_load_ushort v10, v[20:21], off
.LBB133_62:                             ;   in Loop: Header=BB133_25 Depth=1
	s_or_b64 exec, exec, s[8:9]
	s_and_saveexec_b64 s[8:9], vcc
	s_cbranch_execz .LBB133_69
; %bb.63:                               ;   in Loop: Header=BB133_25 Depth=1
	s_and_b32 s14, s1, 0xfe
	s_mov_b64 s[10:11], 0
	s_branch .LBB133_65
.LBB133_64:                             ;   in Loop: Header=BB133_65 Depth=2
	s_or_b64 exec, exec, s[12:13]
	s_and_b64 s[6:7], exec, vcc
	s_waitcnt vmcnt(0)
	v_cmp_lt_i16_e32 vcc, -1, v10
	v_cndmask_b32_e32 v21, v30, v31, vcc
	v_xor_b32_sdwa v21, v21, v10 dst_sel:DWORD dst_unused:UNUSED_PAD src0_sel:DWORD src1_sel:WORD_0
	v_cmp_o_f16_e32 vcc, v10, v10
	v_cndmask_b32_e32 v10, v30, v21, vcc
	v_and_b32_e32 v21, s27, v10
	v_bfe_u32 v10, v10, s14, 2
	s_or_b64 s[10:11], s[6:7], s[10:11]
	v_cmp_eq_u32_e32 vcc, s80, v21
	v_cmp_eq_u32_e64 s[6:7], 0, v10
	s_and_b64 s[6:7], vcc, s[6:7]
	v_cndmask_b32_e64 v21, 0, 1, s[6:7]
	v_cmp_ne_u32_e64 s[6:7], 0, v21
	s_bcnt1_i32_b64 s6, s[6:7]
	v_add_co_u32_e64 v2, s[6:7], s6, v2
	v_addc_co_u32_e64 v3, s[6:7], 0, v3, s[6:7]
	v_cmp_eq_u32_e64 s[6:7], 1, v10
	s_and_b64 s[6:7], vcc, s[6:7]
	v_cndmask_b32_e64 v21, 0, 1, s[6:7]
	v_cmp_ne_u32_e64 s[6:7], 0, v21
	s_bcnt1_i32_b64 s6, s[6:7]
	v_add_co_u32_e64 v4, s[6:7], s6, v4
	v_addc_co_u32_e64 v5, s[6:7], 0, v5, s[6:7]
	;; [unrolled: 7-line block ×3, first 2 shown]
	v_cmp_eq_u32_e64 s[6:7], 3, v10
	s_and_b64 s[6:7], vcc, s[6:7]
	v_cndmask_b32_e64 v10, 0, 1, s[6:7]
	v_cmp_ne_u32_e32 vcc, 0, v10
	s_bcnt1_i32_b64 s6, vcc
	v_add_co_u32_e32 v8, vcc, s6, v8
	v_addc_co_u32_e32 v9, vcc, 0, v9, vcc
	v_mov_b32_e32 v10, v20
	s_andn2_b64 exec, exec, s[10:11]
	s_cbranch_execz .LBB133_68
.LBB133_65:                             ;   Parent Loop BB133_25 Depth=1
                                        ; =>  This Inner Loop Header: Depth=2
	v_add_co_u32_sdwa v18, vcc, v18, v36 dst_sel:DWORD dst_unused:UNUSED_PAD src0_sel:DWORD src1_sel:WORD_0
	v_addc_co_u32_e32 v19, vcc, 0, v19, vcc
	v_cmp_gt_u64_e64 s[6:7], s[52:53], v[18:19]
	v_cmp_le_u64_e32 vcc, s[52:53], v[18:19]
	v_mov_b32_e32 v20, 0
	s_and_saveexec_b64 s[12:13], s[6:7]
	s_cbranch_execz .LBB133_64
; %bb.66:                               ;   in Loop: Header=BB133_65 Depth=2
	v_mul_lo_u32 v37, v19, s68
	v_mul_lo_u32 v38, v18, s69
	v_mad_u64_u32 v[20:21], s[6:7], v18, s68, 0
	v_add3_u32 v21, v21, v38, v37
	v_lshlrev_b64 v[20:21], 1, v[20:21]
	v_mov_b32_e32 v37, s55
	v_add_co_u32_e64 v20, s[6:7], s33, v20
	v_addc_co_u32_e64 v21, s[6:7], v37, v21, s[6:7]
	global_load_ushort v20, v[20:21], off
	s_branch .LBB133_64
.LBB133_67:                             ;   in Loop: Header=BB133_25 Depth=1
                                        ; implicit-def: $vgpr8_vgpr9
                                        ; implicit-def: $vgpr4_vgpr5
	s_cbranch_execnz .LBB133_70
	s_branch .LBB133_79
.LBB133_68:                             ;   in Loop: Header=BB133_25 Depth=1
	s_or_b64 exec, exec, s[10:11]
.LBB133_69:                             ;   in Loop: Header=BB133_25 Depth=1
	s_or_b64 exec, exec, s[8:9]
	s_branch .LBB133_79
.LBB133_70:                             ;   in Loop: Header=BB133_25 Depth=1
	global_load_ushort v8, v11, s[88:89]
	s_mov_b64 s[70:71], 0
	s_waitcnt vmcnt(0)
	v_readfirstlane_b32 s6, v8
	s_and_b32 s6, 0xffff, s6
	s_lshl_b32 s65, s6, 2
	v_cvt_f32_u32_e32 v2, s65
	s_sub_i32 s6, 0, s65
	v_and_b32_e32 v20, 0xffff, v8
	v_rcp_iflag_f32_e32 v6, v2
	v_pk_mov_b32 v[2:3], 0, 0
	v_pk_mov_b32 v[4:5], v[2:3], v[2:3] op_sel:[0,1]
	v_mul_f32_e32 v6, 0x4f7ffffe, v6
	v_cvt_u32_f32_e32 v9, v6
	v_pk_mov_b32 v[6:7], v[2:3], v[2:3] op_sel:[0,1]
	v_readfirstlane_b32 s7, v9
	s_mul_i32 s6, s6, s7
	s_mul_hi_u32 s6, s7, s6
	s_add_i32 s7, s7, s6
	s_mul_hi_u32 s6, s64, s7
	s_mul_i32 s6, s6, s65
	s_sub_i32 s6, s64, s6
	s_sub_i32 s7, s6, s65
	s_cmp_ge_u32 s6, s65
	s_cselect_b32 s6, s7, s6
	s_sub_i32 s7, s6, s65
	s_cmp_ge_u32 s6, s65
	s_cselect_b32 s6, s7, s6
	s_sub_i32 s78, s64, s6
	v_cmp_gt_u32_e32 vcc, s78, v12
	v_pk_mov_b32 v[8:9], v[2:3], v[2:3] op_sel:[0,1]
	s_and_saveexec_b64 s[72:73], vcc
	s_cbranch_execz .LBB133_74
; %bb.71:                               ;   in Loop: Header=BB133_25 Depth=1
	s_and_b32 s81, s1, 0xfe
	v_lshlrev_b32_e32 v10, 3, v20
	v_mov_b32_e32 v21, v28
	s_mov_b64 s[74:75], 0
	s_mov_b64 s[90:91], 0
	;; [unrolled: 1-line block ×4, first 2 shown]
	v_pk_mov_b32 v[18:19], v[12:13], v[12:13] op_sel:[0,1]
.LBB133_72:                             ;   Parent Loop BB133_25 Depth=1
                                        ; =>  This Inner Loop Header: Depth=2
	ds_read_b64 v[2:3], v21
	v_add_co_u32_e32 v18, vcc, s65, v18
	v_addc_co_u32_e32 v19, vcc, 0, v19, vcc
	s_waitcnt lgkmcnt(0)
	v_cmp_lt_i16_e64 s[6:7], -1, v2
	v_cndmask_b32_e64 v4, v30, v31, s[6:7]
	v_cmp_gt_i16_sdwa s[6:7], v2, v33 src0_sel:WORD_1 src1_sel:DWORD
	v_cndmask_b32_e64 v5, v30, v31, s[6:7]
	v_cmp_lt_i16_e64 s[6:7], -1, v3
	v_cndmask_b32_e64 v6, v30, v31, s[6:7]
	v_cmp_gt_i16_sdwa s[6:7], v3, v33 src0_sel:WORD_1 src1_sel:DWORD
	v_cndmask_b32_e64 v7, v30, v31, s[6:7]
	v_xor_b32_sdwa v6, v6, v3 dst_sel:DWORD dst_unused:UNUSED_PAD src0_sel:DWORD src1_sel:WORD_0
	v_cmp_o_f16_e64 s[10:11], v3, v3
	v_xor_b32_sdwa v7, v7, v3 dst_sel:DWORD dst_unused:UNUSED_PAD src0_sel:DWORD src1_sel:WORD_1
	v_cmp_o_f16_sdwa s[12:13], v3, v3 src0_sel:WORD_1 src1_sel:WORD_1
	v_xor_b32_sdwa v3, v4, v2 dst_sel:DWORD dst_unused:UNUSED_PAD src0_sel:DWORD src1_sel:WORD_0
	v_cmp_o_f16_e64 s[14:15], v2, v2
	v_xor_b32_sdwa v5, v5, v2 dst_sel:DWORD dst_unused:UNUSED_PAD src0_sel:DWORD src1_sel:WORD_1
	v_cmp_o_f16_sdwa s[6:7], v2, v2 src0_sel:WORD_1 src1_sel:WORD_1
	v_cndmask_b32_e64 v2, v30, v3, s[14:15]
	v_cndmask_b32_e64 v3, v30, v5, s[6:7]
	;; [unrolled: 1-line block ×3, first 2 shown]
	v_and_b32_e32 v6, s27, v2
	v_bfe_u32 v2, v2, s81, 2
	v_cndmask_b32_e64 v5, v30, v7, s[12:13]
	v_and_b32_e32 v7, s27, v3
	v_bfe_u32 v3, v3, s81, 2
	v_cmp_eq_u32_e64 s[16:17], s80, v6
	v_cmp_eq_u32_e64 s[6:7], 0, v2
	v_and_b32_e32 v8, s27, v4
	v_bfe_u32 v4, v4, s81, 2
	v_cmp_eq_u32_e64 s[14:15], s80, v7
	v_cmp_eq_u32_e64 s[28:29], 0, v3
	s_and_b64 s[6:7], s[16:17], s[6:7]
	v_and_b32_e32 v9, s27, v5
	v_bfe_u32 v5, v5, s81, 2
	v_cmp_eq_u32_e64 s[12:13], s80, v8
	v_cmp_eq_u32_e64 s[30:31], 0, v4
	;; [unrolled: 1-line block ×5, first 2 shown]
	v_cndmask_b32_e64 v2, 0, 1, s[6:7]
	s_and_b64 s[6:7], s[14:15], s[28:29]
	v_cmp_eq_u32_e64 s[10:11], s80, v9
	v_cmp_eq_u32_e64 s[34:35], 0, v5
	;; [unrolled: 1-line block ×5, first 2 shown]
	v_cndmask_b32_e64 v3, 0, 1, s[6:7]
	s_and_b64 s[6:7], s[12:13], s[30:31]
	v_cmp_eq_u32_e64 s[40:41], 1, v4
	v_cmp_eq_u32_e64 s[48:49], 2, v4
	;; [unrolled: 1-line block ×3, first 2 shown]
	v_cndmask_b32_e64 v4, 0, 1, s[6:7]
	s_and_b64 s[6:7], s[10:11], s[34:35]
	v_cmp_eq_u32_e64 s[42:43], 1, v5
	v_cmp_eq_u32_e64 s[50:51], 2, v5
	;; [unrolled: 1-line block ×3, first 2 shown]
	v_cndmask_b32_e64 v5, 0, 1, s[6:7]
	v_cmp_ne_u32_e64 s[6:7], 0, v2
	v_cmp_ne_u32_e64 s[28:29], 0, v3
	v_cmp_ne_u32_e64 s[30:31], 0, v4
	v_cmp_ne_u32_e64 s[34:35], 0, v5
	s_bcnt1_i32_b64 s6, s[6:7]
	s_bcnt1_i32_b64 s7, s[28:29]
	s_bcnt1_i32_b64 s28, s[30:31]
	s_bcnt1_i32_b64 s29, s[34:35]
	s_add_u32 s6, s6, s8
	s_addc_u32 s8, 0, s9
	s_add_u32 s6, s6, s7
	s_addc_u32 s7, s8, 0
	s_add_u32 s6, s6, s28
	s_addc_u32 s7, s7, 0
	s_add_u32 s8, s6, s29
	s_addc_u32 s9, s7, 0
	s_and_b64 s[6:7], s[16:17], s[36:37]
	v_cndmask_b32_e64 v4, 0, 1, s[6:7]
	s_and_b64 s[6:7], s[14:15], s[38:39]
	v_cndmask_b32_e64 v5, 0, 1, s[6:7]
	s_and_b64 s[6:7], s[12:13], s[40:41]
	v_cndmask_b32_e64 v6, 0, 1, s[6:7]
	s_and_b64 s[6:7], s[10:11], s[42:43]
	v_cndmask_b32_e64 v7, 0, 1, s[6:7]
	v_cmp_ne_u32_e64 s[6:7], 0, v4
	v_cmp_ne_u32_e64 s[28:29], 0, v5
	v_cmp_ne_u32_e64 s[30:31], 0, v6
	v_cmp_ne_u32_e64 s[34:35], 0, v7
	s_bcnt1_i32_b64 s6, s[6:7]
	s_bcnt1_i32_b64 s7, s[28:29]
	s_bcnt1_i32_b64 s28, s[30:31]
	s_bcnt1_i32_b64 s29, s[34:35]
	s_add_u32 s6, s6, s92
	s_addc_u32 s30, 0, s93
	s_add_u32 s6, s6, s7
	s_addc_u32 s7, s30, 0
	s_add_u32 s6, s6, s28
	s_addc_u32 s7, s7, 0
	s_add_u32 s92, s6, s29
	s_addc_u32 s93, s7, 0
	s_and_b64 s[6:7], s[16:17], s[44:45]
	v_cndmask_b32_e64 v6, 0, 1, s[6:7]
	s_and_b64 s[6:7], s[14:15], s[46:47]
	v_cndmask_b32_e64 v7, 0, 1, s[6:7]
	s_and_b64 s[6:7], s[12:13], s[48:49]
	v_cndmask_b32_e64 v8, 0, 1, s[6:7]
	s_and_b64 s[6:7], s[10:11], s[50:51]
	;; [unrolled: 24-line block ×3, first 2 shown]
	v_cndmask_b32_e64 v37, 0, 1, s[6:7]
	v_cmp_ne_u32_e64 s[6:7], 0, v8
	v_cmp_ne_u32_e64 s[10:11], 0, v9
	;; [unrolled: 1-line block ×4, first 2 shown]
	s_bcnt1_i32_b64 s6, s[6:7]
	s_bcnt1_i32_b64 s7, s[10:11]
	;; [unrolled: 1-line block ×4, first 2 shown]
	s_add_u32 s6, s6, s74
	s_addc_u32 s12, 0, s75
	s_add_u32 s6, s6, s7
	s_addc_u32 s7, s12, 0
	;; [unrolled: 2-line block ×3, first 2 shown]
	s_add_u32 s74, s6, s11
	v_cmp_le_u64_e32 vcc, s[78:79], v[18:19]
	s_addc_u32 s75, s7, 0
	v_add_u32_e32 v21, v21, v10
	v_pk_mov_b32 v[2:3], s[8:9], s[8:9] op_sel:[0,1]
	v_pk_mov_b32 v[4:5], s[92:93], s[92:93] op_sel:[0,1]
	;; [unrolled: 1-line block ×3, first 2 shown]
	s_or_b64 s[70:71], vcc, s[70:71]
	v_pk_mov_b32 v[8:9], s[74:75], s[74:75] op_sel:[0,1]
	s_andn2_b64 exec, exec, s[70:71]
	s_cbranch_execnz .LBB133_72
; %bb.73:                               ;   in Loop: Header=BB133_25 Depth=1
	s_or_b64 exec, exec, s[70:71]
	v_readlane_b32 s74, v44, 39
	v_readlane_b32 s75, v44, 40
.LBB133_74:                             ;   in Loop: Header=BB133_25 Depth=1
	s_or_b64 exec, exec, s[72:73]
	v_add_u32_e32 v10, s78, v0
	v_cmp_gt_u32_e32 vcc, s64, v10
	s_and_saveexec_b64 s[8:9], vcc
	s_cbranch_execz .LBB133_78
; %bb.75:                               ;   in Loop: Header=BB133_25 Depth=1
	s_and_b32 s78, s64, 0x7fffffff
	s_and_b32 s20, s1, 0xfe
	v_lshlrev_b32_e32 v21, 1, v10
	v_lshlrev_b32_e32 v36, 1, v20
	s_mov_b64 s[18:19], 0
	v_pk_mov_b32 v[18:19], v[10:11], v[10:11] op_sel:[0,1]
.LBB133_76:                             ;   Parent Loop BB133_25 Depth=1
                                        ; =>  This Inner Loop Header: Depth=2
	ds_read_u16 v10, v21
	v_add_co_u32_e32 v18, vcc, v18, v20
	v_addc_co_u32_e32 v19, vcc, 0, v19, vcc
	s_waitcnt lgkmcnt(0)
	v_cmp_lt_i16_e64 s[6:7], -1, v10
	v_cndmask_b32_e64 v37, v30, v31, s[6:7]
	v_xor_b32_sdwa v37, v37, v10 dst_sel:DWORD dst_unused:UNUSED_PAD src0_sel:DWORD src1_sel:WORD_0
	v_cmp_o_f16_e64 s[6:7], v10, v10
	v_cndmask_b32_e64 v10, v30, v37, s[6:7]
	v_and_b32_e32 v37, s27, v10
	v_bfe_u32 v10, v10, s20, 2
	v_cmp_eq_u32_e64 s[6:7], s80, v37
	v_cmp_eq_u32_e64 s[10:11], 0, v10
	;; [unrolled: 1-line block ×3, first 2 shown]
	s_and_b64 s[10:11], s[6:7], s[10:11]
	v_cmp_eq_u32_e64 s[14:15], 2, v10
	v_cmp_eq_u32_e64 s[16:17], 3, v10
	v_cndmask_b32_e64 v10, 0, 1, s[10:11]
	s_and_b64 s[10:11], s[6:7], s[12:13]
	v_cndmask_b32_e64 v37, 0, 1, s[10:11]
	s_and_b64 s[10:11], s[6:7], s[14:15]
	s_and_b64 s[6:7], s[6:7], s[16:17]
	v_cndmask_b32_e64 v39, 0, 1, s[6:7]
	v_cmp_ne_u32_e64 s[6:7], 0, v10
	s_bcnt1_i32_b64 s6, s[6:7]
	v_cndmask_b32_e64 v38, 0, 1, s[10:11]
	v_cmp_ne_u32_e64 s[10:11], 0, v37
	v_add_co_u32_e64 v2, s[6:7], s6, v2
	s_bcnt1_i32_b64 s10, s[10:11]
	v_addc_co_u32_e64 v3, s[6:7], 0, v3, s[6:7]
	v_cmp_ne_u32_e64 s[12:13], 0, v38
	v_cmp_ne_u32_e64 s[14:15], 0, v39
	v_add_co_u32_e64 v4, s[6:7], s10, v4
	v_cmp_le_u64_e32 vcc, s[78:79], v[18:19]
	s_bcnt1_i32_b64 s11, s[12:13]
	s_bcnt1_i32_b64 s12, s[14:15]
	v_addc_co_u32_e64 v5, s[6:7], 0, v5, s[6:7]
	v_add_co_u32_e64 v6, s[6:7], s11, v6
	s_or_b64 s[18:19], vcc, s[18:19]
	v_add_co_u32_e32 v8, vcc, s12, v8
	v_add_u32_e32 v21, v21, v36
	v_addc_co_u32_e64 v7, s[6:7], 0, v7, s[6:7]
	v_addc_co_u32_e32 v9, vcc, 0, v9, vcc
	s_andn2_b64 exec, exec, s[18:19]
	s_cbranch_execnz .LBB133_76
; %bb.77:                               ;   in Loop: Header=BB133_25 Depth=1
	s_or_b64 exec, exec, s[18:19]
.LBB133_78:                             ;   in Loop: Header=BB133_25 Depth=1
	s_or_b64 exec, exec, s[8:9]
.LBB133_79:                             ;   in Loop: Header=BB133_25 Depth=1
	s_lshl_b32 s8, s26, 6
	s_and_saveexec_b64 s[6:7], s[4:5]
	s_cbranch_execz .LBB133_81
; %bb.80:                               ;   in Loop: Header=BB133_25 Depth=1
	s_waitcnt vmcnt(0)
	v_or_b32_e32 v10, s8, v26
	v_lshlrev_b32_e32 v10, 3, v10
	ds_write_b128 v10, v[2:5] offset:3072
	ds_write_b128 v10, v[6:9] offset:3088
.LBB133_81:                             ;   in Loop: Header=BB133_25 Depth=1
	s_or_b64 exec, exec, s[6:7]
	s_waitcnt lgkmcnt(0)
	s_barrier
	s_and_saveexec_b64 s[6:7], s[74:75]
	s_cbranch_execz .LBB133_93
; %bb.82:                               ;   in Loop: Header=BB133_25 Depth=1
	v_readlane_b32 s10, v44, 30
	v_readlane_b32 s11, v44, 31
	s_andn2_b64 vcc, exec, s[10:11]
	v_pk_mov_b32 v[2:3], 0, 0
	s_cbranch_vccnz .LBB133_92
; %bb.83:                               ;   in Loop: Header=BB133_25 Depth=1
	v_readlane_b32 s10, v44, 34
	v_readlane_b32 s11, v44, 35
	s_andn2_b64 vcc, exec, s[10:11]
	s_cbranch_vccnz .LBB133_88
; %bb.84:                               ;   in Loop: Header=BB133_25 Depth=1
	s_waitcnt vmcnt(0)
	v_lshl_add_u32 v4, s26, 9, v29
	s_mov_b32 s9, 0
	v_pk_mov_b32 v[2:3], 0, 0
.LBB133_85:                             ;   Parent Loop BB133_25 Depth=1
                                        ; =>  This Inner Loop Header: Depth=2
	ds_read2_b64 v[6:9], v4 offset1:4
	ds_read2_b64 v[18:21], v4 offset0:8 offset1:12
	ds_read2_b64 v[36:39], v4 offset0:16 offset1:20
	ds_read2_b64 v[40:43], v4 offset0:24 offset1:28
	s_add_i32 s9, s9, 8
	s_waitcnt lgkmcnt(3)
	v_add_co_u32_e32 v2, vcc, v6, v2
	v_addc_co_u32_e32 v3, vcc, v7, v3, vcc
	v_add_co_u32_e32 v2, vcc, v8, v2
	v_addc_co_u32_e32 v3, vcc, v9, v3, vcc
	s_waitcnt lgkmcnt(2)
	v_add_co_u32_e32 v2, vcc, v18, v2
	v_addc_co_u32_e32 v3, vcc, v19, v3, vcc
	v_add_co_u32_e32 v2, vcc, v20, v2
	v_addc_co_u32_e32 v3, vcc, v21, v3, vcc
	s_waitcnt lgkmcnt(1)
	v_add_co_u32_e32 v2, vcc, v36, v2
	v_addc_co_u32_e32 v3, vcc, v37, v3, vcc
	v_add_co_u32_e32 v2, vcc, v38, v2
	v_addc_co_u32_e32 v3, vcc, v39, v3, vcc
	s_waitcnt lgkmcnt(0)
	v_add_co_u32_e32 v2, vcc, v40, v2
	v_addc_co_u32_e32 v3, vcc, v41, v3, vcc
	v_add_co_u32_e32 v2, vcc, v42, v2
	v_add_u32_e32 v4, 0x100, v4
	s_cmp_eq_u32 s85, s9
	v_addc_co_u32_e32 v3, vcc, v43, v3, vcc
	s_cbranch_scc0 .LBB133_85
; %bb.86:                               ;   in Loop: Header=BB133_25 Depth=1
	s_mov_b32 s9, s85
	s_branch .LBB133_89
.LBB133_87:                             ;   in Loop: Header=BB133_25 Depth=1
                                        ; implicit-def: $vgpr2_vgpr3
	s_branch .LBB133_55
.LBB133_88:                             ;   in Loop: Header=BB133_25 Depth=1
	s_mov_b32 s9, 0
	v_pk_mov_b32 v[2:3], 0, 0
.LBB133_89:                             ;   in Loop: Header=BB133_25 Depth=1
	v_readlane_b32 s10, v44, 37
	v_readlane_b32 s11, v44, 38
	s_andn2_b64 vcc, exec, s[10:11]
	s_cbranch_vccnz .LBB133_92
; %bb.90:                               ;   in Loop: Header=BB133_25 Depth=1
	s_lshl_b32 s10, s26, 9
	s_lshl_b32 s9, s9, 5
	s_add_i32 s10, s10, s9
	s_waitcnt vmcnt(0)
	v_add_u32_e32 v4, s10, v29
	v_readlane_b32 s9, v44, 36
.LBB133_91:                             ;   Parent Loop BB133_25 Depth=1
                                        ; =>  This Inner Loop Header: Depth=2
	ds_read_b64 v[6:7], v4
	s_add_i32 s9, s9, -1
	v_add_u32_e32 v4, 32, v4
	s_cmp_lg_u32 s9, 0
	s_waitcnt lgkmcnt(0)
	v_add_co_u32_e32 v2, vcc, v6, v2
	v_addc_co_u32_e32 v3, vcc, v7, v3, vcc
	s_cbranch_scc1 .LBB133_91
.LBB133_92:                             ;   in Loop: Header=BB133_25 Depth=1
	s_waitcnt vmcnt(0)
	v_add_lshl_u32 v4, s8, v22, 3
	ds_write_b64 v4, v[2:3] offset:3072
.LBB133_93:                             ;   in Loop: Header=BB133_25 Depth=1
	s_or_b64 exec, exec, s[6:7]
	s_lshl_b32 s6, s8, 3
	v_mov_b32_e32 v6, s6
	s_waitcnt lgkmcnt(0)
	s_barrier
	s_waitcnt vmcnt(0)
	ds_read_b128 v[2:5], v6 offset:3072
	ds_read_b128 v[6:9], v6 offset:3088
	s_and_b32 s40, s1, 0xfe
	s_lshl_b32 s48, 3, s40
	s_not_b32 s41, s48
	s_waitcnt lgkmcnt(1)
	v_readfirstlane_b32 s15, v3
	v_readfirstlane_b32 s14, v2
	s_cmp_eq_u64 s[14:15], 1
	s_cselect_b64 s[6:7], -1, 0
	s_cmp_eq_u64 s[82:83], 1
	s_cselect_b64 s[8:9], -1, 0
	s_and_b64 s[20:21], s[6:7], s[8:9]
	v_readfirstlane_b32 s28, v4
	v_readfirstlane_b32 s29, v5
	s_waitcnt lgkmcnt(0)
	v_readfirstlane_b32 s16, v6
	v_readfirstlane_b32 s17, v7
	;; [unrolled: 1-line block ×4, first 2 shown]
	s_mov_b64 s[18:19], -1
	s_and_b64 vcc, exec, s[20:21]
	s_cbranch_vccz .LBB133_108
; %bb.94:                               ;   in Loop: Header=BB133_25 Depth=1
	ds_read_b64 v[2:3], v11 offset:5120
	s_waitcnt lgkmcnt(0)
	s_barrier
	v_readfirstlane_b32 s8, v2
	v_readfirstlane_b32 s9, v3
	s_mov_b64 s[6:7], exec
	v_readlane_b32 s12, v44, 26
	v_readlane_b32 s13, v44, 27
	s_and_b64 s[12:13], s[6:7], s[12:13]
	s_mov_b64 exec, s[12:13]
	s_cbranch_execz .LBB133_96
; %bb.95:                               ;   in Loop: Header=BB133_25 Depth=1
	ds_write_b16 v24, v13
.LBB133_96:                             ;   in Loop: Header=BB133_25 Depth=1
	s_or_b64 exec, exec, s[6:7]
	s_and_b32 s80, s80, s41
	s_or_b32 s27, s27, s48
	s_cmp_eq_u64 s[8:9], 0
	s_waitcnt lgkmcnt(0)
	s_barrier
	s_cbranch_scc1 .LBB133_109
; %bb.97:                               ;   in Loop: Header=BB133_25 Depth=1
	v_readlane_b32 s6, v44, 32
	s_add_u32 s22, s6, s8
	v_readlane_b32 s6, v44, 33
	s_addc_u32 s7, s6, s9
	s_mov_b32 s6, s79
	s_cmp_lg_u64 s[6:7], 0
	s_cbranch_scc0 .LBB133_154
; %bb.98:                               ;   in Loop: Header=BB133_25 Depth=1
	v_cvt_f32_u32_e32 v2, s54
	s_sub_u32 s6, 0, s54
	s_subb_u32 s12, 0, 0
	v_mac_f32_e32 v2, 0, v32
	v_rcp_f32_e32 v2, v2
	v_mul_f32_e32 v2, 0x5f7ffffc, v2
	v_mul_f32_e32 v3, 0x2f800000, v2
	v_trunc_f32_e32 v3, v3
	v_mac_f32_e32 v2, 0xcf800000, v3
	v_cvt_u32_f32_e32 v3, v3
	v_cvt_u32_f32_e32 v2, v2
	v_readfirstlane_b32 s13, v3
	v_readfirstlane_b32 s23, v2
	s_mul_i32 s24, s6, s13
	s_mul_hi_u32 s30, s6, s23
	s_mul_i32 s25, s12, s23
	s_add_i32 s24, s30, s24
	s_mul_i32 s31, s6, s23
	s_add_i32 s24, s24, s25
	s_mul_hi_u32 s30, s23, s31
	s_mul_hi_u32 s25, s23, s24
	s_mul_i32 s23, s23, s24
	s_add_u32 s23, s30, s23
	s_addc_u32 s25, 0, s25
	s_mul_hi_u32 s34, s13, s31
	s_mul_i32 s31, s13, s31
	s_add_u32 s23, s23, s31
	s_mul_hi_u32 s30, s13, s24
	s_addc_u32 s23, s25, s34
	s_addc_u32 s25, s30, 0
	s_mul_i32 s24, s13, s24
	s_add_u32 s23, s23, s24
	s_addc_u32 s24, 0, s25
	v_add_co_u32_e32 v2, vcc, s23, v2
	s_cmp_lg_u64 vcc, 0
	s_addc_u32 s13, s13, s24
	v_readfirstlane_b32 s24, v2
	s_mul_i32 s23, s6, s13
	s_mul_hi_u32 s25, s6, s24
	s_add_i32 s23, s25, s23
	s_mul_i32 s12, s12, s24
	s_add_i32 s23, s23, s12
	s_mul_i32 s6, s6, s24
	s_mul_hi_u32 s25, s13, s6
	s_mul_i32 s30, s13, s6
	s_mul_i32 s34, s24, s23
	s_mul_hi_u32 s6, s24, s6
	s_mul_hi_u32 s31, s24, s23
	s_add_u32 s6, s6, s34
	s_addc_u32 s24, 0, s31
	s_add_u32 s6, s6, s30
	s_mul_hi_u32 s12, s13, s23
	s_addc_u32 s6, s24, s25
	s_addc_u32 s12, s12, 0
	s_mul_i32 s23, s13, s23
	s_add_u32 s6, s6, s23
	s_addc_u32 s12, 0, s12
	v_add_co_u32_e32 v2, vcc, s6, v2
	s_cmp_lg_u64 vcc, 0
	s_addc_u32 s6, s13, s12
	v_readfirstlane_b32 s23, v2
	s_mul_i32 s13, s22, s6
	s_mul_hi_u32 s24, s22, s23
	s_mul_hi_u32 s12, s22, s6
	s_add_u32 s13, s24, s13
	s_addc_u32 s12, 0, s12
	s_mul_hi_u32 s25, s7, s23
	s_mul_i32 s23, s7, s23
	s_add_u32 s13, s13, s23
	s_mul_hi_u32 s24, s7, s6
	s_addc_u32 s12, s12, s25
	s_addc_u32 s13, s24, 0
	s_mul_i32 s6, s7, s6
	s_add_u32 s6, s12, s6
	s_addc_u32 s12, 0, s13
	s_mul_hi_u32 s13, s54, s6
	s_mul_i32 s6, s54, s6
	s_mul_i32 s12, s54, s12
	v_mov_b32_e32 v2, s6
	s_add_i32 s13, s13, s12
	v_sub_co_u32_e32 v2, vcc, s22, v2
	s_cmp_lg_u64 vcc, 0
	s_subb_u32 s6, s7, s13
	v_subrev_co_u32_e32 v3, vcc, s54, v2
	s_cmp_lg_u64 vcc, 0
	s_subb_u32 s12, s6, 0
	v_subrev_co_u32_e32 v4, vcc, s54, v3
	s_cmp_lg_u64 vcc, 0
	s_subb_u32 s13, s12, 0
	v_cmp_le_u32_e32 vcc, s54, v3
	s_cmp_eq_u32 s12, 0
	v_cndmask_b32_e64 v5, 0, -1, vcc
	s_cselect_b64 vcc, -1, 0
	v_cndmask_b32_e32 v5, -1, v5, vcc
	v_mov_b32_e32 v6, s12
	v_mov_b32_e32 v7, s13
	v_cmp_ne_u32_e32 vcc, 0, v5
	v_cndmask_b32_e32 v5, v6, v7, vcc
	v_cndmask_b32_e32 v4, v3, v4, vcc
	v_cmp_le_u32_e32 vcc, s54, v2
	s_cmp_eq_u32 s6, 0
	v_cndmask_b32_e64 v3, 0, -1, vcc
	s_cselect_b64 vcc, -1, 0
	v_cndmask_b32_e32 v3, -1, v3, vcc
	v_mov_b32_e32 v6, s6
	v_cmp_ne_u32_e32 vcc, 0, v3
	v_cndmask_b32_e32 v3, v6, v5, vcc
	v_cndmask_b32_e32 v2, v2, v4, vcc
	s_cbranch_execnz .LBB133_100
.LBB133_99:                             ;   in Loop: Header=BB133_25 Depth=1
	v_cvt_f32_u32_e32 v2, s54
	s_sub_i32 s6, 0, s54
	v_rcp_iflag_f32_e32 v2, v2
	v_mul_f32_e32 v2, 0x4f7ffffe, v2
	v_cvt_u32_f32_e32 v2, v2
	v_mul_lo_u32 v3, s6, v2
	v_mul_hi_u32 v3, v2, v3
	v_add_u32_e32 v2, v2, v3
	v_mul_hi_u32 v2, s22, v2
	v_mul_lo_u32 v2, v2, s54
	v_sub_u32_e32 v2, s22, v2
	v_subrev_u32_e32 v3, s54, v2
	v_cmp_le_u32_e32 vcc, s54, v2
	v_cndmask_b32_e32 v2, v2, v3, vcc
	v_subrev_u32_e32 v3, s54, v2
	v_cmp_le_u32_e32 vcc, s54, v2
	v_cndmask_b32_e32 v10, v2, v3, vcc
	v_pk_mov_b32 v[2:3], v[10:11], v[10:11] op_sel:[0,1]
.LBB133_100:                            ;   in Loop: Header=BB133_25 Depth=1
	v_mov_b32_e32 v4, s7
	v_sub_co_u32_e32 v2, vcc, s22, v2
	v_subb_co_u32_e32 v3, vcc, v4, v3, vcc
	v_cmp_gt_u64_e32 vcc, v[2:3], v[0:1]
	s_mov_b64 s[6:7], 0
                                        ; implicit-def: $vgpr35
	s_and_saveexec_b64 s[12:13], vcc
	s_cbranch_execz .LBB133_111
; %bb.101:                              ;   in Loop: Header=BB133_25 Depth=1
	s_mov_b64 s[22:23], 0
	v_mov_b32_e32 v6, v23
	v_pk_mov_b32 v[4:5], v[0:1], v[0:1] op_sel:[0,1]
                                        ; implicit-def: $sgpr24_sgpr25
	s_branch .LBB133_103
.LBB133_102:                            ;   in Loop: Header=BB133_103 Depth=2
	s_or_b64 exec, exec, s[6:7]
	s_waitcnt lgkmcnt(0)
	s_barrier
	ds_read_b32 v7, v11 offset:3072
	v_mov_b32_e32 v8, s84
	v_add_co_u32_e64 v4, s[6:7], s54, v4
	v_addc_co_u32_e64 v5, s[6:7], v5, v8, s[6:7]
	s_waitcnt lgkmcnt(0)
	v_cmp_neq_f16_e32 vcc, 0, v7
	v_cmp_ge_u64_e64 s[6:7], v[4:5], v[2:3]
	s_or_b64 s[6:7], s[6:7], vcc
	s_and_b64 s[6:7], exec, s[6:7]
	s_or_b64 s[22:23], s[6:7], s[22:23]
	s_andn2_b64 s[6:7], s[24:25], exec
	s_and_b64 s[24:25], vcc, exec
	v_add_u32_e32 v6, s2, v6
	s_or_b64 s[24:25], s[6:7], s[24:25]
	s_barrier
	s_andn2_b64 exec, exec, s[22:23]
	s_cbranch_execz .LBB133_110
.LBB133_103:                            ;   Parent Loop BB133_25 Depth=1
                                        ; =>  This Inner Loop Header: Depth=2
	v_cmp_gt_u64_e32 vcc, s[8:9], v[4:5]
	v_mov_b32_e32 v7, 0
	s_and_saveexec_b64 s[6:7], vcc
	s_cbranch_execz .LBB133_105
; %bb.104:                              ;   in Loop: Header=BB133_103 Depth=2
	ds_read_u16 v7, v6
.LBB133_105:                            ;   in Loop: Header=BB133_103 Depth=2
	s_or_b64 exec, exec, s[6:7]
	s_and_saveexec_b64 s[6:7], vcc
	s_cbranch_execz .LBB133_102
; %bb.106:                              ;   in Loop: Header=BB133_103 Depth=2
	s_waitcnt lgkmcnt(0)
	v_cmp_lt_i16_e32 vcc, -1, v7
	v_cndmask_b32_e32 v8, v30, v31, vcc
	v_xor_b32_sdwa v8, v8, v7 dst_sel:DWORD dst_unused:UNUSED_PAD src0_sel:DWORD src1_sel:WORD_0
	v_cmp_o_f16_e32 vcc, v7, v7
	v_cndmask_b32_e32 v8, v30, v8, vcc
	v_and_b32_e32 v8, s27, v8
	v_cmp_eq_u32_e32 vcc, s80, v8
	s_and_b64 exec, exec, vcc
	s_cbranch_execz .LBB133_102
; %bb.107:                              ;   in Loop: Header=BB133_103 Depth=2
	v_perm_b32 v7, v7, s0, v34
	ds_write_b32 v11, v7 offset:3072
	s_branch .LBB133_102
.LBB133_108:                            ;   in Loop: Header=BB133_25 Depth=1
	s_mov_b64 s[6:7], -1
                                        ; implicit-def: $sgpr8_sgpr9
                                        ; implicit-def: $sgpr22_sgpr23
                                        ; implicit-def: $sgpr12_sgpr13
	s_branch .LBB133_125
.LBB133_109:                            ;   in Loop: Header=BB133_25 Depth=1
	s_mov_b64 s[8:9], -1
	s_mov_b64 s[6:7], 0
                                        ; implicit-def: $sgpr12_sgpr13
                                        ; implicit-def: $vgpr35
	s_mov_b64 s[22:23], s[8:9]
	s_cbranch_execnz .LBB133_112
	s_branch .LBB133_125
.LBB133_110:                            ;   in Loop: Header=BB133_25 Depth=1
	s_or_b64 exec, exec, s[22:23]
	v_lshrrev_b32_e32 v35, 16, v7
	s_and_b64 s[6:7], s[24:25], exec
.LBB133_111:                            ;   in Loop: Header=BB133_25 Depth=1
	s_or_b64 exec, exec, s[12:13]
	s_mov_b64 s[12:13], -1
	s_mov_b64 s[8:9], 0
	s_mov_b64 s[22:23], s[8:9]
	s_branch .LBB133_125
.LBB133_112:                            ;   in Loop: Header=BB133_25 Depth=1
	s_mov_b32 s86, s79
	s_cmp_lg_u64 s[86:87], 0
	s_cbranch_scc0 .LBB133_158
; %bb.113:                              ;   in Loop: Header=BB133_25 Depth=1
	v_cvt_f32_u32_e32 v2, s54
	s_sub_u32 s6, 0, s54
	s_subb_u32 s7, 0, 0
	v_mac_f32_e32 v2, 0, v32
	v_rcp_f32_e32 v2, v2
	v_mul_f32_e32 v2, 0x5f7ffffc, v2
	v_mul_f32_e32 v3, 0x2f800000, v2
	v_trunc_f32_e32 v3, v3
	v_mac_f32_e32 v2, 0xcf800000, v3
	v_cvt_u32_f32_e32 v3, v3
	v_cvt_u32_f32_e32 v2, v2
	v_readfirstlane_b32 s8, v3
	v_readfirstlane_b32 s9, v2
	s_mul_i32 s12, s6, s8
	s_mul_hi_u32 s22, s6, s9
	s_mul_i32 s13, s7, s9
	s_add_i32 s12, s22, s12
	s_mul_i32 s23, s6, s9
	s_add_i32 s12, s12, s13
	s_mul_hi_u32 s22, s9, s23
	s_mul_hi_u32 s13, s9, s12
	s_mul_i32 s9, s9, s12
	s_add_u32 s9, s22, s9
	s_addc_u32 s13, 0, s13
	s_mul_hi_u32 s24, s8, s23
	s_mul_i32 s23, s8, s23
	s_add_u32 s9, s9, s23
	s_mul_hi_u32 s22, s8, s12
	s_addc_u32 s9, s13, s24
	s_addc_u32 s13, s22, 0
	s_mul_i32 s12, s8, s12
	s_add_u32 s9, s9, s12
	s_addc_u32 s12, 0, s13
	v_add_co_u32_e32 v2, vcc, s9, v2
	s_cmp_lg_u64 vcc, 0
	s_addc_u32 s8, s8, s12
	v_readfirstlane_b32 s12, v2
	s_mul_i32 s9, s6, s8
	s_mul_hi_u32 s13, s6, s12
	s_add_i32 s9, s13, s9
	s_mul_i32 s7, s7, s12
	s_add_i32 s9, s9, s7
	s_mul_i32 s6, s6, s12
	s_mul_hi_u32 s13, s8, s6
	s_mul_i32 s22, s8, s6
	s_mul_i32 s24, s12, s9
	s_mul_hi_u32 s6, s12, s6
	s_mul_hi_u32 s23, s12, s9
	s_add_u32 s6, s6, s24
	s_addc_u32 s12, 0, s23
	s_add_u32 s6, s6, s22
	s_mul_hi_u32 s7, s8, s9
	s_addc_u32 s6, s12, s13
	s_addc_u32 s7, s7, 0
	s_mul_i32 s9, s8, s9
	s_add_u32 s6, s6, s9
	s_addc_u32 s7, 0, s7
	v_add_co_u32_e32 v2, vcc, s6, v2
	s_cmp_lg_u64 vcc, 0
	s_addc_u32 s6, s8, s7
	v_readfirstlane_b32 s9, v2
	s_mul_i32 s8, s3, s6
	s_mul_hi_u32 s12, s3, s9
	s_mul_hi_u32 s7, s3, s6
	s_add_u32 s8, s12, s8
	s_addc_u32 s7, 0, s7
	s_mul_hi_u32 s13, s87, s9
	s_mul_i32 s9, s87, s9
	s_add_u32 s8, s8, s9
	s_mul_hi_u32 s12, s87, s6
	s_addc_u32 s7, s7, s13
	s_addc_u32 s8, s12, 0
	s_mul_i32 s6, s87, s6
	s_add_u32 s6, s7, s6
	s_addc_u32 s7, 0, s8
	s_mul_hi_u32 s8, s54, s6
	s_mul_i32 s6, s54, s6
	s_mul_i32 s7, s54, s7
	v_mov_b32_e32 v2, s6
	s_add_i32 s8, s8, s7
	v_sub_co_u32_e32 v2, vcc, s3, v2
	s_cmp_lg_u64 vcc, 0
	s_subb_u32 s6, s87, s8
	v_subrev_co_u32_e32 v3, vcc, s54, v2
	s_cmp_lg_u64 vcc, 0
	s_subb_u32 s7, s6, 0
	v_subrev_co_u32_e32 v4, vcc, s54, v3
	s_cmp_lg_u64 vcc, 0
	s_subb_u32 s8, s7, 0
	v_cmp_le_u32_e32 vcc, s54, v3
	s_cmp_eq_u32 s7, 0
	v_cndmask_b32_e64 v5, 0, -1, vcc
	s_cselect_b64 vcc, -1, 0
	v_cndmask_b32_e32 v5, -1, v5, vcc
	v_mov_b32_e32 v6, s7
	v_mov_b32_e32 v7, s8
	v_cmp_ne_u32_e32 vcc, 0, v5
	v_cndmask_b32_e32 v5, v6, v7, vcc
	v_cndmask_b32_e32 v4, v3, v4, vcc
	v_cmp_le_u32_e32 vcc, s54, v2
	s_cmp_eq_u32 s6, 0
	v_cndmask_b32_e64 v3, 0, -1, vcc
	s_cselect_b64 vcc, -1, 0
	v_cndmask_b32_e32 v3, -1, v3, vcc
	v_mov_b32_e32 v6, s6
	v_cmp_ne_u32_e32 vcc, 0, v3
	v_cndmask_b32_e32 v3, v6, v5, vcc
	v_cndmask_b32_e32 v2, v2, v4, vcc
	s_cbranch_execnz .LBB133_115
.LBB133_114:                            ;   in Loop: Header=BB133_25 Depth=1
	v_cvt_f32_u32_e32 v2, s54
	s_sub_i32 s6, 0, s54
	v_rcp_iflag_f32_e32 v2, v2
	v_mul_f32_e32 v2, 0x4f7ffffe, v2
	v_cvt_u32_f32_e32 v2, v2
	v_mul_lo_u32 v3, s6, v2
	v_mul_hi_u32 v3, v2, v3
	v_add_u32_e32 v2, v2, v3
	v_mul_hi_u32 v2, s3, v2
	v_mul_lo_u32 v2, v2, s54
	v_sub_u32_e32 v2, s3, v2
	v_subrev_u32_e32 v3, s54, v2
	v_cmp_le_u32_e32 vcc, s54, v2
	v_cndmask_b32_e32 v2, v2, v3, vcc
	v_subrev_u32_e32 v3, s54, v2
	v_cmp_le_u32_e32 vcc, s54, v2
	v_cndmask_b32_e32 v10, v2, v3, vcc
	v_pk_mov_b32 v[2:3], v[10:11], v[10:11] op_sel:[0,1]
.LBB133_115:                            ;   in Loop: Header=BB133_25 Depth=1
	v_mov_b32_e32 v4, s87
	v_sub_co_u32_e32 v2, vcc, s3, v2
	v_subb_co_u32_e32 v3, vcc, v4, v3, vcc
	v_cmp_gt_u64_e32 vcc, v[2:3], v[0:1]
	s_mov_b64 s[6:7], 0
                                        ; implicit-def: $vgpr35
	s_and_saveexec_b64 s[8:9], vcc
	s_cbranch_execz .LBB133_124
; %bb.116:                              ;   in Loop: Header=BB133_25 Depth=1
	s_mov_b64 s[12:13], 0
	v_pk_mov_b32 v[4:5], v[0:1], v[0:1] op_sel:[0,1]
                                        ; implicit-def: $sgpr22_sgpr23
	s_branch .LBB133_118
.LBB133_117:                            ;   in Loop: Header=BB133_118 Depth=2
	s_or_b64 exec, exec, s[6:7]
	s_waitcnt lgkmcnt(0)
	s_barrier
	s_waitcnt vmcnt(0)
	ds_read_b32 v6, v11 offset:3072
	v_mov_b32_e32 v7, s84
	v_add_co_u32_e64 v4, s[6:7], s54, v4
	v_addc_co_u32_e64 v5, s[6:7], v5, v7, s[6:7]
	s_waitcnt lgkmcnt(0)
	v_cmp_neq_f16_e32 vcc, 0, v6
	v_cmp_ge_u64_e64 s[6:7], v[4:5], v[2:3]
	s_or_b64 s[6:7], s[6:7], vcc
	s_and_b64 s[6:7], exec, s[6:7]
	s_or_b64 s[12:13], s[6:7], s[12:13]
	s_andn2_b64 s[6:7], s[22:23], exec
	s_and_b64 s[22:23], vcc, exec
	s_or_b64 s[22:23], s[6:7], s[22:23]
	s_barrier
	s_andn2_b64 exec, exec, s[12:13]
	s_cbranch_execz .LBB133_123
.LBB133_118:                            ;   Parent Loop BB133_25 Depth=1
                                        ; =>  This Inner Loop Header: Depth=2
	v_cmp_gt_u64_e32 vcc, s[52:53], v[4:5]
	v_mov_b32_e32 v6, 0
	s_and_saveexec_b64 s[24:25], vcc
	s_cbranch_execz .LBB133_120
; %bb.119:                              ;   in Loop: Header=BB133_118 Depth=2
	v_mul_lo_u32 v8, v5, s68
	v_mul_lo_u32 v9, v4, s69
	v_mad_u64_u32 v[6:7], s[6:7], v4, s68, 0
	v_add3_u32 v7, v7, v9, v8
	v_lshlrev_b64 v[6:7], 1, v[6:7]
	v_mov_b32_e32 v8, s55
	v_add_co_u32_e64 v6, s[6:7], s33, v6
	v_addc_co_u32_e64 v7, s[6:7], v8, v7, s[6:7]
	global_load_ushort v6, v[6:7], off
.LBB133_120:                            ;   in Loop: Header=BB133_118 Depth=2
	s_or_b64 exec, exec, s[24:25]
	s_and_saveexec_b64 s[6:7], vcc
	s_cbranch_execz .LBB133_117
; %bb.121:                              ;   in Loop: Header=BB133_118 Depth=2
	s_waitcnt vmcnt(0)
	v_cmp_lt_i16_e32 vcc, -1, v6
	v_cndmask_b32_e32 v7, v30, v31, vcc
	v_xor_b32_sdwa v7, v7, v6 dst_sel:DWORD dst_unused:UNUSED_PAD src0_sel:DWORD src1_sel:WORD_0
	v_cmp_o_f16_e32 vcc, v6, v6
	v_cndmask_b32_e32 v7, v30, v7, vcc
	v_and_b32_e32 v7, s27, v7
	v_cmp_eq_u32_e32 vcc, s80, v7
	s_and_b64 exec, exec, vcc
	s_cbranch_execz .LBB133_117
; %bb.122:                              ;   in Loop: Header=BB133_118 Depth=2
	v_perm_b32 v6, v6, s0, v34
	ds_write_b32 v11, v6 offset:3072
	s_branch .LBB133_117
.LBB133_123:                            ;   in Loop: Header=BB133_25 Depth=1
	s_or_b64 exec, exec, s[12:13]
	v_lshrrev_b32_e32 v35, 16, v6
	s_and_b64 s[6:7], s[22:23], exec
.LBB133_124:                            ;   in Loop: Header=BB133_25 Depth=1
	s_or_b64 exec, exec, s[8:9]
	s_mov_b64 s[22:23], -1
	s_mov_b64 s[8:9], 0
	s_mov_b64 s[12:13], 0
.LBB133_125:                            ;   in Loop: Header=BB133_25 Depth=1
	s_andn2_b64 s[24:25], s[66:67], exec
	s_and_b64 s[8:9], s[8:9], exec
	s_or_b64 s[66:67], s[24:25], s[8:9]
	s_andn2_b64 s[8:9], s[62:63], exec
	s_and_b64 s[22:23], s[22:23], exec
	s_or_b64 s[62:63], s[8:9], s[22:23]
	;; [unrolled: 3-line block ×3, first 2 shown]
	s_and_saveexec_b64 s[12:13], s[6:7]
	s_cbranch_execz .LBB133_24
; %bb.126:                              ;   in Loop: Header=BB133_25 Depth=1
	s_xor_b64 s[6:7], s[20:21], -1
	s_andn2_b64 vcc, exec, s[6:7]
	s_mov_b32 s49, 1
	s_cbranch_vccnz .LBB133_137
; %bb.127:                              ;   in Loop: Header=BB133_25 Depth=1
	v_pk_mov_b32 v[2:3], s[14:15], s[14:15] op_sel:[0,1]
	v_cmp_gt_u64_e32 vcc, s[82:83], v[2:3]
	s_mov_b64 s[6:7], -1
                                        ; implicit-def: $sgpr49
                                        ; implicit-def: $sgpr8
                                        ; implicit-def: $sgpr9
	s_cbranch_vccnz .LBB133_133
; %bb.128:                              ;   in Loop: Header=BB133_25 Depth=1
	ds_read_b64 v[2:3], v11 offset:5120
	s_waitcnt lgkmcnt(0)
	v_cmp_ne_u64_e32 vcc, 0, v[2:3]
	s_cbranch_vccnz .LBB133_132
; %bb.129:                              ;   in Loop: Header=BB133_25 Depth=1
	s_mov_b64 s[6:7], exec
	v_readlane_b32 s8, v44, 16
	v_readlane_b32 s9, v44, 17
	s_and_b64 s[8:9], s[6:7], s[8:9]
	s_mov_b64 exec, s[8:9]
	s_cbranch_execz .LBB133_131
; %bb.130:                              ;   in Loop: Header=BB133_25 Depth=1
	v_pk_mov_b32 v[2:3], s[14:15], s[14:15] op_sel:[0,1]
	ds_write_b64 v11, v[2:3] offset:5128
.LBB133_131:                            ;   in Loop: Header=BB133_25 Depth=1
	s_or_b64 exec, exec, s[6:7]
	s_waitcnt lgkmcnt(0)
	s_barrier
.LBB133_132:                            ;   in Loop: Header=BB133_25 Depth=1
	s_and_b32 s8, s80, s41
	s_or_b32 s9, s27, s48
	s_mov_b64 s[6:7], 0
	s_mov_b32 s49, 8
.LBB133_133:                            ;   in Loop: Header=BB133_25 Depth=1
	s_andn2_b64 vcc, exec, s[6:7]
	s_cbranch_vccnz .LBB133_135
; %bb.134:                              ;   in Loop: Header=BB133_25 Depth=1
	s_sub_u32 s82, s82, s14
	s_subb_u32 s83, s83, s15
	s_mov_b64 s[6:7], -1
	s_mov_b32 s49, 0
	s_mov_b32 s8, s80
	;; [unrolled: 1-line block ×3, first 2 shown]
.LBB133_135:                            ;   in Loop: Header=BB133_25 Depth=1
	s_mov_b32 s27, s9
	s_mov_b32 s80, s8
	s_mov_b64 s[14:15], -1
	s_and_b64 vcc, exec, s[6:7]
	s_cbranch_vccnz .LBB133_138
.LBB133_136:                            ;   in Loop: Header=BB133_25 Depth=1
	s_mov_b64 s[8:9], -1
                                        ; implicit-def: $sgpr18_sgpr19
                                        ; implicit-def: $sgpr22_sgpr23
                                        ; implicit-def: $sgpr20_sgpr21
	s_and_saveexec_b64 s[6:7], s[8:9]
	s_xor_b64 s[6:7], exec, s[6:7]
	s_cbranch_execz .LBB133_23
	s_branch .LBB133_287
.LBB133_137:                            ;   in Loop: Header=BB133_25 Depth=1
	s_mov_b64 s[82:83], 1
	s_mov_b64 s[14:15], -1
	s_branch .LBB133_136
.LBB133_138:                            ;   in Loop: Header=BB133_25 Depth=1
	s_cmp_eq_u64 s[28:29], 1
	s_cselect_b64 s[6:7], -1, 0
	s_cmp_eq_u64 s[82:83], 1
	s_cselect_b64 s[8:9], -1, 0
	s_and_b64 s[30:31], s[6:7], s[8:9]
	s_mov_b64 s[6:7], -1
	s_and_b64 vcc, exec, s[30:31]
	s_cbranch_vccz .LBB133_153
; %bb.139:                              ;   in Loop: Header=BB133_25 Depth=1
	ds_read_b64 v[2:3], v11 offset:5120
	s_waitcnt lgkmcnt(0)
	s_barrier
	v_readfirstlane_b32 s8, v2
	v_readfirstlane_b32 s9, v3
	s_mov_b64 s[6:7], exec
	v_readlane_b32 s18, v44, 26
	v_readlane_b32 s19, v44, 27
	s_and_b64 s[18:19], s[6:7], s[18:19]
	s_mov_b64 exec, s[18:19]
	s_cbranch_execz .LBB133_141
; %bb.140:                              ;   in Loop: Header=BB133_25 Depth=1
	ds_write_b16 v24, v13
.LBB133_141:                            ;   in Loop: Header=BB133_25 Depth=1
	s_or_b64 exec, exec, s[6:7]
	s_lshl_b32 s6, 1, s40
	s_and_b32 s7, s80, s41
	s_or_b32 s80, s7, s6
	s_or_b32 s27, s27, s48
	s_cmp_eq_u64 s[8:9], 0
	s_waitcnt lgkmcnt(0)
	s_barrier
	s_cbranch_scc1 .LBB133_159
; %bb.142:                              ;   in Loop: Header=BB133_25 Depth=1
	v_readlane_b32 s6, v44, 32
	s_add_u32 s20, s6, s8
	v_readlane_b32 s6, v44, 33
	s_addc_u32 s7, s6, s9
	s_mov_b32 s6, s79
	s_cmp_lg_u64 s[6:7], 0
	s_cbranch_scc0 .LBB133_204
; %bb.143:                              ;   in Loop: Header=BB133_25 Depth=1
	v_cvt_f32_u32_e32 v2, s54
	s_sub_u32 s6, 0, s54
	s_subb_u32 s18, 0, 0
	v_mac_f32_e32 v2, 0, v32
	v_rcp_f32_e32 v2, v2
	v_mul_f32_e32 v2, 0x5f7ffffc, v2
	v_mul_f32_e32 v3, 0x2f800000, v2
	v_trunc_f32_e32 v3, v3
	v_mac_f32_e32 v2, 0xcf800000, v3
	v_cvt_u32_f32_e32 v3, v3
	v_cvt_u32_f32_e32 v2, v2
	v_readfirstlane_b32 s19, v3
	v_readfirstlane_b32 s21, v2
	s_mul_i32 s22, s6, s19
	s_mul_hi_u32 s24, s6, s21
	s_mul_i32 s23, s18, s21
	s_add_i32 s22, s24, s22
	s_mul_i32 s25, s6, s21
	s_add_i32 s22, s22, s23
	s_mul_hi_u32 s24, s21, s25
	s_mul_hi_u32 s23, s21, s22
	s_mul_i32 s21, s21, s22
	s_add_u32 s21, s24, s21
	s_addc_u32 s23, 0, s23
	s_mul_hi_u32 s34, s19, s25
	s_mul_i32 s25, s19, s25
	s_add_u32 s21, s21, s25
	s_mul_hi_u32 s24, s19, s22
	s_addc_u32 s21, s23, s34
	s_addc_u32 s23, s24, 0
	s_mul_i32 s22, s19, s22
	s_add_u32 s21, s21, s22
	s_addc_u32 s22, 0, s23
	v_add_co_u32_e32 v2, vcc, s21, v2
	s_cmp_lg_u64 vcc, 0
	s_addc_u32 s19, s19, s22
	v_readfirstlane_b32 s22, v2
	s_mul_i32 s21, s6, s19
	s_mul_hi_u32 s23, s6, s22
	s_add_i32 s21, s23, s21
	s_mul_i32 s18, s18, s22
	s_add_i32 s21, s21, s18
	s_mul_i32 s6, s6, s22
	s_mul_hi_u32 s23, s19, s6
	s_mul_i32 s24, s19, s6
	s_mul_i32 s34, s22, s21
	s_mul_hi_u32 s6, s22, s6
	s_mul_hi_u32 s25, s22, s21
	s_add_u32 s6, s6, s34
	s_addc_u32 s22, 0, s25
	s_add_u32 s6, s6, s24
	s_mul_hi_u32 s18, s19, s21
	s_addc_u32 s6, s22, s23
	s_addc_u32 s18, s18, 0
	s_mul_i32 s21, s19, s21
	s_add_u32 s6, s6, s21
	s_addc_u32 s18, 0, s18
	v_add_co_u32_e32 v2, vcc, s6, v2
	s_cmp_lg_u64 vcc, 0
	s_addc_u32 s6, s19, s18
	v_readfirstlane_b32 s21, v2
	s_mul_i32 s19, s20, s6
	s_mul_hi_u32 s22, s20, s21
	s_mul_hi_u32 s18, s20, s6
	s_add_u32 s19, s22, s19
	s_addc_u32 s18, 0, s18
	s_mul_hi_u32 s23, s7, s21
	s_mul_i32 s21, s7, s21
	s_add_u32 s19, s19, s21
	s_mul_hi_u32 s22, s7, s6
	s_addc_u32 s18, s18, s23
	s_addc_u32 s19, s22, 0
	s_mul_i32 s6, s7, s6
	s_add_u32 s6, s18, s6
	s_addc_u32 s18, 0, s19
	s_mul_hi_u32 s19, s54, s6
	s_mul_i32 s6, s54, s6
	s_mul_i32 s18, s54, s18
	v_mov_b32_e32 v2, s6
	s_add_i32 s19, s19, s18
	v_sub_co_u32_e32 v2, vcc, s20, v2
	s_cmp_lg_u64 vcc, 0
	s_subb_u32 s6, s7, s19
	v_subrev_co_u32_e32 v3, vcc, s54, v2
	s_cmp_lg_u64 vcc, 0
	s_subb_u32 s18, s6, 0
	v_subrev_co_u32_e32 v4, vcc, s54, v3
	s_cmp_lg_u64 vcc, 0
	s_subb_u32 s19, s18, 0
	v_cmp_le_u32_e32 vcc, s54, v3
	s_cmp_eq_u32 s18, 0
	v_cndmask_b32_e64 v5, 0, -1, vcc
	s_cselect_b64 vcc, -1, 0
	v_cndmask_b32_e32 v5, -1, v5, vcc
	v_mov_b32_e32 v6, s18
	v_mov_b32_e32 v7, s19
	v_cmp_ne_u32_e32 vcc, 0, v5
	v_cndmask_b32_e32 v5, v6, v7, vcc
	v_cndmask_b32_e32 v4, v3, v4, vcc
	v_cmp_le_u32_e32 vcc, s54, v2
	s_cmp_eq_u32 s6, 0
	v_cndmask_b32_e64 v3, 0, -1, vcc
	s_cselect_b64 vcc, -1, 0
	v_cndmask_b32_e32 v3, -1, v3, vcc
	v_mov_b32_e32 v6, s6
	v_cmp_ne_u32_e32 vcc, 0, v3
	v_cndmask_b32_e32 v3, v6, v5, vcc
	v_cndmask_b32_e32 v2, v2, v4, vcc
	s_cbranch_execnz .LBB133_145
.LBB133_144:                            ;   in Loop: Header=BB133_25 Depth=1
	v_cvt_f32_u32_e32 v2, s54
	s_sub_i32 s6, 0, s54
	v_rcp_iflag_f32_e32 v2, v2
	v_mul_f32_e32 v2, 0x4f7ffffe, v2
	v_cvt_u32_f32_e32 v2, v2
	v_mul_lo_u32 v3, s6, v2
	v_mul_hi_u32 v3, v2, v3
	v_add_u32_e32 v2, v2, v3
	v_mul_hi_u32 v2, s20, v2
	v_mul_lo_u32 v2, v2, s54
	v_sub_u32_e32 v2, s20, v2
	v_subrev_u32_e32 v3, s54, v2
	v_cmp_le_u32_e32 vcc, s54, v2
	v_cndmask_b32_e32 v2, v2, v3, vcc
	v_subrev_u32_e32 v3, s54, v2
	v_cmp_le_u32_e32 vcc, s54, v2
	v_cndmask_b32_e32 v10, v2, v3, vcc
	v_pk_mov_b32 v[2:3], v[10:11], v[10:11] op_sel:[0,1]
.LBB133_145:                            ;   in Loop: Header=BB133_25 Depth=1
	v_mov_b32_e32 v4, s7
	v_sub_co_u32_e32 v2, vcc, s20, v2
	v_subb_co_u32_e32 v3, vcc, v4, v3, vcc
	v_cmp_gt_u64_e32 vcc, v[2:3], v[0:1]
	s_mov_b64 s[6:7], 0
                                        ; implicit-def: $vgpr35
	s_and_saveexec_b64 s[18:19], vcc
	s_cbranch_execz .LBB133_161
; %bb.146:                              ;   in Loop: Header=BB133_25 Depth=1
	s_mov_b64 s[20:21], 0
	v_mov_b32_e32 v6, v23
	v_pk_mov_b32 v[4:5], v[0:1], v[0:1] op_sel:[0,1]
                                        ; implicit-def: $sgpr22_sgpr23
	s_branch .LBB133_148
.LBB133_147:                            ;   in Loop: Header=BB133_148 Depth=2
	s_or_b64 exec, exec, s[6:7]
	s_waitcnt lgkmcnt(0)
	s_barrier
	ds_read_b32 v7, v11 offset:3072
	v_mov_b32_e32 v8, s84
	v_add_co_u32_e64 v4, s[6:7], s54, v4
	v_addc_co_u32_e64 v5, s[6:7], v5, v8, s[6:7]
	s_waitcnt lgkmcnt(0)
	v_cmp_neq_f16_e32 vcc, 0, v7
	v_cmp_ge_u64_e64 s[6:7], v[4:5], v[2:3]
	s_or_b64 s[6:7], s[6:7], vcc
	s_and_b64 s[6:7], exec, s[6:7]
	s_or_b64 s[20:21], s[6:7], s[20:21]
	s_andn2_b64 s[6:7], s[22:23], exec
	s_and_b64 s[22:23], vcc, exec
	v_add_u32_e32 v6, s2, v6
	s_or_b64 s[22:23], s[6:7], s[22:23]
	s_barrier
	s_andn2_b64 exec, exec, s[20:21]
	s_cbranch_execz .LBB133_160
.LBB133_148:                            ;   Parent Loop BB133_25 Depth=1
                                        ; =>  This Inner Loop Header: Depth=2
	v_cmp_gt_u64_e32 vcc, s[8:9], v[4:5]
	v_mov_b32_e32 v7, 0
	s_and_saveexec_b64 s[6:7], vcc
	s_cbranch_execz .LBB133_150
; %bb.149:                              ;   in Loop: Header=BB133_148 Depth=2
	ds_read_u16 v7, v6
.LBB133_150:                            ;   in Loop: Header=BB133_148 Depth=2
	s_or_b64 exec, exec, s[6:7]
	s_and_saveexec_b64 s[6:7], vcc
	s_cbranch_execz .LBB133_147
; %bb.151:                              ;   in Loop: Header=BB133_148 Depth=2
	s_waitcnt lgkmcnt(0)
	v_cmp_lt_i16_e32 vcc, -1, v7
	v_cndmask_b32_e32 v8, v30, v31, vcc
	v_xor_b32_sdwa v8, v8, v7 dst_sel:DWORD dst_unused:UNUSED_PAD src0_sel:DWORD src1_sel:WORD_0
	v_cmp_o_f16_e32 vcc, v7, v7
	v_cndmask_b32_e32 v8, v30, v8, vcc
	v_and_b32_e32 v8, s27, v8
	v_cmp_eq_u32_e32 vcc, s80, v8
	s_and_b64 exec, exec, vcc
	s_cbranch_execz .LBB133_147
; %bb.152:                              ;   in Loop: Header=BB133_148 Depth=2
	v_perm_b32 v7, v7, s0, v34
	ds_write_b32 v11, v7 offset:3072
	s_branch .LBB133_147
.LBB133_153:                            ;   in Loop: Header=BB133_25 Depth=1
                                        ; implicit-def: $sgpr20_sgpr21
                                        ; implicit-def: $sgpr22_sgpr23
                                        ; implicit-def: $sgpr18_sgpr19
	s_branch .LBB133_175
.LBB133_154:                            ;   in Loop: Header=BB133_25 Depth=1
                                        ; implicit-def: $vgpr2_vgpr3
	s_branch .LBB133_99
.LBB133_155:                            ;   in Loop: Header=BB133_25 Depth=1
	s_or_b64 exec, exec, s[8:9]
	s_waitcnt lgkmcnt(0)
	s_barrier
	s_mov_b64 s[6:7], exec
	v_readlane_b32 s8, v44, 16
	v_readlane_b32 s9, v44, 17
	s_and_b64 s[8:9], s[6:7], s[8:9]
	s_mov_b64 exec, s[8:9]
	s_cbranch_execz .LBB133_157
; %bb.156:                              ;   in Loop: Header=BB133_25 Depth=1
	ds_read_b32 v2, v11 offset:5144
	s_waitcnt lgkmcnt(0)
	v_ashrrev_i32_e32 v3, 31, v2
	ds_write_b64 v11, v[2:3] offset:5120
.LBB133_157:                            ;   in Loop: Header=BB133_25 Depth=1
	s_or_b64 exec, exec, s[6:7]
	s_waitcnt lgkmcnt(0)
	s_barrier
	s_mov_b64 s[6:7], -1
	s_and_b64 vcc, exec, s[64:65]
	s_cbranch_vccnz .LBB133_40
	s_branch .LBB133_50
.LBB133_158:                            ;   in Loop: Header=BB133_25 Depth=1
                                        ; implicit-def: $vgpr2_vgpr3
	s_branch .LBB133_114
.LBB133_159:                            ;   in Loop: Header=BB133_25 Depth=1
	s_mov_b64 s[20:21], -1
	s_mov_b64 s[6:7], 0
                                        ; implicit-def: $sgpr18_sgpr19
                                        ; implicit-def: $vgpr35
	s_mov_b64 s[22:23], s[20:21]
	s_cbranch_execnz .LBB133_162
	s_branch .LBB133_175
.LBB133_160:                            ;   in Loop: Header=BB133_25 Depth=1
	s_or_b64 exec, exec, s[20:21]
	v_lshrrev_b32_e32 v35, 16, v7
	s_and_b64 s[6:7], s[22:23], exec
.LBB133_161:                            ;   in Loop: Header=BB133_25 Depth=1
	s_or_b64 exec, exec, s[18:19]
	s_mov_b64 s[18:19], -1
	s_mov_b64 s[20:21], 0
	s_mov_b64 s[22:23], s[20:21]
	s_branch .LBB133_175
.LBB133_162:                            ;   in Loop: Header=BB133_25 Depth=1
	s_mov_b32 s86, s79
	s_cmp_lg_u64 s[86:87], 0
	s_cbranch_scc0 .LBB133_205
; %bb.163:                              ;   in Loop: Header=BB133_25 Depth=1
	v_cvt_f32_u32_e32 v2, s54
	s_sub_u32 s6, 0, s54
	s_subb_u32 s7, 0, 0
	v_mac_f32_e32 v2, 0, v32
	v_rcp_f32_e32 v2, v2
	v_mul_f32_e32 v2, 0x5f7ffffc, v2
	v_mul_f32_e32 v3, 0x2f800000, v2
	v_trunc_f32_e32 v3, v3
	v_mac_f32_e32 v2, 0xcf800000, v3
	v_cvt_u32_f32_e32 v3, v3
	v_cvt_u32_f32_e32 v2, v2
	v_readfirstlane_b32 s8, v3
	v_readfirstlane_b32 s9, v2
	s_mul_i32 s18, s6, s8
	s_mul_hi_u32 s20, s6, s9
	s_mul_i32 s19, s7, s9
	s_add_i32 s18, s20, s18
	s_mul_i32 s21, s6, s9
	s_add_i32 s18, s18, s19
	s_mul_hi_u32 s20, s9, s21
	s_mul_hi_u32 s19, s9, s18
	s_mul_i32 s9, s9, s18
	s_add_u32 s9, s20, s9
	s_addc_u32 s19, 0, s19
	s_mul_hi_u32 s22, s8, s21
	s_mul_i32 s21, s8, s21
	s_add_u32 s9, s9, s21
	s_mul_hi_u32 s20, s8, s18
	s_addc_u32 s9, s19, s22
	s_addc_u32 s19, s20, 0
	s_mul_i32 s18, s8, s18
	s_add_u32 s9, s9, s18
	s_addc_u32 s18, 0, s19
	v_add_co_u32_e32 v2, vcc, s9, v2
	s_cmp_lg_u64 vcc, 0
	s_addc_u32 s8, s8, s18
	v_readfirstlane_b32 s18, v2
	s_mul_i32 s9, s6, s8
	s_mul_hi_u32 s19, s6, s18
	s_add_i32 s9, s19, s9
	s_mul_i32 s7, s7, s18
	s_add_i32 s9, s9, s7
	s_mul_i32 s6, s6, s18
	s_mul_hi_u32 s19, s8, s6
	s_mul_i32 s20, s8, s6
	s_mul_i32 s22, s18, s9
	s_mul_hi_u32 s6, s18, s6
	s_mul_hi_u32 s21, s18, s9
	s_add_u32 s6, s6, s22
	s_addc_u32 s18, 0, s21
	s_add_u32 s6, s6, s20
	s_mul_hi_u32 s7, s8, s9
	s_addc_u32 s6, s18, s19
	s_addc_u32 s7, s7, 0
	s_mul_i32 s9, s8, s9
	s_add_u32 s6, s6, s9
	s_addc_u32 s7, 0, s7
	v_add_co_u32_e32 v2, vcc, s6, v2
	s_cmp_lg_u64 vcc, 0
	s_addc_u32 s6, s8, s7
	v_readfirstlane_b32 s9, v2
	s_mul_i32 s8, s3, s6
	s_mul_hi_u32 s18, s3, s9
	s_mul_hi_u32 s7, s3, s6
	s_add_u32 s8, s18, s8
	s_addc_u32 s7, 0, s7
	s_mul_hi_u32 s19, s87, s9
	s_mul_i32 s9, s87, s9
	s_add_u32 s8, s8, s9
	s_mul_hi_u32 s18, s87, s6
	s_addc_u32 s7, s7, s19
	s_addc_u32 s8, s18, 0
	s_mul_i32 s6, s87, s6
	s_add_u32 s6, s7, s6
	s_addc_u32 s7, 0, s8
	s_mul_hi_u32 s8, s54, s6
	s_mul_i32 s6, s54, s6
	s_mul_i32 s7, s54, s7
	v_mov_b32_e32 v2, s6
	s_add_i32 s8, s8, s7
	v_sub_co_u32_e32 v2, vcc, s3, v2
	s_cmp_lg_u64 vcc, 0
	s_subb_u32 s6, s87, s8
	v_subrev_co_u32_e32 v3, vcc, s54, v2
	s_cmp_lg_u64 vcc, 0
	s_subb_u32 s7, s6, 0
	v_subrev_co_u32_e32 v4, vcc, s54, v3
	s_cmp_lg_u64 vcc, 0
	s_subb_u32 s8, s7, 0
	v_cmp_le_u32_e32 vcc, s54, v3
	s_cmp_eq_u32 s7, 0
	v_cndmask_b32_e64 v5, 0, -1, vcc
	s_cselect_b64 vcc, -1, 0
	v_cndmask_b32_e32 v5, -1, v5, vcc
	v_mov_b32_e32 v6, s7
	v_mov_b32_e32 v7, s8
	v_cmp_ne_u32_e32 vcc, 0, v5
	v_cndmask_b32_e32 v5, v6, v7, vcc
	v_cndmask_b32_e32 v4, v3, v4, vcc
	v_cmp_le_u32_e32 vcc, s54, v2
	s_cmp_eq_u32 s6, 0
	v_cndmask_b32_e64 v3, 0, -1, vcc
	s_cselect_b64 vcc, -1, 0
	v_cndmask_b32_e32 v3, -1, v3, vcc
	v_mov_b32_e32 v6, s6
	v_cmp_ne_u32_e32 vcc, 0, v3
	v_cndmask_b32_e32 v3, v6, v5, vcc
	v_cndmask_b32_e32 v2, v2, v4, vcc
	s_cbranch_execnz .LBB133_165
.LBB133_164:                            ;   in Loop: Header=BB133_25 Depth=1
	v_cvt_f32_u32_e32 v2, s54
	s_sub_i32 s6, 0, s54
	v_rcp_iflag_f32_e32 v2, v2
	v_mul_f32_e32 v2, 0x4f7ffffe, v2
	v_cvt_u32_f32_e32 v2, v2
	v_mul_lo_u32 v3, s6, v2
	v_mul_hi_u32 v3, v2, v3
	v_add_u32_e32 v2, v2, v3
	v_mul_hi_u32 v2, s3, v2
	v_mul_lo_u32 v2, v2, s54
	v_sub_u32_e32 v2, s3, v2
	v_subrev_u32_e32 v3, s54, v2
	v_cmp_le_u32_e32 vcc, s54, v2
	v_cndmask_b32_e32 v2, v2, v3, vcc
	v_subrev_u32_e32 v3, s54, v2
	v_cmp_le_u32_e32 vcc, s54, v2
	v_cndmask_b32_e32 v10, v2, v3, vcc
	v_pk_mov_b32 v[2:3], v[10:11], v[10:11] op_sel:[0,1]
.LBB133_165:                            ;   in Loop: Header=BB133_25 Depth=1
	v_mov_b32_e32 v4, s87
	v_sub_co_u32_e32 v2, vcc, s3, v2
	v_subb_co_u32_e32 v3, vcc, v4, v3, vcc
	v_cmp_gt_u64_e32 vcc, v[2:3], v[0:1]
	s_mov_b64 s[6:7], 0
                                        ; implicit-def: $vgpr35
	s_and_saveexec_b64 s[8:9], vcc
	s_cbranch_execz .LBB133_174
; %bb.166:                              ;   in Loop: Header=BB133_25 Depth=1
	s_mov_b64 s[18:19], 0
	v_pk_mov_b32 v[4:5], v[0:1], v[0:1] op_sel:[0,1]
                                        ; implicit-def: $sgpr20_sgpr21
	s_branch .LBB133_168
.LBB133_167:                            ;   in Loop: Header=BB133_168 Depth=2
	s_or_b64 exec, exec, s[6:7]
	s_waitcnt lgkmcnt(0)
	s_barrier
	s_waitcnt vmcnt(0)
	ds_read_b32 v6, v11 offset:3072
	v_mov_b32_e32 v7, s84
	v_add_co_u32_e64 v4, s[6:7], s54, v4
	v_addc_co_u32_e64 v5, s[6:7], v5, v7, s[6:7]
	s_waitcnt lgkmcnt(0)
	v_cmp_neq_f16_e32 vcc, 0, v6
	v_cmp_ge_u64_e64 s[6:7], v[4:5], v[2:3]
	s_or_b64 s[6:7], s[6:7], vcc
	s_and_b64 s[6:7], exec, s[6:7]
	s_or_b64 s[18:19], s[6:7], s[18:19]
	s_andn2_b64 s[6:7], s[20:21], exec
	s_and_b64 s[20:21], vcc, exec
	s_or_b64 s[20:21], s[6:7], s[20:21]
	s_barrier
	s_andn2_b64 exec, exec, s[18:19]
	s_cbranch_execz .LBB133_173
.LBB133_168:                            ;   Parent Loop BB133_25 Depth=1
                                        ; =>  This Inner Loop Header: Depth=2
	v_cmp_gt_u64_e32 vcc, s[52:53], v[4:5]
	v_mov_b32_e32 v6, 0
	s_and_saveexec_b64 s[22:23], vcc
	s_cbranch_execz .LBB133_170
; %bb.169:                              ;   in Loop: Header=BB133_168 Depth=2
	v_mul_lo_u32 v8, v5, s68
	v_mul_lo_u32 v9, v4, s69
	v_mad_u64_u32 v[6:7], s[6:7], v4, s68, 0
	v_add3_u32 v7, v7, v9, v8
	v_lshlrev_b64 v[6:7], 1, v[6:7]
	v_mov_b32_e32 v8, s55
	v_add_co_u32_e64 v6, s[6:7], s33, v6
	v_addc_co_u32_e64 v7, s[6:7], v8, v7, s[6:7]
	global_load_ushort v6, v[6:7], off
.LBB133_170:                            ;   in Loop: Header=BB133_168 Depth=2
	s_or_b64 exec, exec, s[22:23]
	s_and_saveexec_b64 s[6:7], vcc
	s_cbranch_execz .LBB133_167
; %bb.171:                              ;   in Loop: Header=BB133_168 Depth=2
	s_waitcnt vmcnt(0)
	v_cmp_lt_i16_e32 vcc, -1, v6
	v_cndmask_b32_e32 v7, v30, v31, vcc
	v_xor_b32_sdwa v7, v7, v6 dst_sel:DWORD dst_unused:UNUSED_PAD src0_sel:DWORD src1_sel:WORD_0
	v_cmp_o_f16_e32 vcc, v6, v6
	v_cndmask_b32_e32 v7, v30, v7, vcc
	v_and_b32_e32 v7, s27, v7
	v_cmp_eq_u32_e32 vcc, s80, v7
	s_and_b64 exec, exec, vcc
	s_cbranch_execz .LBB133_167
; %bb.172:                              ;   in Loop: Header=BB133_168 Depth=2
	v_perm_b32 v6, v6, s0, v34
	ds_write_b32 v11, v6 offset:3072
	s_branch .LBB133_167
.LBB133_173:                            ;   in Loop: Header=BB133_25 Depth=1
	s_or_b64 exec, exec, s[18:19]
	v_lshrrev_b32_e32 v35, 16, v6
	s_and_b64 s[6:7], s[20:21], exec
.LBB133_174:                            ;   in Loop: Header=BB133_25 Depth=1
	s_or_b64 exec, exec, s[8:9]
	s_mov_b64 s[22:23], -1
	s_mov_b64 s[20:21], 0
	s_mov_b64 s[18:19], 0
.LBB133_175:                            ;   in Loop: Header=BB133_25 Depth=1
	s_mov_b64 s[8:9], 0
                                        ; implicit-def: $sgpr49
	s_and_saveexec_b64 s[24:25], s[6:7]
	s_cbranch_execz .LBB133_286
; %bb.176:                              ;   in Loop: Header=BB133_25 Depth=1
	s_xor_b64 s[6:7], s[30:31], -1
	s_andn2_b64 vcc, exec, s[6:7]
	s_mov_b32 s49, 1
	s_cbranch_vccnz .LBB133_187
; %bb.177:                              ;   in Loop: Header=BB133_25 Depth=1
	v_pk_mov_b32 v[2:3], s[28:29], s[28:29] op_sel:[0,1]
	v_cmp_gt_u64_e32 vcc, s[82:83], v[2:3]
	s_mov_b64 s[6:7], -1
                                        ; implicit-def: $sgpr49
                                        ; implicit-def: $sgpr8
                                        ; implicit-def: $sgpr9
	s_cbranch_vccnz .LBB133_183
; %bb.178:                              ;   in Loop: Header=BB133_25 Depth=1
	ds_read_b64 v[2:3], v11 offset:5120
	s_waitcnt lgkmcnt(0)
	v_cmp_ne_u64_e32 vcc, 0, v[2:3]
	s_cbranch_vccnz .LBB133_182
; %bb.179:                              ;   in Loop: Header=BB133_25 Depth=1
	s_mov_b64 s[6:7], exec
	v_readlane_b32 s8, v44, 16
	v_readlane_b32 s9, v44, 17
	s_and_b64 s[8:9], s[6:7], s[8:9]
	s_mov_b64 exec, s[8:9]
	s_cbranch_execz .LBB133_181
; %bb.180:                              ;   in Loop: Header=BB133_25 Depth=1
	v_pk_mov_b32 v[2:3], s[28:29], s[28:29] op_sel:[0,1]
	ds_write_b64 v11, v[2:3] offset:5128
.LBB133_181:                            ;   in Loop: Header=BB133_25 Depth=1
	s_or_b64 exec, exec, s[6:7]
	s_waitcnt lgkmcnt(0)
	s_barrier
.LBB133_182:                            ;   in Loop: Header=BB133_25 Depth=1
	s_lshl_b32 s6, 1, s40
	s_and_b32 s7, s80, s41
	s_or_b32 s8, s7, s6
	s_or_b32 s9, s27, s48
	s_mov_b64 s[6:7], 0
	s_mov_b32 s49, 8
.LBB133_183:                            ;   in Loop: Header=BB133_25 Depth=1
	s_andn2_b64 vcc, exec, s[6:7]
	s_cbranch_vccnz .LBB133_185
; %bb.184:                              ;   in Loop: Header=BB133_25 Depth=1
	s_sub_u32 s82, s82, s28
	s_subb_u32 s83, s83, s29
	s_mov_b64 s[6:7], -1
	s_mov_b32 s49, 0
	s_mov_b32 s8, s80
	;; [unrolled: 1-line block ×3, first 2 shown]
.LBB133_185:                            ;   in Loop: Header=BB133_25 Depth=1
	s_mov_b32 s27, s9
	s_mov_b32 s80, s8
	s_andn2_b64 vcc, exec, s[6:7]
	s_mov_b64 s[8:9], -1
	s_cbranch_vccz .LBB133_188
.LBB133_186:                            ;   in Loop: Header=BB133_25 Depth=1
                                        ; implicit-def: $sgpr30_sgpr31
                                        ; implicit-def: $sgpr34_sgpr35
                                        ; implicit-def: $sgpr28_sgpr29
	s_branch .LBB133_285
.LBB133_187:                            ;   in Loop: Header=BB133_25 Depth=1
	s_mov_b64 s[82:83], 1
	s_mov_b64 s[8:9], -1
	s_cbranch_execnz .LBB133_186
.LBB133_188:                            ;   in Loop: Header=BB133_25 Depth=1
	s_cmp_eq_u64 s[16:17], 1
	s_cselect_b64 s[6:7], -1, 0
	s_cmp_eq_u64 s[82:83], 1
	s_cselect_b64 s[8:9], -1, 0
	s_and_b64 s[38:39], s[6:7], s[8:9]
	s_mov_b64 s[6:7], -1
	s_and_b64 vcc, exec, s[38:39]
	s_cbranch_vccz .LBB133_203
; %bb.189:                              ;   in Loop: Header=BB133_25 Depth=1
	ds_read_b64 v[2:3], v11 offset:5120
	s_waitcnt lgkmcnt(0)
	s_barrier
	v_readfirstlane_b32 s8, v2
	v_readfirstlane_b32 s9, v3
	s_mov_b64 s[6:7], exec
	v_readlane_b32 s28, v44, 26
	v_readlane_b32 s29, v44, 27
	s_and_b64 s[28:29], s[6:7], s[28:29]
	s_mov_b64 exec, s[28:29]
	s_cbranch_execz .LBB133_191
; %bb.190:                              ;   in Loop: Header=BB133_25 Depth=1
	ds_write_b16 v24, v13
.LBB133_191:                            ;   in Loop: Header=BB133_25 Depth=1
	s_or_b64 exec, exec, s[6:7]
	s_lshl_b32 s6, 2, s40
	s_and_b32 s7, s80, s41
	s_or_b32 s80, s7, s6
	s_or_b32 s27, s27, s48
	s_cmp_eq_u64 s[8:9], 0
	s_waitcnt lgkmcnt(0)
	s_barrier
	s_cbranch_scc1 .LBB133_206
; %bb.192:                              ;   in Loop: Header=BB133_25 Depth=1
	v_readlane_b32 s6, v44, 32
	s_add_u32 s30, s6, s8
	v_readlane_b32 s6, v44, 33
	s_addc_u32 s7, s6, s9
	s_mov_b32 s6, s79
	s_cmp_lg_u64 s[6:7], 0
	s_cbranch_scc0 .LBB133_251
; %bb.193:                              ;   in Loop: Header=BB133_25 Depth=1
	v_cvt_f32_u32_e32 v2, s54
	s_sub_u32 s6, 0, s54
	s_subb_u32 s28, 0, 0
	v_mac_f32_e32 v2, 0, v32
	v_rcp_f32_e32 v2, v2
	v_mul_f32_e32 v2, 0x5f7ffffc, v2
	v_mul_f32_e32 v3, 0x2f800000, v2
	v_trunc_f32_e32 v3, v3
	v_mac_f32_e32 v2, 0xcf800000, v3
	v_cvt_u32_f32_e32 v3, v3
	v_cvt_u32_f32_e32 v2, v2
	v_readfirstlane_b32 s29, v3
	v_readfirstlane_b32 s31, v2
	s_mul_i32 s34, s6, s29
	s_mul_hi_u32 s36, s6, s31
	s_mul_i32 s35, s28, s31
	s_add_i32 s34, s36, s34
	s_mul_i32 s37, s6, s31
	s_add_i32 s34, s34, s35
	s_mul_hi_u32 s36, s31, s37
	s_mul_hi_u32 s35, s31, s34
	s_mul_i32 s31, s31, s34
	s_add_u32 s31, s36, s31
	s_addc_u32 s35, 0, s35
	s_mul_hi_u32 s42, s29, s37
	s_mul_i32 s37, s29, s37
	s_add_u32 s31, s31, s37
	s_mul_hi_u32 s36, s29, s34
	s_addc_u32 s31, s35, s42
	s_addc_u32 s35, s36, 0
	s_mul_i32 s34, s29, s34
	s_add_u32 s31, s31, s34
	s_addc_u32 s34, 0, s35
	v_add_co_u32_e32 v2, vcc, s31, v2
	s_cmp_lg_u64 vcc, 0
	s_addc_u32 s29, s29, s34
	v_readfirstlane_b32 s34, v2
	s_mul_i32 s31, s6, s29
	s_mul_hi_u32 s35, s6, s34
	s_add_i32 s31, s35, s31
	s_mul_i32 s28, s28, s34
	s_add_i32 s31, s31, s28
	s_mul_i32 s6, s6, s34
	s_mul_hi_u32 s35, s29, s6
	s_mul_i32 s36, s29, s6
	s_mul_i32 s42, s34, s31
	s_mul_hi_u32 s6, s34, s6
	s_mul_hi_u32 s37, s34, s31
	s_add_u32 s6, s6, s42
	s_addc_u32 s34, 0, s37
	s_add_u32 s6, s6, s36
	s_mul_hi_u32 s28, s29, s31
	s_addc_u32 s6, s34, s35
	s_addc_u32 s28, s28, 0
	s_mul_i32 s31, s29, s31
	s_add_u32 s6, s6, s31
	s_addc_u32 s28, 0, s28
	v_add_co_u32_e32 v2, vcc, s6, v2
	s_cmp_lg_u64 vcc, 0
	s_addc_u32 s6, s29, s28
	v_readfirstlane_b32 s31, v2
	s_mul_i32 s29, s30, s6
	s_mul_hi_u32 s34, s30, s31
	s_mul_hi_u32 s28, s30, s6
	s_add_u32 s29, s34, s29
	s_addc_u32 s28, 0, s28
	s_mul_hi_u32 s35, s7, s31
	s_mul_i32 s31, s7, s31
	s_add_u32 s29, s29, s31
	s_mul_hi_u32 s34, s7, s6
	s_addc_u32 s28, s28, s35
	s_addc_u32 s29, s34, 0
	s_mul_i32 s6, s7, s6
	s_add_u32 s6, s28, s6
	s_addc_u32 s28, 0, s29
	s_mul_hi_u32 s29, s54, s6
	s_mul_i32 s6, s54, s6
	s_mul_i32 s28, s54, s28
	v_mov_b32_e32 v2, s6
	s_add_i32 s29, s29, s28
	v_sub_co_u32_e32 v2, vcc, s30, v2
	s_cmp_lg_u64 vcc, 0
	s_subb_u32 s6, s7, s29
	v_subrev_co_u32_e32 v3, vcc, s54, v2
	s_cmp_lg_u64 vcc, 0
	s_subb_u32 s28, s6, 0
	v_subrev_co_u32_e32 v4, vcc, s54, v3
	s_cmp_lg_u64 vcc, 0
	s_subb_u32 s29, s28, 0
	v_cmp_le_u32_e32 vcc, s54, v3
	s_cmp_eq_u32 s28, 0
	v_cndmask_b32_e64 v5, 0, -1, vcc
	s_cselect_b64 vcc, -1, 0
	v_cndmask_b32_e32 v5, -1, v5, vcc
	v_mov_b32_e32 v6, s28
	v_mov_b32_e32 v7, s29
	v_cmp_ne_u32_e32 vcc, 0, v5
	v_cndmask_b32_e32 v5, v6, v7, vcc
	v_cndmask_b32_e32 v4, v3, v4, vcc
	v_cmp_le_u32_e32 vcc, s54, v2
	s_cmp_eq_u32 s6, 0
	v_cndmask_b32_e64 v3, 0, -1, vcc
	s_cselect_b64 vcc, -1, 0
	v_cndmask_b32_e32 v3, -1, v3, vcc
	v_mov_b32_e32 v6, s6
	v_cmp_ne_u32_e32 vcc, 0, v3
	v_cndmask_b32_e32 v3, v6, v5, vcc
	v_cndmask_b32_e32 v2, v2, v4, vcc
	s_cbranch_execnz .LBB133_195
.LBB133_194:                            ;   in Loop: Header=BB133_25 Depth=1
	v_cvt_f32_u32_e32 v2, s54
	s_sub_i32 s6, 0, s54
	v_rcp_iflag_f32_e32 v2, v2
	v_mul_f32_e32 v2, 0x4f7ffffe, v2
	v_cvt_u32_f32_e32 v2, v2
	v_mul_lo_u32 v3, s6, v2
	v_mul_hi_u32 v3, v2, v3
	v_add_u32_e32 v2, v2, v3
	v_mul_hi_u32 v2, s30, v2
	v_mul_lo_u32 v2, v2, s54
	v_sub_u32_e32 v2, s30, v2
	v_subrev_u32_e32 v3, s54, v2
	v_cmp_le_u32_e32 vcc, s54, v2
	v_cndmask_b32_e32 v2, v2, v3, vcc
	v_subrev_u32_e32 v3, s54, v2
	v_cmp_le_u32_e32 vcc, s54, v2
	v_cndmask_b32_e32 v10, v2, v3, vcc
	v_pk_mov_b32 v[2:3], v[10:11], v[10:11] op_sel:[0,1]
.LBB133_195:                            ;   in Loop: Header=BB133_25 Depth=1
	v_mov_b32_e32 v4, s7
	v_sub_co_u32_e32 v2, vcc, s30, v2
	v_subb_co_u32_e32 v3, vcc, v4, v3, vcc
	v_cmp_gt_u64_e32 vcc, v[2:3], v[0:1]
	s_mov_b64 s[6:7], 0
                                        ; implicit-def: $vgpr35
	s_and_saveexec_b64 s[28:29], vcc
	s_cbranch_execz .LBB133_208
; %bb.196:                              ;   in Loop: Header=BB133_25 Depth=1
	s_mov_b64 s[30:31], 0
	v_mov_b32_e32 v6, v23
	v_pk_mov_b32 v[4:5], v[0:1], v[0:1] op_sel:[0,1]
                                        ; implicit-def: $sgpr34_sgpr35
	s_branch .LBB133_198
.LBB133_197:                            ;   in Loop: Header=BB133_198 Depth=2
	s_or_b64 exec, exec, s[6:7]
	s_waitcnt lgkmcnt(0)
	s_barrier
	ds_read_b32 v7, v11 offset:3072
	v_mov_b32_e32 v8, s84
	v_add_co_u32_e64 v4, s[6:7], s54, v4
	v_addc_co_u32_e64 v5, s[6:7], v5, v8, s[6:7]
	s_waitcnt lgkmcnt(0)
	v_cmp_neq_f16_e32 vcc, 0, v7
	v_cmp_ge_u64_e64 s[6:7], v[4:5], v[2:3]
	s_or_b64 s[6:7], s[6:7], vcc
	s_and_b64 s[6:7], exec, s[6:7]
	s_or_b64 s[30:31], s[6:7], s[30:31]
	s_andn2_b64 s[6:7], s[34:35], exec
	s_and_b64 s[34:35], vcc, exec
	v_add_u32_e32 v6, s2, v6
	s_or_b64 s[34:35], s[6:7], s[34:35]
	s_barrier
	s_andn2_b64 exec, exec, s[30:31]
	s_cbranch_execz .LBB133_207
.LBB133_198:                            ;   Parent Loop BB133_25 Depth=1
                                        ; =>  This Inner Loop Header: Depth=2
	v_cmp_gt_u64_e32 vcc, s[8:9], v[4:5]
	v_mov_b32_e32 v7, 0
	s_and_saveexec_b64 s[6:7], vcc
	s_cbranch_execz .LBB133_200
; %bb.199:                              ;   in Loop: Header=BB133_198 Depth=2
	ds_read_u16 v7, v6
.LBB133_200:                            ;   in Loop: Header=BB133_198 Depth=2
	s_or_b64 exec, exec, s[6:7]
	s_and_saveexec_b64 s[6:7], vcc
	s_cbranch_execz .LBB133_197
; %bb.201:                              ;   in Loop: Header=BB133_198 Depth=2
	s_waitcnt lgkmcnt(0)
	v_cmp_lt_i16_e32 vcc, -1, v7
	v_cndmask_b32_e32 v8, v30, v31, vcc
	v_xor_b32_sdwa v8, v8, v7 dst_sel:DWORD dst_unused:UNUSED_PAD src0_sel:DWORD src1_sel:WORD_0
	v_cmp_o_f16_e32 vcc, v7, v7
	v_cndmask_b32_e32 v8, v30, v8, vcc
	v_and_b32_e32 v8, s27, v8
	v_cmp_eq_u32_e32 vcc, s80, v8
	s_and_b64 exec, exec, vcc
	s_cbranch_execz .LBB133_197
; %bb.202:                              ;   in Loop: Header=BB133_198 Depth=2
	v_perm_b32 v7, v7, s0, v34
	ds_write_b32 v11, v7 offset:3072
	s_branch .LBB133_197
.LBB133_203:                            ;   in Loop: Header=BB133_25 Depth=1
                                        ; implicit-def: $sgpr28_sgpr29
                                        ; implicit-def: $sgpr34_sgpr35
                                        ; implicit-def: $sgpr30_sgpr31
	s_branch .LBB133_222
.LBB133_204:                            ;   in Loop: Header=BB133_25 Depth=1
                                        ; implicit-def: $vgpr2_vgpr3
	s_branch .LBB133_144
.LBB133_205:                            ;   in Loop: Header=BB133_25 Depth=1
                                        ; implicit-def: $vgpr2_vgpr3
	s_branch .LBB133_164
.LBB133_206:                            ;   in Loop: Header=BB133_25 Depth=1
	s_mov_b64 s[28:29], -1
	s_mov_b64 s[6:7], 0
                                        ; implicit-def: $sgpr30_sgpr31
                                        ; implicit-def: $vgpr35
	s_mov_b64 s[34:35], s[28:29]
	s_cbranch_execnz .LBB133_209
	s_branch .LBB133_222
.LBB133_207:                            ;   in Loop: Header=BB133_25 Depth=1
	s_or_b64 exec, exec, s[30:31]
	v_lshrrev_b32_e32 v35, 16, v7
	s_and_b64 s[6:7], s[34:35], exec
.LBB133_208:                            ;   in Loop: Header=BB133_25 Depth=1
	s_or_b64 exec, exec, s[28:29]
	s_mov_b64 s[30:31], -1
	s_mov_b64 s[28:29], 0
	s_mov_b64 s[34:35], s[28:29]
	s_branch .LBB133_222
.LBB133_209:                            ;   in Loop: Header=BB133_25 Depth=1
	s_mov_b32 s86, s79
	s_cmp_lg_u64 s[86:87], 0
	s_cbranch_scc0 .LBB133_252
; %bb.210:                              ;   in Loop: Header=BB133_25 Depth=1
	v_cvt_f32_u32_e32 v2, s54
	s_sub_u32 s6, 0, s54
	s_subb_u32 s7, 0, 0
	v_mac_f32_e32 v2, 0, v32
	v_rcp_f32_e32 v2, v2
	v_mul_f32_e32 v2, 0x5f7ffffc, v2
	v_mul_f32_e32 v3, 0x2f800000, v2
	v_trunc_f32_e32 v3, v3
	v_mac_f32_e32 v2, 0xcf800000, v3
	v_cvt_u32_f32_e32 v3, v3
	v_cvt_u32_f32_e32 v2, v2
	v_readfirstlane_b32 s8, v3
	v_readfirstlane_b32 s9, v2
	s_mul_i32 s28, s6, s8
	s_mul_hi_u32 s30, s6, s9
	s_mul_i32 s29, s7, s9
	s_add_i32 s28, s30, s28
	s_mul_i32 s31, s6, s9
	s_add_i32 s28, s28, s29
	s_mul_hi_u32 s30, s9, s31
	s_mul_hi_u32 s29, s9, s28
	s_mul_i32 s9, s9, s28
	s_add_u32 s9, s30, s9
	s_addc_u32 s29, 0, s29
	s_mul_hi_u32 s34, s8, s31
	s_mul_i32 s31, s8, s31
	s_add_u32 s9, s9, s31
	s_mul_hi_u32 s30, s8, s28
	s_addc_u32 s9, s29, s34
	s_addc_u32 s29, s30, 0
	s_mul_i32 s28, s8, s28
	s_add_u32 s9, s9, s28
	s_addc_u32 s28, 0, s29
	v_add_co_u32_e32 v2, vcc, s9, v2
	s_cmp_lg_u64 vcc, 0
	s_addc_u32 s8, s8, s28
	v_readfirstlane_b32 s28, v2
	s_mul_i32 s9, s6, s8
	s_mul_hi_u32 s29, s6, s28
	s_add_i32 s9, s29, s9
	s_mul_i32 s7, s7, s28
	s_add_i32 s9, s9, s7
	s_mul_i32 s6, s6, s28
	s_mul_hi_u32 s29, s8, s6
	s_mul_i32 s30, s8, s6
	s_mul_i32 s34, s28, s9
	s_mul_hi_u32 s6, s28, s6
	s_mul_hi_u32 s31, s28, s9
	s_add_u32 s6, s6, s34
	s_addc_u32 s28, 0, s31
	s_add_u32 s6, s6, s30
	s_mul_hi_u32 s7, s8, s9
	s_addc_u32 s6, s28, s29
	s_addc_u32 s7, s7, 0
	s_mul_i32 s9, s8, s9
	s_add_u32 s6, s6, s9
	s_addc_u32 s7, 0, s7
	v_add_co_u32_e32 v2, vcc, s6, v2
	s_cmp_lg_u64 vcc, 0
	s_addc_u32 s6, s8, s7
	v_readfirstlane_b32 s9, v2
	s_mul_i32 s8, s3, s6
	s_mul_hi_u32 s28, s3, s9
	s_mul_hi_u32 s7, s3, s6
	s_add_u32 s8, s28, s8
	s_addc_u32 s7, 0, s7
	s_mul_hi_u32 s29, s87, s9
	s_mul_i32 s9, s87, s9
	s_add_u32 s8, s8, s9
	s_mul_hi_u32 s28, s87, s6
	s_addc_u32 s7, s7, s29
	s_addc_u32 s8, s28, 0
	s_mul_i32 s6, s87, s6
	s_add_u32 s6, s7, s6
	s_addc_u32 s7, 0, s8
	s_mul_hi_u32 s8, s54, s6
	s_mul_i32 s6, s54, s6
	s_mul_i32 s7, s54, s7
	v_mov_b32_e32 v2, s6
	s_add_i32 s8, s8, s7
	v_sub_co_u32_e32 v2, vcc, s3, v2
	s_cmp_lg_u64 vcc, 0
	s_subb_u32 s6, s87, s8
	v_subrev_co_u32_e32 v3, vcc, s54, v2
	s_cmp_lg_u64 vcc, 0
	s_subb_u32 s7, s6, 0
	v_subrev_co_u32_e32 v4, vcc, s54, v3
	s_cmp_lg_u64 vcc, 0
	s_subb_u32 s8, s7, 0
	v_cmp_le_u32_e32 vcc, s54, v3
	s_cmp_eq_u32 s7, 0
	v_cndmask_b32_e64 v5, 0, -1, vcc
	s_cselect_b64 vcc, -1, 0
	v_cndmask_b32_e32 v5, -1, v5, vcc
	v_mov_b32_e32 v6, s7
	v_mov_b32_e32 v7, s8
	v_cmp_ne_u32_e32 vcc, 0, v5
	v_cndmask_b32_e32 v5, v6, v7, vcc
	v_cndmask_b32_e32 v4, v3, v4, vcc
	v_cmp_le_u32_e32 vcc, s54, v2
	s_cmp_eq_u32 s6, 0
	v_cndmask_b32_e64 v3, 0, -1, vcc
	s_cselect_b64 vcc, -1, 0
	v_cndmask_b32_e32 v3, -1, v3, vcc
	v_mov_b32_e32 v6, s6
	v_cmp_ne_u32_e32 vcc, 0, v3
	v_cndmask_b32_e32 v3, v6, v5, vcc
	v_cndmask_b32_e32 v2, v2, v4, vcc
	s_cbranch_execnz .LBB133_212
.LBB133_211:                            ;   in Loop: Header=BB133_25 Depth=1
	v_cvt_f32_u32_e32 v2, s54
	s_sub_i32 s6, 0, s54
	v_rcp_iflag_f32_e32 v2, v2
	v_mul_f32_e32 v2, 0x4f7ffffe, v2
	v_cvt_u32_f32_e32 v2, v2
	v_mul_lo_u32 v3, s6, v2
	v_mul_hi_u32 v3, v2, v3
	v_add_u32_e32 v2, v2, v3
	v_mul_hi_u32 v2, s3, v2
	v_mul_lo_u32 v2, v2, s54
	v_sub_u32_e32 v2, s3, v2
	v_subrev_u32_e32 v3, s54, v2
	v_cmp_le_u32_e32 vcc, s54, v2
	v_cndmask_b32_e32 v2, v2, v3, vcc
	v_subrev_u32_e32 v3, s54, v2
	v_cmp_le_u32_e32 vcc, s54, v2
	v_cndmask_b32_e32 v10, v2, v3, vcc
	v_pk_mov_b32 v[2:3], v[10:11], v[10:11] op_sel:[0,1]
.LBB133_212:                            ;   in Loop: Header=BB133_25 Depth=1
	v_mov_b32_e32 v4, s87
	v_sub_co_u32_e32 v2, vcc, s3, v2
	v_subb_co_u32_e32 v3, vcc, v4, v3, vcc
	v_cmp_gt_u64_e32 vcc, v[2:3], v[0:1]
	s_mov_b64 s[6:7], 0
                                        ; implicit-def: $vgpr35
	s_and_saveexec_b64 s[8:9], vcc
	s_cbranch_execz .LBB133_221
; %bb.213:                              ;   in Loop: Header=BB133_25 Depth=1
	s_mov_b64 s[28:29], 0
	v_pk_mov_b32 v[4:5], v[0:1], v[0:1] op_sel:[0,1]
                                        ; implicit-def: $sgpr30_sgpr31
	s_branch .LBB133_215
.LBB133_214:                            ;   in Loop: Header=BB133_215 Depth=2
	s_or_b64 exec, exec, s[6:7]
	s_waitcnt lgkmcnt(0)
	s_barrier
	s_waitcnt vmcnt(0)
	ds_read_b32 v6, v11 offset:3072
	v_mov_b32_e32 v7, s84
	v_add_co_u32_e64 v4, s[6:7], s54, v4
	v_addc_co_u32_e64 v5, s[6:7], v5, v7, s[6:7]
	s_waitcnt lgkmcnt(0)
	v_cmp_neq_f16_e32 vcc, 0, v6
	v_cmp_ge_u64_e64 s[6:7], v[4:5], v[2:3]
	s_or_b64 s[6:7], s[6:7], vcc
	s_and_b64 s[6:7], exec, s[6:7]
	s_or_b64 s[28:29], s[6:7], s[28:29]
	s_andn2_b64 s[6:7], s[30:31], exec
	s_and_b64 s[30:31], vcc, exec
	s_or_b64 s[30:31], s[6:7], s[30:31]
	s_barrier
	s_andn2_b64 exec, exec, s[28:29]
	s_cbranch_execz .LBB133_220
.LBB133_215:                            ;   Parent Loop BB133_25 Depth=1
                                        ; =>  This Inner Loop Header: Depth=2
	v_cmp_gt_u64_e32 vcc, s[52:53], v[4:5]
	v_mov_b32_e32 v6, 0
	s_and_saveexec_b64 s[34:35], vcc
	s_cbranch_execz .LBB133_217
; %bb.216:                              ;   in Loop: Header=BB133_215 Depth=2
	v_mul_lo_u32 v8, v5, s68
	v_mul_lo_u32 v9, v4, s69
	v_mad_u64_u32 v[6:7], s[6:7], v4, s68, 0
	v_add3_u32 v7, v7, v9, v8
	v_lshlrev_b64 v[6:7], 1, v[6:7]
	v_mov_b32_e32 v8, s55
	v_add_co_u32_e64 v6, s[6:7], s33, v6
	v_addc_co_u32_e64 v7, s[6:7], v8, v7, s[6:7]
	global_load_ushort v6, v[6:7], off
.LBB133_217:                            ;   in Loop: Header=BB133_215 Depth=2
	s_or_b64 exec, exec, s[34:35]
	s_and_saveexec_b64 s[6:7], vcc
	s_cbranch_execz .LBB133_214
; %bb.218:                              ;   in Loop: Header=BB133_215 Depth=2
	s_waitcnt vmcnt(0)
	v_cmp_lt_i16_e32 vcc, -1, v6
	v_cndmask_b32_e32 v7, v30, v31, vcc
	v_xor_b32_sdwa v7, v7, v6 dst_sel:DWORD dst_unused:UNUSED_PAD src0_sel:DWORD src1_sel:WORD_0
	v_cmp_o_f16_e32 vcc, v6, v6
	v_cndmask_b32_e32 v7, v30, v7, vcc
	v_and_b32_e32 v7, s27, v7
	v_cmp_eq_u32_e32 vcc, s80, v7
	s_and_b64 exec, exec, vcc
	s_cbranch_execz .LBB133_214
; %bb.219:                              ;   in Loop: Header=BB133_215 Depth=2
	v_perm_b32 v6, v6, s0, v34
	ds_write_b32 v11, v6 offset:3072
	s_branch .LBB133_214
.LBB133_220:                            ;   in Loop: Header=BB133_25 Depth=1
	s_or_b64 exec, exec, s[28:29]
	v_lshrrev_b32_e32 v35, 16, v6
	s_and_b64 s[6:7], s[30:31], exec
.LBB133_221:                            ;   in Loop: Header=BB133_25 Depth=1
	s_or_b64 exec, exec, s[8:9]
	s_mov_b64 s[34:35], -1
	s_mov_b64 s[28:29], 0
	s_mov_b64 s[30:31], 0
.LBB133_222:                            ;   in Loop: Header=BB133_25 Depth=1
	s_mov_b64 s[8:9], 0
                                        ; implicit-def: $sgpr49
	s_and_saveexec_b64 s[36:37], s[6:7]
	s_cbranch_execz .LBB133_284
; %bb.223:                              ;   in Loop: Header=BB133_25 Depth=1
	s_xor_b64 s[6:7], s[38:39], -1
	s_andn2_b64 vcc, exec, s[6:7]
	s_mov_b32 s49, 1
	s_cbranch_vccnz .LBB133_234
; %bb.224:                              ;   in Loop: Header=BB133_25 Depth=1
	v_pk_mov_b32 v[2:3], s[16:17], s[16:17] op_sel:[0,1]
	v_cmp_gt_u64_e32 vcc, s[82:83], v[2:3]
	s_mov_b64 s[6:7], -1
                                        ; implicit-def: $sgpr49
                                        ; implicit-def: $sgpr8
                                        ; implicit-def: $sgpr9
	s_cbranch_vccnz .LBB133_230
; %bb.225:                              ;   in Loop: Header=BB133_25 Depth=1
	ds_read_b64 v[2:3], v11 offset:5120
	s_waitcnt lgkmcnt(0)
	v_cmp_ne_u64_e32 vcc, 0, v[2:3]
	s_cbranch_vccnz .LBB133_229
; %bb.226:                              ;   in Loop: Header=BB133_25 Depth=1
	s_mov_b64 s[6:7], exec
	v_readlane_b32 s8, v44, 16
	v_readlane_b32 s9, v44, 17
	s_and_b64 s[8:9], s[6:7], s[8:9]
	s_mov_b64 exec, s[8:9]
	s_cbranch_execz .LBB133_228
; %bb.227:                              ;   in Loop: Header=BB133_25 Depth=1
	v_pk_mov_b32 v[2:3], s[16:17], s[16:17] op_sel:[0,1]
	ds_write_b64 v11, v[2:3] offset:5128
.LBB133_228:                            ;   in Loop: Header=BB133_25 Depth=1
	s_or_b64 exec, exec, s[6:7]
	s_waitcnt lgkmcnt(0)
	s_barrier
.LBB133_229:                            ;   in Loop: Header=BB133_25 Depth=1
	s_lshl_b32 s6, 2, s40
	s_and_b32 s7, s80, s41
	s_or_b32 s8, s7, s6
	s_or_b32 s9, s27, s48
	s_mov_b64 s[6:7], 0
	s_mov_b32 s49, 8
.LBB133_230:                            ;   in Loop: Header=BB133_25 Depth=1
	s_andn2_b64 vcc, exec, s[6:7]
	s_cbranch_vccnz .LBB133_232
; %bb.231:                              ;   in Loop: Header=BB133_25 Depth=1
	s_sub_u32 s82, s82, s16
	s_subb_u32 s83, s83, s17
	s_mov_b64 s[6:7], -1
	s_mov_b32 s49, 0
	s_mov_b32 s8, s80
	;; [unrolled: 1-line block ×3, first 2 shown]
.LBB133_232:                            ;   in Loop: Header=BB133_25 Depth=1
	s_mov_b32 s27, s9
	s_mov_b32 s80, s8
	s_andn2_b64 vcc, exec, s[6:7]
	s_mov_b64 s[44:45], -1
	s_cbranch_vccz .LBB133_235
.LBB133_233:                            ;   in Loop: Header=BB133_25 Depth=1
                                        ; implicit-def: $sgpr6_sgpr7
                                        ; implicit-def: $sgpr38_sgpr39
                                        ; implicit-def: $sgpr8_sgpr9
	s_branch .LBB133_283
.LBB133_234:                            ;   in Loop: Header=BB133_25 Depth=1
	s_mov_b64 s[82:83], 1
	s_mov_b64 s[44:45], -1
	s_cbranch_execnz .LBB133_233
.LBB133_235:                            ;   in Loop: Header=BB133_25 Depth=1
	s_cmp_eq_u64 s[10:11], 1
	s_cselect_b64 s[6:7], -1, 0
	s_cmp_eq_u64 s[82:83], 1
	s_cselect_b64 s[8:9], -1, 0
	s_and_b64 s[16:17], s[6:7], s[8:9]
	s_mov_b64 s[40:41], -1
	s_and_b64 vcc, exec, s[16:17]
	s_cbranch_vccz .LBB133_250
; %bb.236:                              ;   in Loop: Header=BB133_25 Depth=1
	ds_read_b64 v[2:3], v11 offset:5120
	s_waitcnt lgkmcnt(0)
	s_barrier
	v_readfirstlane_b32 s8, v2
	v_readfirstlane_b32 s9, v3
	s_mov_b64 s[6:7], exec
	v_readlane_b32 s38, v44, 26
	v_readlane_b32 s39, v44, 27
	s_and_b64 s[38:39], s[6:7], s[38:39]
	s_mov_b64 exec, s[38:39]
	s_cbranch_execz .LBB133_238
; %bb.237:                              ;   in Loop: Header=BB133_25 Depth=1
	ds_write_b16 v24, v13
.LBB133_238:                            ;   in Loop: Header=BB133_25 Depth=1
	s_or_b64 exec, exec, s[6:7]
	s_or_b32 s80, s80, s48
	s_or_b32 s27, s27, s48
	s_cmp_eq_u64 s[8:9], 0
	s_waitcnt lgkmcnt(0)
	s_barrier
	s_cbranch_scc1 .LBB133_253
; %bb.239:                              ;   in Loop: Header=BB133_25 Depth=1
	v_readlane_b32 s6, v44, 32
	s_add_u32 s40, s6, s8
	v_readlane_b32 s6, v44, 33
	s_addc_u32 s7, s6, s9
	s_mov_b32 s6, s79
	s_cmp_lg_u64 s[6:7], 0
	s_cbranch_scc0 .LBB133_289
; %bb.240:                              ;   in Loop: Header=BB133_25 Depth=1
	v_cvt_f32_u32_e32 v2, s54
	s_sub_u32 s6, 0, s54
	s_subb_u32 s38, 0, 0
	v_mac_f32_e32 v2, 0, v32
	v_rcp_f32_e32 v2, v2
	v_mul_f32_e32 v2, 0x5f7ffffc, v2
	v_mul_f32_e32 v3, 0x2f800000, v2
	v_trunc_f32_e32 v3, v3
	v_mac_f32_e32 v2, 0xcf800000, v3
	v_cvt_u32_f32_e32 v3, v3
	v_cvt_u32_f32_e32 v2, v2
	v_readfirstlane_b32 s39, v3
	v_readfirstlane_b32 s41, v2
	s_mul_i32 s42, s6, s39
	s_mul_hi_u32 s44, s6, s41
	s_mul_i32 s43, s38, s41
	s_add_i32 s42, s44, s42
	s_mul_i32 s45, s6, s41
	s_add_i32 s42, s42, s43
	s_mul_hi_u32 s44, s41, s45
	s_mul_hi_u32 s43, s41, s42
	s_mul_i32 s41, s41, s42
	s_add_u32 s41, s44, s41
	s_addc_u32 s43, 0, s43
	s_mul_hi_u32 s46, s39, s45
	s_mul_i32 s45, s39, s45
	s_add_u32 s41, s41, s45
	s_mul_hi_u32 s44, s39, s42
	s_addc_u32 s41, s43, s46
	s_addc_u32 s43, s44, 0
	s_mul_i32 s42, s39, s42
	s_add_u32 s41, s41, s42
	s_addc_u32 s42, 0, s43
	v_add_co_u32_e32 v2, vcc, s41, v2
	s_cmp_lg_u64 vcc, 0
	s_addc_u32 s39, s39, s42
	v_readfirstlane_b32 s42, v2
	s_mul_i32 s41, s6, s39
	s_mul_hi_u32 s43, s6, s42
	s_add_i32 s41, s43, s41
	s_mul_i32 s38, s38, s42
	s_add_i32 s41, s41, s38
	s_mul_i32 s6, s6, s42
	s_mul_hi_u32 s43, s39, s6
	s_mul_i32 s44, s39, s6
	s_mul_i32 s46, s42, s41
	s_mul_hi_u32 s6, s42, s6
	s_mul_hi_u32 s45, s42, s41
	s_add_u32 s6, s6, s46
	s_addc_u32 s42, 0, s45
	s_add_u32 s6, s6, s44
	s_mul_hi_u32 s38, s39, s41
	s_addc_u32 s6, s42, s43
	s_addc_u32 s38, s38, 0
	s_mul_i32 s41, s39, s41
	s_add_u32 s6, s6, s41
	s_addc_u32 s38, 0, s38
	v_add_co_u32_e32 v2, vcc, s6, v2
	s_cmp_lg_u64 vcc, 0
	s_addc_u32 s6, s39, s38
	v_readfirstlane_b32 s41, v2
	s_mul_i32 s39, s40, s6
	s_mul_hi_u32 s42, s40, s41
	s_mul_hi_u32 s38, s40, s6
	s_add_u32 s39, s42, s39
	s_addc_u32 s38, 0, s38
	s_mul_hi_u32 s43, s7, s41
	s_mul_i32 s41, s7, s41
	s_add_u32 s39, s39, s41
	s_mul_hi_u32 s42, s7, s6
	s_addc_u32 s38, s38, s43
	s_addc_u32 s39, s42, 0
	s_mul_i32 s6, s7, s6
	s_add_u32 s6, s38, s6
	s_addc_u32 s38, 0, s39
	s_mul_hi_u32 s39, s54, s6
	s_mul_i32 s6, s54, s6
	s_mul_i32 s38, s54, s38
	v_mov_b32_e32 v2, s6
	s_add_i32 s39, s39, s38
	v_sub_co_u32_e32 v2, vcc, s40, v2
	s_cmp_lg_u64 vcc, 0
	s_subb_u32 s6, s7, s39
	v_subrev_co_u32_e32 v3, vcc, s54, v2
	s_cmp_lg_u64 vcc, 0
	s_subb_u32 s38, s6, 0
	v_subrev_co_u32_e32 v4, vcc, s54, v3
	s_cmp_lg_u64 vcc, 0
	s_subb_u32 s39, s38, 0
	v_cmp_le_u32_e32 vcc, s54, v3
	s_cmp_eq_u32 s38, 0
	v_cndmask_b32_e64 v5, 0, -1, vcc
	s_cselect_b64 vcc, -1, 0
	v_cndmask_b32_e32 v5, -1, v5, vcc
	v_mov_b32_e32 v6, s38
	v_mov_b32_e32 v7, s39
	v_cmp_ne_u32_e32 vcc, 0, v5
	v_cndmask_b32_e32 v5, v6, v7, vcc
	v_cndmask_b32_e32 v4, v3, v4, vcc
	v_cmp_le_u32_e32 vcc, s54, v2
	s_cmp_eq_u32 s6, 0
	v_cndmask_b32_e64 v3, 0, -1, vcc
	s_cselect_b64 vcc, -1, 0
	v_cndmask_b32_e32 v3, -1, v3, vcc
	v_mov_b32_e32 v6, s6
	v_cmp_ne_u32_e32 vcc, 0, v3
	v_cndmask_b32_e32 v3, v6, v5, vcc
	v_cndmask_b32_e32 v2, v2, v4, vcc
	s_cbranch_execnz .LBB133_242
.LBB133_241:                            ;   in Loop: Header=BB133_25 Depth=1
	v_cvt_f32_u32_e32 v2, s54
	s_sub_i32 s6, 0, s54
	v_rcp_iflag_f32_e32 v2, v2
	v_mul_f32_e32 v2, 0x4f7ffffe, v2
	v_cvt_u32_f32_e32 v2, v2
	v_mul_lo_u32 v3, s6, v2
	v_mul_hi_u32 v3, v2, v3
	v_add_u32_e32 v2, v2, v3
	v_mul_hi_u32 v2, s40, v2
	v_mul_lo_u32 v2, v2, s54
	v_sub_u32_e32 v2, s40, v2
	v_subrev_u32_e32 v3, s54, v2
	v_cmp_le_u32_e32 vcc, s54, v2
	v_cndmask_b32_e32 v2, v2, v3, vcc
	v_subrev_u32_e32 v3, s54, v2
	v_cmp_le_u32_e32 vcc, s54, v2
	v_cndmask_b32_e32 v10, v2, v3, vcc
	v_pk_mov_b32 v[2:3], v[10:11], v[10:11] op_sel:[0,1]
.LBB133_242:                            ;   in Loop: Header=BB133_25 Depth=1
	v_mov_b32_e32 v4, s7
	v_sub_co_u32_e32 v2, vcc, s40, v2
	v_subb_co_u32_e32 v3, vcc, v4, v3, vcc
	v_cmp_gt_u64_e32 vcc, v[2:3], v[0:1]
	s_mov_b64 s[40:41], 0
                                        ; implicit-def: $vgpr35
	s_and_saveexec_b64 s[38:39], vcc
	s_cbranch_execz .LBB133_255
; %bb.243:                              ;   in Loop: Header=BB133_25 Depth=1
	v_mov_b32_e32 v6, v23
	v_pk_mov_b32 v[4:5], v[0:1], v[0:1] op_sel:[0,1]
                                        ; implicit-def: $sgpr42_sgpr43
	s_branch .LBB133_245
.LBB133_244:                            ;   in Loop: Header=BB133_245 Depth=2
	s_or_b64 exec, exec, s[6:7]
	s_waitcnt lgkmcnt(0)
	s_barrier
	ds_read_b32 v7, v11 offset:3072
	v_mov_b32_e32 v8, s84
	v_add_co_u32_e64 v4, s[6:7], s54, v4
	v_addc_co_u32_e64 v5, s[6:7], v5, v8, s[6:7]
	s_waitcnt lgkmcnt(0)
	v_cmp_neq_f16_e32 vcc, 0, v7
	v_cmp_ge_u64_e64 s[6:7], v[4:5], v[2:3]
	s_or_b64 s[6:7], s[6:7], vcc
	s_and_b64 s[6:7], exec, s[6:7]
	s_or_b64 s[40:41], s[6:7], s[40:41]
	s_andn2_b64 s[6:7], s[42:43], exec
	s_and_b64 s[42:43], vcc, exec
	v_add_u32_e32 v6, s2, v6
	s_or_b64 s[42:43], s[6:7], s[42:43]
	s_barrier
	s_andn2_b64 exec, exec, s[40:41]
	s_cbranch_execz .LBB133_254
.LBB133_245:                            ;   Parent Loop BB133_25 Depth=1
                                        ; =>  This Inner Loop Header: Depth=2
	v_cmp_gt_u64_e32 vcc, s[8:9], v[4:5]
	v_mov_b32_e32 v7, 0
	s_and_saveexec_b64 s[6:7], vcc
	s_cbranch_execz .LBB133_247
; %bb.246:                              ;   in Loop: Header=BB133_245 Depth=2
	ds_read_u16 v7, v6
.LBB133_247:                            ;   in Loop: Header=BB133_245 Depth=2
	s_or_b64 exec, exec, s[6:7]
	s_and_saveexec_b64 s[6:7], vcc
	s_cbranch_execz .LBB133_244
; %bb.248:                              ;   in Loop: Header=BB133_245 Depth=2
	s_waitcnt lgkmcnt(0)
	v_cmp_lt_i16_e32 vcc, -1, v7
	v_cndmask_b32_e32 v8, v30, v31, vcc
	v_xor_b32_sdwa v8, v8, v7 dst_sel:DWORD dst_unused:UNUSED_PAD src0_sel:DWORD src1_sel:WORD_0
	v_cmp_o_f16_e32 vcc, v7, v7
	v_cndmask_b32_e32 v8, v30, v8, vcc
	v_and_b32_e32 v8, s27, v8
	v_cmp_eq_u32_e32 vcc, s80, v8
	s_and_b64 exec, exec, vcc
	s_cbranch_execz .LBB133_244
; %bb.249:                              ;   in Loop: Header=BB133_245 Depth=2
	v_perm_b32 v7, v7, s0, v34
	ds_write_b32 v11, v7 offset:3072
	s_branch .LBB133_244
.LBB133_250:                            ;   in Loop: Header=BB133_25 Depth=1
                                        ; implicit-def: $sgpr6_sgpr7
                                        ; implicit-def: $sgpr38_sgpr39
                                        ; implicit-def: $sgpr8_sgpr9
	s_branch .LBB133_269
.LBB133_251:                            ;   in Loop: Header=BB133_25 Depth=1
                                        ; implicit-def: $vgpr2_vgpr3
	s_branch .LBB133_194
.LBB133_252:                            ;   in Loop: Header=BB133_25 Depth=1
                                        ; implicit-def: $vgpr2_vgpr3
	s_branch .LBB133_211
.LBB133_253:                            ;   in Loop: Header=BB133_25 Depth=1
	s_mov_b64 s[6:7], -1
	s_mov_b64 s[40:41], 0
                                        ; implicit-def: $sgpr8_sgpr9
                                        ; implicit-def: $vgpr35
	s_mov_b64 s[38:39], s[6:7]
	s_cbranch_execnz .LBB133_256
	s_branch .LBB133_269
.LBB133_254:                            ;   in Loop: Header=BB133_25 Depth=1
	s_or_b64 exec, exec, s[40:41]
	v_lshrrev_b32_e32 v35, 16, v7
	s_and_b64 s[40:41], s[42:43], exec
.LBB133_255:                            ;   in Loop: Header=BB133_25 Depth=1
	s_or_b64 exec, exec, s[38:39]
	s_mov_b64 s[8:9], -1
	s_mov_b64 s[6:7], 0
	s_mov_b64 s[38:39], s[6:7]
	s_branch .LBB133_269
.LBB133_256:                            ;   in Loop: Header=BB133_25 Depth=1
	s_mov_b32 s86, s79
	s_cmp_lg_u64 s[86:87], 0
	s_cbranch_scc0 .LBB133_290
; %bb.257:                              ;   in Loop: Header=BB133_25 Depth=1
	v_cvt_f32_u32_e32 v2, s54
	s_sub_u32 s6, 0, s54
	s_subb_u32 s7, 0, 0
	v_mac_f32_e32 v2, 0, v32
	v_rcp_f32_e32 v2, v2
	v_mul_f32_e32 v2, 0x5f7ffffc, v2
	v_mul_f32_e32 v3, 0x2f800000, v2
	v_trunc_f32_e32 v3, v3
	v_mac_f32_e32 v2, 0xcf800000, v3
	v_cvt_u32_f32_e32 v3, v3
	v_cvt_u32_f32_e32 v2, v2
	v_readfirstlane_b32 s8, v3
	v_readfirstlane_b32 s9, v2
	s_mul_i32 s38, s6, s8
	s_mul_hi_u32 s40, s6, s9
	s_mul_i32 s39, s7, s9
	s_add_i32 s38, s40, s38
	s_mul_i32 s41, s6, s9
	s_add_i32 s38, s38, s39
	s_mul_hi_u32 s40, s9, s41
	s_mul_hi_u32 s39, s9, s38
	s_mul_i32 s9, s9, s38
	s_add_u32 s9, s40, s9
	s_addc_u32 s39, 0, s39
	s_mul_hi_u32 s42, s8, s41
	s_mul_i32 s41, s8, s41
	s_add_u32 s9, s9, s41
	s_mul_hi_u32 s40, s8, s38
	s_addc_u32 s9, s39, s42
	s_addc_u32 s39, s40, 0
	s_mul_i32 s38, s8, s38
	s_add_u32 s9, s9, s38
	s_addc_u32 s38, 0, s39
	v_add_co_u32_e32 v2, vcc, s9, v2
	s_cmp_lg_u64 vcc, 0
	s_addc_u32 s8, s8, s38
	v_readfirstlane_b32 s38, v2
	s_mul_i32 s9, s6, s8
	s_mul_hi_u32 s39, s6, s38
	s_add_i32 s9, s39, s9
	s_mul_i32 s7, s7, s38
	s_add_i32 s9, s9, s7
	s_mul_i32 s6, s6, s38
	s_mul_hi_u32 s39, s8, s6
	s_mul_i32 s40, s8, s6
	s_mul_i32 s42, s38, s9
	s_mul_hi_u32 s6, s38, s6
	s_mul_hi_u32 s41, s38, s9
	s_add_u32 s6, s6, s42
	s_addc_u32 s38, 0, s41
	s_add_u32 s6, s6, s40
	s_mul_hi_u32 s7, s8, s9
	s_addc_u32 s6, s38, s39
	s_addc_u32 s7, s7, 0
	s_mul_i32 s9, s8, s9
	s_add_u32 s6, s6, s9
	s_addc_u32 s7, 0, s7
	v_add_co_u32_e32 v2, vcc, s6, v2
	s_cmp_lg_u64 vcc, 0
	s_addc_u32 s6, s8, s7
	v_readfirstlane_b32 s9, v2
	s_mul_i32 s8, s3, s6
	s_mul_hi_u32 s38, s3, s9
	s_mul_hi_u32 s7, s3, s6
	s_add_u32 s8, s38, s8
	s_addc_u32 s7, 0, s7
	s_mul_hi_u32 s39, s87, s9
	s_mul_i32 s9, s87, s9
	s_add_u32 s8, s8, s9
	s_mul_hi_u32 s38, s87, s6
	s_addc_u32 s7, s7, s39
	s_addc_u32 s8, s38, 0
	s_mul_i32 s6, s87, s6
	s_add_u32 s6, s7, s6
	s_addc_u32 s7, 0, s8
	s_mul_hi_u32 s8, s54, s6
	s_mul_i32 s6, s54, s6
	s_mul_i32 s7, s54, s7
	v_mov_b32_e32 v2, s6
	s_add_i32 s8, s8, s7
	v_sub_co_u32_e32 v2, vcc, s3, v2
	s_cmp_lg_u64 vcc, 0
	s_subb_u32 s6, s87, s8
	v_subrev_co_u32_e32 v3, vcc, s54, v2
	s_cmp_lg_u64 vcc, 0
	s_subb_u32 s7, s6, 0
	v_subrev_co_u32_e32 v4, vcc, s54, v3
	s_cmp_lg_u64 vcc, 0
	s_subb_u32 s8, s7, 0
	v_cmp_le_u32_e32 vcc, s54, v3
	s_cmp_eq_u32 s7, 0
	v_cndmask_b32_e64 v5, 0, -1, vcc
	s_cselect_b64 vcc, -1, 0
	v_cndmask_b32_e32 v5, -1, v5, vcc
	v_mov_b32_e32 v6, s7
	v_mov_b32_e32 v7, s8
	v_cmp_ne_u32_e32 vcc, 0, v5
	v_cndmask_b32_e32 v5, v6, v7, vcc
	v_cndmask_b32_e32 v4, v3, v4, vcc
	v_cmp_le_u32_e32 vcc, s54, v2
	s_cmp_eq_u32 s6, 0
	v_cndmask_b32_e64 v3, 0, -1, vcc
	s_cselect_b64 vcc, -1, 0
	v_cndmask_b32_e32 v3, -1, v3, vcc
	v_mov_b32_e32 v6, s6
	v_cmp_ne_u32_e32 vcc, 0, v3
	v_cndmask_b32_e32 v3, v6, v5, vcc
	v_cndmask_b32_e32 v2, v2, v4, vcc
	s_cbranch_execnz .LBB133_259
.LBB133_258:                            ;   in Loop: Header=BB133_25 Depth=1
	v_cvt_f32_u32_e32 v2, s54
	s_sub_i32 s6, 0, s54
	v_rcp_iflag_f32_e32 v2, v2
	v_mul_f32_e32 v2, 0x4f7ffffe, v2
	v_cvt_u32_f32_e32 v2, v2
	v_mul_lo_u32 v3, s6, v2
	v_mul_hi_u32 v3, v2, v3
	v_add_u32_e32 v2, v2, v3
	v_mul_hi_u32 v2, s3, v2
	v_mul_lo_u32 v2, v2, s54
	v_sub_u32_e32 v2, s3, v2
	v_subrev_u32_e32 v3, s54, v2
	v_cmp_le_u32_e32 vcc, s54, v2
	v_cndmask_b32_e32 v2, v2, v3, vcc
	v_subrev_u32_e32 v3, s54, v2
	v_cmp_le_u32_e32 vcc, s54, v2
	v_cndmask_b32_e32 v10, v2, v3, vcc
	v_pk_mov_b32 v[2:3], v[10:11], v[10:11] op_sel:[0,1]
.LBB133_259:                            ;   in Loop: Header=BB133_25 Depth=1
	v_mov_b32_e32 v4, s87
	v_sub_co_u32_e32 v2, vcc, s3, v2
	v_subb_co_u32_e32 v3, vcc, v4, v3, vcc
	v_cmp_gt_u64_e32 vcc, v[2:3], v[0:1]
	s_mov_b64 s[40:41], 0
                                        ; implicit-def: $vgpr35
	s_and_saveexec_b64 s[8:9], vcc
	s_cbranch_execz .LBB133_268
; %bb.260:                              ;   in Loop: Header=BB133_25 Depth=1
	s_mov_b64 s[38:39], 0
	v_pk_mov_b32 v[4:5], v[0:1], v[0:1] op_sel:[0,1]
                                        ; implicit-def: $sgpr40_sgpr41
	s_branch .LBB133_262
.LBB133_261:                            ;   in Loop: Header=BB133_262 Depth=2
	s_or_b64 exec, exec, s[6:7]
	s_waitcnt lgkmcnt(0)
	s_barrier
	s_waitcnt vmcnt(0)
	ds_read_b32 v6, v11 offset:3072
	v_mov_b32_e32 v7, s84
	v_add_co_u32_e64 v4, s[6:7], s54, v4
	v_addc_co_u32_e64 v5, s[6:7], v5, v7, s[6:7]
	s_waitcnt lgkmcnt(0)
	v_cmp_neq_f16_e32 vcc, 0, v6
	v_cmp_ge_u64_e64 s[6:7], v[4:5], v[2:3]
	s_or_b64 s[6:7], s[6:7], vcc
	s_and_b64 s[6:7], exec, s[6:7]
	s_or_b64 s[38:39], s[6:7], s[38:39]
	s_andn2_b64 s[6:7], s[40:41], exec
	s_and_b64 s[40:41], vcc, exec
	s_or_b64 s[40:41], s[6:7], s[40:41]
	s_barrier
	s_andn2_b64 exec, exec, s[38:39]
	s_cbranch_execz .LBB133_267
.LBB133_262:                            ;   Parent Loop BB133_25 Depth=1
                                        ; =>  This Inner Loop Header: Depth=2
	v_cmp_gt_u64_e32 vcc, s[52:53], v[4:5]
	v_mov_b32_e32 v6, 0
	s_and_saveexec_b64 s[42:43], vcc
	s_cbranch_execz .LBB133_264
; %bb.263:                              ;   in Loop: Header=BB133_262 Depth=2
	v_mul_lo_u32 v8, v5, s68
	v_mul_lo_u32 v9, v4, s69
	v_mad_u64_u32 v[6:7], s[6:7], v4, s68, 0
	v_add3_u32 v7, v7, v9, v8
	v_lshlrev_b64 v[6:7], 1, v[6:7]
	v_mov_b32_e32 v8, s55
	v_add_co_u32_e64 v6, s[6:7], s33, v6
	v_addc_co_u32_e64 v7, s[6:7], v8, v7, s[6:7]
	global_load_ushort v6, v[6:7], off
.LBB133_264:                            ;   in Loop: Header=BB133_262 Depth=2
	s_or_b64 exec, exec, s[42:43]
	s_and_saveexec_b64 s[6:7], vcc
	s_cbranch_execz .LBB133_261
; %bb.265:                              ;   in Loop: Header=BB133_262 Depth=2
	s_waitcnt vmcnt(0)
	v_cmp_lt_i16_e32 vcc, -1, v6
	v_cndmask_b32_e32 v7, v30, v31, vcc
	v_xor_b32_sdwa v7, v7, v6 dst_sel:DWORD dst_unused:UNUSED_PAD src0_sel:DWORD src1_sel:WORD_0
	v_cmp_o_f16_e32 vcc, v6, v6
	v_cndmask_b32_e32 v7, v30, v7, vcc
	v_and_b32_e32 v7, s27, v7
	v_cmp_eq_u32_e32 vcc, s80, v7
	s_and_b64 exec, exec, vcc
	s_cbranch_execz .LBB133_261
; %bb.266:                              ;   in Loop: Header=BB133_262 Depth=2
	v_perm_b32 v6, v6, s0, v34
	ds_write_b32 v11, v6 offset:3072
	s_branch .LBB133_261
.LBB133_267:                            ;   in Loop: Header=BB133_25 Depth=1
	s_or_b64 exec, exec, s[38:39]
	v_lshrrev_b32_e32 v35, 16, v6
	s_and_b64 s[40:41], s[40:41], exec
.LBB133_268:                            ;   in Loop: Header=BB133_25 Depth=1
	s_or_b64 exec, exec, s[8:9]
	s_mov_b64 s[38:39], -1
	s_mov_b64 s[6:7], 0
	s_mov_b64 s[8:9], 0
.LBB133_269:                            ;   in Loop: Header=BB133_25 Depth=1
	s_mov_b64 s[44:45], 0
                                        ; implicit-def: $sgpr49
                                        ; implicit-def: $sgpr46_sgpr47
	s_and_saveexec_b64 s[42:43], s[40:41]
	s_cbranch_execz .LBB133_282
; %bb.270:                              ;   in Loop: Header=BB133_25 Depth=1
	s_xor_b64 s[16:17], s[16:17], -1
	s_mov_b64 s[46:47], 1
	s_andn2_b64 vcc, exec, s[16:17]
	s_mov_b32 s49, 1
	s_cbranch_vccnz .LBB133_281
; %bb.271:                              ;   in Loop: Header=BB133_25 Depth=1
	v_pk_mov_b32 v[2:3], s[10:11], s[10:11] op_sel:[0,1]
	v_cmp_gt_u64_e32 vcc, s[82:83], v[2:3]
	s_cbranch_vccnz .LBB133_277
; %bb.272:                              ;   in Loop: Header=BB133_25 Depth=1
	ds_read_b64 v[2:3], v11 offset:5120
	s_waitcnt lgkmcnt(0)
	v_cmp_ne_u64_e32 vcc, 0, v[2:3]
	s_cbranch_vccnz .LBB133_276
; %bb.273:                              ;   in Loop: Header=BB133_25 Depth=1
	s_mov_b64 s[16:17], exec
	v_readlane_b32 s40, v44, 16
	v_readlane_b32 s41, v44, 17
	s_and_b64 s[40:41], s[16:17], s[40:41]
	s_mov_b64 exec, s[40:41]
	s_cbranch_execz .LBB133_275
; %bb.274:                              ;   in Loop: Header=BB133_25 Depth=1
	v_pk_mov_b32 v[2:3], s[10:11], s[10:11] op_sel:[0,1]
	ds_write_b64 v11, v[2:3] offset:5128
.LBB133_275:                            ;   in Loop: Header=BB133_25 Depth=1
	s_or_b64 exec, exec, s[16:17]
	s_waitcnt lgkmcnt(0)
	s_barrier
.LBB133_276:                            ;   in Loop: Header=BB133_25 Depth=1
	s_or_b32 s40, s80, s48
	s_or_b32 s41, s27, s48
	s_mov_b64 s[16:17], 0
	s_mov_b32 s49, 8
	s_branch .LBB133_278
.LBB133_277:                            ;   in Loop: Header=BB133_25 Depth=1
	s_mov_b64 s[16:17], -1
                                        ; implicit-def: $sgpr49
                                        ; implicit-def: $sgpr40
                                        ; implicit-def: $sgpr41
.LBB133_278:                            ;   in Loop: Header=BB133_25 Depth=1
	s_andn2_b64 vcc, exec, s[16:17]
	s_cbranch_vccnz .LBB133_280
; %bb.279:                              ;   in Loop: Header=BB133_25 Depth=1
	s_sub_u32 s82, s82, s10
	s_subb_u32 s83, s83, s11
	s_mov_b32 s49, 8
	s_mov_b32 s40, s80
	;; [unrolled: 1-line block ×3, first 2 shown]
.LBB133_280:                            ;   in Loop: Header=BB133_25 Depth=1
	s_mov_b64 s[46:47], s[82:83]
	s_mov_b32 s80, s40
	s_mov_b32 s27, s41
.LBB133_281:                            ;   in Loop: Header=BB133_25 Depth=1
	s_mov_b64 s[44:45], exec
.LBB133_282:                            ;   in Loop: Header=BB133_25 Depth=1
	s_or_b64 exec, exec, s[42:43]
	s_mov_b64 s[82:83], s[46:47]
.LBB133_283:                            ;   in Loop: Header=BB133_25 Depth=1
	s_andn2_b64 s[10:11], s[28:29], exec
	s_and_b64 s[6:7], s[6:7], exec
	s_or_b64 s[28:29], s[10:11], s[6:7]
	s_andn2_b64 s[6:7], s[34:35], exec
	s_and_b64 s[10:11], s[38:39], exec
	s_or_b64 s[34:35], s[6:7], s[10:11]
	;; [unrolled: 3-line block ×3, first 2 shown]
	s_and_b64 s[8:9], s[44:45], exec
.LBB133_284:                            ;   in Loop: Header=BB133_25 Depth=1
	s_or_b64 exec, exec, s[36:37]
.LBB133_285:                            ;   in Loop: Header=BB133_25 Depth=1
	s_andn2_b64 s[6:7], s[20:21], exec
	s_and_b64 s[10:11], s[28:29], exec
	s_or_b64 s[20:21], s[6:7], s[10:11]
	s_andn2_b64 s[6:7], s[22:23], exec
	s_and_b64 s[10:11], s[34:35], exec
	s_or_b64 s[22:23], s[6:7], s[10:11]
	;; [unrolled: 3-line block ×3, first 2 shown]
	s_and_b64 s[8:9], s[8:9], exec
.LBB133_286:                            ;   in Loop: Header=BB133_25 Depth=1
	s_or_b64 exec, exec, s[24:25]
	s_and_saveexec_b64 s[6:7], s[8:9]
	s_xor_b64 s[6:7], exec, s[6:7]
	s_cbranch_execz .LBB133_23
.LBB133_287:                            ;   in Loop: Header=BB133_25 Depth=1
	s_and_b32 s8, s49, -9
	s_cmp_eq_u32 s8, 0
	s_cbranch_scc1 .LBB133_21
; %bb.288:                              ;   in Loop: Header=BB133_25 Depth=1
	s_mov_b64 s[8:9], -1
                                        ; implicit-def: $sgpr27
                                        ; implicit-def: $sgpr82_sgpr83
                                        ; implicit-def: $sgpr1
                                        ; implicit-def: $sgpr26
	s_mov_b64 s[10:11], -1
	s_branch .LBB133_22
.LBB133_289:                            ;   in Loop: Header=BB133_25 Depth=1
                                        ; implicit-def: $vgpr2_vgpr3
	s_branch .LBB133_241
.LBB133_290:                            ;   in Loop: Header=BB133_25 Depth=1
                                        ; implicit-def: $vgpr2_vgpr3
	s_branch .LBB133_258
.LBB133_291:
	s_or_b64 exec, exec, s[94:95]
	s_xor_b64 s[8:9], s[76:77], -1
	s_xor_b64 s[0:1], s[56:57], -1
	;; [unrolled: 1-line block ×3, first 2 shown]
	s_mov_b64 s[4:5], 0
	s_and_saveexec_b64 s[2:3], s[0:1]
	s_xor_b64 s[2:3], exec, s[2:3]
	s_cbranch_execnz .LBB133_296
; %bb.292:
	s_andn2_saveexec_b64 s[0:1], s[2:3]
	s_cbranch_execnz .LBB133_309
.LBB133_293:
	s_or_b64 exec, exec, s[0:1]
	s_and_saveexec_b64 s[0:1], s[4:5]
.LBB133_294:
	; divergent unreachable
.LBB133_295:
	s_endpgm
.LBB133_296:
	s_and_saveexec_b64 s[0:1], s[8:9]
	s_xor_b64 s[4:5], exec, s[0:1]
	s_cbranch_execz .LBB133_307
; %bb.297:
	s_and_saveexec_b64 s[0:1], s[6:7]
	s_xor_b64 s[6:7], exec, s[0:1]
; %bb.298:
	v_and_b32_e32 v3, 0x8000, v2
	v_mov_b32_e32 v4, 0x8000
	v_mov_b32_e32 v5, 0xffff
	v_cmp_eq_u32_e32 vcc, 0, v3
	v_cndmask_b32_e32 v3, v4, v5, vcc
	v_xor_b32_e32 v35, v3, v2
; %bb.299:
	s_or_b64 exec, exec, s[6:7]
	v_readlane_b32 s6, v44, 6
	v_readlane_b32 s0, v44, 4
	;; [unrolled: 1-line block ×4, first 2 shown]
	s_mov_b32 s8, s0
	s_mul_i32 s0, s0, s7
	s_mul_hi_u32 s1, s8, s6
	s_add_i32 s1, s1, s0
	s_mul_i32 s0, s8, s6
	v_readlane_b32 s6, v44, 12
	v_readlane_b32 s12, v44, 22
	;; [unrolled: 1-line block ×3, first 2 shown]
	s_sub_u32 s0, s6, s0
	v_readlane_b32 s14, v44, 24
	v_readlane_b32 s15, v44, 25
	s_subb_u32 s1, 0, s1
	s_mul_i32 s6, s0, s15
	s_mul_hi_u32 s7, s0, s14
	v_readlane_b32 s13, v44, 23
	s_add_i32 s6, s7, s6
	s_mul_i32 s1, s1, s14
	s_add_i32 s1, s6, s1
	s_mul_i32 s6, s8, s13
	s_mul_hi_u32 s7, s8, s12
	s_add_i32 s7, s7, s6
	s_mul_i32 s6, s8, s12
	s_lshl_b64 s[6:7], s[6:7], 1
	v_readlane_b32 s8, v44, 10
	s_mul_i32 s0, s0, s14
	v_readlane_b32 s9, v44, 11
	s_add_u32 s6, s8, s6
	s_addc_u32 s7, s9, s7
	s_lshl_b64 s[0:1], s[0:1], 1
	s_add_u32 s0, s6, s0
	s_addc_u32 s1, s7, s1
	v_mov_b32_e32 v2, 0
	global_store_short v2, v35, s[0:1]
	s_mov_b64 s[6:7], exec
	v_readlane_b32 s0, v44, 14
	v_readlane_b32 s1, v44, 15
	s_and_b64 s[0:1], s[6:7], s[0:1]
	s_mov_b64 exec, s[0:1]
	s_cbranch_execz .LBB133_306
; %bb.300:
	v_cmp_u_f16_e32 vcc, v35, v35
	s_mov_b64 s[8:9], 0
	v_mov_b32_e32 v4, s55
	s_xor_b64 s[12:13], vcc, -1
                                        ; implicit-def: $sgpr10_sgpr11
                                        ; implicit-def: $sgpr16_sgpr17
                                        ; implicit-def: $sgpr14_sgpr15
	s_branch .LBB133_302
.LBB133_301:                            ;   in Loop: Header=BB133_302 Depth=1
	s_or_b64 exec, exec, s[0:1]
	s_and_b64 s[0:1], exec, s[16:17]
	s_or_b64 s[8:9], s[0:1], s[8:9]
	s_andn2_b64 s[0:1], s[10:11], exec
	s_and_b64 s[10:11], s[14:15], exec
	s_or_b64 s[10:11], s[0:1], s[10:11]
	s_andn2_b64 exec, exec, s[8:9]
	s_cbranch_execz .LBB133_304
.LBB133_302:                            ; =>This Inner Loop Header: Depth=1
	v_pk_mov_b32 v[2:3], v[0:1], v[0:1] op_sel:[0,1]
	v_mul_lo_u32 v5, v3, s68
	v_mul_lo_u32 v6, v2, s69
	v_mad_u64_u32 v[0:1], s[0:1], v2, s68, 0
	v_add3_u32 v1, v1, v6, v5
	v_lshlrev_b64 v[0:1], 1, v[0:1]
	v_add_co_u32_e32 v0, vcc, s33, v0
	v_addc_co_u32_e32 v1, vcc, v4, v1, vcc
	global_load_ushort v0, v[0:1], off
	s_or_b64 s[14:15], s[14:15], exec
	s_or_b64 s[16:17], s[16:17], exec
	s_waitcnt vmcnt(0)
	v_cmp_o_f16_e64 s[0:1], v0, v0
	v_cmp_neq_f16_e32 vcc, v0, v35
	s_or_b64 s[0:1], s[12:13], s[0:1]
	s_and_b64 s[18:19], vcc, s[0:1]
                                        ; implicit-def: $vgpr0_vgpr1
	s_and_saveexec_b64 s[0:1], s[18:19]
	s_cbranch_execz .LBB133_301
; %bb.303:                              ;   in Loop: Header=BB133_302 Depth=1
	v_mov_b32_e32 v1, s84
	v_add_co_u32_e32 v0, vcc, s54, v2
	v_addc_co_u32_e32 v1, vcc, v3, v1, vcc
	v_cmp_le_u64_e32 vcc, s[52:53], v[0:1]
	s_andn2_b64 s[16:17], s[16:17], exec
	s_and_b64 s[18:19], vcc, exec
	s_andn2_b64 s[14:15], s[14:15], exec
	s_or_b64 s[16:17], s[16:17], s[18:19]
	s_branch .LBB133_301
.LBB133_304:
	s_or_b64 exec, exec, s[8:9]
	s_and_saveexec_b64 s[0:1], s[10:11]
	s_xor_b64 s[0:1], exec, s[0:1]
	s_cbranch_execz .LBB133_306
; %bb.305:
	v_readlane_b32 s8, v44, 0
	v_readlane_b32 s0, v44, 2
	;; [unrolled: 1-line block ×4, first 2 shown]
	s_mov_b32 s10, s0
	s_mul_i32 s0, s0, s9
	s_mul_hi_u32 s1, s10, s8
	s_add_i32 s1, s1, s0
	s_mul_i32 s0, s10, s8
	v_readlane_b32 s8, v44, 12
	v_readlane_b32 s12, v44, 18
	;; [unrolled: 1-line block ×3, first 2 shown]
	s_sub_u32 s0, s8, s0
	v_readlane_b32 s14, v44, 20
	v_readlane_b32 s15, v44, 21
	s_subb_u32 s1, 0, s1
	s_mul_i32 s8, s0, s15
	s_mul_hi_u32 s9, s0, s14
	v_readlane_b32 s13, v44, 19
	s_add_i32 s8, s9, s8
	s_mul_i32 s1, s1, s14
	s_add_i32 s1, s8, s1
	s_mul_i32 s8, s10, s13
	s_mul_hi_u32 s9, s10, s12
	s_add_i32 s9, s9, s8
	s_mul_i32 s8, s10, s12
	s_lshl_b64 s[8:9], s[8:9], 3
	v_readlane_b32 s10, v44, 8
	s_mul_i32 s0, s0, s14
	v_readlane_b32 s11, v44, 9
	s_add_u32 s8, s10, s8
	s_addc_u32 s9, s11, s9
	s_lshl_b64 s[0:1], s[0:1], 3
	s_add_u32 s0, s8, s0
	s_addc_u32 s1, s9, s1
	v_mov_b32_e32 v0, 0
	global_store_dwordx2 v0, v[2:3], s[0:1]
.LBB133_306:
	s_or_b64 exec, exec, s[6:7]
.LBB133_307:
	s_or_saveexec_b64 s[0:1], s[4:5]
	s_mov_b64 s[4:5], 0
	s_xor_b64 exec, exec, s[0:1]
	s_cbranch_execnz .LBB133_310
.LBB133_308:
	s_or_b64 exec, exec, s[0:1]
	s_and_b64 s[4:5], s[4:5], exec
	s_andn2_saveexec_b64 s[0:1], s[2:3]
	s_cbranch_execz .LBB133_293
.LBB133_309:
	s_or_b64 s[4:5], s[4:5], exec
	s_trap 2
	s_or_b64 exec, exec, s[0:1]
	s_and_saveexec_b64 s[0:1], s[4:5]
	s_cbranch_execnz .LBB133_294
	s_branch .LBB133_295
.LBB133_310:
	s_mov_b64 s[4:5], exec
	s_trap 2
	s_branch .LBB133_308
	.section	.rodata,"a",@progbits
	.p2align	6, 0x0
	.amdhsa_kernel _ZN2at6native12_GLOBAL__N_112gatherMedianIN3c104HalfEmLi2EEEvNS_4cuda6detail10TensorInfoIT_T0_EENS7_IlS9_EENS7_IKS8_S9_EES9_S9_S9_b
		.amdhsa_group_segment_fixed_size 5152
		.amdhsa_private_segment_fixed_size 0
		.amdhsa_kernarg_size 1536
		.amdhsa_user_sgpr_count 6
		.amdhsa_user_sgpr_private_segment_buffer 1
		.amdhsa_user_sgpr_dispatch_ptr 0
		.amdhsa_user_sgpr_queue_ptr 0
		.amdhsa_user_sgpr_kernarg_segment_ptr 1
		.amdhsa_user_sgpr_dispatch_id 0
		.amdhsa_user_sgpr_flat_scratch_init 0
		.amdhsa_user_sgpr_kernarg_preload_length 0
		.amdhsa_user_sgpr_kernarg_preload_offset 0
		.amdhsa_user_sgpr_private_segment_size 0
		.amdhsa_uses_dynamic_stack 0
		.amdhsa_system_sgpr_private_segment_wavefront_offset 0
		.amdhsa_system_sgpr_workgroup_id_x 1
		.amdhsa_system_sgpr_workgroup_id_y 1
		.amdhsa_system_sgpr_workgroup_id_z 1
		.amdhsa_system_sgpr_workgroup_info 0
		.amdhsa_system_vgpr_workitem_id 0
		.amdhsa_next_free_vgpr 45
		.amdhsa_next_free_sgpr 96
		.amdhsa_accum_offset 48
		.amdhsa_reserve_vcc 1
		.amdhsa_reserve_flat_scratch 0
		.amdhsa_float_round_mode_32 0
		.amdhsa_float_round_mode_16_64 0
		.amdhsa_float_denorm_mode_32 3
		.amdhsa_float_denorm_mode_16_64 3
		.amdhsa_dx10_clamp 1
		.amdhsa_ieee_mode 1
		.amdhsa_fp16_overflow 0
		.amdhsa_tg_split 0
		.amdhsa_exception_fp_ieee_invalid_op 0
		.amdhsa_exception_fp_denorm_src 0
		.amdhsa_exception_fp_ieee_div_zero 0
		.amdhsa_exception_fp_ieee_overflow 0
		.amdhsa_exception_fp_ieee_underflow 0
		.amdhsa_exception_fp_ieee_inexact 0
		.amdhsa_exception_int_div_zero 0
	.end_amdhsa_kernel
	.section	.text._ZN2at6native12_GLOBAL__N_112gatherMedianIN3c104HalfEmLi2EEEvNS_4cuda6detail10TensorInfoIT_T0_EENS7_IlS9_EENS7_IKS8_S9_EES9_S9_S9_b,"axG",@progbits,_ZN2at6native12_GLOBAL__N_112gatherMedianIN3c104HalfEmLi2EEEvNS_4cuda6detail10TensorInfoIT_T0_EENS7_IlS9_EENS7_IKS8_S9_EES9_S9_S9_b,comdat
.Lfunc_end133:
	.size	_ZN2at6native12_GLOBAL__N_112gatherMedianIN3c104HalfEmLi2EEEvNS_4cuda6detail10TensorInfoIT_T0_EENS7_IlS9_EENS7_IKS8_S9_EES9_S9_S9_b, .Lfunc_end133-_ZN2at6native12_GLOBAL__N_112gatherMedianIN3c104HalfEmLi2EEEvNS_4cuda6detail10TensorInfoIT_T0_EENS7_IlS9_EENS7_IKS8_S9_EES9_S9_S9_b
                                        ; -- End function
	.section	.AMDGPU.csdata,"",@progbits
; Kernel info:
; codeLenInByte = 16828
; NumSgprs: 100
; NumVgprs: 45
; NumAgprs: 0
; TotalNumVgprs: 45
; ScratchSize: 0
; MemoryBound: 0
; FloatMode: 240
; IeeeMode: 1
; LDSByteSize: 5152 bytes/workgroup (compile time only)
; SGPRBlocks: 12
; VGPRBlocks: 5
; NumSGPRsForWavesPerEU: 100
; NumVGPRsForWavesPerEU: 45
; AccumOffset: 48
; Occupancy: 8
; WaveLimiterHint : 1
; COMPUTE_PGM_RSRC2:SCRATCH_EN: 0
; COMPUTE_PGM_RSRC2:USER_SGPR: 6
; COMPUTE_PGM_RSRC2:TRAP_HANDLER: 0
; COMPUTE_PGM_RSRC2:TGID_X_EN: 1
; COMPUTE_PGM_RSRC2:TGID_Y_EN: 1
; COMPUTE_PGM_RSRC2:TGID_Z_EN: 1
; COMPUTE_PGM_RSRC2:TIDIG_COMP_CNT: 0
; COMPUTE_PGM_RSRC3_GFX90A:ACCUM_OFFSET: 11
; COMPUTE_PGM_RSRC3_GFX90A:TG_SPLIT: 0
	.section	.text._ZN2at6native12_GLOBAL__N_112gatherMedianIN3c104HalfEmLi3EEEvNS_4cuda6detail10TensorInfoIT_T0_EENS7_IlS9_EENS7_IKS8_S9_EES9_S9_S9_b,"axG",@progbits,_ZN2at6native12_GLOBAL__N_112gatherMedianIN3c104HalfEmLi3EEEvNS_4cuda6detail10TensorInfoIT_T0_EENS7_IlS9_EENS7_IKS8_S9_EES9_S9_S9_b,comdat
	.globl	_ZN2at6native12_GLOBAL__N_112gatherMedianIN3c104HalfEmLi3EEEvNS_4cuda6detail10TensorInfoIT_T0_EENS7_IlS9_EENS7_IKS8_S9_EES9_S9_S9_b ; -- Begin function _ZN2at6native12_GLOBAL__N_112gatherMedianIN3c104HalfEmLi3EEEvNS_4cuda6detail10TensorInfoIT_T0_EENS7_IlS9_EENS7_IKS8_S9_EES9_S9_S9_b
	.p2align	8
	.type	_ZN2at6native12_GLOBAL__N_112gatherMedianIN3c104HalfEmLi3EEEvNS_4cuda6detail10TensorInfoIT_T0_EENS7_IlS9_EENS7_IKS8_S9_EES9_S9_S9_b,@function
_ZN2at6native12_GLOBAL__N_112gatherMedianIN3c104HalfEmLi3EEEvNS_4cuda6detail10TensorInfoIT_T0_EENS7_IlS9_EENS7_IKS8_S9_EES9_S9_S9_b: ; @_ZN2at6native12_GLOBAL__N_112gatherMedianIN3c104HalfEmLi3EEEvNS_4cuda6detail10TensorInfoIT_T0_EENS7_IlS9_EENS7_IKS8_S9_EES9_S9_S9_b
; %bb.0:
	s_load_dwordx4 s[52:55], s[4:5], 0x4e0
	s_load_dwordx2 s[12:13], s[4:5], 0x500
	s_add_u32 s14, s4, 0x500
	s_addc_u32 s15, s5, 0
	s_mov_b32 s25, 0
	s_waitcnt lgkmcnt(0)
	v_mov_b32_e32 v2, s54
	s_mul_i32 s0, s13, s8
	s_add_i32 s0, s0, s7
	s_mul_i32 s0, s0, s12
	v_mov_b32_e32 v3, s55
	s_add_i32 s24, s0, s6
	v_cmp_ge_u64_e32 vcc, s[24:25], v[2:3]
	s_cbranch_vccnz .LBB134_301
; %bb.1:
	s_load_dwordx4 s[8:11], s[4:5], 0x10
	s_mov_b64 s[28:29], 0
	s_mov_b64 s[26:27], 0
	s_waitcnt lgkmcnt(0)
	v_pk_mov_b32 v[2:3], s[10:11], s[10:11] op_sel:[0,1]
	v_cmp_lt_u64_e32 vcc, s[24:25], v[2:3]
	s_cbranch_vccnz .LBB134_3
; %bb.2:
	v_cvt_f32_u32_e32 v1, s10
	s_sub_i32 s0, 0, s10
	s_mov_b32 s27, 0
	v_rcp_iflag_f32_e32 v1, v1
	v_mul_f32_e32 v1, 0x4f7ffffe, v1
	v_cvt_u32_f32_e32 v1, v1
	v_readfirstlane_b32 s1, v1
	s_mul_i32 s0, s0, s1
	s_mul_hi_u32 s0, s1, s0
	s_add_i32 s1, s1, s0
	s_mul_hi_u32 s0, s24, s1
	s_mul_i32 s2, s0, s10
	s_sub_i32 s2, s24, s2
	s_add_i32 s1, s0, 1
	s_sub_i32 s3, s2, s10
	s_cmp_ge_u32 s2, s10
	s_cselect_b32 s0, s1, s0
	s_cselect_b32 s2, s3, s2
	s_add_i32 s1, s0, 1
	s_cmp_ge_u32 s2, s10
	s_cselect_b32 s26, s1, s0
.LBB134_3:
	s_load_dwordx4 s[20:23], s[4:5], 0x1b0
                                        ; implicit-def: $vgpr44 : SGPR spill to VGPR lane
	v_pk_mov_b32 v[2:3], s[8:9], s[8:9] op_sel:[0,1]
	v_cmp_lt_u64_e32 vcc, s[26:27], v[2:3]
	s_and_b64 vcc, exec, vcc
	s_waitcnt lgkmcnt(0)
	v_writelane_b32 v44, s20, 0
	v_writelane_b32 v44, s21, 1
	;; [unrolled: 1-line block ×4, first 2 shown]
	s_cbranch_vccnz .LBB134_5
; %bb.4:
	v_cvt_f32_u32_e32 v1, s8
	s_sub_i32 s0, 0, s8
	s_load_dwordx4 s[20:23], s[4:5], 0x1b0
	v_rcp_iflag_f32_e32 v1, v1
	v_mul_f32_e32 v1, 0x4f7ffffe, v1
	v_cvt_u32_f32_e32 v1, v1
	v_readfirstlane_b32 s1, v1
	s_mul_i32 s0, s0, s1
	s_mul_hi_u32 s0, s1, s0
	s_add_i32 s1, s1, s0
	s_mul_hi_u32 s0, s26, s1
	s_mul_i32 s2, s0, s8
	s_sub_i32 s2, s26, s2
	s_add_i32 s1, s0, 1
	s_sub_i32 s3, s2, s8
	s_cmp_ge_u32 s2, s8
	s_cselect_b32 s0, s1, s0
	s_cselect_b32 s2, s3, s2
	s_add_i32 s1, s0, 1
	s_cmp_ge_u32 s2, s8
	s_cselect_b32 s28, s1, s0
.LBB134_5:
	v_writelane_b32 v44, s8, 4
	v_writelane_b32 v44, s9, 5
	;; [unrolled: 1-line block ×4, first 2 shown]
	s_waitcnt lgkmcnt(0)
	v_pk_mov_b32 v[2:3], s[22:23], s[22:23] op_sel:[0,1]
	s_mov_b64 s[0:1], 0
	v_cmp_lt_u64_e32 vcc, s[24:25], v[2:3]
	v_writelane_b32 v44, s0, 8
	v_writelane_b32 v44, s1, 9
	s_mov_b64 s[0:1], 0
	s_cbranch_vccnz .LBB134_7
; %bb.6:
	v_cvt_f32_u32_e32 v1, s22
	s_sub_i32 s0, 0, s22
	s_mov_b32 s9, 0
	v_rcp_iflag_f32_e32 v1, v1
	v_mul_f32_e32 v1, 0x4f7ffffe, v1
	v_cvt_u32_f32_e32 v1, v1
	v_readfirstlane_b32 s1, v1
	s_mul_i32 s0, s0, s1
	s_mul_hi_u32 s0, s1, s0
	s_add_i32 s1, s1, s0
	s_mul_hi_u32 s0, s24, s1
	s_mul_i32 s2, s0, s22
	s_sub_i32 s2, s24, s2
	s_add_i32 s1, s0, 1
	s_sub_i32 s3, s2, s22
	s_cmp_ge_u32 s2, s22
	s_cselect_b32 s0, s1, s0
	s_cselect_b32 s2, s3, s2
	s_add_i32 s1, s0, 1
	s_cmp_ge_u32 s2, s22
	s_cselect_b32 s8, s1, s0
	s_mov_b64 s[0:1], s[8:9]
.LBB134_7:
	s_load_dwordx2 s[76:77], s[4:5], 0x4f0
	s_load_dwordx2 s[16:17], s[4:5], 0x420
	s_mov_b64 s[18:19], s[0:1]
	s_load_dwordx4 s[0:3], s[4:5], 0x410
	s_load_dwordx4 s[8:11], s[4:5], 0x350
	v_pk_mov_b32 v[2:3], s[20:21], s[20:21] op_sel:[0,1]
	v_writelane_b32 v44, s18, 10
	v_cmp_lt_u64_e32 vcc, s[18:19], v[2:3]
	v_writelane_b32 v44, s19, 11
	s_cbranch_vccnz .LBB134_9
; %bb.8:
	s_load_dwordx4 s[20:23], s[4:5], 0x1b0
	s_waitcnt lgkmcnt(0)
	v_readlane_b32 s22, v44, 10
	v_readlane_b32 s23, v44, 11
	v_cvt_f32_u32_e32 v1, s20
	s_sub_i32 s7, 0, s20
	v_rcp_iflag_f32_e32 v1, v1
	v_mul_f32_e32 v1, 0x4f7ffffe, v1
	v_cvt_u32_f32_e32 v1, v1
	v_readfirstlane_b32 s13, v1
	s_mul_i32 s7, s7, s13
	s_mul_hi_u32 s7, s13, s7
	s_add_i32 s13, s13, s7
	s_mul_hi_u32 s7, s22, s13
	s_mul_i32 s18, s7, s20
	s_sub_i32 s18, s22, s18
	s_add_i32 s13, s7, 1
	s_sub_i32 s19, s18, s20
	s_cmp_ge_u32 s18, s20
	s_cselect_b32 s7, s13, s7
	s_cselect_b32 s18, s19, s18
	s_add_i32 s13, s7, 1
	s_cmp_ge_u32 s18, s20
	s_cselect_b32 s18, s13, s7
	v_writelane_b32 v44, s18, 8
	v_writelane_b32 v44, s19, 9
.LBB134_9:
	s_load_dwordx2 s[18:19], s[4:5], 0x340
	s_waitcnt lgkmcnt(0)
	v_pk_mov_b32 v[2:3], s[10:11], s[10:11] op_sel:[0,1]
	v_cmp_lt_u64_e32 vcc, s[24:25], v[2:3]
	s_mov_b64 s[20:21], 0
	s_mov_b64 s[22:23], 0
	s_cbranch_vccnz .LBB134_11
; %bb.10:
	v_cvt_f32_u32_e32 v1, s10
	s_sub_i32 s7, 0, s10
	s_mov_b32 s23, 0
	v_rcp_iflag_f32_e32 v1, v1
	v_mul_f32_e32 v1, 0x4f7ffffe, v1
	v_cvt_u32_f32_e32 v1, v1
	v_readfirstlane_b32 s13, v1
	s_mul_i32 s7, s7, s13
	s_mul_hi_u32 s7, s13, s7
	s_add_i32 s13, s13, s7
	s_mul_hi_u32 s7, s24, s13
	s_mul_i32 s21, s7, s10
	s_sub_i32 s21, s24, s21
	s_add_i32 s13, s7, 1
	s_sub_i32 s22, s21, s10
	s_cmp_ge_u32 s21, s10
	s_cselect_b32 s7, s13, s7
	s_cselect_b32 s21, s22, s21
	s_add_i32 s13, s7, 1
	s_cmp_ge_u32 s21, s10
	s_cselect_b32 s22, s13, s7
.LBB134_11:
	v_writelane_b32 v44, s28, 12
	v_writelane_b32 v44, s29, 13
	;; [unrolled: 1-line block ×4, first 2 shown]
	s_load_dwordx2 s[26:27], s[4:5], 0x280
	s_load_dwordx4 s[28:31], s[4:5], 0x270
	v_pk_mov_b32 v[2:3], s[8:9], s[8:9] op_sel:[0,1]
	v_cmp_lt_u64_e32 vcc, s[22:23], v[2:3]
	s_and_b64 vcc, exec, vcc
	s_waitcnt lgkmcnt(0)
	v_writelane_b32 v44, s26, 16
	v_writelane_b32 v44, s27, 17
	;; [unrolled: 1-line block ×4, first 2 shown]
	s_load_dwordx2 s[26:27], s[4:5], 0xe0
	v_writelane_b32 v44, s30, 20
	v_writelane_b32 v44, s31, 21
	s_load_dwordx4 s[28:31], s[4:5], 0xd0
	s_waitcnt lgkmcnt(0)
	v_writelane_b32 v44, s26, 22
	v_writelane_b32 v44, s27, 23
	;; [unrolled: 1-line block ×6, first 2 shown]
	s_cbranch_vccnz .LBB134_13
; %bb.12:
	v_cvt_f32_u32_e32 v1, s8
	s_sub_i32 s7, 0, s8
	v_rcp_iflag_f32_e32 v1, v1
	v_mul_f32_e32 v1, 0x4f7ffffe, v1
	v_cvt_u32_f32_e32 v1, v1
	v_readfirstlane_b32 s13, v1
	s_mul_i32 s7, s7, s13
	s_mul_hi_u32 s7, s13, s7
	s_add_i32 s13, s13, s7
	s_mul_hi_u32 s7, s22, s13
	s_mul_i32 s20, s7, s8
	s_sub_i32 s20, s22, s20
	s_add_i32 s13, s7, 1
	s_sub_i32 s21, s20, s8
	s_cmp_ge_u32 s20, s8
	s_cselect_b32 s7, s13, s7
	s_cselect_b32 s20, s21, s20
	s_add_i32 s13, s7, 1
	s_cmp_ge_u32 s20, s8
	s_cselect_b32 s20, s13, s7
.LBB134_13:
	s_load_dwordx2 s[26:27], s[4:5], 0x1a0
	s_mul_i32 s7, s22, s11
	s_mul_hi_u32 s11, s22, s10
	s_add_i32 s11, s11, s7
	s_mul_i32 s7, s22, s10
	s_waitcnt lgkmcnt(0)
	v_writelane_b32 v44, s26, 28
	v_writelane_b32 v44, s27, 29
	s_load_dwordx2 s[26:27], s[4:5], 0x0
	s_mov_b32 s10, s24
	s_sub_u32 s7, s24, s7
	s_mul_hi_u32 s13, s7, s16
	s_mul_i32 s1, s20, s1
	s_waitcnt lgkmcnt(0)
	v_writelane_b32 v44, s26, 30
	v_writelane_b32 v44, s27, 31
	;; [unrolled: 1-line block ×4, first 2 shown]
	s_subb_u32 s10, 0, s11
	s_mul_i32 s11, s7, s17
	s_add_i32 s11, s13, s11
	s_mul_i32 s10, s10, s16
	s_add_i32 s11, s11, s10
	s_mul_i32 s10, s7, s16
	s_mul_i32 s7, s20, s9
	s_mul_hi_u32 s9, s20, s8
	s_add_i32 s9, s9, s7
	s_mul_i32 s7, s20, s8
	s_sub_u32 s7, s22, s7
	s_subb_u32 s8, s23, s9
	s_mul_i32 s3, s7, s3
	s_mul_hi_u32 s9, s7, s2
	s_mul_i32 s8, s8, s2
	s_mul_i32 s2, s7, s2
	s_mul_hi_u32 s7, s20, s0
	s_add_i32 s3, s9, s3
	s_add_i32 s1, s7, s1
	s_mul_i32 s0, s20, s0
	s_add_i32 s3, s3, s8
	s_lshl_b64 s[0:1], s[0:1], 1
	s_add_u32 s7, s18, s0
	s_addc_u32 s8, s19, s1
	s_lshl_b64 s[0:1], s[2:3], 1
	s_add_u32 s2, s7, s0
	s_addc_u32 s3, s8, s1
	;; [unrolled: 3-line block ×3, first 2 shown]
	v_mov_b32_e32 v1, 0
	v_pk_mov_b32 v[2:3], 0, 0
	v_cmp_gt_u64_e64 s[0:1], s[52:53], v[0:1]
	s_mov_b64 s[2:3], exec
	v_writelane_b32 v44, s0, 34
	v_writelane_b32 v44, s1, 35
	s_and_b64 s[0:1], s[2:3], s[0:1]
	s_mov_b64 exec, s[0:1]
	s_cbranch_execz .LBB134_17
; %bb.14:
	s_load_dword s0, s[14:15], 0xc
	s_mov_b32 s1, 0
	s_mov_b64 s[8:9], 0
	v_pk_mov_b32 v[2:3], 0, 0
	v_mov_b32_e32 v6, s55
	s_waitcnt lgkmcnt(0)
	s_and_b32 s0, s0, 0xffff
	v_mov_b32_e32 v7, s1
	v_pk_mov_b32 v[4:5], v[0:1], v[0:1] op_sel:[0,1]
.LBB134_15:                             ; =>This Inner Loop Header: Depth=1
	v_mul_lo_u32 v10, v5, s76
	v_mul_lo_u32 v11, v4, s77
	v_mad_u64_u32 v[8:9], s[10:11], v4, s76, 0
	v_add3_u32 v9, v9, v11, v10
	v_lshlrev_b64 v[8:9], 1, v[8:9]
	v_add_co_u32_e32 v8, vcc, s33, v8
	v_addc_co_u32_e32 v9, vcc, v6, v9, vcc
	global_load_ushort v8, v[8:9], off
	v_add_co_u32_e32 v4, vcc, s0, v4
	v_addc_co_u32_e32 v5, vcc, v5, v7, vcc
	v_cmp_le_u64_e32 vcc, s[52:53], v[4:5]
	s_or_b64 s[8:9], vcc, s[8:9]
	s_waitcnt vmcnt(0)
	v_cmp_u_f16_e32 vcc, v8, v8
	v_cndmask_b32_e64 v8, 0, 1, vcc
	v_add_co_u32_e32 v2, vcc, v2, v8
	v_addc_co_u32_e32 v3, vcc, 0, v3, vcc
	s_andn2_b64 exec, exec, s[8:9]
	s_cbranch_execnz .LBB134_15
; %bb.16:
	s_or_b64 exec, exec, s[8:9]
.LBB134_17:
	s_or_b64 exec, exec, s[2:3]
	v_cmp_eq_u32_e64 s[0:1], 0, v0
	s_mov_b64 s[8:9], exec
	v_writelane_b32 v44, s0, 36
	v_writelane_b32 v44, s1, 37
	s_and_b64 s[0:1], s[8:9], s[0:1]
	s_mov_b64 exec, s[0:1]
	s_cbranch_execz .LBB134_19
; %bb.18:
	v_mov_b32_e32 v4, 0
	v_mov_b32_e32 v5, v4
	ds_write_b64 v4, v[4:5] offset:5136
.LBB134_19:
	s_or_b64 exec, exec, s[8:9]
	s_mov_b64 s[10:11], 0
	v_cmp_ne_u64_e32 vcc, 0, v[2:3]
	s_waitcnt lgkmcnt(0)
	s_barrier
	s_and_saveexec_b64 s[8:9], vcc
	s_cbranch_execz .LBB134_24
; %bb.20:
	s_mov_b64 s[16:17], exec
.LBB134_21:                             ; =>This Inner Loop Header: Depth=1
	s_ff1_i32_b64 s0, s[16:17]
	v_readlane_b32 s2, v2, s0
	v_readlane_b32 s1, v3, s0
	s_add_u32 s10, s10, s2
	s_addc_u32 s11, s11, s1
	s_lshl_b64 s[0:1], 1, s0
	s_andn2_b64 s[16:17], s[16:17], s[0:1]
	s_cmp_lg_u64 s[16:17], 0
	s_cbranch_scc1 .LBB134_21
; %bb.22:
	v_mbcnt_lo_u32_b32 v2, exec_lo, 0
	v_mbcnt_hi_u32_b32 v2, exec_hi, v2
	v_cmp_eq_u32_e32 vcc, 0, v2
	s_and_saveexec_b64 s[0:1], vcc
	s_xor_b64 s[0:1], exec, s[0:1]
	s_cbranch_execz .LBB134_24
; %bb.23:
	v_mov_b32_e32 v4, 0
	v_pk_mov_b32 v[2:3], s[10:11], s[10:11] op_sel:[0,1]
	ds_add_u64 v4, v[2:3] offset:5136
.LBB134_24:
	s_or_b64 exec, exec, s[8:9]
	v_mov_b32_e32 v11, 0
	s_waitcnt lgkmcnt(0)
	s_barrier
	ds_read_b64 v[2:3], v11 offset:5136
	s_waitcnt lgkmcnt(0)
	v_readfirstlane_b32 s8, v2
	v_readfirstlane_b32 s9, v3
	s_mov_b64 s[10:11], exec
	v_readlane_b32 s0, v44, 36
	v_readlane_b32 s1, v44, 37
	s_and_b64 s[0:1], s[10:11], s[0:1]
	s_mov_b64 exec, s[0:1]
	s_cbranch_execz .LBB134_26
; %bb.25:
	v_mov_b32_e32 v2, 0
	v_mov_b32_e32 v4, s52
	;; [unrolled: 1-line block ×4, first 2 shown]
	ds_write_b32 v2, v2 offset:5144
	ds_write_b128 v2, v[2:5] offset:5120
.LBB134_26:
	s_or_b64 exec, exec, s[10:11]
	s_load_dword s2, s[4:5], 0x4f8
	v_cmp_lt_i64_e64 s[0:1], s[8:9], 1
	v_mbcnt_lo_u32_b32 v2, -1, 0
	v_mbcnt_hi_u32_b32 v22, -1, v2
	v_mov_b32_e32 v2, 0x600
	s_waitcnt lgkmcnt(0)
	s_bitcmp1_b32 s2, 0
	s_cselect_b64 s[2:3], -1, 0
	s_not_b64 s[4:5], s[8:9]
	s_or_b64 s[0:1], s[2:3], s[0:1]
	s_add_u32 s2, s4, s52
	s_addc_u32 s3, s5, s53
	s_lshr_b64 s[2:3], s[2:3], 1
	s_add_u32 s2, s2, 1
	s_addc_u32 s3, s3, 0
	s_and_b64 s[0:1], s[0:1], exec
	v_cmp_gt_u32_e64 s[0:1], 2, v0
	v_writelane_b32 v44, s0, 38
	v_mov_b32_e32 v3, 0
	v_writelane_b32 v44, s1, 39
	v_cmp_gt_u64_e64 s[0:1], s[52:53], v[2:3]
	v_writelane_b32 v44, s0, 40
	v_writelane_b32 v44, s1, 41
	v_mad_u64_u32 v[2:3], s[0:1], v0, s76, 0
	v_mov_b32_e32 v4, v3
	v_mad_u64_u32 v[4:5], s[0:1], v0, s77, v[4:5]
	s_barrier
	s_load_dword s0, s[14:15], 0xc
	v_cmp_gt_u32_e32 vcc, 64, v0
	v_cmp_gt_i32_e64 s[8:9], 4, v22
	s_cselect_b32 s95, s3, s53
	s_cselect_b32 s94, s2, s52
	s_and_b64 s[66:67], vcc, s[8:9]
	s_waitcnt lgkmcnt(0)
	s_and_b32 s54, s0, 0xffff
	s_bfe_u32 s1, s0, 0xa0006
	v_cmp_gt_u16_e64 s[2:3], s0, 63
	s_add_u32 s93, s54, -1
	v_writelane_b32 v44, s2, 42
	s_addc_u32 s0, 0, -1
	v_writelane_b32 v44, s3, 43
	s_add_u32 s3, s93, s52
	s_addc_u32 s83, s0, s53
	s_cmp_lt_u32 s6, s12
	v_writelane_b32 v44, s0, 44
	s_cselect_b32 s0, 12, 18
	s_add_u32 s64, s14, s0
	s_addc_u32 s65, s15, 0
	s_add_i32 s0, s1, -1
	s_bfe_u32 s2, s54, 0x30006
	s_cmp_gt_u32 s0, 6
	v_mov_b32_e32 v3, v4
	s_cselect_b64 s[6:7], -1, 0
	v_lshlrev_b64 v[2:3], 1, v[2:3]
	v_writelane_b32 v44, s6, 45
	s_and_b32 s85, s1, 0x3f8
	v_add_co_u32_e32 v14, vcc, s33, v2
	v_lshrrev_b32_e32 v2, 4, v0
	v_writelane_b32 v44, s7, 46
	s_cmp_lg_u32 s2, 0
	v_mov_b32_e32 v25, s55
	v_and_b32_e32 v26, 60, v2
	v_lshlrev_b32_e32 v2, 2, v22
	v_writelane_b32 v44, s2, 47
	s_cselect_b64 s[0:1], -1, 0
	v_addc_co_u32_e32 v15, vcc, v25, v3, vcc
	v_and_b32_e32 v27, 0x100, v2
	v_lshlrev_b64 v[2:3], v22, -1
	v_writelane_b32 v44, s0, 48
	s_mov_b32 s91, 0
	v_lshlrev_b32_e32 v23, 1, v0
	v_not_b32_e32 v16, v2
	v_writelane_b32 v44, s1, 49
	v_mov_b32_e32 v2, 0xc00
	v_mov_b32_e32 v13, 0
	v_cmp_eq_u32_e64 s[4:5], 0, v22
	v_add_u32_e32 v24, 0xc00, v23
	v_lshlrev_b32_e32 v12, 2, v0
	v_not_b32_e32 v17, v3
	s_mov_b32 s84, s91
	v_lshlrev_b32_e32 v28, 3, v0
	v_lshl_or_b32 v29, v22, 3, v2
	s_lshl_b32 s2, s54, 1
	s_mov_b32 s1, 14
	s_mov_b64 s[86:87], 0
	s_movk_i32 s0, 0x3c00
	v_mov_b32_e32 v30, 0xffff
	v_mov_b32_e32 v31, 0x8000
	;; [unrolled: 1-line block ×3, first 2 shown]
	v_mov_b32_e32 v33, -1
	v_mov_b32_e32 v34, 0x5040100
	v_mov_b32_e32 v35, 0
	s_mov_b32 s26, 0
	s_mov_b32 s92, 0
	s_mov_b32 s27, 0
	v_writelane_b32 v44, s66, 50
                                        ; implicit-def: $sgpr70_sgpr71
                                        ; implicit-def: $sgpr80_sgpr81
                                        ; implicit-def: $sgpr74_sgpr75
                                        ; implicit-def: $sgpr68_sgpr69
                                        ; implicit-def: $sgpr56_sgpr57
                                        ; implicit-def: $sgpr58_sgpr59
	v_writelane_b32 v44, s67, 51
	s_branch .LBB134_31
.LBB134_27:                             ;   in Loop: Header=BB134_31 Depth=1
	s_xor_b32 s26, s26, 1
	s_add_i32 s14, s1, -2
	s_cmp_eq_u32 s1, 0
	s_mov_b64 s[8:9], 0
	s_cselect_b64 s[10:11], -1, 0
	s_mov_b32 s1, s14
.LBB134_28:                             ;   in Loop: Header=BB134_31 Depth=1
	s_andn2_b64 s[14:15], s[20:21], exec
	s_and_b64 s[8:9], s[8:9], exec
	s_or_b64 s[20:21], s[14:15], s[8:9]
	s_andn2_b64 s[22:23], s[22:23], exec
	s_andn2_b64 s[18:19], s[18:19], exec
	s_orn2_b64 s[14:15], s[10:11], exec
.LBB134_29:                             ;   in Loop: Header=BB134_31 Depth=1
	s_or_b64 exec, exec, s[6:7]
	s_andn2_b64 s[6:7], s[58:59], exec
	s_and_b64 s[8:9], s[20:21], exec
	s_or_b64 s[58:59], s[6:7], s[8:9]
	s_andn2_b64 s[6:7], s[56:57], exec
	s_and_b64 s[8:9], s[22:23], exec
	s_or_b64 s[56:57], s[6:7], s[8:9]
	;; [unrolled: 3-line block ×3, first 2 shown]
	s_orn2_b64 s[18:19], s[14:15], exec
.LBB134_30:                             ;   in Loop: Header=BB134_31 Depth=1
	s_or_b64 exec, exec, s[12:13]
	s_and_b64 s[6:7], exec, s[18:19]
	s_or_b64 s[86:87], s[6:7], s[86:87]
	s_andn2_b64 s[6:7], s[74:75], exec
	s_and_b64 s[8:9], s[58:59], exec
	s_or_b64 s[74:75], s[6:7], s[8:9]
	s_andn2_b64 s[6:7], s[80:81], exec
	s_and_b64 s[8:9], s[56:57], exec
	;; [unrolled: 3-line block ×3, first 2 shown]
	v_mov_b32_e32 v2, s92
	s_or_b64 s[70:71], s[6:7], s[8:9]
	s_andn2_b64 exec, exec, s[86:87]
	s_cbranch_execz .LBB134_297
.LBB134_31:                             ; =>This Loop Header: Depth=1
                                        ;     Child Loop BB134_36 Depth 2
                                        ;     Child Loop BB134_51 Depth 2
	;; [unrolled: 1-line block ×16, first 2 shown]
	ds_read_b128 v[2:5], v11 offset:5120
	s_waitcnt lgkmcnt(0)
	v_readfirstlane_b32 s73, v3
	v_readfirstlane_b32 s72, v2
	s_cmp_lg_u64 s[72:73], 0
	s_cbranch_scc1 .LBB134_58
; %bb.32:                               ;   in Loop: Header=BB134_31 Depth=1
	v_readlane_b32 s6, v44, 40
	v_readlane_b32 s7, v44, 41
	s_and_b64 vcc, exec, s[6:7]
	s_cbranch_vccz .LBB134_44
; %bb.33:                               ;   in Loop: Header=BB134_31 Depth=1
	s_mov_b64 s[6:7], 0x601
	v_cmp_gt_u64_e32 vcc, s[6:7], v[4:5]
	s_mov_b64 s[72:73], 0
	s_mov_b64 s[6:7], 0
	s_cbranch_vccz .LBB134_45
; %bb.34:                               ;   in Loop: Header=BB134_31 Depth=1
	global_load_ushort v5, v[14:15], off
	global_load_ushort v4, v11, s[64:65]
	s_mov_b64 s[8:9], 0
	v_pk_mov_b32 v[2:3], v[0:1], v[0:1] op_sel:[0,1]
	s_branch .LBB134_36
.LBB134_35:                             ;   in Loop: Header=BB134_36 Depth=2
	s_or_b64 exec, exec, s[6:7]
	s_waitcnt vmcnt(0)
	v_mov_b32_e32 v5, v6
	s_andn2_b64 exec, exec, s[8:9]
	s_cbranch_execz .LBB134_161
.LBB134_36:                             ;   Parent Loop BB134_31 Depth=1
                                        ; =>  This Inner Loop Header: Depth=2
	s_waitcnt vmcnt(0)
	v_add_co_u32_sdwa v2, vcc, v2, v4 dst_sel:DWORD dst_unused:UNUSED_PAD src0_sel:DWORD src1_sel:WORD_0
	v_addc_co_u32_e32 v3, vcc, 0, v3, vcc
	v_cmp_gt_u64_e64 s[6:7], s[52:53], v[2:3]
	v_cmp_le_u64_e32 vcc, s[52:53], v[2:3]
	s_waitcnt lgkmcnt(0)
	v_mov_b32_e32 v7, 0
	v_mov_b32_e32 v6, 0
	s_and_saveexec_b64 s[10:11], s[6:7]
	s_cbranch_execz .LBB134_38
; %bb.37:                               ;   in Loop: Header=BB134_36 Depth=2
	v_mul_lo_u32 v6, v3, s76
	v_mul_lo_u32 v10, v2, s77
	v_mad_u64_u32 v[8:9], s[6:7], v2, s76, 0
	v_add3_u32 v9, v9, v10, v6
	v_lshlrev_b64 v[8:9], 1, v[8:9]
	v_add_co_u32_e64 v8, s[6:7], s33, v8
	v_addc_co_u32_e64 v9, s[6:7], v25, v9, s[6:7]
	global_load_ushort v6, v[8:9], off
.LBB134_38:                             ;   in Loop: Header=BB134_36 Depth=2
	s_or_b64 exec, exec, s[10:11]
	v_cmp_lt_i16_e64 s[6:7], -1, v5
	v_cndmask_b32_e64 v8, v30, v31, s[6:7]
	v_xor_b32_sdwa v8, v8, v5 dst_sel:DWORD dst_unused:UNUSED_PAD src0_sel:DWORD src1_sel:WORD_0
	v_cmp_o_f16_e64 s[6:7], v5, v5
	v_cndmask_b32_e64 v8, v30, v8, s[6:7]
	v_and_b32_e32 v8, s27, v8
	v_cmp_eq_u32_e64 s[10:11], s92, v8
	s_cmp_lg_u64 s[10:11], 0
	s_cselect_b64 s[6:7], -1, 0
	s_and_b64 s[6:7], s[4:5], s[6:7]
	s_and_saveexec_b64 s[12:13], s[6:7]
	s_cbranch_execz .LBB134_42
; %bb.39:                               ;   in Loop: Header=BB134_36 Depth=2
	s_mov_b64 s[16:17], exec
	v_mbcnt_lo_u32_b32 v7, s16, 0
	v_mbcnt_hi_u32_b32 v7, s17, v7
	s_bcnt1_i32_b64 s18, s[10:11]
	v_cmp_eq_u32_e64 s[6:7], 0, v7
                                        ; implicit-def: $vgpr8
	s_and_saveexec_b64 s[14:15], s[6:7]
	s_cbranch_execz .LBB134_41
; %bb.40:                               ;   in Loop: Header=BB134_36 Depth=2
	s_bcnt1_i32_b64 s6, s[16:17]
	s_mul_i32 s6, s18, s6
	v_mov_b32_e32 v8, s6
	ds_add_rtn_u32 v8, v11, v8 offset:5144
.LBB134_41:                             ;   in Loop: Header=BB134_36 Depth=2
	s_or_b64 exec, exec, s[14:15]
	s_waitcnt lgkmcnt(0)
	v_readfirstlane_b32 s6, v8
	v_mov_b32_e32 v8, s6
	v_mad_u32_u24 v7, s18, v7, v8
.LBB134_42:                             ;   in Loop: Header=BB134_36 Depth=2
	s_or_b64 exec, exec, s[12:13]
	ds_bpermute_b32 v7, v27, v7
	s_and_b64 s[6:7], exec, vcc
	s_or_b64 s[8:9], s[6:7], s[8:9]
	s_and_saveexec_b64 s[6:7], s[10:11]
	s_cbranch_execz .LBB134_35
; %bb.43:                               ;   in Loop: Header=BB134_36 Depth=2
	v_and_b32_e32 v9, s10, v16
	v_and_b32_e32 v8, s11, v17
	v_bcnt_u32_b32 v9, v9, 0
	v_bcnt_u32_b32 v8, v8, v9
	v_lshlrev_b32_e32 v8, 1, v8
	s_waitcnt lgkmcnt(0)
	v_lshl_add_u32 v7, v7, 1, v8
	ds_write_b16 v7, v5
	s_branch .LBB134_35
.LBB134_44:                             ;   in Loop: Header=BB134_31 Depth=1
	s_mov_b64 s[72:73], -1
	s_mov_b64 s[6:7], 0
.LBB134_45:                             ;   in Loop: Header=BB134_31 Depth=1
	s_and_b64 vcc, exec, s[72:73]
	s_cbranch_vccz .LBB134_56
.LBB134_46:                             ;   in Loop: Header=BB134_31 Depth=1
	v_mov_b32_e32 v4, 0
	s_mov_b64 s[6:7], exec
	v_readlane_b32 s8, v44, 34
	v_readlane_b32 s9, v44, 35
	s_and_b64 s[8:9], s[6:7], s[8:9]
	s_mov_b64 exec, s[8:9]
	s_cbranch_execz .LBB134_48
; %bb.47:                               ;   in Loop: Header=BB134_31 Depth=1
	global_load_ushort v4, v[14:15], off
.LBB134_48:                             ;   in Loop: Header=BB134_31 Depth=1
	s_or_b64 exec, exec, s[6:7]
	s_mov_b64 s[8:9], exec
	v_readlane_b32 s6, v44, 34
	v_readlane_b32 s7, v44, 35
	s_and_b64 s[6:7], s[8:9], s[6:7]
	s_mov_b64 exec, s[6:7]
	s_cbranch_execz .LBB134_53
; %bb.49:                               ;   in Loop: Header=BB134_31 Depth=1
	global_load_ushort v2, v11, s[64:65]
	s_mov_b64 s[10:11], 0
	v_mov_b32_e32 v5, v23
	s_waitcnt vmcnt(0)
	v_and_b32_e32 v6, 0xffff, v2
	v_lshlrev_b32_e32 v7, 1, v6
	v_pk_mov_b32 v[2:3], v[0:1], v[0:1] op_sel:[0,1]
	s_branch .LBB134_51
.LBB134_50:                             ;   in Loop: Header=BB134_51 Depth=2
	s_or_b64 exec, exec, s[12:13]
	s_and_b64 s[6:7], exec, vcc
	s_or_b64 s[10:11], s[6:7], s[10:11]
	ds_write_b16 v5, v4
	v_add_u32_e32 v5, v5, v7
	s_waitcnt vmcnt(0)
	v_mov_b32_e32 v4, v8
	s_andn2_b64 exec, exec, s[10:11]
	s_cbranch_execz .LBB134_53
.LBB134_51:                             ;   Parent Loop BB134_31 Depth=1
                                        ; =>  This Inner Loop Header: Depth=2
	v_add_co_u32_e32 v2, vcc, v2, v6
	v_addc_co_u32_e32 v3, vcc, 0, v3, vcc
	v_cmp_gt_u64_e64 s[6:7], s[52:53], v[2:3]
	v_cmp_le_u64_e32 vcc, s[52:53], v[2:3]
	v_mov_b32_e32 v8, 0
	s_and_saveexec_b64 s[12:13], s[6:7]
	s_cbranch_execz .LBB134_50
; %bb.52:                               ;   in Loop: Header=BB134_51 Depth=2
	v_mul_lo_u32 v10, v3, s76
	v_mul_lo_u32 v18, v2, s77
	v_mad_u64_u32 v[8:9], s[6:7], v2, s76, 0
	v_add3_u32 v9, v9, v18, v10
	v_lshlrev_b64 v[8:9], 1, v[8:9]
	v_mov_b32_e32 v10, s55
	v_add_co_u32_e64 v8, s[6:7], s33, v8
	v_addc_co_u32_e64 v9, s[6:7], v10, v9, s[6:7]
	global_load_ushort v8, v[8:9], off
	s_branch .LBB134_50
.LBB134_53:                             ;   in Loop: Header=BB134_31 Depth=1
	s_or_b64 exec, exec, s[8:9]
	s_waitcnt lgkmcnt(0)
	s_barrier
	s_mov_b64 s[6:7], exec
	v_readlane_b32 s8, v44, 36
	v_readlane_b32 s9, v44, 37
	s_and_b64 s[8:9], s[6:7], s[8:9]
	s_mov_b64 exec, s[8:9]
	s_cbranch_execz .LBB134_55
; %bb.54:                               ;   in Loop: Header=BB134_31 Depth=1
	v_pk_mov_b32 v[2:3], s[52:53], s[52:53] op_sel:[0,1]
	ds_write_b64 v11, v[2:3] offset:5120
.LBB134_55:                             ;   in Loop: Header=BB134_31 Depth=1
	s_or_b64 exec, exec, s[6:7]
	s_mov_b64 s[6:7], -1
	s_waitcnt lgkmcnt(0)
	s_barrier
                                        ; implicit-def: $sgpr72_sgpr73
.LBB134_56:                             ;   in Loop: Header=BB134_31 Depth=1
	s_and_b64 vcc, exec, s[6:7]
	s_cbranch_vccz .LBB134_58
; %bb.57:                               ;   in Loop: Header=BB134_31 Depth=1
	ds_read_b64 v[2:3], v11 offset:5120
	s_waitcnt lgkmcnt(0)
	v_readfirstlane_b32 s72, v2
.LBB134_58:                             ;   in Loop: Header=BB134_31 Depth=1
	s_cmp_lt_i32 s72, 1
	s_cbranch_scc0 .LBB134_73
; %bb.59:                               ;   in Loop: Header=BB134_31 Depth=1
	global_load_ushort v36, v11, s[64:65]
	s_mov_b32 s6, s91
	s_waitcnt vmcnt(0)
	v_readfirstlane_b32 s7, v36
	s_and_b32 s7, 0xffff, s7
	s_lshl_b32 s73, s7, 2
	s_mov_b32 s7, s53
	s_cmp_lg_u64 s[6:7], 0
	s_cbranch_scc0 .LBB134_93
; %bb.60:                               ;   in Loop: Header=BB134_31 Depth=1
	v_cvt_f32_u32_e32 v2, s73
	s_sub_u32 s6, 0, s73
	s_subb_u32 s7, 0, 0
	v_mac_f32_e32 v2, 0, v32
	v_rcp_f32_e32 v2, v2
	v_mul_f32_e32 v2, 0x5f7ffffc, v2
	v_mul_f32_e32 v3, 0x2f800000, v2
	v_trunc_f32_e32 v3, v3
	v_mac_f32_e32 v2, 0xcf800000, v3
	v_cvt_u32_f32_e32 v3, v3
	v_cvt_u32_f32_e32 v2, v2
	v_readfirstlane_b32 s8, v3
	v_readfirstlane_b32 s9, v2
	s_mul_i32 s10, s6, s8
	s_mul_hi_u32 s12, s6, s9
	s_mul_i32 s11, s7, s9
	s_add_i32 s10, s12, s10
	s_mul_i32 s13, s6, s9
	s_add_i32 s10, s10, s11
	s_mul_hi_u32 s12, s9, s13
	s_mul_hi_u32 s11, s9, s10
	s_mul_i32 s9, s9, s10
	s_add_u32 s9, s12, s9
	s_addc_u32 s11, 0, s11
	s_mul_hi_u32 s14, s8, s13
	s_mul_i32 s13, s8, s13
	s_add_u32 s9, s9, s13
	s_mul_hi_u32 s12, s8, s10
	s_addc_u32 s9, s11, s14
	s_addc_u32 s11, s12, 0
	s_mul_i32 s10, s8, s10
	s_add_u32 s9, s9, s10
	s_addc_u32 s10, 0, s11
	v_add_co_u32_e32 v2, vcc, s9, v2
	s_cmp_lg_u64 vcc, 0
	s_addc_u32 s8, s8, s10
	v_readfirstlane_b32 s10, v2
	s_mul_i32 s9, s6, s8
	s_mul_hi_u32 s11, s6, s10
	s_add_i32 s9, s11, s9
	s_mul_i32 s7, s7, s10
	s_add_i32 s9, s9, s7
	s_mul_i32 s6, s6, s10
	s_mul_hi_u32 s11, s8, s6
	s_mul_i32 s12, s8, s6
	s_mul_i32 s14, s10, s9
	s_mul_hi_u32 s6, s10, s6
	s_mul_hi_u32 s13, s10, s9
	s_add_u32 s6, s6, s14
	s_addc_u32 s10, 0, s13
	s_add_u32 s6, s6, s12
	s_mul_hi_u32 s7, s8, s9
	s_addc_u32 s6, s10, s11
	s_addc_u32 s7, s7, 0
	s_mul_i32 s9, s8, s9
	s_add_u32 s6, s6, s9
	s_addc_u32 s7, 0, s7
	v_add_co_u32_e32 v2, vcc, s6, v2
	s_cmp_lg_u64 vcc, 0
	s_addc_u32 s6, s8, s7
	v_readfirstlane_b32 s9, v2
	s_mul_i32 s8, s52, s6
	s_mul_hi_u32 s10, s52, s9
	s_mul_hi_u32 s7, s52, s6
	s_add_u32 s8, s10, s8
	s_addc_u32 s7, 0, s7
	s_mul_hi_u32 s11, s53, s9
	s_mul_i32 s9, s53, s9
	s_add_u32 s8, s8, s9
	s_mul_hi_u32 s10, s53, s6
	s_addc_u32 s7, s7, s11
	s_addc_u32 s8, s10, 0
	s_mul_i32 s6, s53, s6
	s_add_u32 s6, s7, s6
	s_addc_u32 s7, 0, s8
	s_mul_hi_u32 s8, s73, s6
	s_mul_i32 s6, s73, s6
	s_mul_i32 s7, s73, s7
	v_mov_b32_e32 v2, s6
	s_add_i32 s8, s8, s7
	v_sub_co_u32_e32 v2, vcc, s52, v2
	s_cmp_lg_u64 vcc, 0
	s_subb_u32 s6, s53, s8
	v_subrev_co_u32_e32 v3, vcc, s73, v2
	s_cmp_lg_u64 vcc, 0
	s_subb_u32 s7, s6, 0
	v_subrev_co_u32_e32 v4, vcc, s73, v3
	s_cmp_lg_u64 vcc, 0
	s_subb_u32 s8, s7, 0
	v_cmp_le_u32_e32 vcc, s73, v3
	s_cmp_eq_u32 s7, 0
	v_cndmask_b32_e64 v5, 0, -1, vcc
	s_cselect_b64 vcc, -1, 0
	v_cndmask_b32_e32 v5, -1, v5, vcc
	v_mov_b32_e32 v6, s7
	v_mov_b32_e32 v7, s8
	v_cmp_ne_u32_e32 vcc, 0, v5
	v_cndmask_b32_e32 v5, v6, v7, vcc
	v_cndmask_b32_e32 v4, v3, v4, vcc
	v_cmp_le_u32_e32 vcc, s73, v2
	s_cmp_eq_u32 s6, 0
	v_cndmask_b32_e64 v3, 0, -1, vcc
	s_cselect_b64 vcc, -1, 0
	v_cndmask_b32_e32 v3, -1, v3, vcc
	v_mov_b32_e32 v6, s6
	v_cmp_ne_u32_e32 vcc, 0, v3
	v_cndmask_b32_e32 v3, v6, v5, vcc
	v_cndmask_b32_e32 v2, v2, v4, vcc
	s_cbranch_execnz .LBB134_62
.LBB134_61:                             ;   in Loop: Header=BB134_31 Depth=1
	v_cvt_f32_u32_e32 v2, s73
	s_sub_i32 s6, 0, s73
	v_rcp_iflag_f32_e32 v2, v2
	v_mul_f32_e32 v2, 0x4f7ffffe, v2
	v_cvt_u32_f32_e32 v2, v2
	v_mul_lo_u32 v3, s6, v2
	v_mul_hi_u32 v3, v2, v3
	v_add_u32_e32 v2, v2, v3
	v_mul_hi_u32 v2, s52, v2
	v_mul_lo_u32 v2, v2, s73
	v_sub_u32_e32 v2, s52, v2
	v_subrev_u32_e32 v3, s73, v2
	v_cmp_le_u32_e32 vcc, s73, v2
	v_cndmask_b32_e32 v2, v2, v3, vcc
	v_subrev_u32_e32 v3, s73, v2
	v_cmp_le_u32_e32 vcc, s73, v2
	v_cndmask_b32_e32 v10, v2, v3, vcc
	v_pk_mov_b32 v[2:3], v[10:11], v[10:11] op_sel:[0,1]
.LBB134_62:                             ;   in Loop: Header=BB134_31 Depth=1
	v_mov_b32_e32 v4, s53
	v_sub_co_u32_e32 v18, vcc, s52, v2
	v_subb_co_u32_e32 v19, vcc, v4, v3, vcc
	v_pk_mov_b32 v[2:3], 0, 0
	v_cmp_gt_u64_e32 vcc, v[18:19], v[12:13]
	s_mov_b64 s[60:61], 0
	v_pk_mov_b32 v[4:5], v[2:3], v[2:3] op_sel:[0,1]
	v_pk_mov_b32 v[6:7], v[2:3], v[2:3] op_sel:[0,1]
	;; [unrolled: 1-line block ×3, first 2 shown]
	s_and_saveexec_b64 s[50:51], vcc
	s_cbranch_execz .LBB134_66
; %bb.63:                               ;   in Loop: Header=BB134_31 Depth=1
	s_and_b32 s82, s1, 0xfe
	s_mov_b64 s[62:63], 0
	s_mov_b64 s[78:79], 0
	;; [unrolled: 1-line block ×4, first 2 shown]
	v_pk_mov_b32 v[20:21], v[12:13], v[12:13] op_sel:[0,1]
.LBB134_64:                             ;   Parent Loop BB134_31 Depth=1
                                        ; =>  This Inner Loop Header: Depth=2
	v_mul_lo_u32 v4, v21, s76
	v_mul_lo_u32 v5, v20, s77
	v_mad_u64_u32 v[2:3], s[6:7], v20, s76, 0
	v_add3_u32 v3, v3, v5, v4
	v_lshlrev_b64 v[2:3], 1, v[2:3]
	v_mov_b32_e32 v6, s55
	v_add_co_u32_e64 v2, s[6:7], s33, v2
	s_lshl_b64 s[8:9], s[76:77], 1
	v_addc_co_u32_e64 v3, s[6:7], v6, v3, s[6:7]
	v_mov_b32_e32 v4, s9
	global_load_ushort v5, v[2:3], off
	v_add_co_u32_e64 v2, s[6:7], s8, v2
	v_addc_co_u32_e64 v3, s[6:7], v3, v4, s[6:7]
	global_load_ushort v6, v[2:3], off
	v_add_co_u32_e64 v2, s[6:7], s8, v2
	v_addc_co_u32_e64 v3, s[6:7], v3, v4, s[6:7]
	;; [unrolled: 3-line block ×3, first 2 shown]
	global_load_ushort v2, v[2:3], off
	v_add_co_u32_e32 v20, vcc, s73, v20
	v_addc_co_u32_e32 v21, vcc, 0, v21, vcc
	v_cmp_ge_u64_e32 vcc, v[20:21], v[18:19]
	s_waitcnt vmcnt(3)
	v_cmp_lt_i16_e64 s[6:7], -1, v5
	v_cndmask_b32_e64 v3, v30, v31, s[6:7]
	v_xor_b32_sdwa v3, v3, v5 dst_sel:DWORD dst_unused:UNUSED_PAD src0_sel:DWORD src1_sel:WORD_0
	s_waitcnt vmcnt(2)
	v_cmp_lt_i16_e64 s[6:7], -1, v6
	v_cndmask_b32_e64 v4, v30, v31, s[6:7]
	v_cmp_o_f16_e64 s[6:7], v5, v5
	v_cndmask_b32_e64 v3, v30, v3, s[6:7]
	v_xor_b32_sdwa v4, v4, v6 dst_sel:DWORD dst_unused:UNUSED_PAD src0_sel:DWORD src1_sel:WORD_0
	s_waitcnt vmcnt(1)
	v_cmp_lt_i16_e64 s[6:7], -1, v7
	v_cndmask_b32_e64 v5, v30, v31, s[6:7]
	v_cmp_o_f16_e64 s[6:7], v6, v6
	v_cndmask_b32_e64 v4, v30, v4, s[6:7]
	v_xor_b32_sdwa v5, v5, v7 dst_sel:DWORD dst_unused:UNUSED_PAD src0_sel:DWORD src1_sel:WORD_0
	s_waitcnt vmcnt(0)
	v_cmp_lt_i16_e64 s[6:7], -1, v2
	v_cndmask_b32_e64 v6, v30, v31, s[6:7]
	v_and_b32_e32 v8, s27, v3
	v_bfe_u32 v3, v3, s82, 2
	v_cmp_o_f16_e64 s[6:7], v7, v7
	v_cndmask_b32_e64 v5, v30, v5, s[6:7]
	v_xor_b32_sdwa v6, v6, v2 dst_sel:DWORD dst_unused:UNUSED_PAD src0_sel:DWORD src1_sel:WORD_0
	v_cmp_eq_u32_e64 s[10:11], s92, v8
	v_cmp_eq_u32_e64 s[6:7], 0, v3
	v_cmp_o_f16_e64 s[12:13], v2, v2
	v_and_b32_e32 v7, s27, v4
	v_bfe_u32 v4, v4, s82, 2
	v_cmp_eq_u32_e64 s[28:29], 1, v3
	v_cmp_eq_u32_e64 s[30:31], 2, v3
	;; [unrolled: 1-line block ×3, first 2 shown]
	v_cndmask_b32_e64 v2, v30, v6, s[12:13]
	v_and_b32_e32 v3, s27, v5
	v_bfe_u32 v5, v5, s82, 2
	s_and_b64 s[6:7], s[10:11], s[6:7]
	v_cmp_eq_u32_e64 s[12:13], s92, v7
	v_cmp_eq_u32_e64 s[22:23], 0, v4
	;; [unrolled: 1-line block ×5, first 2 shown]
	v_cndmask_b32_e64 v4, 0, 1, s[6:7]
	v_cmp_eq_u32_e64 s[18:19], s92, v3
	v_and_b32_e32 v3, s27, v2
	v_bfe_u32 v2, v2, s82, 2
	v_cmp_eq_u32_e64 s[6:7], 0, v5
	s_and_b64 s[8:9], s[12:13], s[22:23]
	v_cmp_eq_u32_e64 s[22:23], s92, v3
	v_cmp_eq_u32_e64 s[44:45], 0, v2
	s_and_b64 s[6:7], s[18:19], s[6:7]
	v_cmp_ne_u32_e64 s[42:43], 0, v4
	v_cndmask_b32_e64 v4, 0, 1, s[8:9]
	v_cmp_eq_u32_e64 s[46:47], 1, v2
	v_cmp_eq_u32_e64 s[48:49], 2, v2
	;; [unrolled: 1-line block ×3, first 2 shown]
	v_cndmask_b32_e64 v2, 0, 1, s[6:7]
	s_and_b64 s[8:9], s[22:23], s[44:45]
	v_cmp_ne_u32_e64 s[6:7], 0, v2
	v_cndmask_b32_e64 v2, 0, 1, s[8:9]
	s_bcnt1_i32_b64 s90, s[42:43]
	v_cmp_ne_u32_e64 s[42:43], 0, v4
	s_bcnt1_i32_b64 s8, s[6:7]
	v_cmp_ne_u32_e64 s[6:7], 0, v2
	s_bcnt1_i32_b64 s42, s[42:43]
	s_bcnt1_i32_b64 s6, s[6:7]
	s_add_u32 s7, s90, s88
	s_addc_u32 s9, 0, s89
	s_add_u32 s7, s7, s42
	s_addc_u32 s9, s9, 0
	;; [unrolled: 2-line block ×4, first 2 shown]
	s_and_b64 s[6:7], s[10:11], s[28:29]
	v_cmp_eq_u32_e64 s[38:39], 1, v5
	v_cndmask_b32_e64 v4, 0, 1, s[6:7]
	s_and_b64 s[6:7], s[12:13], s[34:35]
	v_cmp_eq_u32_e64 s[40:41], 2, v5
	v_cmp_eq_u32_e64 s[20:21], 3, v5
	v_cndmask_b32_e64 v5, 0, 1, s[6:7]
	s_and_b64 s[6:7], s[18:19], s[38:39]
	v_cndmask_b32_e64 v6, 0, 1, s[6:7]
	s_and_b64 s[6:7], s[22:23], s[46:47]
	v_cndmask_b32_e64 v7, 0, 1, s[6:7]
	v_cmp_ne_u32_e64 s[6:7], 0, v4
	v_cmp_ne_u32_e64 s[28:29], 0, v5
	;; [unrolled: 1-line block ×4, first 2 shown]
	s_bcnt1_i32_b64 s6, s[6:7]
	s_bcnt1_i32_b64 s7, s[28:29]
	;; [unrolled: 1-line block ×4, first 2 shown]
	s_add_u32 s6, s6, s66
	s_addc_u32 s28, 0, s67
	s_add_u32 s6, s6, s7
	s_addc_u32 s7, s28, 0
	;; [unrolled: 2-line block ×4, first 2 shown]
	s_and_b64 s[6:7], s[10:11], s[30:31]
	v_cndmask_b32_e64 v6, 0, 1, s[6:7]
	s_and_b64 s[6:7], s[12:13], s[36:37]
	v_cndmask_b32_e64 v7, 0, 1, s[6:7]
	s_and_b64 s[6:7], s[18:19], s[40:41]
	v_cndmask_b32_e64 v8, 0, 1, s[6:7]
	s_and_b64 s[6:7], s[22:23], s[48:49]
	v_cndmask_b32_e64 v9, 0, 1, s[6:7]
	v_cmp_ne_u32_e64 s[6:7], 0, v6
	v_cmp_ne_u32_e64 s[28:29], 0, v7
	;; [unrolled: 1-line block ×4, first 2 shown]
	s_bcnt1_i32_b64 s6, s[6:7]
	s_bcnt1_i32_b64 s7, s[28:29]
	;; [unrolled: 1-line block ×4, first 2 shown]
	s_add_u32 s6, s6, s78
	s_addc_u32 s28, 0, s79
	s_add_u32 s6, s6, s7
	s_addc_u32 s7, s28, 0
	;; [unrolled: 2-line block ×4, first 2 shown]
	s_and_b64 s[6:7], s[10:11], s[14:15]
	v_cndmask_b32_e64 v8, 0, 1, s[6:7]
	s_and_b64 s[6:7], s[12:13], s[16:17]
	v_cndmask_b32_e64 v9, 0, 1, s[6:7]
	;; [unrolled: 2-line block ×4, first 2 shown]
	v_cmp_ne_u32_e64 s[6:7], 0, v8
	v_cmp_ne_u32_e64 s[10:11], 0, v9
	;; [unrolled: 1-line block ×4, first 2 shown]
	s_bcnt1_i32_b64 s6, s[6:7]
	s_bcnt1_i32_b64 s7, s[10:11]
	;; [unrolled: 1-line block ×4, first 2 shown]
	s_add_u32 s6, s6, s62
	s_addc_u32 s10, 0, s63
	s_add_u32 s6, s6, s7
	s_addc_u32 s7, s10, 0
	s_add_u32 s6, s6, s8
	s_addc_u32 s7, s7, 0
	s_add_u32 s62, s6, s9
	s_addc_u32 s63, s7, 0
	v_pk_mov_b32 v[2:3], s[88:89], s[88:89] op_sel:[0,1]
	v_pk_mov_b32 v[4:5], s[66:67], s[66:67] op_sel:[0,1]
	;; [unrolled: 1-line block ×3, first 2 shown]
	s_or_b64 s[60:61], vcc, s[60:61]
	v_pk_mov_b32 v[8:9], s[62:63], s[62:63] op_sel:[0,1]
	s_andn2_b64 exec, exec, s[60:61]
	s_cbranch_execnz .LBB134_64
; %bb.65:                               ;   in Loop: Header=BB134_31 Depth=1
	s_or_b64 exec, exec, s[60:61]
	v_readlane_b32 s66, v44, 50
	v_readlane_b32 s67, v44, 51
.LBB134_66:                             ;   in Loop: Header=BB134_31 Depth=1
	s_or_b64 exec, exec, s[50:51]
	v_add_co_u32_e32 v18, vcc, v18, v0
	v_addc_co_u32_e32 v19, vcc, 0, v19, vcc
	v_cmp_gt_u64_e32 vcc, s[52:53], v[18:19]
	v_mov_b32_e32 v10, 0
	s_and_saveexec_b64 s[8:9], vcc
	s_cbranch_execz .LBB134_68
; %bb.67:                               ;   in Loop: Header=BB134_31 Depth=1
	v_mul_lo_u32 v10, v19, s76
	v_mul_lo_u32 v37, v18, s77
	v_mad_u64_u32 v[20:21], s[6:7], v18, s76, 0
	v_add3_u32 v21, v21, v37, v10
	v_lshlrev_b64 v[20:21], 1, v[20:21]
	v_mov_b32_e32 v10, s55
	v_add_co_u32_e64 v20, s[6:7], s33, v20
	v_addc_co_u32_e64 v21, s[6:7], v10, v21, s[6:7]
	global_load_ushort v10, v[20:21], off
.LBB134_68:                             ;   in Loop: Header=BB134_31 Depth=1
	s_or_b64 exec, exec, s[8:9]
	s_and_saveexec_b64 s[8:9], vcc
	s_cbranch_execz .LBB134_75
; %bb.69:                               ;   in Loop: Header=BB134_31 Depth=1
	s_and_b32 s14, s1, 0xfe
	s_mov_b64 s[10:11], 0
	s_branch .LBB134_71
.LBB134_70:                             ;   in Loop: Header=BB134_71 Depth=2
	s_or_b64 exec, exec, s[12:13]
	s_and_b64 s[6:7], exec, vcc
	s_waitcnt vmcnt(0)
	v_cmp_lt_i16_e32 vcc, -1, v10
	v_cndmask_b32_e32 v21, v30, v31, vcc
	v_xor_b32_sdwa v21, v21, v10 dst_sel:DWORD dst_unused:UNUSED_PAD src0_sel:DWORD src1_sel:WORD_0
	v_cmp_o_f16_e32 vcc, v10, v10
	v_cndmask_b32_e32 v10, v30, v21, vcc
	v_and_b32_e32 v21, s27, v10
	v_bfe_u32 v10, v10, s14, 2
	s_or_b64 s[10:11], s[6:7], s[10:11]
	v_cmp_eq_u32_e32 vcc, s92, v21
	v_cmp_eq_u32_e64 s[6:7], 0, v10
	s_and_b64 s[6:7], vcc, s[6:7]
	v_cndmask_b32_e64 v21, 0, 1, s[6:7]
	v_cmp_ne_u32_e64 s[6:7], 0, v21
	s_bcnt1_i32_b64 s6, s[6:7]
	v_add_co_u32_e64 v2, s[6:7], s6, v2
	v_addc_co_u32_e64 v3, s[6:7], 0, v3, s[6:7]
	v_cmp_eq_u32_e64 s[6:7], 1, v10
	s_and_b64 s[6:7], vcc, s[6:7]
	v_cndmask_b32_e64 v21, 0, 1, s[6:7]
	v_cmp_ne_u32_e64 s[6:7], 0, v21
	s_bcnt1_i32_b64 s6, s[6:7]
	v_add_co_u32_e64 v4, s[6:7], s6, v4
	v_addc_co_u32_e64 v5, s[6:7], 0, v5, s[6:7]
	v_cmp_eq_u32_e64 s[6:7], 2, v10
	s_and_b64 s[6:7], vcc, s[6:7]
	v_cndmask_b32_e64 v21, 0, 1, s[6:7]
	v_cmp_ne_u32_e64 s[6:7], 0, v21
	s_bcnt1_i32_b64 s6, s[6:7]
	v_add_co_u32_e64 v6, s[6:7], s6, v6
	v_addc_co_u32_e64 v7, s[6:7], 0, v7, s[6:7]
	v_cmp_eq_u32_e64 s[6:7], 3, v10
	s_and_b64 s[6:7], vcc, s[6:7]
	v_cndmask_b32_e64 v10, 0, 1, s[6:7]
	v_cmp_ne_u32_e32 vcc, 0, v10
	s_bcnt1_i32_b64 s6, vcc
	v_add_co_u32_e32 v8, vcc, s6, v8
	v_addc_co_u32_e32 v9, vcc, 0, v9, vcc
	v_mov_b32_e32 v10, v20
	s_andn2_b64 exec, exec, s[10:11]
	s_cbranch_execz .LBB134_74
.LBB134_71:                             ;   Parent Loop BB134_31 Depth=1
                                        ; =>  This Inner Loop Header: Depth=2
	v_add_co_u32_sdwa v18, vcc, v18, v36 dst_sel:DWORD dst_unused:UNUSED_PAD src0_sel:DWORD src1_sel:WORD_0
	v_addc_co_u32_e32 v19, vcc, 0, v19, vcc
	v_cmp_gt_u64_e64 s[6:7], s[52:53], v[18:19]
	v_cmp_le_u64_e32 vcc, s[52:53], v[18:19]
	v_mov_b32_e32 v20, 0
	s_and_saveexec_b64 s[12:13], s[6:7]
	s_cbranch_execz .LBB134_70
; %bb.72:                               ;   in Loop: Header=BB134_71 Depth=2
	v_mul_lo_u32 v37, v19, s76
	v_mul_lo_u32 v38, v18, s77
	v_mad_u64_u32 v[20:21], s[6:7], v18, s76, 0
	v_add3_u32 v21, v21, v38, v37
	v_lshlrev_b64 v[20:21], 1, v[20:21]
	v_mov_b32_e32 v37, s55
	v_add_co_u32_e64 v20, s[6:7], s33, v20
	v_addc_co_u32_e64 v21, s[6:7], v37, v21, s[6:7]
	global_load_ushort v20, v[20:21], off
	s_branch .LBB134_70
.LBB134_73:                             ;   in Loop: Header=BB134_31 Depth=1
                                        ; implicit-def: $vgpr8_vgpr9
                                        ; implicit-def: $vgpr4_vgpr5
	s_cbranch_execnz .LBB134_76
	s_branch .LBB134_85
.LBB134_74:                             ;   in Loop: Header=BB134_31 Depth=1
	s_or_b64 exec, exec, s[10:11]
.LBB134_75:                             ;   in Loop: Header=BB134_31 Depth=1
	s_or_b64 exec, exec, s[8:9]
	s_branch .LBB134_85
.LBB134_76:                             ;   in Loop: Header=BB134_31 Depth=1
	global_load_ushort v8, v11, s[64:65]
	s_mov_b64 s[60:61], 0
	s_waitcnt vmcnt(0)
	v_readfirstlane_b32 s6, v8
	s_and_b32 s6, 0xffff, s6
	s_lshl_b32 s73, s6, 2
	v_cvt_f32_u32_e32 v2, s73
	s_sub_i32 s6, 0, s73
	v_and_b32_e32 v20, 0xffff, v8
	v_rcp_iflag_f32_e32 v6, v2
	v_pk_mov_b32 v[2:3], 0, 0
	v_pk_mov_b32 v[4:5], v[2:3], v[2:3] op_sel:[0,1]
	v_mul_f32_e32 v6, 0x4f7ffffe, v6
	v_cvt_u32_f32_e32 v9, v6
	v_pk_mov_b32 v[6:7], v[2:3], v[2:3] op_sel:[0,1]
	v_readfirstlane_b32 s7, v9
	s_mul_i32 s6, s6, s7
	s_mul_hi_u32 s6, s7, s6
	s_add_i32 s7, s7, s6
	s_mul_hi_u32 s6, s72, s7
	s_mul_i32 s6, s6, s73
	s_sub_i32 s6, s72, s6
	s_sub_i32 s7, s6, s73
	s_cmp_ge_u32 s6, s73
	s_cselect_b32 s6, s7, s6
	s_sub_i32 s7, s6, s73
	s_cmp_ge_u32 s6, s73
	s_cselect_b32 s6, s7, s6
	s_sub_i32 s90, s72, s6
	v_cmp_gt_u32_e32 vcc, s90, v12
	v_pk_mov_b32 v[8:9], v[2:3], v[2:3] op_sel:[0,1]
	s_and_saveexec_b64 s[62:63], vcc
	s_cbranch_execz .LBB134_80
; %bb.77:                               ;   in Loop: Header=BB134_31 Depth=1
	s_and_b32 s82, s1, 0xfe
	v_lshlrev_b32_e32 v10, 3, v20
	v_mov_b32_e32 v21, v28
	s_mov_b64 s[66:67], 0
	s_mov_b64 s[78:79], 0
	s_mov_b64 s[88:89], 0
	s_mov_b64 s[8:9], 0
	v_pk_mov_b32 v[18:19], v[12:13], v[12:13] op_sel:[0,1]
.LBB134_78:                             ;   Parent Loop BB134_31 Depth=1
                                        ; =>  This Inner Loop Header: Depth=2
	ds_read_b64 v[2:3], v21
	v_add_co_u32_e32 v18, vcc, s73, v18
	v_addc_co_u32_e32 v19, vcc, 0, v19, vcc
	s_waitcnt lgkmcnt(0)
	v_cmp_lt_i16_e64 s[6:7], -1, v2
	v_cndmask_b32_e64 v4, v30, v31, s[6:7]
	v_cmp_gt_i16_sdwa s[6:7], v2, v33 src0_sel:WORD_1 src1_sel:DWORD
	v_cndmask_b32_e64 v5, v30, v31, s[6:7]
	v_cmp_lt_i16_e64 s[6:7], -1, v3
	v_cndmask_b32_e64 v6, v30, v31, s[6:7]
	v_cmp_gt_i16_sdwa s[6:7], v3, v33 src0_sel:WORD_1 src1_sel:DWORD
	v_cndmask_b32_e64 v7, v30, v31, s[6:7]
	v_xor_b32_sdwa v6, v6, v3 dst_sel:DWORD dst_unused:UNUSED_PAD src0_sel:DWORD src1_sel:WORD_0
	v_cmp_o_f16_e64 s[10:11], v3, v3
	v_xor_b32_sdwa v7, v7, v3 dst_sel:DWORD dst_unused:UNUSED_PAD src0_sel:DWORD src1_sel:WORD_1
	v_cmp_o_f16_sdwa s[12:13], v3, v3 src0_sel:WORD_1 src1_sel:WORD_1
	v_xor_b32_sdwa v3, v4, v2 dst_sel:DWORD dst_unused:UNUSED_PAD src0_sel:DWORD src1_sel:WORD_0
	v_cmp_o_f16_e64 s[14:15], v2, v2
	v_xor_b32_sdwa v5, v5, v2 dst_sel:DWORD dst_unused:UNUSED_PAD src0_sel:DWORD src1_sel:WORD_1
	v_cmp_o_f16_sdwa s[6:7], v2, v2 src0_sel:WORD_1 src1_sel:WORD_1
	v_cndmask_b32_e64 v2, v30, v3, s[14:15]
	v_cndmask_b32_e64 v3, v30, v5, s[6:7]
	;; [unrolled: 1-line block ×3, first 2 shown]
	v_and_b32_e32 v6, s27, v2
	v_bfe_u32 v2, v2, s82, 2
	v_cndmask_b32_e64 v5, v30, v7, s[12:13]
	v_and_b32_e32 v7, s27, v3
	v_bfe_u32 v3, v3, s82, 2
	v_cmp_eq_u32_e64 s[16:17], s92, v6
	v_cmp_eq_u32_e64 s[6:7], 0, v2
	v_and_b32_e32 v8, s27, v4
	v_bfe_u32 v4, v4, s82, 2
	v_cmp_eq_u32_e64 s[14:15], s92, v7
	v_cmp_eq_u32_e64 s[28:29], 0, v3
	s_and_b64 s[6:7], s[16:17], s[6:7]
	v_and_b32_e32 v9, s27, v5
	v_bfe_u32 v5, v5, s82, 2
	v_cmp_eq_u32_e64 s[12:13], s92, v8
	v_cmp_eq_u32_e64 s[30:31], 0, v4
	;; [unrolled: 1-line block ×5, first 2 shown]
	v_cndmask_b32_e64 v2, 0, 1, s[6:7]
	s_and_b64 s[6:7], s[14:15], s[28:29]
	v_cmp_eq_u32_e64 s[10:11], s92, v9
	v_cmp_eq_u32_e64 s[34:35], 0, v5
	;; [unrolled: 1-line block ×5, first 2 shown]
	v_cndmask_b32_e64 v3, 0, 1, s[6:7]
	s_and_b64 s[6:7], s[12:13], s[30:31]
	v_cmp_eq_u32_e64 s[40:41], 1, v4
	v_cmp_eq_u32_e64 s[48:49], 2, v4
	v_cmp_eq_u32_e64 s[20:21], 3, v4
	v_cndmask_b32_e64 v4, 0, 1, s[6:7]
	s_and_b64 s[6:7], s[10:11], s[34:35]
	v_cmp_eq_u32_e64 s[42:43], 1, v5
	v_cmp_eq_u32_e64 s[50:51], 2, v5
	v_cmp_eq_u32_e64 s[18:19], 3, v5
	v_cndmask_b32_e64 v5, 0, 1, s[6:7]
	v_cmp_ne_u32_e64 s[6:7], 0, v2
	v_cmp_ne_u32_e64 s[28:29], 0, v3
	v_cmp_ne_u32_e64 s[30:31], 0, v4
	v_cmp_ne_u32_e64 s[34:35], 0, v5
	s_bcnt1_i32_b64 s6, s[6:7]
	s_bcnt1_i32_b64 s7, s[28:29]
	s_bcnt1_i32_b64 s28, s[30:31]
	s_bcnt1_i32_b64 s29, s[34:35]
	s_add_u32 s6, s6, s8
	s_addc_u32 s8, 0, s9
	s_add_u32 s6, s6, s7
	s_addc_u32 s7, s8, 0
	s_add_u32 s6, s6, s28
	s_addc_u32 s7, s7, 0
	s_add_u32 s8, s6, s29
	s_addc_u32 s9, s7, 0
	s_and_b64 s[6:7], s[16:17], s[36:37]
	v_cndmask_b32_e64 v4, 0, 1, s[6:7]
	s_and_b64 s[6:7], s[14:15], s[38:39]
	v_cndmask_b32_e64 v5, 0, 1, s[6:7]
	s_and_b64 s[6:7], s[12:13], s[40:41]
	v_cndmask_b32_e64 v6, 0, 1, s[6:7]
	s_and_b64 s[6:7], s[10:11], s[42:43]
	v_cndmask_b32_e64 v7, 0, 1, s[6:7]
	v_cmp_ne_u32_e64 s[6:7], 0, v4
	v_cmp_ne_u32_e64 s[28:29], 0, v5
	v_cmp_ne_u32_e64 s[30:31], 0, v6
	v_cmp_ne_u32_e64 s[34:35], 0, v7
	s_bcnt1_i32_b64 s6, s[6:7]
	s_bcnt1_i32_b64 s7, s[28:29]
	s_bcnt1_i32_b64 s28, s[30:31]
	s_bcnt1_i32_b64 s29, s[34:35]
	s_add_u32 s6, s6, s88
	s_addc_u32 s30, 0, s89
	s_add_u32 s6, s6, s7
	s_addc_u32 s7, s30, 0
	s_add_u32 s6, s6, s28
	s_addc_u32 s7, s7, 0
	s_add_u32 s88, s6, s29
	s_addc_u32 s89, s7, 0
	s_and_b64 s[6:7], s[16:17], s[44:45]
	v_cndmask_b32_e64 v6, 0, 1, s[6:7]
	s_and_b64 s[6:7], s[14:15], s[46:47]
	v_cndmask_b32_e64 v7, 0, 1, s[6:7]
	s_and_b64 s[6:7], s[12:13], s[48:49]
	v_cndmask_b32_e64 v8, 0, 1, s[6:7]
	s_and_b64 s[6:7], s[10:11], s[50:51]
	;; [unrolled: 24-line block ×3, first 2 shown]
	v_cndmask_b32_e64 v37, 0, 1, s[6:7]
	v_cmp_ne_u32_e64 s[6:7], 0, v8
	v_cmp_ne_u32_e64 s[10:11], 0, v9
	;; [unrolled: 1-line block ×4, first 2 shown]
	s_bcnt1_i32_b64 s6, s[6:7]
	s_bcnt1_i32_b64 s7, s[10:11]
	;; [unrolled: 1-line block ×4, first 2 shown]
	s_add_u32 s6, s6, s66
	s_addc_u32 s12, 0, s67
	s_add_u32 s6, s6, s7
	s_addc_u32 s7, s12, 0
	;; [unrolled: 2-line block ×3, first 2 shown]
	s_add_u32 s66, s6, s11
	v_cmp_le_u64_e32 vcc, s[90:91], v[18:19]
	s_addc_u32 s67, s7, 0
	v_add_u32_e32 v21, v21, v10
	v_pk_mov_b32 v[2:3], s[8:9], s[8:9] op_sel:[0,1]
	v_pk_mov_b32 v[4:5], s[88:89], s[88:89] op_sel:[0,1]
	;; [unrolled: 1-line block ×3, first 2 shown]
	s_or_b64 s[60:61], vcc, s[60:61]
	v_pk_mov_b32 v[8:9], s[66:67], s[66:67] op_sel:[0,1]
	s_andn2_b64 exec, exec, s[60:61]
	s_cbranch_execnz .LBB134_78
; %bb.79:                               ;   in Loop: Header=BB134_31 Depth=1
	s_or_b64 exec, exec, s[60:61]
	v_readlane_b32 s66, v44, 50
	v_readlane_b32 s67, v44, 51
.LBB134_80:                             ;   in Loop: Header=BB134_31 Depth=1
	s_or_b64 exec, exec, s[62:63]
	v_add_u32_e32 v10, s90, v0
	v_cmp_gt_u32_e32 vcc, s72, v10
	s_and_saveexec_b64 s[8:9], vcc
	s_cbranch_execz .LBB134_84
; %bb.81:                               ;   in Loop: Header=BB134_31 Depth=1
	s_and_b32 s90, s72, 0x7fffffff
	s_and_b32 s20, s1, 0xfe
	v_lshlrev_b32_e32 v21, 1, v10
	v_lshlrev_b32_e32 v36, 1, v20
	s_mov_b64 s[18:19], 0
	v_pk_mov_b32 v[18:19], v[10:11], v[10:11] op_sel:[0,1]
.LBB134_82:                             ;   Parent Loop BB134_31 Depth=1
                                        ; =>  This Inner Loop Header: Depth=2
	ds_read_u16 v10, v21
	v_add_co_u32_e32 v18, vcc, v18, v20
	v_addc_co_u32_e32 v19, vcc, 0, v19, vcc
	s_waitcnt lgkmcnt(0)
	v_cmp_lt_i16_e64 s[6:7], -1, v10
	v_cndmask_b32_e64 v37, v30, v31, s[6:7]
	v_xor_b32_sdwa v37, v37, v10 dst_sel:DWORD dst_unused:UNUSED_PAD src0_sel:DWORD src1_sel:WORD_0
	v_cmp_o_f16_e64 s[6:7], v10, v10
	v_cndmask_b32_e64 v10, v30, v37, s[6:7]
	v_and_b32_e32 v37, s27, v10
	v_bfe_u32 v10, v10, s20, 2
	v_cmp_eq_u32_e64 s[6:7], s92, v37
	v_cmp_eq_u32_e64 s[10:11], 0, v10
	;; [unrolled: 1-line block ×3, first 2 shown]
	s_and_b64 s[10:11], s[6:7], s[10:11]
	v_cmp_eq_u32_e64 s[14:15], 2, v10
	v_cmp_eq_u32_e64 s[16:17], 3, v10
	v_cndmask_b32_e64 v10, 0, 1, s[10:11]
	s_and_b64 s[10:11], s[6:7], s[12:13]
	v_cndmask_b32_e64 v37, 0, 1, s[10:11]
	s_and_b64 s[10:11], s[6:7], s[14:15]
	s_and_b64 s[6:7], s[6:7], s[16:17]
	v_cndmask_b32_e64 v38, 0, 1, s[10:11]
	v_cndmask_b32_e64 v39, 0, 1, s[6:7]
	v_cmp_ne_u32_e64 s[6:7], 0, v10
	v_cmp_ne_u32_e64 s[10:11], 0, v37
	;; [unrolled: 1-line block ×4, first 2 shown]
	v_cmp_le_u64_e32 vcc, s[90:91], v[18:19]
	s_bcnt1_i32_b64 s6, s[6:7]
	s_bcnt1_i32_b64 s7, s[10:11]
	;; [unrolled: 1-line block ×4, first 2 shown]
	s_or_b64 s[18:19], vcc, s[18:19]
	v_add_co_u32_e32 v2, vcc, s6, v2
	v_addc_co_u32_e32 v3, vcc, 0, v3, vcc
	v_add_co_u32_e32 v4, vcc, s7, v4
	v_addc_co_u32_e32 v5, vcc, 0, v5, vcc
	;; [unrolled: 2-line block ×3, first 2 shown]
	v_add_co_u32_e32 v8, vcc, s11, v8
	v_add_u32_e32 v21, v21, v36
	v_addc_co_u32_e32 v9, vcc, 0, v9, vcc
	s_andn2_b64 exec, exec, s[18:19]
	s_cbranch_execnz .LBB134_82
; %bb.83:                               ;   in Loop: Header=BB134_31 Depth=1
	s_or_b64 exec, exec, s[18:19]
.LBB134_84:                             ;   in Loop: Header=BB134_31 Depth=1
	s_or_b64 exec, exec, s[8:9]
.LBB134_85:                             ;   in Loop: Header=BB134_31 Depth=1
	s_lshl_b32 s8, s26, 6
	s_and_saveexec_b64 s[6:7], s[4:5]
	s_cbranch_execz .LBB134_87
; %bb.86:                               ;   in Loop: Header=BB134_31 Depth=1
	s_waitcnt vmcnt(0)
	v_or_b32_e32 v10, s8, v26
	v_lshlrev_b32_e32 v10, 3, v10
	ds_write_b128 v10, v[2:5] offset:3072
	ds_write_b128 v10, v[6:9] offset:3088
.LBB134_87:                             ;   in Loop: Header=BB134_31 Depth=1
	s_or_b64 exec, exec, s[6:7]
	s_waitcnt lgkmcnt(0)
	s_barrier
	s_and_saveexec_b64 s[6:7], s[66:67]
	s_cbranch_execz .LBB134_99
; %bb.88:                               ;   in Loop: Header=BB134_31 Depth=1
	v_readlane_b32 s10, v44, 42
	v_readlane_b32 s11, v44, 43
	s_andn2_b64 vcc, exec, s[10:11]
	v_pk_mov_b32 v[2:3], 0, 0
	s_cbranch_vccnz .LBB134_98
; %bb.89:                               ;   in Loop: Header=BB134_31 Depth=1
	v_readlane_b32 s10, v44, 45
	v_readlane_b32 s11, v44, 46
	s_andn2_b64 vcc, exec, s[10:11]
	s_cbranch_vccnz .LBB134_94
; %bb.90:                               ;   in Loop: Header=BB134_31 Depth=1
	s_waitcnt vmcnt(0)
	v_lshl_add_u32 v4, s26, 9, v29
	s_mov_b32 s9, 0
	v_pk_mov_b32 v[2:3], 0, 0
.LBB134_91:                             ;   Parent Loop BB134_31 Depth=1
                                        ; =>  This Inner Loop Header: Depth=2
	ds_read2_b64 v[6:9], v4 offset1:4
	ds_read2_b64 v[18:21], v4 offset0:8 offset1:12
	ds_read2_b64 v[36:39], v4 offset0:16 offset1:20
	;; [unrolled: 1-line block ×3, first 2 shown]
	s_add_i32 s9, s9, 8
	s_waitcnt lgkmcnt(3)
	v_add_co_u32_e32 v2, vcc, v6, v2
	v_addc_co_u32_e32 v3, vcc, v7, v3, vcc
	v_add_co_u32_e32 v2, vcc, v8, v2
	v_addc_co_u32_e32 v3, vcc, v9, v3, vcc
	s_waitcnt lgkmcnt(2)
	v_add_co_u32_e32 v2, vcc, v18, v2
	v_addc_co_u32_e32 v3, vcc, v19, v3, vcc
	v_add_co_u32_e32 v2, vcc, v20, v2
	v_addc_co_u32_e32 v3, vcc, v21, v3, vcc
	;; [unrolled: 5-line block ×3, first 2 shown]
	s_waitcnt lgkmcnt(0)
	v_add_co_u32_e32 v2, vcc, v40, v2
	v_addc_co_u32_e32 v3, vcc, v41, v3, vcc
	v_add_co_u32_e32 v2, vcc, v42, v2
	v_add_u32_e32 v4, 0x100, v4
	s_cmp_eq_u32 s85, s9
	v_addc_co_u32_e32 v3, vcc, v43, v3, vcc
	s_cbranch_scc0 .LBB134_91
; %bb.92:                               ;   in Loop: Header=BB134_31 Depth=1
	s_mov_b32 s9, s85
	s_branch .LBB134_95
.LBB134_93:                             ;   in Loop: Header=BB134_31 Depth=1
                                        ; implicit-def: $vgpr2_vgpr3
	s_branch .LBB134_61
.LBB134_94:                             ;   in Loop: Header=BB134_31 Depth=1
	s_mov_b32 s9, 0
	v_pk_mov_b32 v[2:3], 0, 0
.LBB134_95:                             ;   in Loop: Header=BB134_31 Depth=1
	v_readlane_b32 s10, v44, 48
	v_readlane_b32 s11, v44, 49
	s_andn2_b64 vcc, exec, s[10:11]
	s_cbranch_vccnz .LBB134_98
; %bb.96:                               ;   in Loop: Header=BB134_31 Depth=1
	s_lshl_b32 s10, s26, 9
	s_lshl_b32 s9, s9, 5
	s_add_i32 s10, s10, s9
	s_waitcnt vmcnt(0)
	v_add_u32_e32 v4, s10, v29
	v_readlane_b32 s9, v44, 47
.LBB134_97:                             ;   Parent Loop BB134_31 Depth=1
                                        ; =>  This Inner Loop Header: Depth=2
	ds_read_b64 v[6:7], v4
	s_add_i32 s9, s9, -1
	v_add_u32_e32 v4, 32, v4
	s_cmp_lg_u32 s9, 0
	s_waitcnt lgkmcnt(0)
	v_add_co_u32_e32 v2, vcc, v6, v2
	v_addc_co_u32_e32 v3, vcc, v7, v3, vcc
	s_cbranch_scc1 .LBB134_97
.LBB134_98:                             ;   in Loop: Header=BB134_31 Depth=1
	s_waitcnt vmcnt(0)
	v_add_lshl_u32 v4, s8, v22, 3
	ds_write_b64 v4, v[2:3] offset:3072
.LBB134_99:                             ;   in Loop: Header=BB134_31 Depth=1
	s_or_b64 exec, exec, s[6:7]
	s_lshl_b32 s6, s8, 3
	v_mov_b32_e32 v6, s6
	s_waitcnt lgkmcnt(0)
	s_barrier
	s_waitcnt vmcnt(0)
	ds_read_b128 v[2:5], v6 offset:3072
	ds_read_b128 v[6:9], v6 offset:3088
	s_and_b32 s40, s1, 0xfe
	s_lshl_b32 s48, 3, s40
	s_not_b32 s41, s48
	s_waitcnt lgkmcnt(1)
	v_readfirstlane_b32 s15, v3
	v_readfirstlane_b32 s14, v2
	s_cmp_eq_u64 s[14:15], 1
	s_cselect_b64 s[6:7], -1, 0
	s_cmp_eq_u64 s[94:95], 1
	s_cselect_b64 s[8:9], -1, 0
	s_and_b64 s[20:21], s[6:7], s[8:9]
	v_readfirstlane_b32 s28, v4
	v_readfirstlane_b32 s29, v5
	s_waitcnt lgkmcnt(0)
	v_readfirstlane_b32 s16, v6
	v_readfirstlane_b32 s17, v7
	;; [unrolled: 1-line block ×4, first 2 shown]
	s_mov_b64 s[18:19], -1
	s_and_b64 vcc, exec, s[20:21]
	s_cbranch_vccz .LBB134_114
; %bb.100:                              ;   in Loop: Header=BB134_31 Depth=1
	ds_read_b64 v[2:3], v11 offset:5120
	s_waitcnt lgkmcnt(0)
	s_barrier
	v_readfirstlane_b32 s8, v2
	v_readfirstlane_b32 s9, v3
	s_mov_b64 s[6:7], exec
	v_readlane_b32 s12, v44, 38
	v_readlane_b32 s13, v44, 39
	s_and_b64 s[12:13], s[6:7], s[12:13]
	s_mov_b64 exec, s[12:13]
	s_cbranch_execz .LBB134_102
; %bb.101:                              ;   in Loop: Header=BB134_31 Depth=1
	ds_write_b16 v24, v13
.LBB134_102:                            ;   in Loop: Header=BB134_31 Depth=1
	s_or_b64 exec, exec, s[6:7]
	s_and_b32 s92, s92, s41
	s_or_b32 s27, s27, s48
	s_cmp_eq_u64 s[8:9], 0
	s_waitcnt lgkmcnt(0)
	s_barrier
	s_cbranch_scc1 .LBB134_115
; %bb.103:                              ;   in Loop: Header=BB134_31 Depth=1
	s_add_u32 s22, s93, s8
	v_readlane_b32 s6, v44, 44
	s_addc_u32 s7, s6, s9
	s_mov_b32 s6, s91
	s_cmp_lg_u64 s[6:7], 0
	s_cbranch_scc0 .LBB134_160
; %bb.104:                              ;   in Loop: Header=BB134_31 Depth=1
	v_cvt_f32_u32_e32 v2, s54
	s_sub_u32 s6, 0, s54
	s_subb_u32 s12, 0, 0
	v_mac_f32_e32 v2, 0, v32
	v_rcp_f32_e32 v2, v2
	v_mul_f32_e32 v2, 0x5f7ffffc, v2
	v_mul_f32_e32 v3, 0x2f800000, v2
	v_trunc_f32_e32 v3, v3
	v_mac_f32_e32 v2, 0xcf800000, v3
	v_cvt_u32_f32_e32 v3, v3
	v_cvt_u32_f32_e32 v2, v2
	v_readfirstlane_b32 s13, v3
	v_readfirstlane_b32 s23, v2
	s_mul_i32 s24, s6, s13
	s_mul_hi_u32 s30, s6, s23
	s_mul_i32 s25, s12, s23
	s_add_i32 s24, s30, s24
	s_mul_i32 s31, s6, s23
	s_add_i32 s24, s24, s25
	s_mul_hi_u32 s30, s23, s31
	s_mul_hi_u32 s25, s23, s24
	s_mul_i32 s23, s23, s24
	s_add_u32 s23, s30, s23
	s_addc_u32 s25, 0, s25
	s_mul_hi_u32 s34, s13, s31
	s_mul_i32 s31, s13, s31
	s_add_u32 s23, s23, s31
	s_mul_hi_u32 s30, s13, s24
	s_addc_u32 s23, s25, s34
	s_addc_u32 s25, s30, 0
	s_mul_i32 s24, s13, s24
	s_add_u32 s23, s23, s24
	s_addc_u32 s24, 0, s25
	v_add_co_u32_e32 v2, vcc, s23, v2
	s_cmp_lg_u64 vcc, 0
	s_addc_u32 s13, s13, s24
	v_readfirstlane_b32 s24, v2
	s_mul_i32 s23, s6, s13
	s_mul_hi_u32 s25, s6, s24
	s_add_i32 s23, s25, s23
	s_mul_i32 s12, s12, s24
	s_add_i32 s23, s23, s12
	s_mul_i32 s6, s6, s24
	s_mul_hi_u32 s25, s13, s6
	s_mul_i32 s30, s13, s6
	s_mul_i32 s34, s24, s23
	s_mul_hi_u32 s6, s24, s6
	s_mul_hi_u32 s31, s24, s23
	s_add_u32 s6, s6, s34
	s_addc_u32 s24, 0, s31
	s_add_u32 s6, s6, s30
	s_mul_hi_u32 s12, s13, s23
	s_addc_u32 s6, s24, s25
	s_addc_u32 s12, s12, 0
	s_mul_i32 s23, s13, s23
	s_add_u32 s6, s6, s23
	s_addc_u32 s12, 0, s12
	v_add_co_u32_e32 v2, vcc, s6, v2
	s_cmp_lg_u64 vcc, 0
	s_addc_u32 s6, s13, s12
	v_readfirstlane_b32 s23, v2
	s_mul_i32 s13, s22, s6
	s_mul_hi_u32 s24, s22, s23
	s_mul_hi_u32 s12, s22, s6
	s_add_u32 s13, s24, s13
	s_addc_u32 s12, 0, s12
	s_mul_hi_u32 s25, s7, s23
	s_mul_i32 s23, s7, s23
	s_add_u32 s13, s13, s23
	s_mul_hi_u32 s24, s7, s6
	s_addc_u32 s12, s12, s25
	s_addc_u32 s13, s24, 0
	s_mul_i32 s6, s7, s6
	s_add_u32 s6, s12, s6
	s_addc_u32 s12, 0, s13
	s_mul_hi_u32 s13, s54, s6
	s_mul_i32 s6, s54, s6
	s_mul_i32 s12, s54, s12
	v_mov_b32_e32 v2, s6
	s_add_i32 s13, s13, s12
	v_sub_co_u32_e32 v2, vcc, s22, v2
	s_cmp_lg_u64 vcc, 0
	s_subb_u32 s6, s7, s13
	v_subrev_co_u32_e32 v3, vcc, s54, v2
	s_cmp_lg_u64 vcc, 0
	s_subb_u32 s12, s6, 0
	v_subrev_co_u32_e32 v4, vcc, s54, v3
	s_cmp_lg_u64 vcc, 0
	s_subb_u32 s13, s12, 0
	v_cmp_le_u32_e32 vcc, s54, v3
	s_cmp_eq_u32 s12, 0
	v_cndmask_b32_e64 v5, 0, -1, vcc
	s_cselect_b64 vcc, -1, 0
	v_cndmask_b32_e32 v5, -1, v5, vcc
	v_mov_b32_e32 v6, s12
	v_mov_b32_e32 v7, s13
	v_cmp_ne_u32_e32 vcc, 0, v5
	v_cndmask_b32_e32 v5, v6, v7, vcc
	v_cndmask_b32_e32 v4, v3, v4, vcc
	v_cmp_le_u32_e32 vcc, s54, v2
	s_cmp_eq_u32 s6, 0
	v_cndmask_b32_e64 v3, 0, -1, vcc
	s_cselect_b64 vcc, -1, 0
	v_cndmask_b32_e32 v3, -1, v3, vcc
	v_mov_b32_e32 v6, s6
	v_cmp_ne_u32_e32 vcc, 0, v3
	v_cndmask_b32_e32 v3, v6, v5, vcc
	v_cndmask_b32_e32 v2, v2, v4, vcc
	s_cbranch_execnz .LBB134_106
.LBB134_105:                            ;   in Loop: Header=BB134_31 Depth=1
	v_cvt_f32_u32_e32 v2, s54
	s_sub_i32 s6, 0, s54
	v_rcp_iflag_f32_e32 v2, v2
	v_mul_f32_e32 v2, 0x4f7ffffe, v2
	v_cvt_u32_f32_e32 v2, v2
	v_mul_lo_u32 v3, s6, v2
	v_mul_hi_u32 v3, v2, v3
	v_add_u32_e32 v2, v2, v3
	v_mul_hi_u32 v2, s22, v2
	v_mul_lo_u32 v2, v2, s54
	v_sub_u32_e32 v2, s22, v2
	v_subrev_u32_e32 v3, s54, v2
	v_cmp_le_u32_e32 vcc, s54, v2
	v_cndmask_b32_e32 v2, v2, v3, vcc
	v_subrev_u32_e32 v3, s54, v2
	v_cmp_le_u32_e32 vcc, s54, v2
	v_cndmask_b32_e32 v10, v2, v3, vcc
	v_pk_mov_b32 v[2:3], v[10:11], v[10:11] op_sel:[0,1]
.LBB134_106:                            ;   in Loop: Header=BB134_31 Depth=1
	v_mov_b32_e32 v4, s7
	v_sub_co_u32_e32 v2, vcc, s22, v2
	v_subb_co_u32_e32 v3, vcc, v4, v3, vcc
	v_cmp_gt_u64_e32 vcc, v[2:3], v[0:1]
	s_mov_b64 s[6:7], 0
                                        ; implicit-def: $vgpr35
	s_and_saveexec_b64 s[12:13], vcc
	s_cbranch_execz .LBB134_117
; %bb.107:                              ;   in Loop: Header=BB134_31 Depth=1
	s_mov_b64 s[22:23], 0
	v_mov_b32_e32 v6, v23
	v_pk_mov_b32 v[4:5], v[0:1], v[0:1] op_sel:[0,1]
                                        ; implicit-def: $sgpr24_sgpr25
	s_branch .LBB134_109
.LBB134_108:                            ;   in Loop: Header=BB134_109 Depth=2
	s_or_b64 exec, exec, s[6:7]
	s_waitcnt lgkmcnt(0)
	s_barrier
	ds_read_b32 v7, v11 offset:3072
	v_mov_b32_e32 v8, s84
	v_add_co_u32_e64 v4, s[6:7], s54, v4
	v_addc_co_u32_e64 v5, s[6:7], v5, v8, s[6:7]
	s_waitcnt lgkmcnt(0)
	v_cmp_neq_f16_e32 vcc, 0, v7
	v_cmp_ge_u64_e64 s[6:7], v[4:5], v[2:3]
	s_or_b64 s[6:7], s[6:7], vcc
	s_and_b64 s[6:7], exec, s[6:7]
	s_or_b64 s[22:23], s[6:7], s[22:23]
	s_andn2_b64 s[6:7], s[24:25], exec
	s_and_b64 s[24:25], vcc, exec
	v_add_u32_e32 v6, s2, v6
	s_or_b64 s[24:25], s[6:7], s[24:25]
	s_barrier
	s_andn2_b64 exec, exec, s[22:23]
	s_cbranch_execz .LBB134_116
.LBB134_109:                            ;   Parent Loop BB134_31 Depth=1
                                        ; =>  This Inner Loop Header: Depth=2
	v_cmp_gt_u64_e32 vcc, s[8:9], v[4:5]
	v_mov_b32_e32 v7, 0
	s_and_saveexec_b64 s[6:7], vcc
	s_cbranch_execz .LBB134_111
; %bb.110:                              ;   in Loop: Header=BB134_109 Depth=2
	ds_read_u16 v7, v6
.LBB134_111:                            ;   in Loop: Header=BB134_109 Depth=2
	s_or_b64 exec, exec, s[6:7]
	s_and_saveexec_b64 s[6:7], vcc
	s_cbranch_execz .LBB134_108
; %bb.112:                              ;   in Loop: Header=BB134_109 Depth=2
	s_waitcnt lgkmcnt(0)
	v_cmp_lt_i16_e32 vcc, -1, v7
	v_cndmask_b32_e32 v8, v30, v31, vcc
	v_xor_b32_sdwa v8, v8, v7 dst_sel:DWORD dst_unused:UNUSED_PAD src0_sel:DWORD src1_sel:WORD_0
	v_cmp_o_f16_e32 vcc, v7, v7
	v_cndmask_b32_e32 v8, v30, v8, vcc
	v_and_b32_e32 v8, s27, v8
	v_cmp_eq_u32_e32 vcc, s92, v8
	s_and_b64 exec, exec, vcc
	s_cbranch_execz .LBB134_108
; %bb.113:                              ;   in Loop: Header=BB134_109 Depth=2
	v_perm_b32 v7, v7, s0, v34
	ds_write_b32 v11, v7 offset:3072
	s_branch .LBB134_108
.LBB134_114:                            ;   in Loop: Header=BB134_31 Depth=1
	s_mov_b64 s[6:7], -1
                                        ; implicit-def: $sgpr8_sgpr9
                                        ; implicit-def: $sgpr22_sgpr23
                                        ; implicit-def: $sgpr12_sgpr13
	s_branch .LBB134_131
.LBB134_115:                            ;   in Loop: Header=BB134_31 Depth=1
	s_mov_b64 s[8:9], -1
	s_mov_b64 s[6:7], 0
                                        ; implicit-def: $sgpr12_sgpr13
                                        ; implicit-def: $vgpr35
	s_mov_b64 s[22:23], s[8:9]
	s_cbranch_execnz .LBB134_118
	s_branch .LBB134_131
.LBB134_116:                            ;   in Loop: Header=BB134_31 Depth=1
	s_or_b64 exec, exec, s[22:23]
	v_lshrrev_b32_e32 v35, 16, v7
	s_and_b64 s[6:7], s[24:25], exec
.LBB134_117:                            ;   in Loop: Header=BB134_31 Depth=1
	s_or_b64 exec, exec, s[12:13]
	s_mov_b64 s[12:13], -1
	s_mov_b64 s[8:9], 0
	s_mov_b64 s[22:23], s[8:9]
	s_branch .LBB134_131
.LBB134_118:                            ;   in Loop: Header=BB134_31 Depth=1
	s_mov_b32 s82, s91
	s_cmp_lg_u64 s[82:83], 0
	s_cbranch_scc0 .LBB134_164
; %bb.119:                              ;   in Loop: Header=BB134_31 Depth=1
	v_cvt_f32_u32_e32 v2, s54
	s_sub_u32 s6, 0, s54
	s_subb_u32 s7, 0, 0
	v_mac_f32_e32 v2, 0, v32
	v_rcp_f32_e32 v2, v2
	v_mul_f32_e32 v2, 0x5f7ffffc, v2
	v_mul_f32_e32 v3, 0x2f800000, v2
	v_trunc_f32_e32 v3, v3
	v_mac_f32_e32 v2, 0xcf800000, v3
	v_cvt_u32_f32_e32 v3, v3
	v_cvt_u32_f32_e32 v2, v2
	v_readfirstlane_b32 s8, v3
	v_readfirstlane_b32 s9, v2
	s_mul_i32 s12, s6, s8
	s_mul_hi_u32 s22, s6, s9
	s_mul_i32 s13, s7, s9
	s_add_i32 s12, s22, s12
	s_mul_i32 s23, s6, s9
	s_add_i32 s12, s12, s13
	s_mul_hi_u32 s22, s9, s23
	s_mul_hi_u32 s13, s9, s12
	s_mul_i32 s9, s9, s12
	s_add_u32 s9, s22, s9
	s_addc_u32 s13, 0, s13
	s_mul_hi_u32 s24, s8, s23
	s_mul_i32 s23, s8, s23
	s_add_u32 s9, s9, s23
	s_mul_hi_u32 s22, s8, s12
	s_addc_u32 s9, s13, s24
	s_addc_u32 s13, s22, 0
	s_mul_i32 s12, s8, s12
	s_add_u32 s9, s9, s12
	s_addc_u32 s12, 0, s13
	v_add_co_u32_e32 v2, vcc, s9, v2
	s_cmp_lg_u64 vcc, 0
	s_addc_u32 s8, s8, s12
	v_readfirstlane_b32 s12, v2
	s_mul_i32 s9, s6, s8
	s_mul_hi_u32 s13, s6, s12
	s_add_i32 s9, s13, s9
	s_mul_i32 s7, s7, s12
	s_add_i32 s9, s9, s7
	s_mul_i32 s6, s6, s12
	s_mul_hi_u32 s13, s8, s6
	s_mul_i32 s22, s8, s6
	s_mul_i32 s24, s12, s9
	s_mul_hi_u32 s6, s12, s6
	s_mul_hi_u32 s23, s12, s9
	s_add_u32 s6, s6, s24
	s_addc_u32 s12, 0, s23
	s_add_u32 s6, s6, s22
	s_mul_hi_u32 s7, s8, s9
	s_addc_u32 s6, s12, s13
	s_addc_u32 s7, s7, 0
	s_mul_i32 s9, s8, s9
	s_add_u32 s6, s6, s9
	s_addc_u32 s7, 0, s7
	v_add_co_u32_e32 v2, vcc, s6, v2
	s_cmp_lg_u64 vcc, 0
	s_addc_u32 s6, s8, s7
	v_readfirstlane_b32 s9, v2
	s_mul_i32 s8, s3, s6
	s_mul_hi_u32 s12, s3, s9
	s_mul_hi_u32 s7, s3, s6
	s_add_u32 s8, s12, s8
	s_addc_u32 s7, 0, s7
	s_mul_hi_u32 s13, s83, s9
	s_mul_i32 s9, s83, s9
	s_add_u32 s8, s8, s9
	s_mul_hi_u32 s12, s83, s6
	s_addc_u32 s7, s7, s13
	s_addc_u32 s8, s12, 0
	s_mul_i32 s6, s83, s6
	s_add_u32 s6, s7, s6
	s_addc_u32 s7, 0, s8
	s_mul_hi_u32 s8, s54, s6
	s_mul_i32 s6, s54, s6
	s_mul_i32 s7, s54, s7
	v_mov_b32_e32 v2, s6
	s_add_i32 s8, s8, s7
	v_sub_co_u32_e32 v2, vcc, s3, v2
	s_cmp_lg_u64 vcc, 0
	s_subb_u32 s6, s83, s8
	v_subrev_co_u32_e32 v3, vcc, s54, v2
	s_cmp_lg_u64 vcc, 0
	s_subb_u32 s7, s6, 0
	v_subrev_co_u32_e32 v4, vcc, s54, v3
	s_cmp_lg_u64 vcc, 0
	s_subb_u32 s8, s7, 0
	v_cmp_le_u32_e32 vcc, s54, v3
	s_cmp_eq_u32 s7, 0
	v_cndmask_b32_e64 v5, 0, -1, vcc
	s_cselect_b64 vcc, -1, 0
	v_cndmask_b32_e32 v5, -1, v5, vcc
	v_mov_b32_e32 v6, s7
	v_mov_b32_e32 v7, s8
	v_cmp_ne_u32_e32 vcc, 0, v5
	v_cndmask_b32_e32 v5, v6, v7, vcc
	v_cndmask_b32_e32 v4, v3, v4, vcc
	v_cmp_le_u32_e32 vcc, s54, v2
	s_cmp_eq_u32 s6, 0
	v_cndmask_b32_e64 v3, 0, -1, vcc
	s_cselect_b64 vcc, -1, 0
	v_cndmask_b32_e32 v3, -1, v3, vcc
	v_mov_b32_e32 v6, s6
	v_cmp_ne_u32_e32 vcc, 0, v3
	v_cndmask_b32_e32 v3, v6, v5, vcc
	v_cndmask_b32_e32 v2, v2, v4, vcc
	s_cbranch_execnz .LBB134_121
.LBB134_120:                            ;   in Loop: Header=BB134_31 Depth=1
	v_cvt_f32_u32_e32 v2, s54
	s_sub_i32 s6, 0, s54
	v_rcp_iflag_f32_e32 v2, v2
	v_mul_f32_e32 v2, 0x4f7ffffe, v2
	v_cvt_u32_f32_e32 v2, v2
	v_mul_lo_u32 v3, s6, v2
	v_mul_hi_u32 v3, v2, v3
	v_add_u32_e32 v2, v2, v3
	v_mul_hi_u32 v2, s3, v2
	v_mul_lo_u32 v2, v2, s54
	v_sub_u32_e32 v2, s3, v2
	v_subrev_u32_e32 v3, s54, v2
	v_cmp_le_u32_e32 vcc, s54, v2
	v_cndmask_b32_e32 v2, v2, v3, vcc
	v_subrev_u32_e32 v3, s54, v2
	v_cmp_le_u32_e32 vcc, s54, v2
	v_cndmask_b32_e32 v10, v2, v3, vcc
	v_pk_mov_b32 v[2:3], v[10:11], v[10:11] op_sel:[0,1]
.LBB134_121:                            ;   in Loop: Header=BB134_31 Depth=1
	v_mov_b32_e32 v4, s83
	v_sub_co_u32_e32 v2, vcc, s3, v2
	v_subb_co_u32_e32 v3, vcc, v4, v3, vcc
	v_cmp_gt_u64_e32 vcc, v[2:3], v[0:1]
	s_mov_b64 s[6:7], 0
                                        ; implicit-def: $vgpr35
	s_and_saveexec_b64 s[8:9], vcc
	s_cbranch_execz .LBB134_130
; %bb.122:                              ;   in Loop: Header=BB134_31 Depth=1
	s_mov_b64 s[12:13], 0
	v_pk_mov_b32 v[4:5], v[0:1], v[0:1] op_sel:[0,1]
                                        ; implicit-def: $sgpr22_sgpr23
	s_branch .LBB134_124
.LBB134_123:                            ;   in Loop: Header=BB134_124 Depth=2
	s_or_b64 exec, exec, s[6:7]
	s_waitcnt lgkmcnt(0)
	s_barrier
	s_waitcnt vmcnt(0)
	ds_read_b32 v6, v11 offset:3072
	v_mov_b32_e32 v7, s84
	v_add_co_u32_e64 v4, s[6:7], s54, v4
	v_addc_co_u32_e64 v5, s[6:7], v5, v7, s[6:7]
	s_waitcnt lgkmcnt(0)
	v_cmp_neq_f16_e32 vcc, 0, v6
	v_cmp_ge_u64_e64 s[6:7], v[4:5], v[2:3]
	s_or_b64 s[6:7], s[6:7], vcc
	s_and_b64 s[6:7], exec, s[6:7]
	s_or_b64 s[12:13], s[6:7], s[12:13]
	s_andn2_b64 s[6:7], s[22:23], exec
	s_and_b64 s[22:23], vcc, exec
	s_or_b64 s[22:23], s[6:7], s[22:23]
	s_barrier
	s_andn2_b64 exec, exec, s[12:13]
	s_cbranch_execz .LBB134_129
.LBB134_124:                            ;   Parent Loop BB134_31 Depth=1
                                        ; =>  This Inner Loop Header: Depth=2
	v_cmp_gt_u64_e32 vcc, s[52:53], v[4:5]
	v_mov_b32_e32 v6, 0
	s_and_saveexec_b64 s[24:25], vcc
	s_cbranch_execz .LBB134_126
; %bb.125:                              ;   in Loop: Header=BB134_124 Depth=2
	v_mul_lo_u32 v8, v5, s76
	v_mul_lo_u32 v9, v4, s77
	v_mad_u64_u32 v[6:7], s[6:7], v4, s76, 0
	v_add3_u32 v7, v7, v9, v8
	v_lshlrev_b64 v[6:7], 1, v[6:7]
	v_mov_b32_e32 v8, s55
	v_add_co_u32_e64 v6, s[6:7], s33, v6
	v_addc_co_u32_e64 v7, s[6:7], v8, v7, s[6:7]
	global_load_ushort v6, v[6:7], off
.LBB134_126:                            ;   in Loop: Header=BB134_124 Depth=2
	s_or_b64 exec, exec, s[24:25]
	s_and_saveexec_b64 s[6:7], vcc
	s_cbranch_execz .LBB134_123
; %bb.127:                              ;   in Loop: Header=BB134_124 Depth=2
	s_waitcnt vmcnt(0)
	v_cmp_lt_i16_e32 vcc, -1, v6
	v_cndmask_b32_e32 v7, v30, v31, vcc
	v_xor_b32_sdwa v7, v7, v6 dst_sel:DWORD dst_unused:UNUSED_PAD src0_sel:DWORD src1_sel:WORD_0
	v_cmp_o_f16_e32 vcc, v6, v6
	v_cndmask_b32_e32 v7, v30, v7, vcc
	v_and_b32_e32 v7, s27, v7
	v_cmp_eq_u32_e32 vcc, s92, v7
	s_and_b64 exec, exec, vcc
	s_cbranch_execz .LBB134_123
; %bb.128:                              ;   in Loop: Header=BB134_124 Depth=2
	v_perm_b32 v6, v6, s0, v34
	ds_write_b32 v11, v6 offset:3072
	s_branch .LBB134_123
.LBB134_129:                            ;   in Loop: Header=BB134_31 Depth=1
	s_or_b64 exec, exec, s[12:13]
	v_lshrrev_b32_e32 v35, 16, v6
	s_and_b64 s[6:7], s[22:23], exec
.LBB134_130:                            ;   in Loop: Header=BB134_31 Depth=1
	s_or_b64 exec, exec, s[8:9]
	s_mov_b64 s[22:23], -1
	s_mov_b64 s[8:9], 0
	s_mov_b64 s[12:13], 0
.LBB134_131:                            ;   in Loop: Header=BB134_31 Depth=1
	s_andn2_b64 s[24:25], s[58:59], exec
	s_and_b64 s[8:9], s[8:9], exec
	s_or_b64 s[58:59], s[24:25], s[8:9]
	s_andn2_b64 s[8:9], s[56:57], exec
	s_and_b64 s[22:23], s[22:23], exec
	s_or_b64 s[56:57], s[8:9], s[22:23]
	;; [unrolled: 3-line block ×3, first 2 shown]
	s_and_saveexec_b64 s[12:13], s[6:7]
	s_cbranch_execz .LBB134_30
; %bb.132:                              ;   in Loop: Header=BB134_31 Depth=1
	s_xor_b64 s[6:7], s[20:21], -1
	s_andn2_b64 vcc, exec, s[6:7]
	s_mov_b32 s49, 1
	s_cbranch_vccnz .LBB134_143
; %bb.133:                              ;   in Loop: Header=BB134_31 Depth=1
	v_pk_mov_b32 v[2:3], s[14:15], s[14:15] op_sel:[0,1]
	v_cmp_gt_u64_e32 vcc, s[94:95], v[2:3]
	s_mov_b64 s[6:7], -1
                                        ; implicit-def: $sgpr49
                                        ; implicit-def: $sgpr8
                                        ; implicit-def: $sgpr9
	s_cbranch_vccnz .LBB134_139
; %bb.134:                              ;   in Loop: Header=BB134_31 Depth=1
	ds_read_b64 v[2:3], v11 offset:5120
	s_waitcnt lgkmcnt(0)
	v_cmp_ne_u64_e32 vcc, 0, v[2:3]
	s_cbranch_vccnz .LBB134_138
; %bb.135:                              ;   in Loop: Header=BB134_31 Depth=1
	s_mov_b64 s[6:7], exec
	v_readlane_b32 s8, v44, 36
	v_readlane_b32 s9, v44, 37
	s_and_b64 s[8:9], s[6:7], s[8:9]
	s_mov_b64 exec, s[8:9]
	s_cbranch_execz .LBB134_137
; %bb.136:                              ;   in Loop: Header=BB134_31 Depth=1
	v_pk_mov_b32 v[2:3], s[14:15], s[14:15] op_sel:[0,1]
	ds_write_b64 v11, v[2:3] offset:5128
.LBB134_137:                            ;   in Loop: Header=BB134_31 Depth=1
	s_or_b64 exec, exec, s[6:7]
	s_waitcnt lgkmcnt(0)
	s_barrier
.LBB134_138:                            ;   in Loop: Header=BB134_31 Depth=1
	s_and_b32 s8, s92, s41
	s_or_b32 s9, s27, s48
	s_mov_b64 s[6:7], 0
	s_mov_b32 s49, 8
.LBB134_139:                            ;   in Loop: Header=BB134_31 Depth=1
	s_andn2_b64 vcc, exec, s[6:7]
	s_cbranch_vccnz .LBB134_141
; %bb.140:                              ;   in Loop: Header=BB134_31 Depth=1
	s_sub_u32 s94, s94, s14
	s_subb_u32 s95, s95, s15
	s_mov_b64 s[6:7], -1
	s_mov_b32 s49, 0
	s_mov_b32 s8, s92
	;; [unrolled: 1-line block ×3, first 2 shown]
.LBB134_141:                            ;   in Loop: Header=BB134_31 Depth=1
	s_mov_b32 s27, s9
	s_mov_b32 s92, s8
	s_mov_b64 s[14:15], -1
	s_and_b64 vcc, exec, s[6:7]
	s_cbranch_vccnz .LBB134_144
.LBB134_142:                            ;   in Loop: Header=BB134_31 Depth=1
	s_mov_b64 s[8:9], -1
                                        ; implicit-def: $sgpr18_sgpr19
                                        ; implicit-def: $sgpr22_sgpr23
                                        ; implicit-def: $sgpr20_sgpr21
	s_and_saveexec_b64 s[6:7], s[8:9]
	s_xor_b64 s[6:7], exec, s[6:7]
	s_cbranch_execz .LBB134_29
	s_branch .LBB134_293
.LBB134_143:                            ;   in Loop: Header=BB134_31 Depth=1
	s_mov_b64 s[94:95], 1
	s_mov_b64 s[14:15], -1
	s_branch .LBB134_142
.LBB134_144:                            ;   in Loop: Header=BB134_31 Depth=1
	s_cmp_eq_u64 s[28:29], 1
	s_cselect_b64 s[6:7], -1, 0
	s_cmp_eq_u64 s[94:95], 1
	s_cselect_b64 s[8:9], -1, 0
	s_and_b64 s[30:31], s[6:7], s[8:9]
	s_mov_b64 s[6:7], -1
	s_and_b64 vcc, exec, s[30:31]
	s_cbranch_vccz .LBB134_159
; %bb.145:                              ;   in Loop: Header=BB134_31 Depth=1
	ds_read_b64 v[2:3], v11 offset:5120
	s_waitcnt lgkmcnt(0)
	s_barrier
	v_readfirstlane_b32 s8, v2
	v_readfirstlane_b32 s9, v3
	s_mov_b64 s[6:7], exec
	v_readlane_b32 s18, v44, 38
	v_readlane_b32 s19, v44, 39
	s_and_b64 s[18:19], s[6:7], s[18:19]
	s_mov_b64 exec, s[18:19]
	s_cbranch_execz .LBB134_147
; %bb.146:                              ;   in Loop: Header=BB134_31 Depth=1
	ds_write_b16 v24, v13
.LBB134_147:                            ;   in Loop: Header=BB134_31 Depth=1
	s_or_b64 exec, exec, s[6:7]
	s_lshl_b32 s6, 1, s40
	s_and_b32 s7, s92, s41
	s_or_b32 s92, s7, s6
	s_or_b32 s27, s27, s48
	s_cmp_eq_u64 s[8:9], 0
	s_waitcnt lgkmcnt(0)
	s_barrier
	s_cbranch_scc1 .LBB134_165
; %bb.148:                              ;   in Loop: Header=BB134_31 Depth=1
	s_add_u32 s20, s93, s8
	v_readlane_b32 s6, v44, 44
	s_addc_u32 s7, s6, s9
	s_mov_b32 s6, s91
	s_cmp_lg_u64 s[6:7], 0
	s_cbranch_scc0 .LBB134_210
; %bb.149:                              ;   in Loop: Header=BB134_31 Depth=1
	v_cvt_f32_u32_e32 v2, s54
	s_sub_u32 s6, 0, s54
	s_subb_u32 s18, 0, 0
	v_mac_f32_e32 v2, 0, v32
	v_rcp_f32_e32 v2, v2
	v_mul_f32_e32 v2, 0x5f7ffffc, v2
	v_mul_f32_e32 v3, 0x2f800000, v2
	v_trunc_f32_e32 v3, v3
	v_mac_f32_e32 v2, 0xcf800000, v3
	v_cvt_u32_f32_e32 v3, v3
	v_cvt_u32_f32_e32 v2, v2
	v_readfirstlane_b32 s19, v3
	v_readfirstlane_b32 s21, v2
	s_mul_i32 s22, s6, s19
	s_mul_hi_u32 s24, s6, s21
	s_mul_i32 s23, s18, s21
	s_add_i32 s22, s24, s22
	s_mul_i32 s25, s6, s21
	s_add_i32 s22, s22, s23
	s_mul_hi_u32 s24, s21, s25
	s_mul_hi_u32 s23, s21, s22
	s_mul_i32 s21, s21, s22
	s_add_u32 s21, s24, s21
	s_addc_u32 s23, 0, s23
	s_mul_hi_u32 s34, s19, s25
	s_mul_i32 s25, s19, s25
	s_add_u32 s21, s21, s25
	s_mul_hi_u32 s24, s19, s22
	s_addc_u32 s21, s23, s34
	s_addc_u32 s23, s24, 0
	s_mul_i32 s22, s19, s22
	s_add_u32 s21, s21, s22
	s_addc_u32 s22, 0, s23
	v_add_co_u32_e32 v2, vcc, s21, v2
	s_cmp_lg_u64 vcc, 0
	s_addc_u32 s19, s19, s22
	v_readfirstlane_b32 s22, v2
	s_mul_i32 s21, s6, s19
	s_mul_hi_u32 s23, s6, s22
	s_add_i32 s21, s23, s21
	s_mul_i32 s18, s18, s22
	s_add_i32 s21, s21, s18
	s_mul_i32 s6, s6, s22
	s_mul_hi_u32 s23, s19, s6
	s_mul_i32 s24, s19, s6
	s_mul_i32 s34, s22, s21
	s_mul_hi_u32 s6, s22, s6
	s_mul_hi_u32 s25, s22, s21
	s_add_u32 s6, s6, s34
	s_addc_u32 s22, 0, s25
	s_add_u32 s6, s6, s24
	s_mul_hi_u32 s18, s19, s21
	s_addc_u32 s6, s22, s23
	s_addc_u32 s18, s18, 0
	s_mul_i32 s21, s19, s21
	s_add_u32 s6, s6, s21
	s_addc_u32 s18, 0, s18
	v_add_co_u32_e32 v2, vcc, s6, v2
	s_cmp_lg_u64 vcc, 0
	s_addc_u32 s6, s19, s18
	v_readfirstlane_b32 s21, v2
	s_mul_i32 s19, s20, s6
	s_mul_hi_u32 s22, s20, s21
	s_mul_hi_u32 s18, s20, s6
	s_add_u32 s19, s22, s19
	s_addc_u32 s18, 0, s18
	s_mul_hi_u32 s23, s7, s21
	s_mul_i32 s21, s7, s21
	s_add_u32 s19, s19, s21
	s_mul_hi_u32 s22, s7, s6
	s_addc_u32 s18, s18, s23
	s_addc_u32 s19, s22, 0
	s_mul_i32 s6, s7, s6
	s_add_u32 s6, s18, s6
	s_addc_u32 s18, 0, s19
	s_mul_hi_u32 s19, s54, s6
	s_mul_i32 s6, s54, s6
	s_mul_i32 s18, s54, s18
	v_mov_b32_e32 v2, s6
	s_add_i32 s19, s19, s18
	v_sub_co_u32_e32 v2, vcc, s20, v2
	s_cmp_lg_u64 vcc, 0
	s_subb_u32 s6, s7, s19
	v_subrev_co_u32_e32 v3, vcc, s54, v2
	s_cmp_lg_u64 vcc, 0
	s_subb_u32 s18, s6, 0
	v_subrev_co_u32_e32 v4, vcc, s54, v3
	s_cmp_lg_u64 vcc, 0
	s_subb_u32 s19, s18, 0
	v_cmp_le_u32_e32 vcc, s54, v3
	s_cmp_eq_u32 s18, 0
	v_cndmask_b32_e64 v5, 0, -1, vcc
	s_cselect_b64 vcc, -1, 0
	v_cndmask_b32_e32 v5, -1, v5, vcc
	v_mov_b32_e32 v6, s18
	v_mov_b32_e32 v7, s19
	v_cmp_ne_u32_e32 vcc, 0, v5
	v_cndmask_b32_e32 v5, v6, v7, vcc
	v_cndmask_b32_e32 v4, v3, v4, vcc
	v_cmp_le_u32_e32 vcc, s54, v2
	s_cmp_eq_u32 s6, 0
	v_cndmask_b32_e64 v3, 0, -1, vcc
	s_cselect_b64 vcc, -1, 0
	v_cndmask_b32_e32 v3, -1, v3, vcc
	v_mov_b32_e32 v6, s6
	v_cmp_ne_u32_e32 vcc, 0, v3
	v_cndmask_b32_e32 v3, v6, v5, vcc
	v_cndmask_b32_e32 v2, v2, v4, vcc
	s_cbranch_execnz .LBB134_151
.LBB134_150:                            ;   in Loop: Header=BB134_31 Depth=1
	v_cvt_f32_u32_e32 v2, s54
	s_sub_i32 s6, 0, s54
	v_rcp_iflag_f32_e32 v2, v2
	v_mul_f32_e32 v2, 0x4f7ffffe, v2
	v_cvt_u32_f32_e32 v2, v2
	v_mul_lo_u32 v3, s6, v2
	v_mul_hi_u32 v3, v2, v3
	v_add_u32_e32 v2, v2, v3
	v_mul_hi_u32 v2, s20, v2
	v_mul_lo_u32 v2, v2, s54
	v_sub_u32_e32 v2, s20, v2
	v_subrev_u32_e32 v3, s54, v2
	v_cmp_le_u32_e32 vcc, s54, v2
	v_cndmask_b32_e32 v2, v2, v3, vcc
	v_subrev_u32_e32 v3, s54, v2
	v_cmp_le_u32_e32 vcc, s54, v2
	v_cndmask_b32_e32 v10, v2, v3, vcc
	v_pk_mov_b32 v[2:3], v[10:11], v[10:11] op_sel:[0,1]
.LBB134_151:                            ;   in Loop: Header=BB134_31 Depth=1
	v_mov_b32_e32 v4, s7
	v_sub_co_u32_e32 v2, vcc, s20, v2
	v_subb_co_u32_e32 v3, vcc, v4, v3, vcc
	v_cmp_gt_u64_e32 vcc, v[2:3], v[0:1]
	s_mov_b64 s[6:7], 0
                                        ; implicit-def: $vgpr35
	s_and_saveexec_b64 s[18:19], vcc
	s_cbranch_execz .LBB134_167
; %bb.152:                              ;   in Loop: Header=BB134_31 Depth=1
	s_mov_b64 s[20:21], 0
	v_mov_b32_e32 v6, v23
	v_pk_mov_b32 v[4:5], v[0:1], v[0:1] op_sel:[0,1]
                                        ; implicit-def: $sgpr22_sgpr23
	s_branch .LBB134_154
.LBB134_153:                            ;   in Loop: Header=BB134_154 Depth=2
	s_or_b64 exec, exec, s[6:7]
	s_waitcnt lgkmcnt(0)
	s_barrier
	ds_read_b32 v7, v11 offset:3072
	v_mov_b32_e32 v8, s84
	v_add_co_u32_e64 v4, s[6:7], s54, v4
	v_addc_co_u32_e64 v5, s[6:7], v5, v8, s[6:7]
	s_waitcnt lgkmcnt(0)
	v_cmp_neq_f16_e32 vcc, 0, v7
	v_cmp_ge_u64_e64 s[6:7], v[4:5], v[2:3]
	s_or_b64 s[6:7], s[6:7], vcc
	s_and_b64 s[6:7], exec, s[6:7]
	s_or_b64 s[20:21], s[6:7], s[20:21]
	s_andn2_b64 s[6:7], s[22:23], exec
	s_and_b64 s[22:23], vcc, exec
	v_add_u32_e32 v6, s2, v6
	s_or_b64 s[22:23], s[6:7], s[22:23]
	s_barrier
	s_andn2_b64 exec, exec, s[20:21]
	s_cbranch_execz .LBB134_166
.LBB134_154:                            ;   Parent Loop BB134_31 Depth=1
                                        ; =>  This Inner Loop Header: Depth=2
	v_cmp_gt_u64_e32 vcc, s[8:9], v[4:5]
	v_mov_b32_e32 v7, 0
	s_and_saveexec_b64 s[6:7], vcc
	s_cbranch_execz .LBB134_156
; %bb.155:                              ;   in Loop: Header=BB134_154 Depth=2
	ds_read_u16 v7, v6
.LBB134_156:                            ;   in Loop: Header=BB134_154 Depth=2
	s_or_b64 exec, exec, s[6:7]
	s_and_saveexec_b64 s[6:7], vcc
	s_cbranch_execz .LBB134_153
; %bb.157:                              ;   in Loop: Header=BB134_154 Depth=2
	s_waitcnt lgkmcnt(0)
	v_cmp_lt_i16_e32 vcc, -1, v7
	v_cndmask_b32_e32 v8, v30, v31, vcc
	v_xor_b32_sdwa v8, v8, v7 dst_sel:DWORD dst_unused:UNUSED_PAD src0_sel:DWORD src1_sel:WORD_0
	v_cmp_o_f16_e32 vcc, v7, v7
	v_cndmask_b32_e32 v8, v30, v8, vcc
	v_and_b32_e32 v8, s27, v8
	v_cmp_eq_u32_e32 vcc, s92, v8
	s_and_b64 exec, exec, vcc
	s_cbranch_execz .LBB134_153
; %bb.158:                              ;   in Loop: Header=BB134_154 Depth=2
	v_perm_b32 v7, v7, s0, v34
	ds_write_b32 v11, v7 offset:3072
	s_branch .LBB134_153
.LBB134_159:                            ;   in Loop: Header=BB134_31 Depth=1
                                        ; implicit-def: $sgpr20_sgpr21
                                        ; implicit-def: $sgpr22_sgpr23
                                        ; implicit-def: $sgpr18_sgpr19
	s_branch .LBB134_181
.LBB134_160:                            ;   in Loop: Header=BB134_31 Depth=1
                                        ; implicit-def: $vgpr2_vgpr3
	s_branch .LBB134_105
.LBB134_161:                            ;   in Loop: Header=BB134_31 Depth=1
	s_or_b64 exec, exec, s[8:9]
	s_waitcnt lgkmcnt(0)
	s_barrier
	s_mov_b64 s[6:7], exec
	v_readlane_b32 s8, v44, 36
	v_readlane_b32 s9, v44, 37
	s_and_b64 s[8:9], s[6:7], s[8:9]
	s_mov_b64 exec, s[8:9]
	s_cbranch_execz .LBB134_163
; %bb.162:                              ;   in Loop: Header=BB134_31 Depth=1
	ds_read_b32 v2, v11 offset:5144
	s_waitcnt lgkmcnt(0)
	v_ashrrev_i32_e32 v3, 31, v2
	ds_write_b64 v11, v[2:3] offset:5120
.LBB134_163:                            ;   in Loop: Header=BB134_31 Depth=1
	s_or_b64 exec, exec, s[6:7]
	s_waitcnt lgkmcnt(0)
	s_barrier
	s_mov_b64 s[6:7], -1
	s_and_b64 vcc, exec, s[72:73]
	s_cbranch_vccnz .LBB134_46
	s_branch .LBB134_56
.LBB134_164:                            ;   in Loop: Header=BB134_31 Depth=1
                                        ; implicit-def: $vgpr2_vgpr3
	s_branch .LBB134_120
.LBB134_165:                            ;   in Loop: Header=BB134_31 Depth=1
	s_mov_b64 s[20:21], -1
	s_mov_b64 s[6:7], 0
                                        ; implicit-def: $sgpr18_sgpr19
                                        ; implicit-def: $vgpr35
	s_mov_b64 s[22:23], s[20:21]
	s_cbranch_execnz .LBB134_168
	s_branch .LBB134_181
.LBB134_166:                            ;   in Loop: Header=BB134_31 Depth=1
	s_or_b64 exec, exec, s[20:21]
	v_lshrrev_b32_e32 v35, 16, v7
	s_and_b64 s[6:7], s[22:23], exec
.LBB134_167:                            ;   in Loop: Header=BB134_31 Depth=1
	s_or_b64 exec, exec, s[18:19]
	s_mov_b64 s[18:19], -1
	s_mov_b64 s[20:21], 0
	s_mov_b64 s[22:23], s[20:21]
	s_branch .LBB134_181
.LBB134_168:                            ;   in Loop: Header=BB134_31 Depth=1
	s_mov_b32 s82, s91
	s_cmp_lg_u64 s[82:83], 0
	s_cbranch_scc0 .LBB134_211
; %bb.169:                              ;   in Loop: Header=BB134_31 Depth=1
	v_cvt_f32_u32_e32 v2, s54
	s_sub_u32 s6, 0, s54
	s_subb_u32 s7, 0, 0
	v_mac_f32_e32 v2, 0, v32
	v_rcp_f32_e32 v2, v2
	v_mul_f32_e32 v2, 0x5f7ffffc, v2
	v_mul_f32_e32 v3, 0x2f800000, v2
	v_trunc_f32_e32 v3, v3
	v_mac_f32_e32 v2, 0xcf800000, v3
	v_cvt_u32_f32_e32 v3, v3
	v_cvt_u32_f32_e32 v2, v2
	v_readfirstlane_b32 s8, v3
	v_readfirstlane_b32 s9, v2
	s_mul_i32 s18, s6, s8
	s_mul_hi_u32 s20, s6, s9
	s_mul_i32 s19, s7, s9
	s_add_i32 s18, s20, s18
	s_mul_i32 s21, s6, s9
	s_add_i32 s18, s18, s19
	s_mul_hi_u32 s20, s9, s21
	s_mul_hi_u32 s19, s9, s18
	s_mul_i32 s9, s9, s18
	s_add_u32 s9, s20, s9
	s_addc_u32 s19, 0, s19
	s_mul_hi_u32 s22, s8, s21
	s_mul_i32 s21, s8, s21
	s_add_u32 s9, s9, s21
	s_mul_hi_u32 s20, s8, s18
	s_addc_u32 s9, s19, s22
	s_addc_u32 s19, s20, 0
	s_mul_i32 s18, s8, s18
	s_add_u32 s9, s9, s18
	s_addc_u32 s18, 0, s19
	v_add_co_u32_e32 v2, vcc, s9, v2
	s_cmp_lg_u64 vcc, 0
	s_addc_u32 s8, s8, s18
	v_readfirstlane_b32 s18, v2
	s_mul_i32 s9, s6, s8
	s_mul_hi_u32 s19, s6, s18
	s_add_i32 s9, s19, s9
	s_mul_i32 s7, s7, s18
	s_add_i32 s9, s9, s7
	s_mul_i32 s6, s6, s18
	s_mul_hi_u32 s19, s8, s6
	s_mul_i32 s20, s8, s6
	s_mul_i32 s22, s18, s9
	s_mul_hi_u32 s6, s18, s6
	s_mul_hi_u32 s21, s18, s9
	s_add_u32 s6, s6, s22
	s_addc_u32 s18, 0, s21
	s_add_u32 s6, s6, s20
	s_mul_hi_u32 s7, s8, s9
	s_addc_u32 s6, s18, s19
	s_addc_u32 s7, s7, 0
	s_mul_i32 s9, s8, s9
	s_add_u32 s6, s6, s9
	s_addc_u32 s7, 0, s7
	v_add_co_u32_e32 v2, vcc, s6, v2
	s_cmp_lg_u64 vcc, 0
	s_addc_u32 s6, s8, s7
	v_readfirstlane_b32 s9, v2
	s_mul_i32 s8, s3, s6
	s_mul_hi_u32 s18, s3, s9
	s_mul_hi_u32 s7, s3, s6
	s_add_u32 s8, s18, s8
	s_addc_u32 s7, 0, s7
	s_mul_hi_u32 s19, s83, s9
	s_mul_i32 s9, s83, s9
	s_add_u32 s8, s8, s9
	s_mul_hi_u32 s18, s83, s6
	s_addc_u32 s7, s7, s19
	s_addc_u32 s8, s18, 0
	s_mul_i32 s6, s83, s6
	s_add_u32 s6, s7, s6
	s_addc_u32 s7, 0, s8
	s_mul_hi_u32 s8, s54, s6
	s_mul_i32 s6, s54, s6
	s_mul_i32 s7, s54, s7
	v_mov_b32_e32 v2, s6
	s_add_i32 s8, s8, s7
	v_sub_co_u32_e32 v2, vcc, s3, v2
	s_cmp_lg_u64 vcc, 0
	s_subb_u32 s6, s83, s8
	v_subrev_co_u32_e32 v3, vcc, s54, v2
	s_cmp_lg_u64 vcc, 0
	s_subb_u32 s7, s6, 0
	v_subrev_co_u32_e32 v4, vcc, s54, v3
	s_cmp_lg_u64 vcc, 0
	s_subb_u32 s8, s7, 0
	v_cmp_le_u32_e32 vcc, s54, v3
	s_cmp_eq_u32 s7, 0
	v_cndmask_b32_e64 v5, 0, -1, vcc
	s_cselect_b64 vcc, -1, 0
	v_cndmask_b32_e32 v5, -1, v5, vcc
	v_mov_b32_e32 v6, s7
	v_mov_b32_e32 v7, s8
	v_cmp_ne_u32_e32 vcc, 0, v5
	v_cndmask_b32_e32 v5, v6, v7, vcc
	v_cndmask_b32_e32 v4, v3, v4, vcc
	v_cmp_le_u32_e32 vcc, s54, v2
	s_cmp_eq_u32 s6, 0
	v_cndmask_b32_e64 v3, 0, -1, vcc
	s_cselect_b64 vcc, -1, 0
	v_cndmask_b32_e32 v3, -1, v3, vcc
	v_mov_b32_e32 v6, s6
	v_cmp_ne_u32_e32 vcc, 0, v3
	v_cndmask_b32_e32 v3, v6, v5, vcc
	v_cndmask_b32_e32 v2, v2, v4, vcc
	s_cbranch_execnz .LBB134_171
.LBB134_170:                            ;   in Loop: Header=BB134_31 Depth=1
	v_cvt_f32_u32_e32 v2, s54
	s_sub_i32 s6, 0, s54
	v_rcp_iflag_f32_e32 v2, v2
	v_mul_f32_e32 v2, 0x4f7ffffe, v2
	v_cvt_u32_f32_e32 v2, v2
	v_mul_lo_u32 v3, s6, v2
	v_mul_hi_u32 v3, v2, v3
	v_add_u32_e32 v2, v2, v3
	v_mul_hi_u32 v2, s3, v2
	v_mul_lo_u32 v2, v2, s54
	v_sub_u32_e32 v2, s3, v2
	v_subrev_u32_e32 v3, s54, v2
	v_cmp_le_u32_e32 vcc, s54, v2
	v_cndmask_b32_e32 v2, v2, v3, vcc
	v_subrev_u32_e32 v3, s54, v2
	v_cmp_le_u32_e32 vcc, s54, v2
	v_cndmask_b32_e32 v10, v2, v3, vcc
	v_pk_mov_b32 v[2:3], v[10:11], v[10:11] op_sel:[0,1]
.LBB134_171:                            ;   in Loop: Header=BB134_31 Depth=1
	v_mov_b32_e32 v4, s83
	v_sub_co_u32_e32 v2, vcc, s3, v2
	v_subb_co_u32_e32 v3, vcc, v4, v3, vcc
	v_cmp_gt_u64_e32 vcc, v[2:3], v[0:1]
	s_mov_b64 s[6:7], 0
                                        ; implicit-def: $vgpr35
	s_and_saveexec_b64 s[8:9], vcc
	s_cbranch_execz .LBB134_180
; %bb.172:                              ;   in Loop: Header=BB134_31 Depth=1
	s_mov_b64 s[18:19], 0
	v_pk_mov_b32 v[4:5], v[0:1], v[0:1] op_sel:[0,1]
                                        ; implicit-def: $sgpr20_sgpr21
	s_branch .LBB134_174
.LBB134_173:                            ;   in Loop: Header=BB134_174 Depth=2
	s_or_b64 exec, exec, s[6:7]
	s_waitcnt lgkmcnt(0)
	s_barrier
	s_waitcnt vmcnt(0)
	ds_read_b32 v6, v11 offset:3072
	v_mov_b32_e32 v7, s84
	v_add_co_u32_e64 v4, s[6:7], s54, v4
	v_addc_co_u32_e64 v5, s[6:7], v5, v7, s[6:7]
	s_waitcnt lgkmcnt(0)
	v_cmp_neq_f16_e32 vcc, 0, v6
	v_cmp_ge_u64_e64 s[6:7], v[4:5], v[2:3]
	s_or_b64 s[6:7], s[6:7], vcc
	s_and_b64 s[6:7], exec, s[6:7]
	s_or_b64 s[18:19], s[6:7], s[18:19]
	s_andn2_b64 s[6:7], s[20:21], exec
	s_and_b64 s[20:21], vcc, exec
	s_or_b64 s[20:21], s[6:7], s[20:21]
	s_barrier
	s_andn2_b64 exec, exec, s[18:19]
	s_cbranch_execz .LBB134_179
.LBB134_174:                            ;   Parent Loop BB134_31 Depth=1
                                        ; =>  This Inner Loop Header: Depth=2
	v_cmp_gt_u64_e32 vcc, s[52:53], v[4:5]
	v_mov_b32_e32 v6, 0
	s_and_saveexec_b64 s[22:23], vcc
	s_cbranch_execz .LBB134_176
; %bb.175:                              ;   in Loop: Header=BB134_174 Depth=2
	v_mul_lo_u32 v8, v5, s76
	v_mul_lo_u32 v9, v4, s77
	v_mad_u64_u32 v[6:7], s[6:7], v4, s76, 0
	v_add3_u32 v7, v7, v9, v8
	v_lshlrev_b64 v[6:7], 1, v[6:7]
	v_mov_b32_e32 v8, s55
	v_add_co_u32_e64 v6, s[6:7], s33, v6
	v_addc_co_u32_e64 v7, s[6:7], v8, v7, s[6:7]
	global_load_ushort v6, v[6:7], off
.LBB134_176:                            ;   in Loop: Header=BB134_174 Depth=2
	s_or_b64 exec, exec, s[22:23]
	s_and_saveexec_b64 s[6:7], vcc
	s_cbranch_execz .LBB134_173
; %bb.177:                              ;   in Loop: Header=BB134_174 Depth=2
	s_waitcnt vmcnt(0)
	v_cmp_lt_i16_e32 vcc, -1, v6
	v_cndmask_b32_e32 v7, v30, v31, vcc
	v_xor_b32_sdwa v7, v7, v6 dst_sel:DWORD dst_unused:UNUSED_PAD src0_sel:DWORD src1_sel:WORD_0
	v_cmp_o_f16_e32 vcc, v6, v6
	v_cndmask_b32_e32 v7, v30, v7, vcc
	v_and_b32_e32 v7, s27, v7
	v_cmp_eq_u32_e32 vcc, s92, v7
	s_and_b64 exec, exec, vcc
	s_cbranch_execz .LBB134_173
; %bb.178:                              ;   in Loop: Header=BB134_174 Depth=2
	v_perm_b32 v6, v6, s0, v34
	ds_write_b32 v11, v6 offset:3072
	s_branch .LBB134_173
.LBB134_179:                            ;   in Loop: Header=BB134_31 Depth=1
	s_or_b64 exec, exec, s[18:19]
	v_lshrrev_b32_e32 v35, 16, v6
	s_and_b64 s[6:7], s[20:21], exec
.LBB134_180:                            ;   in Loop: Header=BB134_31 Depth=1
	s_or_b64 exec, exec, s[8:9]
	s_mov_b64 s[22:23], -1
	s_mov_b64 s[20:21], 0
	s_mov_b64 s[18:19], 0
.LBB134_181:                            ;   in Loop: Header=BB134_31 Depth=1
	s_mov_b64 s[8:9], 0
                                        ; implicit-def: $sgpr49
	s_and_saveexec_b64 s[24:25], s[6:7]
	s_cbranch_execz .LBB134_292
; %bb.182:                              ;   in Loop: Header=BB134_31 Depth=1
	s_xor_b64 s[6:7], s[30:31], -1
	s_andn2_b64 vcc, exec, s[6:7]
	s_mov_b32 s49, 1
	s_cbranch_vccnz .LBB134_193
; %bb.183:                              ;   in Loop: Header=BB134_31 Depth=1
	v_pk_mov_b32 v[2:3], s[28:29], s[28:29] op_sel:[0,1]
	v_cmp_gt_u64_e32 vcc, s[94:95], v[2:3]
	s_mov_b64 s[6:7], -1
                                        ; implicit-def: $sgpr49
                                        ; implicit-def: $sgpr8
                                        ; implicit-def: $sgpr9
	s_cbranch_vccnz .LBB134_189
; %bb.184:                              ;   in Loop: Header=BB134_31 Depth=1
	ds_read_b64 v[2:3], v11 offset:5120
	s_waitcnt lgkmcnt(0)
	v_cmp_ne_u64_e32 vcc, 0, v[2:3]
	s_cbranch_vccnz .LBB134_188
; %bb.185:                              ;   in Loop: Header=BB134_31 Depth=1
	s_mov_b64 s[6:7], exec
	v_readlane_b32 s8, v44, 36
	v_readlane_b32 s9, v44, 37
	s_and_b64 s[8:9], s[6:7], s[8:9]
	s_mov_b64 exec, s[8:9]
	s_cbranch_execz .LBB134_187
; %bb.186:                              ;   in Loop: Header=BB134_31 Depth=1
	v_pk_mov_b32 v[2:3], s[28:29], s[28:29] op_sel:[0,1]
	ds_write_b64 v11, v[2:3] offset:5128
.LBB134_187:                            ;   in Loop: Header=BB134_31 Depth=1
	s_or_b64 exec, exec, s[6:7]
	s_waitcnt lgkmcnt(0)
	s_barrier
.LBB134_188:                            ;   in Loop: Header=BB134_31 Depth=1
	s_lshl_b32 s6, 1, s40
	s_and_b32 s7, s92, s41
	s_or_b32 s8, s7, s6
	s_or_b32 s9, s27, s48
	s_mov_b64 s[6:7], 0
	s_mov_b32 s49, 8
.LBB134_189:                            ;   in Loop: Header=BB134_31 Depth=1
	s_andn2_b64 vcc, exec, s[6:7]
	s_cbranch_vccnz .LBB134_191
; %bb.190:                              ;   in Loop: Header=BB134_31 Depth=1
	s_sub_u32 s94, s94, s28
	s_subb_u32 s95, s95, s29
	s_mov_b64 s[6:7], -1
	s_mov_b32 s49, 0
	s_mov_b32 s8, s92
	;; [unrolled: 1-line block ×3, first 2 shown]
.LBB134_191:                            ;   in Loop: Header=BB134_31 Depth=1
	s_mov_b32 s27, s9
	s_mov_b32 s92, s8
	s_andn2_b64 vcc, exec, s[6:7]
	s_mov_b64 s[8:9], -1
	s_cbranch_vccz .LBB134_194
.LBB134_192:                            ;   in Loop: Header=BB134_31 Depth=1
                                        ; implicit-def: $sgpr30_sgpr31
                                        ; implicit-def: $sgpr34_sgpr35
                                        ; implicit-def: $sgpr28_sgpr29
	s_branch .LBB134_291
.LBB134_193:                            ;   in Loop: Header=BB134_31 Depth=1
	s_mov_b64 s[94:95], 1
	s_mov_b64 s[8:9], -1
	s_cbranch_execnz .LBB134_192
.LBB134_194:                            ;   in Loop: Header=BB134_31 Depth=1
	s_cmp_eq_u64 s[16:17], 1
	s_cselect_b64 s[6:7], -1, 0
	s_cmp_eq_u64 s[94:95], 1
	s_cselect_b64 s[8:9], -1, 0
	s_and_b64 s[38:39], s[6:7], s[8:9]
	s_mov_b64 s[6:7], -1
	s_and_b64 vcc, exec, s[38:39]
	s_cbranch_vccz .LBB134_209
; %bb.195:                              ;   in Loop: Header=BB134_31 Depth=1
	ds_read_b64 v[2:3], v11 offset:5120
	s_waitcnt lgkmcnt(0)
	s_barrier
	v_readfirstlane_b32 s8, v2
	v_readfirstlane_b32 s9, v3
	s_mov_b64 s[6:7], exec
	v_readlane_b32 s28, v44, 38
	v_readlane_b32 s29, v44, 39
	s_and_b64 s[28:29], s[6:7], s[28:29]
	s_mov_b64 exec, s[28:29]
	s_cbranch_execz .LBB134_197
; %bb.196:                              ;   in Loop: Header=BB134_31 Depth=1
	ds_write_b16 v24, v13
.LBB134_197:                            ;   in Loop: Header=BB134_31 Depth=1
	s_or_b64 exec, exec, s[6:7]
	s_lshl_b32 s6, 2, s40
	s_and_b32 s7, s92, s41
	s_or_b32 s92, s7, s6
	s_or_b32 s27, s27, s48
	s_cmp_eq_u64 s[8:9], 0
	s_waitcnt lgkmcnt(0)
	s_barrier
	s_cbranch_scc1 .LBB134_212
; %bb.198:                              ;   in Loop: Header=BB134_31 Depth=1
	s_add_u32 s30, s93, s8
	v_readlane_b32 s6, v44, 44
	s_addc_u32 s7, s6, s9
	s_mov_b32 s6, s91
	s_cmp_lg_u64 s[6:7], 0
	s_cbranch_scc0 .LBB134_257
; %bb.199:                              ;   in Loop: Header=BB134_31 Depth=1
	v_cvt_f32_u32_e32 v2, s54
	s_sub_u32 s6, 0, s54
	s_subb_u32 s28, 0, 0
	v_mac_f32_e32 v2, 0, v32
	v_rcp_f32_e32 v2, v2
	v_mul_f32_e32 v2, 0x5f7ffffc, v2
	v_mul_f32_e32 v3, 0x2f800000, v2
	v_trunc_f32_e32 v3, v3
	v_mac_f32_e32 v2, 0xcf800000, v3
	v_cvt_u32_f32_e32 v3, v3
	v_cvt_u32_f32_e32 v2, v2
	v_readfirstlane_b32 s29, v3
	v_readfirstlane_b32 s31, v2
	s_mul_i32 s34, s6, s29
	s_mul_hi_u32 s36, s6, s31
	s_mul_i32 s35, s28, s31
	s_add_i32 s34, s36, s34
	s_mul_i32 s37, s6, s31
	s_add_i32 s34, s34, s35
	s_mul_hi_u32 s36, s31, s37
	s_mul_hi_u32 s35, s31, s34
	s_mul_i32 s31, s31, s34
	s_add_u32 s31, s36, s31
	s_addc_u32 s35, 0, s35
	s_mul_hi_u32 s42, s29, s37
	s_mul_i32 s37, s29, s37
	s_add_u32 s31, s31, s37
	s_mul_hi_u32 s36, s29, s34
	s_addc_u32 s31, s35, s42
	s_addc_u32 s35, s36, 0
	s_mul_i32 s34, s29, s34
	s_add_u32 s31, s31, s34
	s_addc_u32 s34, 0, s35
	v_add_co_u32_e32 v2, vcc, s31, v2
	s_cmp_lg_u64 vcc, 0
	s_addc_u32 s29, s29, s34
	v_readfirstlane_b32 s34, v2
	s_mul_i32 s31, s6, s29
	s_mul_hi_u32 s35, s6, s34
	s_add_i32 s31, s35, s31
	s_mul_i32 s28, s28, s34
	s_add_i32 s31, s31, s28
	s_mul_i32 s6, s6, s34
	s_mul_hi_u32 s35, s29, s6
	s_mul_i32 s36, s29, s6
	s_mul_i32 s42, s34, s31
	s_mul_hi_u32 s6, s34, s6
	s_mul_hi_u32 s37, s34, s31
	s_add_u32 s6, s6, s42
	s_addc_u32 s34, 0, s37
	s_add_u32 s6, s6, s36
	s_mul_hi_u32 s28, s29, s31
	s_addc_u32 s6, s34, s35
	s_addc_u32 s28, s28, 0
	s_mul_i32 s31, s29, s31
	s_add_u32 s6, s6, s31
	s_addc_u32 s28, 0, s28
	v_add_co_u32_e32 v2, vcc, s6, v2
	s_cmp_lg_u64 vcc, 0
	s_addc_u32 s6, s29, s28
	v_readfirstlane_b32 s31, v2
	s_mul_i32 s29, s30, s6
	s_mul_hi_u32 s34, s30, s31
	s_mul_hi_u32 s28, s30, s6
	s_add_u32 s29, s34, s29
	s_addc_u32 s28, 0, s28
	s_mul_hi_u32 s35, s7, s31
	s_mul_i32 s31, s7, s31
	s_add_u32 s29, s29, s31
	s_mul_hi_u32 s34, s7, s6
	s_addc_u32 s28, s28, s35
	s_addc_u32 s29, s34, 0
	s_mul_i32 s6, s7, s6
	s_add_u32 s6, s28, s6
	s_addc_u32 s28, 0, s29
	s_mul_hi_u32 s29, s54, s6
	s_mul_i32 s6, s54, s6
	s_mul_i32 s28, s54, s28
	v_mov_b32_e32 v2, s6
	s_add_i32 s29, s29, s28
	v_sub_co_u32_e32 v2, vcc, s30, v2
	s_cmp_lg_u64 vcc, 0
	s_subb_u32 s6, s7, s29
	v_subrev_co_u32_e32 v3, vcc, s54, v2
	s_cmp_lg_u64 vcc, 0
	s_subb_u32 s28, s6, 0
	v_subrev_co_u32_e32 v4, vcc, s54, v3
	s_cmp_lg_u64 vcc, 0
	s_subb_u32 s29, s28, 0
	v_cmp_le_u32_e32 vcc, s54, v3
	s_cmp_eq_u32 s28, 0
	v_cndmask_b32_e64 v5, 0, -1, vcc
	s_cselect_b64 vcc, -1, 0
	v_cndmask_b32_e32 v5, -1, v5, vcc
	v_mov_b32_e32 v6, s28
	v_mov_b32_e32 v7, s29
	v_cmp_ne_u32_e32 vcc, 0, v5
	v_cndmask_b32_e32 v5, v6, v7, vcc
	v_cndmask_b32_e32 v4, v3, v4, vcc
	v_cmp_le_u32_e32 vcc, s54, v2
	s_cmp_eq_u32 s6, 0
	v_cndmask_b32_e64 v3, 0, -1, vcc
	s_cselect_b64 vcc, -1, 0
	v_cndmask_b32_e32 v3, -1, v3, vcc
	v_mov_b32_e32 v6, s6
	v_cmp_ne_u32_e32 vcc, 0, v3
	v_cndmask_b32_e32 v3, v6, v5, vcc
	v_cndmask_b32_e32 v2, v2, v4, vcc
	s_cbranch_execnz .LBB134_201
.LBB134_200:                            ;   in Loop: Header=BB134_31 Depth=1
	v_cvt_f32_u32_e32 v2, s54
	s_sub_i32 s6, 0, s54
	v_rcp_iflag_f32_e32 v2, v2
	v_mul_f32_e32 v2, 0x4f7ffffe, v2
	v_cvt_u32_f32_e32 v2, v2
	v_mul_lo_u32 v3, s6, v2
	v_mul_hi_u32 v3, v2, v3
	v_add_u32_e32 v2, v2, v3
	v_mul_hi_u32 v2, s30, v2
	v_mul_lo_u32 v2, v2, s54
	v_sub_u32_e32 v2, s30, v2
	v_subrev_u32_e32 v3, s54, v2
	v_cmp_le_u32_e32 vcc, s54, v2
	v_cndmask_b32_e32 v2, v2, v3, vcc
	v_subrev_u32_e32 v3, s54, v2
	v_cmp_le_u32_e32 vcc, s54, v2
	v_cndmask_b32_e32 v10, v2, v3, vcc
	v_pk_mov_b32 v[2:3], v[10:11], v[10:11] op_sel:[0,1]
.LBB134_201:                            ;   in Loop: Header=BB134_31 Depth=1
	v_mov_b32_e32 v4, s7
	v_sub_co_u32_e32 v2, vcc, s30, v2
	v_subb_co_u32_e32 v3, vcc, v4, v3, vcc
	v_cmp_gt_u64_e32 vcc, v[2:3], v[0:1]
	s_mov_b64 s[6:7], 0
                                        ; implicit-def: $vgpr35
	s_and_saveexec_b64 s[28:29], vcc
	s_cbranch_execz .LBB134_214
; %bb.202:                              ;   in Loop: Header=BB134_31 Depth=1
	s_mov_b64 s[30:31], 0
	v_mov_b32_e32 v6, v23
	v_pk_mov_b32 v[4:5], v[0:1], v[0:1] op_sel:[0,1]
                                        ; implicit-def: $sgpr34_sgpr35
	s_branch .LBB134_204
.LBB134_203:                            ;   in Loop: Header=BB134_204 Depth=2
	s_or_b64 exec, exec, s[6:7]
	s_waitcnt lgkmcnt(0)
	s_barrier
	ds_read_b32 v7, v11 offset:3072
	v_mov_b32_e32 v8, s84
	v_add_co_u32_e64 v4, s[6:7], s54, v4
	v_addc_co_u32_e64 v5, s[6:7], v5, v8, s[6:7]
	s_waitcnt lgkmcnt(0)
	v_cmp_neq_f16_e32 vcc, 0, v7
	v_cmp_ge_u64_e64 s[6:7], v[4:5], v[2:3]
	s_or_b64 s[6:7], s[6:7], vcc
	s_and_b64 s[6:7], exec, s[6:7]
	s_or_b64 s[30:31], s[6:7], s[30:31]
	s_andn2_b64 s[6:7], s[34:35], exec
	s_and_b64 s[34:35], vcc, exec
	v_add_u32_e32 v6, s2, v6
	s_or_b64 s[34:35], s[6:7], s[34:35]
	s_barrier
	s_andn2_b64 exec, exec, s[30:31]
	s_cbranch_execz .LBB134_213
.LBB134_204:                            ;   Parent Loop BB134_31 Depth=1
                                        ; =>  This Inner Loop Header: Depth=2
	v_cmp_gt_u64_e32 vcc, s[8:9], v[4:5]
	v_mov_b32_e32 v7, 0
	s_and_saveexec_b64 s[6:7], vcc
	s_cbranch_execz .LBB134_206
; %bb.205:                              ;   in Loop: Header=BB134_204 Depth=2
	ds_read_u16 v7, v6
.LBB134_206:                            ;   in Loop: Header=BB134_204 Depth=2
	s_or_b64 exec, exec, s[6:7]
	s_and_saveexec_b64 s[6:7], vcc
	s_cbranch_execz .LBB134_203
; %bb.207:                              ;   in Loop: Header=BB134_204 Depth=2
	s_waitcnt lgkmcnt(0)
	v_cmp_lt_i16_e32 vcc, -1, v7
	v_cndmask_b32_e32 v8, v30, v31, vcc
	v_xor_b32_sdwa v8, v8, v7 dst_sel:DWORD dst_unused:UNUSED_PAD src0_sel:DWORD src1_sel:WORD_0
	v_cmp_o_f16_e32 vcc, v7, v7
	v_cndmask_b32_e32 v8, v30, v8, vcc
	v_and_b32_e32 v8, s27, v8
	v_cmp_eq_u32_e32 vcc, s92, v8
	s_and_b64 exec, exec, vcc
	s_cbranch_execz .LBB134_203
; %bb.208:                              ;   in Loop: Header=BB134_204 Depth=2
	v_perm_b32 v7, v7, s0, v34
	ds_write_b32 v11, v7 offset:3072
	s_branch .LBB134_203
.LBB134_209:                            ;   in Loop: Header=BB134_31 Depth=1
                                        ; implicit-def: $sgpr28_sgpr29
                                        ; implicit-def: $sgpr34_sgpr35
                                        ; implicit-def: $sgpr30_sgpr31
	s_branch .LBB134_228
.LBB134_210:                            ;   in Loop: Header=BB134_31 Depth=1
                                        ; implicit-def: $vgpr2_vgpr3
	s_branch .LBB134_150
.LBB134_211:                            ;   in Loop: Header=BB134_31 Depth=1
                                        ; implicit-def: $vgpr2_vgpr3
	s_branch .LBB134_170
.LBB134_212:                            ;   in Loop: Header=BB134_31 Depth=1
	s_mov_b64 s[28:29], -1
	s_mov_b64 s[6:7], 0
                                        ; implicit-def: $sgpr30_sgpr31
                                        ; implicit-def: $vgpr35
	s_mov_b64 s[34:35], s[28:29]
	s_cbranch_execnz .LBB134_215
	s_branch .LBB134_228
.LBB134_213:                            ;   in Loop: Header=BB134_31 Depth=1
	s_or_b64 exec, exec, s[30:31]
	v_lshrrev_b32_e32 v35, 16, v7
	s_and_b64 s[6:7], s[34:35], exec
.LBB134_214:                            ;   in Loop: Header=BB134_31 Depth=1
	s_or_b64 exec, exec, s[28:29]
	s_mov_b64 s[30:31], -1
	s_mov_b64 s[28:29], 0
	s_mov_b64 s[34:35], s[28:29]
	s_branch .LBB134_228
.LBB134_215:                            ;   in Loop: Header=BB134_31 Depth=1
	s_mov_b32 s82, s91
	s_cmp_lg_u64 s[82:83], 0
	s_cbranch_scc0 .LBB134_258
; %bb.216:                              ;   in Loop: Header=BB134_31 Depth=1
	v_cvt_f32_u32_e32 v2, s54
	s_sub_u32 s6, 0, s54
	s_subb_u32 s7, 0, 0
	v_mac_f32_e32 v2, 0, v32
	v_rcp_f32_e32 v2, v2
	v_mul_f32_e32 v2, 0x5f7ffffc, v2
	v_mul_f32_e32 v3, 0x2f800000, v2
	v_trunc_f32_e32 v3, v3
	v_mac_f32_e32 v2, 0xcf800000, v3
	v_cvt_u32_f32_e32 v3, v3
	v_cvt_u32_f32_e32 v2, v2
	v_readfirstlane_b32 s8, v3
	v_readfirstlane_b32 s9, v2
	s_mul_i32 s28, s6, s8
	s_mul_hi_u32 s30, s6, s9
	s_mul_i32 s29, s7, s9
	s_add_i32 s28, s30, s28
	s_mul_i32 s31, s6, s9
	s_add_i32 s28, s28, s29
	s_mul_hi_u32 s30, s9, s31
	s_mul_hi_u32 s29, s9, s28
	s_mul_i32 s9, s9, s28
	s_add_u32 s9, s30, s9
	s_addc_u32 s29, 0, s29
	s_mul_hi_u32 s34, s8, s31
	s_mul_i32 s31, s8, s31
	s_add_u32 s9, s9, s31
	s_mul_hi_u32 s30, s8, s28
	s_addc_u32 s9, s29, s34
	s_addc_u32 s29, s30, 0
	s_mul_i32 s28, s8, s28
	s_add_u32 s9, s9, s28
	s_addc_u32 s28, 0, s29
	v_add_co_u32_e32 v2, vcc, s9, v2
	s_cmp_lg_u64 vcc, 0
	s_addc_u32 s8, s8, s28
	v_readfirstlane_b32 s28, v2
	s_mul_i32 s9, s6, s8
	s_mul_hi_u32 s29, s6, s28
	s_add_i32 s9, s29, s9
	s_mul_i32 s7, s7, s28
	s_add_i32 s9, s9, s7
	s_mul_i32 s6, s6, s28
	s_mul_hi_u32 s29, s8, s6
	s_mul_i32 s30, s8, s6
	s_mul_i32 s34, s28, s9
	s_mul_hi_u32 s6, s28, s6
	s_mul_hi_u32 s31, s28, s9
	s_add_u32 s6, s6, s34
	s_addc_u32 s28, 0, s31
	s_add_u32 s6, s6, s30
	s_mul_hi_u32 s7, s8, s9
	s_addc_u32 s6, s28, s29
	s_addc_u32 s7, s7, 0
	s_mul_i32 s9, s8, s9
	s_add_u32 s6, s6, s9
	s_addc_u32 s7, 0, s7
	v_add_co_u32_e32 v2, vcc, s6, v2
	s_cmp_lg_u64 vcc, 0
	s_addc_u32 s6, s8, s7
	v_readfirstlane_b32 s9, v2
	s_mul_i32 s8, s3, s6
	s_mul_hi_u32 s28, s3, s9
	s_mul_hi_u32 s7, s3, s6
	s_add_u32 s8, s28, s8
	s_addc_u32 s7, 0, s7
	s_mul_hi_u32 s29, s83, s9
	s_mul_i32 s9, s83, s9
	s_add_u32 s8, s8, s9
	s_mul_hi_u32 s28, s83, s6
	s_addc_u32 s7, s7, s29
	s_addc_u32 s8, s28, 0
	s_mul_i32 s6, s83, s6
	s_add_u32 s6, s7, s6
	s_addc_u32 s7, 0, s8
	s_mul_hi_u32 s8, s54, s6
	s_mul_i32 s6, s54, s6
	s_mul_i32 s7, s54, s7
	v_mov_b32_e32 v2, s6
	s_add_i32 s8, s8, s7
	v_sub_co_u32_e32 v2, vcc, s3, v2
	s_cmp_lg_u64 vcc, 0
	s_subb_u32 s6, s83, s8
	v_subrev_co_u32_e32 v3, vcc, s54, v2
	s_cmp_lg_u64 vcc, 0
	s_subb_u32 s7, s6, 0
	v_subrev_co_u32_e32 v4, vcc, s54, v3
	s_cmp_lg_u64 vcc, 0
	s_subb_u32 s8, s7, 0
	v_cmp_le_u32_e32 vcc, s54, v3
	s_cmp_eq_u32 s7, 0
	v_cndmask_b32_e64 v5, 0, -1, vcc
	s_cselect_b64 vcc, -1, 0
	v_cndmask_b32_e32 v5, -1, v5, vcc
	v_mov_b32_e32 v6, s7
	v_mov_b32_e32 v7, s8
	v_cmp_ne_u32_e32 vcc, 0, v5
	v_cndmask_b32_e32 v5, v6, v7, vcc
	v_cndmask_b32_e32 v4, v3, v4, vcc
	v_cmp_le_u32_e32 vcc, s54, v2
	s_cmp_eq_u32 s6, 0
	v_cndmask_b32_e64 v3, 0, -1, vcc
	s_cselect_b64 vcc, -1, 0
	v_cndmask_b32_e32 v3, -1, v3, vcc
	v_mov_b32_e32 v6, s6
	v_cmp_ne_u32_e32 vcc, 0, v3
	v_cndmask_b32_e32 v3, v6, v5, vcc
	v_cndmask_b32_e32 v2, v2, v4, vcc
	s_cbranch_execnz .LBB134_218
.LBB134_217:                            ;   in Loop: Header=BB134_31 Depth=1
	v_cvt_f32_u32_e32 v2, s54
	s_sub_i32 s6, 0, s54
	v_rcp_iflag_f32_e32 v2, v2
	v_mul_f32_e32 v2, 0x4f7ffffe, v2
	v_cvt_u32_f32_e32 v2, v2
	v_mul_lo_u32 v3, s6, v2
	v_mul_hi_u32 v3, v2, v3
	v_add_u32_e32 v2, v2, v3
	v_mul_hi_u32 v2, s3, v2
	v_mul_lo_u32 v2, v2, s54
	v_sub_u32_e32 v2, s3, v2
	v_subrev_u32_e32 v3, s54, v2
	v_cmp_le_u32_e32 vcc, s54, v2
	v_cndmask_b32_e32 v2, v2, v3, vcc
	v_subrev_u32_e32 v3, s54, v2
	v_cmp_le_u32_e32 vcc, s54, v2
	v_cndmask_b32_e32 v10, v2, v3, vcc
	v_pk_mov_b32 v[2:3], v[10:11], v[10:11] op_sel:[0,1]
.LBB134_218:                            ;   in Loop: Header=BB134_31 Depth=1
	v_mov_b32_e32 v4, s83
	v_sub_co_u32_e32 v2, vcc, s3, v2
	v_subb_co_u32_e32 v3, vcc, v4, v3, vcc
	v_cmp_gt_u64_e32 vcc, v[2:3], v[0:1]
	s_mov_b64 s[6:7], 0
                                        ; implicit-def: $vgpr35
	s_and_saveexec_b64 s[8:9], vcc
	s_cbranch_execz .LBB134_227
; %bb.219:                              ;   in Loop: Header=BB134_31 Depth=1
	s_mov_b64 s[28:29], 0
	v_pk_mov_b32 v[4:5], v[0:1], v[0:1] op_sel:[0,1]
                                        ; implicit-def: $sgpr30_sgpr31
	s_branch .LBB134_221
.LBB134_220:                            ;   in Loop: Header=BB134_221 Depth=2
	s_or_b64 exec, exec, s[6:7]
	s_waitcnt lgkmcnt(0)
	s_barrier
	s_waitcnt vmcnt(0)
	ds_read_b32 v6, v11 offset:3072
	v_mov_b32_e32 v7, s84
	v_add_co_u32_e64 v4, s[6:7], s54, v4
	v_addc_co_u32_e64 v5, s[6:7], v5, v7, s[6:7]
	s_waitcnt lgkmcnt(0)
	v_cmp_neq_f16_e32 vcc, 0, v6
	v_cmp_ge_u64_e64 s[6:7], v[4:5], v[2:3]
	s_or_b64 s[6:7], s[6:7], vcc
	s_and_b64 s[6:7], exec, s[6:7]
	s_or_b64 s[28:29], s[6:7], s[28:29]
	s_andn2_b64 s[6:7], s[30:31], exec
	s_and_b64 s[30:31], vcc, exec
	s_or_b64 s[30:31], s[6:7], s[30:31]
	s_barrier
	s_andn2_b64 exec, exec, s[28:29]
	s_cbranch_execz .LBB134_226
.LBB134_221:                            ;   Parent Loop BB134_31 Depth=1
                                        ; =>  This Inner Loop Header: Depth=2
	v_cmp_gt_u64_e32 vcc, s[52:53], v[4:5]
	v_mov_b32_e32 v6, 0
	s_and_saveexec_b64 s[34:35], vcc
	s_cbranch_execz .LBB134_223
; %bb.222:                              ;   in Loop: Header=BB134_221 Depth=2
	v_mul_lo_u32 v8, v5, s76
	v_mul_lo_u32 v9, v4, s77
	v_mad_u64_u32 v[6:7], s[6:7], v4, s76, 0
	v_add3_u32 v7, v7, v9, v8
	v_lshlrev_b64 v[6:7], 1, v[6:7]
	v_mov_b32_e32 v8, s55
	v_add_co_u32_e64 v6, s[6:7], s33, v6
	v_addc_co_u32_e64 v7, s[6:7], v8, v7, s[6:7]
	global_load_ushort v6, v[6:7], off
.LBB134_223:                            ;   in Loop: Header=BB134_221 Depth=2
	s_or_b64 exec, exec, s[34:35]
	s_and_saveexec_b64 s[6:7], vcc
	s_cbranch_execz .LBB134_220
; %bb.224:                              ;   in Loop: Header=BB134_221 Depth=2
	s_waitcnt vmcnt(0)
	v_cmp_lt_i16_e32 vcc, -1, v6
	v_cndmask_b32_e32 v7, v30, v31, vcc
	v_xor_b32_sdwa v7, v7, v6 dst_sel:DWORD dst_unused:UNUSED_PAD src0_sel:DWORD src1_sel:WORD_0
	v_cmp_o_f16_e32 vcc, v6, v6
	v_cndmask_b32_e32 v7, v30, v7, vcc
	v_and_b32_e32 v7, s27, v7
	v_cmp_eq_u32_e32 vcc, s92, v7
	s_and_b64 exec, exec, vcc
	s_cbranch_execz .LBB134_220
; %bb.225:                              ;   in Loop: Header=BB134_221 Depth=2
	v_perm_b32 v6, v6, s0, v34
	ds_write_b32 v11, v6 offset:3072
	s_branch .LBB134_220
.LBB134_226:                            ;   in Loop: Header=BB134_31 Depth=1
	s_or_b64 exec, exec, s[28:29]
	v_lshrrev_b32_e32 v35, 16, v6
	s_and_b64 s[6:7], s[30:31], exec
.LBB134_227:                            ;   in Loop: Header=BB134_31 Depth=1
	s_or_b64 exec, exec, s[8:9]
	s_mov_b64 s[34:35], -1
	s_mov_b64 s[28:29], 0
	s_mov_b64 s[30:31], 0
.LBB134_228:                            ;   in Loop: Header=BB134_31 Depth=1
	s_mov_b64 s[8:9], 0
                                        ; implicit-def: $sgpr49
	s_and_saveexec_b64 s[36:37], s[6:7]
	s_cbranch_execz .LBB134_290
; %bb.229:                              ;   in Loop: Header=BB134_31 Depth=1
	s_xor_b64 s[6:7], s[38:39], -1
	s_andn2_b64 vcc, exec, s[6:7]
	s_mov_b32 s49, 1
	s_cbranch_vccnz .LBB134_240
; %bb.230:                              ;   in Loop: Header=BB134_31 Depth=1
	v_pk_mov_b32 v[2:3], s[16:17], s[16:17] op_sel:[0,1]
	v_cmp_gt_u64_e32 vcc, s[94:95], v[2:3]
	s_mov_b64 s[6:7], -1
                                        ; implicit-def: $sgpr49
                                        ; implicit-def: $sgpr8
                                        ; implicit-def: $sgpr9
	s_cbranch_vccnz .LBB134_236
; %bb.231:                              ;   in Loop: Header=BB134_31 Depth=1
	ds_read_b64 v[2:3], v11 offset:5120
	s_waitcnt lgkmcnt(0)
	v_cmp_ne_u64_e32 vcc, 0, v[2:3]
	s_cbranch_vccnz .LBB134_235
; %bb.232:                              ;   in Loop: Header=BB134_31 Depth=1
	s_mov_b64 s[6:7], exec
	v_readlane_b32 s8, v44, 36
	v_readlane_b32 s9, v44, 37
	s_and_b64 s[8:9], s[6:7], s[8:9]
	s_mov_b64 exec, s[8:9]
	s_cbranch_execz .LBB134_234
; %bb.233:                              ;   in Loop: Header=BB134_31 Depth=1
	v_pk_mov_b32 v[2:3], s[16:17], s[16:17] op_sel:[0,1]
	ds_write_b64 v11, v[2:3] offset:5128
.LBB134_234:                            ;   in Loop: Header=BB134_31 Depth=1
	s_or_b64 exec, exec, s[6:7]
	s_waitcnt lgkmcnt(0)
	s_barrier
.LBB134_235:                            ;   in Loop: Header=BB134_31 Depth=1
	s_lshl_b32 s6, 2, s40
	s_and_b32 s7, s92, s41
	s_or_b32 s8, s7, s6
	s_or_b32 s9, s27, s48
	s_mov_b64 s[6:7], 0
	s_mov_b32 s49, 8
.LBB134_236:                            ;   in Loop: Header=BB134_31 Depth=1
	s_andn2_b64 vcc, exec, s[6:7]
	s_cbranch_vccnz .LBB134_238
; %bb.237:                              ;   in Loop: Header=BB134_31 Depth=1
	s_sub_u32 s94, s94, s16
	s_subb_u32 s95, s95, s17
	s_mov_b64 s[6:7], -1
	s_mov_b32 s49, 0
	s_mov_b32 s8, s92
	;; [unrolled: 1-line block ×3, first 2 shown]
.LBB134_238:                            ;   in Loop: Header=BB134_31 Depth=1
	s_mov_b32 s27, s9
	s_mov_b32 s92, s8
	s_andn2_b64 vcc, exec, s[6:7]
	s_mov_b64 s[44:45], -1
	s_cbranch_vccz .LBB134_241
.LBB134_239:                            ;   in Loop: Header=BB134_31 Depth=1
                                        ; implicit-def: $sgpr6_sgpr7
                                        ; implicit-def: $sgpr38_sgpr39
                                        ; implicit-def: $sgpr8_sgpr9
	s_branch .LBB134_289
.LBB134_240:                            ;   in Loop: Header=BB134_31 Depth=1
	s_mov_b64 s[94:95], 1
	s_mov_b64 s[44:45], -1
	s_cbranch_execnz .LBB134_239
.LBB134_241:                            ;   in Loop: Header=BB134_31 Depth=1
	s_cmp_eq_u64 s[10:11], 1
	s_cselect_b64 s[6:7], -1, 0
	s_cmp_eq_u64 s[94:95], 1
	s_cselect_b64 s[8:9], -1, 0
	s_and_b64 s[16:17], s[6:7], s[8:9]
	s_mov_b64 s[40:41], -1
	s_and_b64 vcc, exec, s[16:17]
	s_cbranch_vccz .LBB134_256
; %bb.242:                              ;   in Loop: Header=BB134_31 Depth=1
	ds_read_b64 v[2:3], v11 offset:5120
	s_waitcnt lgkmcnt(0)
	s_barrier
	v_readfirstlane_b32 s8, v2
	v_readfirstlane_b32 s9, v3
	s_mov_b64 s[6:7], exec
	v_readlane_b32 s38, v44, 38
	v_readlane_b32 s39, v44, 39
	s_and_b64 s[38:39], s[6:7], s[38:39]
	s_mov_b64 exec, s[38:39]
	s_cbranch_execz .LBB134_244
; %bb.243:                              ;   in Loop: Header=BB134_31 Depth=1
	ds_write_b16 v24, v13
.LBB134_244:                            ;   in Loop: Header=BB134_31 Depth=1
	s_or_b64 exec, exec, s[6:7]
	s_or_b32 s92, s92, s48
	s_or_b32 s27, s27, s48
	s_cmp_eq_u64 s[8:9], 0
	s_waitcnt lgkmcnt(0)
	s_barrier
	s_cbranch_scc1 .LBB134_259
; %bb.245:                              ;   in Loop: Header=BB134_31 Depth=1
	s_add_u32 s40, s93, s8
	v_readlane_b32 s6, v44, 44
	s_addc_u32 s7, s6, s9
	s_mov_b32 s6, s91
	s_cmp_lg_u64 s[6:7], 0
	s_cbranch_scc0 .LBB134_295
; %bb.246:                              ;   in Loop: Header=BB134_31 Depth=1
	v_cvt_f32_u32_e32 v2, s54
	s_sub_u32 s6, 0, s54
	s_subb_u32 s38, 0, 0
	v_mac_f32_e32 v2, 0, v32
	v_rcp_f32_e32 v2, v2
	v_mul_f32_e32 v2, 0x5f7ffffc, v2
	v_mul_f32_e32 v3, 0x2f800000, v2
	v_trunc_f32_e32 v3, v3
	v_mac_f32_e32 v2, 0xcf800000, v3
	v_cvt_u32_f32_e32 v3, v3
	v_cvt_u32_f32_e32 v2, v2
	v_readfirstlane_b32 s39, v3
	v_readfirstlane_b32 s41, v2
	s_mul_i32 s42, s6, s39
	s_mul_hi_u32 s44, s6, s41
	s_mul_i32 s43, s38, s41
	s_add_i32 s42, s44, s42
	s_mul_i32 s45, s6, s41
	s_add_i32 s42, s42, s43
	s_mul_hi_u32 s44, s41, s45
	s_mul_hi_u32 s43, s41, s42
	s_mul_i32 s41, s41, s42
	s_add_u32 s41, s44, s41
	s_addc_u32 s43, 0, s43
	s_mul_hi_u32 s46, s39, s45
	s_mul_i32 s45, s39, s45
	s_add_u32 s41, s41, s45
	s_mul_hi_u32 s44, s39, s42
	s_addc_u32 s41, s43, s46
	s_addc_u32 s43, s44, 0
	s_mul_i32 s42, s39, s42
	s_add_u32 s41, s41, s42
	s_addc_u32 s42, 0, s43
	v_add_co_u32_e32 v2, vcc, s41, v2
	s_cmp_lg_u64 vcc, 0
	s_addc_u32 s39, s39, s42
	v_readfirstlane_b32 s42, v2
	s_mul_i32 s41, s6, s39
	s_mul_hi_u32 s43, s6, s42
	s_add_i32 s41, s43, s41
	s_mul_i32 s38, s38, s42
	s_add_i32 s41, s41, s38
	s_mul_i32 s6, s6, s42
	s_mul_hi_u32 s43, s39, s6
	s_mul_i32 s44, s39, s6
	s_mul_i32 s46, s42, s41
	s_mul_hi_u32 s6, s42, s6
	s_mul_hi_u32 s45, s42, s41
	s_add_u32 s6, s6, s46
	s_addc_u32 s42, 0, s45
	s_add_u32 s6, s6, s44
	s_mul_hi_u32 s38, s39, s41
	s_addc_u32 s6, s42, s43
	s_addc_u32 s38, s38, 0
	s_mul_i32 s41, s39, s41
	s_add_u32 s6, s6, s41
	s_addc_u32 s38, 0, s38
	v_add_co_u32_e32 v2, vcc, s6, v2
	s_cmp_lg_u64 vcc, 0
	s_addc_u32 s6, s39, s38
	v_readfirstlane_b32 s41, v2
	s_mul_i32 s39, s40, s6
	s_mul_hi_u32 s42, s40, s41
	s_mul_hi_u32 s38, s40, s6
	s_add_u32 s39, s42, s39
	s_addc_u32 s38, 0, s38
	s_mul_hi_u32 s43, s7, s41
	s_mul_i32 s41, s7, s41
	s_add_u32 s39, s39, s41
	s_mul_hi_u32 s42, s7, s6
	s_addc_u32 s38, s38, s43
	s_addc_u32 s39, s42, 0
	s_mul_i32 s6, s7, s6
	s_add_u32 s6, s38, s6
	s_addc_u32 s38, 0, s39
	s_mul_hi_u32 s39, s54, s6
	s_mul_i32 s6, s54, s6
	s_mul_i32 s38, s54, s38
	v_mov_b32_e32 v2, s6
	s_add_i32 s39, s39, s38
	v_sub_co_u32_e32 v2, vcc, s40, v2
	s_cmp_lg_u64 vcc, 0
	s_subb_u32 s6, s7, s39
	v_subrev_co_u32_e32 v3, vcc, s54, v2
	s_cmp_lg_u64 vcc, 0
	s_subb_u32 s38, s6, 0
	v_subrev_co_u32_e32 v4, vcc, s54, v3
	s_cmp_lg_u64 vcc, 0
	s_subb_u32 s39, s38, 0
	v_cmp_le_u32_e32 vcc, s54, v3
	s_cmp_eq_u32 s38, 0
	v_cndmask_b32_e64 v5, 0, -1, vcc
	s_cselect_b64 vcc, -1, 0
	v_cndmask_b32_e32 v5, -1, v5, vcc
	v_mov_b32_e32 v6, s38
	v_mov_b32_e32 v7, s39
	v_cmp_ne_u32_e32 vcc, 0, v5
	v_cndmask_b32_e32 v5, v6, v7, vcc
	v_cndmask_b32_e32 v4, v3, v4, vcc
	v_cmp_le_u32_e32 vcc, s54, v2
	s_cmp_eq_u32 s6, 0
	v_cndmask_b32_e64 v3, 0, -1, vcc
	s_cselect_b64 vcc, -1, 0
	v_cndmask_b32_e32 v3, -1, v3, vcc
	v_mov_b32_e32 v6, s6
	v_cmp_ne_u32_e32 vcc, 0, v3
	v_cndmask_b32_e32 v3, v6, v5, vcc
	v_cndmask_b32_e32 v2, v2, v4, vcc
	s_cbranch_execnz .LBB134_248
.LBB134_247:                            ;   in Loop: Header=BB134_31 Depth=1
	v_cvt_f32_u32_e32 v2, s54
	s_sub_i32 s6, 0, s54
	v_rcp_iflag_f32_e32 v2, v2
	v_mul_f32_e32 v2, 0x4f7ffffe, v2
	v_cvt_u32_f32_e32 v2, v2
	v_mul_lo_u32 v3, s6, v2
	v_mul_hi_u32 v3, v2, v3
	v_add_u32_e32 v2, v2, v3
	v_mul_hi_u32 v2, s40, v2
	v_mul_lo_u32 v2, v2, s54
	v_sub_u32_e32 v2, s40, v2
	v_subrev_u32_e32 v3, s54, v2
	v_cmp_le_u32_e32 vcc, s54, v2
	v_cndmask_b32_e32 v2, v2, v3, vcc
	v_subrev_u32_e32 v3, s54, v2
	v_cmp_le_u32_e32 vcc, s54, v2
	v_cndmask_b32_e32 v10, v2, v3, vcc
	v_pk_mov_b32 v[2:3], v[10:11], v[10:11] op_sel:[0,1]
.LBB134_248:                            ;   in Loop: Header=BB134_31 Depth=1
	v_mov_b32_e32 v4, s7
	v_sub_co_u32_e32 v2, vcc, s40, v2
	v_subb_co_u32_e32 v3, vcc, v4, v3, vcc
	v_cmp_gt_u64_e32 vcc, v[2:3], v[0:1]
	s_mov_b64 s[40:41], 0
                                        ; implicit-def: $vgpr35
	s_and_saveexec_b64 s[38:39], vcc
	s_cbranch_execz .LBB134_261
; %bb.249:                              ;   in Loop: Header=BB134_31 Depth=1
	v_mov_b32_e32 v6, v23
	v_pk_mov_b32 v[4:5], v[0:1], v[0:1] op_sel:[0,1]
                                        ; implicit-def: $sgpr42_sgpr43
	s_branch .LBB134_251
.LBB134_250:                            ;   in Loop: Header=BB134_251 Depth=2
	s_or_b64 exec, exec, s[6:7]
	s_waitcnt lgkmcnt(0)
	s_barrier
	ds_read_b32 v7, v11 offset:3072
	v_mov_b32_e32 v8, s84
	v_add_co_u32_e64 v4, s[6:7], s54, v4
	v_addc_co_u32_e64 v5, s[6:7], v5, v8, s[6:7]
	s_waitcnt lgkmcnt(0)
	v_cmp_neq_f16_e32 vcc, 0, v7
	v_cmp_ge_u64_e64 s[6:7], v[4:5], v[2:3]
	s_or_b64 s[6:7], s[6:7], vcc
	s_and_b64 s[6:7], exec, s[6:7]
	s_or_b64 s[40:41], s[6:7], s[40:41]
	s_andn2_b64 s[6:7], s[42:43], exec
	s_and_b64 s[42:43], vcc, exec
	v_add_u32_e32 v6, s2, v6
	s_or_b64 s[42:43], s[6:7], s[42:43]
	s_barrier
	s_andn2_b64 exec, exec, s[40:41]
	s_cbranch_execz .LBB134_260
.LBB134_251:                            ;   Parent Loop BB134_31 Depth=1
                                        ; =>  This Inner Loop Header: Depth=2
	v_cmp_gt_u64_e32 vcc, s[8:9], v[4:5]
	v_mov_b32_e32 v7, 0
	s_and_saveexec_b64 s[6:7], vcc
	s_cbranch_execz .LBB134_253
; %bb.252:                              ;   in Loop: Header=BB134_251 Depth=2
	ds_read_u16 v7, v6
.LBB134_253:                            ;   in Loop: Header=BB134_251 Depth=2
	s_or_b64 exec, exec, s[6:7]
	s_and_saveexec_b64 s[6:7], vcc
	s_cbranch_execz .LBB134_250
; %bb.254:                              ;   in Loop: Header=BB134_251 Depth=2
	s_waitcnt lgkmcnt(0)
	v_cmp_lt_i16_e32 vcc, -1, v7
	v_cndmask_b32_e32 v8, v30, v31, vcc
	v_xor_b32_sdwa v8, v8, v7 dst_sel:DWORD dst_unused:UNUSED_PAD src0_sel:DWORD src1_sel:WORD_0
	v_cmp_o_f16_e32 vcc, v7, v7
	v_cndmask_b32_e32 v8, v30, v8, vcc
	v_and_b32_e32 v8, s27, v8
	v_cmp_eq_u32_e32 vcc, s92, v8
	s_and_b64 exec, exec, vcc
	s_cbranch_execz .LBB134_250
; %bb.255:                              ;   in Loop: Header=BB134_251 Depth=2
	v_perm_b32 v7, v7, s0, v34
	ds_write_b32 v11, v7 offset:3072
	s_branch .LBB134_250
.LBB134_256:                            ;   in Loop: Header=BB134_31 Depth=1
                                        ; implicit-def: $sgpr6_sgpr7
                                        ; implicit-def: $sgpr38_sgpr39
                                        ; implicit-def: $sgpr8_sgpr9
	s_branch .LBB134_275
.LBB134_257:                            ;   in Loop: Header=BB134_31 Depth=1
                                        ; implicit-def: $vgpr2_vgpr3
	s_branch .LBB134_200
.LBB134_258:                            ;   in Loop: Header=BB134_31 Depth=1
                                        ; implicit-def: $vgpr2_vgpr3
	s_branch .LBB134_217
.LBB134_259:                            ;   in Loop: Header=BB134_31 Depth=1
	s_mov_b64 s[6:7], -1
	s_mov_b64 s[40:41], 0
                                        ; implicit-def: $sgpr8_sgpr9
                                        ; implicit-def: $vgpr35
	s_mov_b64 s[38:39], s[6:7]
	s_cbranch_execnz .LBB134_262
	s_branch .LBB134_275
.LBB134_260:                            ;   in Loop: Header=BB134_31 Depth=1
	s_or_b64 exec, exec, s[40:41]
	v_lshrrev_b32_e32 v35, 16, v7
	s_and_b64 s[40:41], s[42:43], exec
.LBB134_261:                            ;   in Loop: Header=BB134_31 Depth=1
	s_or_b64 exec, exec, s[38:39]
	s_mov_b64 s[8:9], -1
	s_mov_b64 s[6:7], 0
	s_mov_b64 s[38:39], s[6:7]
	s_branch .LBB134_275
.LBB134_262:                            ;   in Loop: Header=BB134_31 Depth=1
	s_mov_b32 s82, s91
	s_cmp_lg_u64 s[82:83], 0
	s_cbranch_scc0 .LBB134_296
; %bb.263:                              ;   in Loop: Header=BB134_31 Depth=1
	v_cvt_f32_u32_e32 v2, s54
	s_sub_u32 s6, 0, s54
	s_subb_u32 s7, 0, 0
	v_mac_f32_e32 v2, 0, v32
	v_rcp_f32_e32 v2, v2
	v_mul_f32_e32 v2, 0x5f7ffffc, v2
	v_mul_f32_e32 v3, 0x2f800000, v2
	v_trunc_f32_e32 v3, v3
	v_mac_f32_e32 v2, 0xcf800000, v3
	v_cvt_u32_f32_e32 v3, v3
	v_cvt_u32_f32_e32 v2, v2
	v_readfirstlane_b32 s8, v3
	v_readfirstlane_b32 s9, v2
	s_mul_i32 s38, s6, s8
	s_mul_hi_u32 s40, s6, s9
	s_mul_i32 s39, s7, s9
	s_add_i32 s38, s40, s38
	s_mul_i32 s41, s6, s9
	s_add_i32 s38, s38, s39
	s_mul_hi_u32 s40, s9, s41
	s_mul_hi_u32 s39, s9, s38
	s_mul_i32 s9, s9, s38
	s_add_u32 s9, s40, s9
	s_addc_u32 s39, 0, s39
	s_mul_hi_u32 s42, s8, s41
	s_mul_i32 s41, s8, s41
	s_add_u32 s9, s9, s41
	s_mul_hi_u32 s40, s8, s38
	s_addc_u32 s9, s39, s42
	s_addc_u32 s39, s40, 0
	s_mul_i32 s38, s8, s38
	s_add_u32 s9, s9, s38
	s_addc_u32 s38, 0, s39
	v_add_co_u32_e32 v2, vcc, s9, v2
	s_cmp_lg_u64 vcc, 0
	s_addc_u32 s8, s8, s38
	v_readfirstlane_b32 s38, v2
	s_mul_i32 s9, s6, s8
	s_mul_hi_u32 s39, s6, s38
	s_add_i32 s9, s39, s9
	s_mul_i32 s7, s7, s38
	s_add_i32 s9, s9, s7
	s_mul_i32 s6, s6, s38
	s_mul_hi_u32 s39, s8, s6
	s_mul_i32 s40, s8, s6
	s_mul_i32 s42, s38, s9
	s_mul_hi_u32 s6, s38, s6
	s_mul_hi_u32 s41, s38, s9
	s_add_u32 s6, s6, s42
	s_addc_u32 s38, 0, s41
	s_add_u32 s6, s6, s40
	s_mul_hi_u32 s7, s8, s9
	s_addc_u32 s6, s38, s39
	s_addc_u32 s7, s7, 0
	s_mul_i32 s9, s8, s9
	s_add_u32 s6, s6, s9
	s_addc_u32 s7, 0, s7
	v_add_co_u32_e32 v2, vcc, s6, v2
	s_cmp_lg_u64 vcc, 0
	s_addc_u32 s6, s8, s7
	v_readfirstlane_b32 s9, v2
	s_mul_i32 s8, s3, s6
	s_mul_hi_u32 s38, s3, s9
	s_mul_hi_u32 s7, s3, s6
	s_add_u32 s8, s38, s8
	s_addc_u32 s7, 0, s7
	s_mul_hi_u32 s39, s83, s9
	s_mul_i32 s9, s83, s9
	s_add_u32 s8, s8, s9
	s_mul_hi_u32 s38, s83, s6
	s_addc_u32 s7, s7, s39
	s_addc_u32 s8, s38, 0
	s_mul_i32 s6, s83, s6
	s_add_u32 s6, s7, s6
	s_addc_u32 s7, 0, s8
	s_mul_hi_u32 s8, s54, s6
	s_mul_i32 s6, s54, s6
	s_mul_i32 s7, s54, s7
	v_mov_b32_e32 v2, s6
	s_add_i32 s8, s8, s7
	v_sub_co_u32_e32 v2, vcc, s3, v2
	s_cmp_lg_u64 vcc, 0
	s_subb_u32 s6, s83, s8
	v_subrev_co_u32_e32 v3, vcc, s54, v2
	s_cmp_lg_u64 vcc, 0
	s_subb_u32 s7, s6, 0
	v_subrev_co_u32_e32 v4, vcc, s54, v3
	s_cmp_lg_u64 vcc, 0
	s_subb_u32 s8, s7, 0
	v_cmp_le_u32_e32 vcc, s54, v3
	s_cmp_eq_u32 s7, 0
	v_cndmask_b32_e64 v5, 0, -1, vcc
	s_cselect_b64 vcc, -1, 0
	v_cndmask_b32_e32 v5, -1, v5, vcc
	v_mov_b32_e32 v6, s7
	v_mov_b32_e32 v7, s8
	v_cmp_ne_u32_e32 vcc, 0, v5
	v_cndmask_b32_e32 v5, v6, v7, vcc
	v_cndmask_b32_e32 v4, v3, v4, vcc
	v_cmp_le_u32_e32 vcc, s54, v2
	s_cmp_eq_u32 s6, 0
	v_cndmask_b32_e64 v3, 0, -1, vcc
	s_cselect_b64 vcc, -1, 0
	v_cndmask_b32_e32 v3, -1, v3, vcc
	v_mov_b32_e32 v6, s6
	v_cmp_ne_u32_e32 vcc, 0, v3
	v_cndmask_b32_e32 v3, v6, v5, vcc
	v_cndmask_b32_e32 v2, v2, v4, vcc
	s_cbranch_execnz .LBB134_265
.LBB134_264:                            ;   in Loop: Header=BB134_31 Depth=1
	v_cvt_f32_u32_e32 v2, s54
	s_sub_i32 s6, 0, s54
	v_rcp_iflag_f32_e32 v2, v2
	v_mul_f32_e32 v2, 0x4f7ffffe, v2
	v_cvt_u32_f32_e32 v2, v2
	v_mul_lo_u32 v3, s6, v2
	v_mul_hi_u32 v3, v2, v3
	v_add_u32_e32 v2, v2, v3
	v_mul_hi_u32 v2, s3, v2
	v_mul_lo_u32 v2, v2, s54
	v_sub_u32_e32 v2, s3, v2
	v_subrev_u32_e32 v3, s54, v2
	v_cmp_le_u32_e32 vcc, s54, v2
	v_cndmask_b32_e32 v2, v2, v3, vcc
	v_subrev_u32_e32 v3, s54, v2
	v_cmp_le_u32_e32 vcc, s54, v2
	v_cndmask_b32_e32 v10, v2, v3, vcc
	v_pk_mov_b32 v[2:3], v[10:11], v[10:11] op_sel:[0,1]
.LBB134_265:                            ;   in Loop: Header=BB134_31 Depth=1
	v_mov_b32_e32 v4, s83
	v_sub_co_u32_e32 v2, vcc, s3, v2
	v_subb_co_u32_e32 v3, vcc, v4, v3, vcc
	v_cmp_gt_u64_e32 vcc, v[2:3], v[0:1]
	s_mov_b64 s[40:41], 0
                                        ; implicit-def: $vgpr35
	s_and_saveexec_b64 s[8:9], vcc
	s_cbranch_execz .LBB134_274
; %bb.266:                              ;   in Loop: Header=BB134_31 Depth=1
	s_mov_b64 s[38:39], 0
	v_pk_mov_b32 v[4:5], v[0:1], v[0:1] op_sel:[0,1]
                                        ; implicit-def: $sgpr40_sgpr41
	s_branch .LBB134_268
.LBB134_267:                            ;   in Loop: Header=BB134_268 Depth=2
	s_or_b64 exec, exec, s[6:7]
	s_waitcnt lgkmcnt(0)
	s_barrier
	s_waitcnt vmcnt(0)
	ds_read_b32 v6, v11 offset:3072
	v_mov_b32_e32 v7, s84
	v_add_co_u32_e64 v4, s[6:7], s54, v4
	v_addc_co_u32_e64 v5, s[6:7], v5, v7, s[6:7]
	s_waitcnt lgkmcnt(0)
	v_cmp_neq_f16_e32 vcc, 0, v6
	v_cmp_ge_u64_e64 s[6:7], v[4:5], v[2:3]
	s_or_b64 s[6:7], s[6:7], vcc
	s_and_b64 s[6:7], exec, s[6:7]
	s_or_b64 s[38:39], s[6:7], s[38:39]
	s_andn2_b64 s[6:7], s[40:41], exec
	s_and_b64 s[40:41], vcc, exec
	s_or_b64 s[40:41], s[6:7], s[40:41]
	s_barrier
	s_andn2_b64 exec, exec, s[38:39]
	s_cbranch_execz .LBB134_273
.LBB134_268:                            ;   Parent Loop BB134_31 Depth=1
                                        ; =>  This Inner Loop Header: Depth=2
	v_cmp_gt_u64_e32 vcc, s[52:53], v[4:5]
	v_mov_b32_e32 v6, 0
	s_and_saveexec_b64 s[42:43], vcc
	s_cbranch_execz .LBB134_270
; %bb.269:                              ;   in Loop: Header=BB134_268 Depth=2
	v_mul_lo_u32 v8, v5, s76
	v_mul_lo_u32 v9, v4, s77
	v_mad_u64_u32 v[6:7], s[6:7], v4, s76, 0
	v_add3_u32 v7, v7, v9, v8
	v_lshlrev_b64 v[6:7], 1, v[6:7]
	v_mov_b32_e32 v8, s55
	v_add_co_u32_e64 v6, s[6:7], s33, v6
	v_addc_co_u32_e64 v7, s[6:7], v8, v7, s[6:7]
	global_load_ushort v6, v[6:7], off
.LBB134_270:                            ;   in Loop: Header=BB134_268 Depth=2
	s_or_b64 exec, exec, s[42:43]
	s_and_saveexec_b64 s[6:7], vcc
	s_cbranch_execz .LBB134_267
; %bb.271:                              ;   in Loop: Header=BB134_268 Depth=2
	s_waitcnt vmcnt(0)
	v_cmp_lt_i16_e32 vcc, -1, v6
	v_cndmask_b32_e32 v7, v30, v31, vcc
	v_xor_b32_sdwa v7, v7, v6 dst_sel:DWORD dst_unused:UNUSED_PAD src0_sel:DWORD src1_sel:WORD_0
	v_cmp_o_f16_e32 vcc, v6, v6
	v_cndmask_b32_e32 v7, v30, v7, vcc
	v_and_b32_e32 v7, s27, v7
	v_cmp_eq_u32_e32 vcc, s92, v7
	s_and_b64 exec, exec, vcc
	s_cbranch_execz .LBB134_267
; %bb.272:                              ;   in Loop: Header=BB134_268 Depth=2
	v_perm_b32 v6, v6, s0, v34
	ds_write_b32 v11, v6 offset:3072
	s_branch .LBB134_267
.LBB134_273:                            ;   in Loop: Header=BB134_31 Depth=1
	s_or_b64 exec, exec, s[38:39]
	v_lshrrev_b32_e32 v35, 16, v6
	s_and_b64 s[40:41], s[40:41], exec
.LBB134_274:                            ;   in Loop: Header=BB134_31 Depth=1
	s_or_b64 exec, exec, s[8:9]
	s_mov_b64 s[38:39], -1
	s_mov_b64 s[6:7], 0
	s_mov_b64 s[8:9], 0
.LBB134_275:                            ;   in Loop: Header=BB134_31 Depth=1
	s_mov_b64 s[44:45], 0
                                        ; implicit-def: $sgpr49
                                        ; implicit-def: $sgpr46_sgpr47
	s_and_saveexec_b64 s[42:43], s[40:41]
	s_cbranch_execz .LBB134_288
; %bb.276:                              ;   in Loop: Header=BB134_31 Depth=1
	s_xor_b64 s[16:17], s[16:17], -1
	s_mov_b64 s[46:47], 1
	s_andn2_b64 vcc, exec, s[16:17]
	s_mov_b32 s49, 1
	s_cbranch_vccnz .LBB134_287
; %bb.277:                              ;   in Loop: Header=BB134_31 Depth=1
	v_pk_mov_b32 v[2:3], s[10:11], s[10:11] op_sel:[0,1]
	v_cmp_gt_u64_e32 vcc, s[94:95], v[2:3]
	s_cbranch_vccnz .LBB134_283
; %bb.278:                              ;   in Loop: Header=BB134_31 Depth=1
	ds_read_b64 v[2:3], v11 offset:5120
	s_waitcnt lgkmcnt(0)
	v_cmp_ne_u64_e32 vcc, 0, v[2:3]
	s_cbranch_vccnz .LBB134_282
; %bb.279:                              ;   in Loop: Header=BB134_31 Depth=1
	s_mov_b64 s[16:17], exec
	v_readlane_b32 s40, v44, 36
	v_readlane_b32 s41, v44, 37
	s_and_b64 s[40:41], s[16:17], s[40:41]
	s_mov_b64 exec, s[40:41]
	s_cbranch_execz .LBB134_281
; %bb.280:                              ;   in Loop: Header=BB134_31 Depth=1
	v_pk_mov_b32 v[2:3], s[10:11], s[10:11] op_sel:[0,1]
	ds_write_b64 v11, v[2:3] offset:5128
.LBB134_281:                            ;   in Loop: Header=BB134_31 Depth=1
	s_or_b64 exec, exec, s[16:17]
	s_waitcnt lgkmcnt(0)
	s_barrier
.LBB134_282:                            ;   in Loop: Header=BB134_31 Depth=1
	s_or_b32 s40, s92, s48
	s_or_b32 s41, s27, s48
	s_mov_b64 s[16:17], 0
	s_mov_b32 s49, 8
	s_branch .LBB134_284
.LBB134_283:                            ;   in Loop: Header=BB134_31 Depth=1
	s_mov_b64 s[16:17], -1
                                        ; implicit-def: $sgpr49
                                        ; implicit-def: $sgpr40
                                        ; implicit-def: $sgpr41
.LBB134_284:                            ;   in Loop: Header=BB134_31 Depth=1
	s_andn2_b64 vcc, exec, s[16:17]
	s_cbranch_vccnz .LBB134_286
; %bb.285:                              ;   in Loop: Header=BB134_31 Depth=1
	s_sub_u32 s94, s94, s10
	s_subb_u32 s95, s95, s11
	s_mov_b32 s49, 8
	s_mov_b32 s40, s92
	;; [unrolled: 1-line block ×3, first 2 shown]
.LBB134_286:                            ;   in Loop: Header=BB134_31 Depth=1
	s_mov_b64 s[46:47], s[94:95]
	s_mov_b32 s92, s40
	s_mov_b32 s27, s41
.LBB134_287:                            ;   in Loop: Header=BB134_31 Depth=1
	s_mov_b64 s[44:45], exec
.LBB134_288:                            ;   in Loop: Header=BB134_31 Depth=1
	s_or_b64 exec, exec, s[42:43]
	s_mov_b64 s[94:95], s[46:47]
.LBB134_289:                            ;   in Loop: Header=BB134_31 Depth=1
	s_andn2_b64 s[10:11], s[28:29], exec
	s_and_b64 s[6:7], s[6:7], exec
	s_or_b64 s[28:29], s[10:11], s[6:7]
	s_andn2_b64 s[6:7], s[34:35], exec
	s_and_b64 s[10:11], s[38:39], exec
	s_or_b64 s[34:35], s[6:7], s[10:11]
	;; [unrolled: 3-line block ×3, first 2 shown]
	s_and_b64 s[8:9], s[44:45], exec
.LBB134_290:                            ;   in Loop: Header=BB134_31 Depth=1
	s_or_b64 exec, exec, s[36:37]
.LBB134_291:                            ;   in Loop: Header=BB134_31 Depth=1
	s_andn2_b64 s[6:7], s[20:21], exec
	s_and_b64 s[10:11], s[28:29], exec
	s_or_b64 s[20:21], s[6:7], s[10:11]
	s_andn2_b64 s[6:7], s[22:23], exec
	s_and_b64 s[10:11], s[34:35], exec
	s_or_b64 s[22:23], s[6:7], s[10:11]
	;; [unrolled: 3-line block ×3, first 2 shown]
	s_and_b64 s[8:9], s[8:9], exec
.LBB134_292:                            ;   in Loop: Header=BB134_31 Depth=1
	s_or_b64 exec, exec, s[24:25]
	s_and_saveexec_b64 s[6:7], s[8:9]
	s_xor_b64 s[6:7], exec, s[6:7]
	s_cbranch_execz .LBB134_29
.LBB134_293:                            ;   in Loop: Header=BB134_31 Depth=1
	s_and_b32 s8, s49, -9
	s_cmp_eq_u32 s8, 0
	s_cbranch_scc1 .LBB134_27
; %bb.294:                              ;   in Loop: Header=BB134_31 Depth=1
	s_mov_b64 s[8:9], -1
                                        ; implicit-def: $sgpr27
                                        ; implicit-def: $sgpr94_sgpr95
                                        ; implicit-def: $sgpr1
                                        ; implicit-def: $sgpr26
	s_mov_b64 s[10:11], -1
	s_branch .LBB134_28
.LBB134_295:                            ;   in Loop: Header=BB134_31 Depth=1
                                        ; implicit-def: $vgpr2_vgpr3
	s_branch .LBB134_247
.LBB134_296:                            ;   in Loop: Header=BB134_31 Depth=1
                                        ; implicit-def: $vgpr2_vgpr3
	s_branch .LBB134_264
.LBB134_297:
	s_or_b64 exec, exec, s[86:87]
	s_xor_b64 s[8:9], s[80:81], -1
	s_xor_b64 s[0:1], s[70:71], -1
	;; [unrolled: 1-line block ×3, first 2 shown]
	s_mov_b64 s[4:5], 0
	s_and_saveexec_b64 s[2:3], s[0:1]
	s_xor_b64 s[2:3], exec, s[2:3]
	s_cbranch_execnz .LBB134_302
; %bb.298:
	s_andn2_saveexec_b64 s[0:1], s[2:3]
	s_cbranch_execnz .LBB134_315
.LBB134_299:
	s_or_b64 exec, exec, s[0:1]
	s_and_saveexec_b64 s[0:1], s[4:5]
.LBB134_300:
	; divergent unreachable
.LBB134_301:
	s_endpgm
.LBB134_302:
	s_and_saveexec_b64 s[0:1], s[8:9]
	s_xor_b64 s[4:5], exec, s[0:1]
	s_cbranch_execz .LBB134_313
; %bb.303:
	s_and_saveexec_b64 s[0:1], s[6:7]
	s_xor_b64 s[6:7], exec, s[0:1]
; %bb.304:
	v_and_b32_e32 v3, 0x8000, v2
	v_mov_b32_e32 v4, 0x8000
	v_mov_b32_e32 v5, 0xffff
	v_cmp_eq_u32_e32 vcc, 0, v3
	v_cndmask_b32_e32 v3, v4, v5, vcc
	v_xor_b32_e32 v35, v3, v2
; %bb.305:
	s_or_b64 exec, exec, s[6:7]
	v_readlane_b32 s8, v44, 4
	v_readlane_b32 s0, v44, 12
	;; [unrolled: 1-line block ×4, first 2 shown]
	s_mov_b32 s14, s0
	s_mul_i32 s0, s0, s9
	s_mul_hi_u32 s1, s14, s8
	s_add_i32 s1, s1, s0
	s_mul_i32 s0, s14, s8
	v_readlane_b32 s12, v44, 14
	v_readlane_b32 s16, v44, 24
	;; [unrolled: 1-line block ×3, first 2 shown]
	s_sub_u32 s0, s12, s0
	v_readlane_b32 s18, v44, 26
	v_readlane_b32 s19, v44, 27
	s_subb_u32 s1, s13, s1
	s_mul_i32 s6, s0, s19
	s_mul_hi_u32 s7, s0, s18
	v_readlane_b32 s10, v44, 6
	v_readlane_b32 s11, v44, 7
	;; [unrolled: 1-line block ×3, first 2 shown]
	s_add_i32 s6, s7, s6
	s_mul_i32 s1, s1, s18
	s_add_i32 s1, s6, s1
	s_mul_i32 s6, s14, s17
	s_mul_hi_u32 s7, s14, s16
	s_mul_i32 s8, s12, s11
	s_mul_hi_u32 s9, s12, s10
	s_add_i32 s7, s7, s6
	s_add_i32 s9, s9, s8
	s_mul_i32 s8, s12, s10
	v_readlane_b32 s10, v44, 32
	v_readlane_b32 s12, v44, 22
	;; [unrolled: 1-line block ×3, first 2 shown]
	s_sub_u32 s8, s10, s8
	v_readlane_b32 s13, v44, 23
	s_subb_u32 s9, 0, s9
	s_mul_i32 s10, s8, s13
	s_mul_hi_u32 s11, s8, s12
	s_mul_i32 s6, s14, s16
	s_add_i32 s10, s11, s10
	s_mul_i32 s9, s9, s12
	s_add_i32 s9, s10, s9
	s_lshl_b64 s[6:7], s[6:7], 1
	v_readlane_b32 s10, v44, 30
	s_mul_i32 s0, s0, s18
	v_readlane_b32 s11, v44, 31
	s_add_u32 s6, s10, s6
	s_addc_u32 s7, s11, s7
	s_lshl_b64 s[0:1], s[0:1], 1
	s_mul_i32 s8, s8, s12
	s_add_u32 s6, s6, s0
	s_addc_u32 s7, s7, s1
	s_lshl_b64 s[0:1], s[8:9], 1
	s_add_u32 s0, s6, s0
	s_addc_u32 s1, s7, s1
	v_mov_b32_e32 v2, 0
	global_store_short v2, v35, s[0:1]
	s_mov_b64 s[6:7], exec
	v_readlane_b32 s0, v44, 34
	v_readlane_b32 s1, v44, 35
	s_and_b64 s[0:1], s[6:7], s[0:1]
	s_mov_b64 exec, s[0:1]
	s_cbranch_execz .LBB134_312
; %bb.306:
	v_cmp_u_f16_e32 vcc, v35, v35
	s_mov_b64 s[8:9], 0
	v_mov_b32_e32 v4, s55
	s_xor_b64 s[12:13], vcc, -1
                                        ; implicit-def: $sgpr10_sgpr11
                                        ; implicit-def: $sgpr16_sgpr17
                                        ; implicit-def: $sgpr14_sgpr15
	s_branch .LBB134_308
.LBB134_307:                            ;   in Loop: Header=BB134_308 Depth=1
	s_or_b64 exec, exec, s[0:1]
	s_and_b64 s[0:1], exec, s[16:17]
	s_or_b64 s[8:9], s[0:1], s[8:9]
	s_andn2_b64 s[0:1], s[10:11], exec
	s_and_b64 s[10:11], s[14:15], exec
	s_or_b64 s[10:11], s[0:1], s[10:11]
	s_andn2_b64 exec, exec, s[8:9]
	s_cbranch_execz .LBB134_310
.LBB134_308:                            ; =>This Inner Loop Header: Depth=1
	v_pk_mov_b32 v[2:3], v[0:1], v[0:1] op_sel:[0,1]
	v_mul_lo_u32 v5, v3, s76
	v_mul_lo_u32 v6, v2, s77
	v_mad_u64_u32 v[0:1], s[0:1], v2, s76, 0
	v_add3_u32 v1, v1, v6, v5
	v_lshlrev_b64 v[0:1], 1, v[0:1]
	v_add_co_u32_e32 v0, vcc, s33, v0
	v_addc_co_u32_e32 v1, vcc, v4, v1, vcc
	global_load_ushort v0, v[0:1], off
	s_or_b64 s[14:15], s[14:15], exec
	s_or_b64 s[16:17], s[16:17], exec
	s_waitcnt vmcnt(0)
	v_cmp_o_f16_e64 s[0:1], v0, v0
	v_cmp_neq_f16_e32 vcc, v0, v35
	s_or_b64 s[0:1], s[12:13], s[0:1]
	s_and_b64 s[18:19], vcc, s[0:1]
                                        ; implicit-def: $vgpr0_vgpr1
	s_and_saveexec_b64 s[0:1], s[18:19]
	s_cbranch_execz .LBB134_307
; %bb.309:                              ;   in Loop: Header=BB134_308 Depth=1
	v_mov_b32_e32 v1, s84
	v_add_co_u32_e32 v0, vcc, s54, v2
	v_addc_co_u32_e32 v1, vcc, v3, v1, vcc
	v_cmp_le_u64_e32 vcc, s[52:53], v[0:1]
	s_andn2_b64 s[16:17], s[16:17], exec
	s_and_b64 s[18:19], vcc, exec
	s_andn2_b64 s[14:15], s[14:15], exec
	s_or_b64 s[16:17], s[16:17], s[18:19]
	s_branch .LBB134_307
.LBB134_310:
	s_or_b64 exec, exec, s[8:9]
	s_and_saveexec_b64 s[0:1], s[10:11]
	s_xor_b64 s[0:1], exec, s[0:1]
	s_cbranch_execz .LBB134_312
; %bb.311:
	v_readlane_b32 s12, v44, 0
	v_readlane_b32 s0, v44, 8
	;; [unrolled: 1-line block ×4, first 2 shown]
	s_mov_b32 s10, s0
	s_mul_i32 s0, s0, s13
	s_mul_hi_u32 s1, s10, s12
	s_add_i32 s1, s1, s0
	s_mul_i32 s0, s10, s12
	v_readlane_b32 s12, v44, 10
	v_readlane_b32 s16, v44, 18
	;; [unrolled: 1-line block ×3, first 2 shown]
	s_sub_u32 s0, s12, s0
	v_readlane_b32 s18, v44, 20
	v_readlane_b32 s19, v44, 21
	s_subb_u32 s1, s13, s1
	s_mul_i32 s8, s0, s19
	s_mul_hi_u32 s9, s0, s18
	v_readlane_b32 s17, v44, 19
	s_add_i32 s8, s9, s8
	s_mul_i32 s1, s1, s18
	v_readlane_b32 s14, v44, 2
	v_readlane_b32 s15, v44, 3
	s_add_i32 s1, s8, s1
	s_mul_i32 s8, s10, s17
	s_mul_hi_u32 s9, s10, s16
	s_add_i32 s9, s9, s8
	s_mul_i32 s8, s10, s16
	s_mul_i32 s10, s12, s15
	s_mul_hi_u32 s11, s12, s14
	s_add_i32 s11, s11, s10
	s_mul_i32 s10, s12, s14
	v_readlane_b32 s12, v44, 32
	v_readlane_b32 s14, v44, 16
	;; [unrolled: 1-line block ×3, first 2 shown]
	s_sub_u32 s10, s12, s10
	v_readlane_b32 s15, v44, 17
	s_subb_u32 s11, 0, s11
	s_mul_i32 s12, s10, s15
	s_mul_hi_u32 s13, s10, s14
	s_add_i32 s12, s13, s12
	s_mul_i32 s11, s11, s14
	s_add_i32 s11, s12, s11
	s_lshl_b64 s[8:9], s[8:9], 3
	v_readlane_b32 s12, v44, 28
	s_mul_i32 s0, s0, s18
	v_readlane_b32 s13, v44, 29
	s_add_u32 s8, s12, s8
	s_addc_u32 s9, s13, s9
	s_lshl_b64 s[0:1], s[0:1], 3
	s_mul_i32 s10, s10, s14
	s_add_u32 s8, s8, s0
	s_addc_u32 s9, s9, s1
	s_lshl_b64 s[0:1], s[10:11], 3
	s_add_u32 s0, s8, s0
	s_addc_u32 s1, s9, s1
	v_mov_b32_e32 v0, 0
	global_store_dwordx2 v0, v[2:3], s[0:1]
.LBB134_312:
	s_or_b64 exec, exec, s[6:7]
.LBB134_313:
	s_or_saveexec_b64 s[0:1], s[4:5]
	s_mov_b64 s[4:5], 0
	s_xor_b64 exec, exec, s[0:1]
	s_cbranch_execnz .LBB134_316
.LBB134_314:
	s_or_b64 exec, exec, s[0:1]
	s_and_b64 s[4:5], s[4:5], exec
	s_andn2_saveexec_b64 s[0:1], s[2:3]
	s_cbranch_execz .LBB134_299
.LBB134_315:
	s_or_b64 s[4:5], s[4:5], exec
	s_trap 2
	s_or_b64 exec, exec, s[0:1]
	s_and_saveexec_b64 s[0:1], s[4:5]
	s_cbranch_execnz .LBB134_300
	s_branch .LBB134_301
.LBB134_316:
	s_mov_b64 s[4:5], exec
	s_trap 2
	s_branch .LBB134_314
	.section	.rodata,"a",@progbits
	.p2align	6, 0x0
	.amdhsa_kernel _ZN2at6native12_GLOBAL__N_112gatherMedianIN3c104HalfEmLi3EEEvNS_4cuda6detail10TensorInfoIT_T0_EENS7_IlS9_EENS7_IKS8_S9_EES9_S9_S9_b
		.amdhsa_group_segment_fixed_size 5152
		.amdhsa_private_segment_fixed_size 0
		.amdhsa_kernarg_size 1536
		.amdhsa_user_sgpr_count 6
		.amdhsa_user_sgpr_private_segment_buffer 1
		.amdhsa_user_sgpr_dispatch_ptr 0
		.amdhsa_user_sgpr_queue_ptr 0
		.amdhsa_user_sgpr_kernarg_segment_ptr 1
		.amdhsa_user_sgpr_dispatch_id 0
		.amdhsa_user_sgpr_flat_scratch_init 0
		.amdhsa_user_sgpr_kernarg_preload_length 0
		.amdhsa_user_sgpr_kernarg_preload_offset 0
		.amdhsa_user_sgpr_private_segment_size 0
		.amdhsa_uses_dynamic_stack 0
		.amdhsa_system_sgpr_private_segment_wavefront_offset 0
		.amdhsa_system_sgpr_workgroup_id_x 1
		.amdhsa_system_sgpr_workgroup_id_y 1
		.amdhsa_system_sgpr_workgroup_id_z 1
		.amdhsa_system_sgpr_workgroup_info 0
		.amdhsa_system_vgpr_workitem_id 0
		.amdhsa_next_free_vgpr 45
		.amdhsa_next_free_sgpr 96
		.amdhsa_accum_offset 48
		.amdhsa_reserve_vcc 1
		.amdhsa_reserve_flat_scratch 0
		.amdhsa_float_round_mode_32 0
		.amdhsa_float_round_mode_16_64 0
		.amdhsa_float_denorm_mode_32 3
		.amdhsa_float_denorm_mode_16_64 3
		.amdhsa_dx10_clamp 1
		.amdhsa_ieee_mode 1
		.amdhsa_fp16_overflow 0
		.amdhsa_tg_split 0
		.amdhsa_exception_fp_ieee_invalid_op 0
		.amdhsa_exception_fp_denorm_src 0
		.amdhsa_exception_fp_ieee_div_zero 0
		.amdhsa_exception_fp_ieee_overflow 0
		.amdhsa_exception_fp_ieee_underflow 0
		.amdhsa_exception_fp_ieee_inexact 0
		.amdhsa_exception_int_div_zero 0
	.end_amdhsa_kernel
	.section	.text._ZN2at6native12_GLOBAL__N_112gatherMedianIN3c104HalfEmLi3EEEvNS_4cuda6detail10TensorInfoIT_T0_EENS7_IlS9_EENS7_IKS8_S9_EES9_S9_S9_b,"axG",@progbits,_ZN2at6native12_GLOBAL__N_112gatherMedianIN3c104HalfEmLi3EEEvNS_4cuda6detail10TensorInfoIT_T0_EENS7_IlS9_EENS7_IKS8_S9_EES9_S9_S9_b,comdat
.Lfunc_end134:
	.size	_ZN2at6native12_GLOBAL__N_112gatherMedianIN3c104HalfEmLi3EEEvNS_4cuda6detail10TensorInfoIT_T0_EENS7_IlS9_EENS7_IKS8_S9_EES9_S9_S9_b, .Lfunc_end134-_ZN2at6native12_GLOBAL__N_112gatherMedianIN3c104HalfEmLi3EEEvNS_4cuda6detail10TensorInfoIT_T0_EENS7_IlS9_EENS7_IKS8_S9_EES9_S9_S9_b
                                        ; -- End function
	.section	.AMDGPU.csdata,"",@progbits
; Kernel info:
; codeLenInByte = 17520
; NumSgprs: 100
; NumVgprs: 45
; NumAgprs: 0
; TotalNumVgprs: 45
; ScratchSize: 0
; MemoryBound: 0
; FloatMode: 240
; IeeeMode: 1
; LDSByteSize: 5152 bytes/workgroup (compile time only)
; SGPRBlocks: 12
; VGPRBlocks: 5
; NumSGPRsForWavesPerEU: 100
; NumVGPRsForWavesPerEU: 45
; AccumOffset: 48
; Occupancy: 8
; WaveLimiterHint : 1
; COMPUTE_PGM_RSRC2:SCRATCH_EN: 0
; COMPUTE_PGM_RSRC2:USER_SGPR: 6
; COMPUTE_PGM_RSRC2:TRAP_HANDLER: 0
; COMPUTE_PGM_RSRC2:TGID_X_EN: 1
; COMPUTE_PGM_RSRC2:TGID_Y_EN: 1
; COMPUTE_PGM_RSRC2:TGID_Z_EN: 1
; COMPUTE_PGM_RSRC2:TIDIG_COMP_CNT: 0
; COMPUTE_PGM_RSRC3_GFX90A:ACCUM_OFFSET: 11
; COMPUTE_PGM_RSRC3_GFX90A:TG_SPLIT: 0
	.section	.text._ZN2at6native12_GLOBAL__N_112gatherMedianIN3c104HalfEmLin1EEEvNS_4cuda6detail10TensorInfoIT_T0_EENS7_IlS9_EENS7_IKS8_S9_EES9_S9_S9_b,"axG",@progbits,_ZN2at6native12_GLOBAL__N_112gatherMedianIN3c104HalfEmLin1EEEvNS_4cuda6detail10TensorInfoIT_T0_EENS7_IlS9_EENS7_IKS8_S9_EES9_S9_S9_b,comdat
	.globl	_ZN2at6native12_GLOBAL__N_112gatherMedianIN3c104HalfEmLin1EEEvNS_4cuda6detail10TensorInfoIT_T0_EENS7_IlS9_EENS7_IKS8_S9_EES9_S9_S9_b ; -- Begin function _ZN2at6native12_GLOBAL__N_112gatherMedianIN3c104HalfEmLin1EEEvNS_4cuda6detail10TensorInfoIT_T0_EENS7_IlS9_EENS7_IKS8_S9_EES9_S9_S9_b
	.p2align	8
	.type	_ZN2at6native12_GLOBAL__N_112gatherMedianIN3c104HalfEmLin1EEEvNS_4cuda6detail10TensorInfoIT_T0_EENS7_IlS9_EENS7_IKS8_S9_EES9_S9_S9_b,@function
_ZN2at6native12_GLOBAL__N_112gatherMedianIN3c104HalfEmLin1EEEvNS_4cuda6detail10TensorInfoIT_T0_EENS7_IlS9_EENS7_IKS8_S9_EES9_S9_S9_b: ; @_ZN2at6native12_GLOBAL__N_112gatherMedianIN3c104HalfEmLin1EEEvNS_4cuda6detail10TensorInfoIT_T0_EENS7_IlS9_EENS7_IKS8_S9_EES9_S9_S9_b
; %bb.0:
	s_load_dwordx4 s[52:55], s[4:5], 0x4e0
	s_load_dwordx2 s[10:11], s[4:5], 0x500
	s_add_u32 s12, s4, 0x500
	s_addc_u32 s13, s5, 0
	s_mov_b32 s3, 0
	s_waitcnt lgkmcnt(0)
	v_mov_b32_e32 v2, s54
	s_mul_i32 s0, s11, s8
	s_add_i32 s0, s0, s7
	s_mul_i32 s0, s0, s10
	v_mov_b32_e32 v3, s55
	s_add_i32 s2, s0, s6
	v_cmp_ge_u64_e32 vcc, s[2:3], v[2:3]
	s_cbranch_vccnz .LBB135_314
; %bb.1:
	s_load_dword s0, s[4:5], 0x198
	s_load_dwordx2 s[56:57], s[4:5], 0x4f0
	s_mov_b64 s[26:27], 0
	s_mov_b64 s[20:21], s[2:3]
	s_waitcnt lgkmcnt(0)
	s_cmp_lt_i32 s0, 2
	s_cbranch_scc1 .LBB135_9
; %bb.2:
	s_mov_b32 s8, 0
	s_add_i32 s7, s0, 1
	s_add_i32 s0, s0, -1
	s_mov_b32 s1, s8
	s_lshl_b64 s[0:1], s[0:1], 3
	s_add_u32 s0, s0, s4
	s_addc_u32 s1, s1, s5
	s_add_u32 s14, s0, 8
	s_addc_u32 s15, s1, 0
	s_mov_b64 s[16:17], s[2:3]
.LBB135_3:                              ; =>This Inner Loop Header: Depth=1
	s_load_dwordx2 s[18:19], s[14:15], 0x0
	s_waitcnt lgkmcnt(0)
	s_or_b64 s[0:1], s[16:17], s[18:19]
	s_mov_b32 s9, s1
	s_cmp_lg_u64 s[8:9], 0
	s_cbranch_scc0 .LBB135_8
; %bb.4:                                ;   in Loop: Header=BB135_3 Depth=1
	v_cvt_f32_u32_e32 v1, s18
	v_cvt_f32_u32_e32 v2, s19
	s_sub_u32 s0, 0, s18
	s_subb_u32 s1, 0, s19
	v_mac_f32_e32 v1, 0x4f800000, v2
	v_rcp_f32_e32 v1, v1
	v_mul_f32_e32 v1, 0x5f7ffffc, v1
	v_mul_f32_e32 v2, 0x2f800000, v1
	v_trunc_f32_e32 v2, v2
	v_mac_f32_e32 v1, 0xcf800000, v2
	v_cvt_u32_f32_e32 v2, v2
	v_cvt_u32_f32_e32 v1, v1
	v_readfirstlane_b32 s9, v2
	v_readfirstlane_b32 s11, v1
	s_mul_i32 s20, s0, s9
	s_mul_hi_u32 s22, s0, s11
	s_mul_i32 s21, s1, s11
	s_add_i32 s20, s22, s20
	s_mul_i32 s23, s0, s11
	s_add_i32 s20, s20, s21
	s_mul_hi_u32 s21, s11, s20
	s_mul_i32 s22, s11, s20
	s_mul_hi_u32 s11, s11, s23
	s_add_u32 s11, s11, s22
	s_addc_u32 s21, 0, s21
	s_mul_hi_u32 s24, s9, s23
	s_mul_i32 s23, s9, s23
	s_add_u32 s11, s11, s23
	s_mul_hi_u32 s22, s9, s20
	s_addc_u32 s11, s21, s24
	s_addc_u32 s21, s22, 0
	s_mul_i32 s20, s9, s20
	s_add_u32 s11, s11, s20
	s_addc_u32 s20, 0, s21
	v_add_co_u32_e32 v1, vcc, s11, v1
	s_cmp_lg_u64 vcc, 0
	s_addc_u32 s9, s9, s20
	v_readfirstlane_b32 s20, v1
	s_mul_i32 s11, s0, s9
	s_mul_hi_u32 s21, s0, s20
	s_add_i32 s11, s21, s11
	s_mul_i32 s1, s1, s20
	s_add_i32 s11, s11, s1
	s_mul_i32 s0, s0, s20
	s_mul_hi_u32 s21, s9, s0
	s_mul_i32 s22, s9, s0
	s_mul_i32 s24, s20, s11
	s_mul_hi_u32 s0, s20, s0
	s_mul_hi_u32 s23, s20, s11
	s_add_u32 s0, s0, s24
	s_addc_u32 s20, 0, s23
	s_add_u32 s0, s0, s22
	s_mul_hi_u32 s1, s9, s11
	s_addc_u32 s0, s20, s21
	s_addc_u32 s1, s1, 0
	s_mul_i32 s11, s9, s11
	s_add_u32 s0, s0, s11
	s_addc_u32 s1, 0, s1
	v_add_co_u32_e32 v1, vcc, s0, v1
	s_cmp_lg_u64 vcc, 0
	s_addc_u32 s0, s9, s1
	v_readfirstlane_b32 s11, v1
	s_mul_i32 s9, s16, s0
	s_mul_hi_u32 s20, s16, s11
	s_mul_hi_u32 s1, s16, s0
	s_add_u32 s9, s20, s9
	s_addc_u32 s1, 0, s1
	s_mul_hi_u32 s21, s17, s11
	s_mul_i32 s11, s17, s11
	s_add_u32 s9, s9, s11
	s_mul_hi_u32 s20, s17, s0
	s_addc_u32 s1, s1, s21
	s_addc_u32 s9, s20, 0
	s_mul_i32 s0, s17, s0
	s_add_u32 s11, s1, s0
	s_addc_u32 s9, 0, s9
	s_mul_i32 s0, s18, s9
	s_mul_hi_u32 s1, s18, s11
	s_add_i32 s0, s1, s0
	s_mul_i32 s1, s19, s11
	s_add_i32 s20, s0, s1
	s_mul_i32 s1, s18, s11
	v_mov_b32_e32 v1, s1
	s_sub_i32 s0, s17, s20
	v_sub_co_u32_e32 v1, vcc, s16, v1
	s_cmp_lg_u64 vcc, 0
	s_subb_u32 s21, s0, s19
	v_subrev_co_u32_e64 v2, s[0:1], s18, v1
	s_cmp_lg_u64 s[0:1], 0
	s_subb_u32 s0, s21, 0
	s_cmp_ge_u32 s0, s19
	v_readfirstlane_b32 s21, v2
	s_cselect_b32 s1, -1, 0
	s_cmp_ge_u32 s21, s18
	s_cselect_b32 s21, -1, 0
	s_cmp_eq_u32 s0, s19
	s_cselect_b32 s0, s21, s1
	s_add_u32 s1, s11, 1
	s_addc_u32 s21, s9, 0
	s_add_u32 s22, s11, 2
	s_addc_u32 s23, s9, 0
	s_cmp_lg_u32 s0, 0
	s_cselect_b32 s0, s22, s1
	s_cselect_b32 s1, s23, s21
	s_cmp_lg_u64 vcc, 0
	s_subb_u32 s20, s17, s20
	s_cmp_ge_u32 s20, s19
	v_readfirstlane_b32 s22, v1
	s_cselect_b32 s21, -1, 0
	s_cmp_ge_u32 s22, s18
	s_cselect_b32 s22, -1, 0
	s_cmp_eq_u32 s20, s19
	s_cselect_b32 s20, s22, s21
	s_cmp_lg_u32 s20, 0
	s_cselect_b32 s21, s1, s9
	s_cselect_b32 s20, s0, s11
	s_cbranch_execnz .LBB135_6
.LBB135_5:                              ;   in Loop: Header=BB135_3 Depth=1
	v_cvt_f32_u32_e32 v1, s18
	s_sub_i32 s0, 0, s18
	s_mov_b32 s21, s8
	v_rcp_iflag_f32_e32 v1, v1
	v_mul_f32_e32 v1, 0x4f7ffffe, v1
	v_cvt_u32_f32_e32 v1, v1
	v_readfirstlane_b32 s1, v1
	s_mul_i32 s0, s0, s1
	s_mul_hi_u32 s0, s1, s0
	s_add_i32 s1, s1, s0
	s_mul_hi_u32 s0, s16, s1
	s_mul_i32 s9, s0, s18
	s_sub_i32 s9, s16, s9
	s_add_i32 s1, s0, 1
	s_sub_i32 s11, s9, s18
	s_cmp_ge_u32 s9, s18
	s_cselect_b32 s0, s1, s0
	s_cselect_b32 s9, s11, s9
	s_add_i32 s1, s0, 1
	s_cmp_ge_u32 s9, s18
	s_cselect_b32 s20, s1, s0
.LBB135_6:                              ;   in Loop: Header=BB135_3 Depth=1
	s_mul_i32 s0, s20, s19
	s_mul_hi_u32 s1, s20, s18
	s_add_i32 s9, s1, s0
	s_load_dwordx2 s[0:1], s[14:15], 0xc8
	s_mul_i32 s11, s21, s18
	s_add_i32 s9, s9, s11
	s_mul_i32 s11, s20, s18
	s_sub_u32 s11, s16, s11
	s_subb_u32 s9, s17, s9
	s_waitcnt lgkmcnt(0)
	s_mul_i32 s9, s0, s9
	s_mul_hi_u32 s16, s0, s11
	s_add_i32 s9, s16, s9
	s_mul_i32 s1, s1, s11
	s_add_i32 s9, s9, s1
	s_mul_i32 s0, s0, s11
	s_add_u32 s26, s0, s26
	s_addc_u32 s27, s9, s27
	s_add_i32 s7, s7, -1
	s_add_u32 s14, s14, -8
	s_addc_u32 s15, s15, -1
	s_cmp_gt_u32 s7, 2
	s_cbranch_scc0 .LBB135_9
; %bb.7:                                ;   in Loop: Header=BB135_3 Depth=1
	s_mov_b64 s[16:17], s[20:21]
	s_branch .LBB135_3
.LBB135_8:                              ;   in Loop: Header=BB135_3 Depth=1
                                        ; implicit-def: $sgpr20_sgpr21
	s_branch .LBB135_5
.LBB135_9:
                                        ; implicit-def: $vgpr54 : SGPR spill to VGPR lane
	s_load_dword s0, s[4:5], 0x338
	s_load_dwordx2 s[8:9], s[4:5], 0xd0
	v_writelane_b32 v54, s26, 0
	v_writelane_b32 v54, s27, 1
	v_writelane_b32 v54, s20, 2
	v_writelane_b32 v54, s21, 3
	s_waitcnt lgkmcnt(0)
	v_writelane_b32 v54, s8, 4
	v_writelane_b32 v54, s9, 5
	s_add_u32 s8, s4, 0x1a0
	s_addc_u32 s9, s5, 0
	s_mov_b64 s[58:59], 0
	s_cmp_lt_i32 s0, 2
	s_mov_b64 s[64:65], s[2:3]
	s_cbranch_scc1 .LBB135_17
; %bb.10:
	s_mov_b32 s14, 0
	s_add_i32 s7, s0, 1
	s_add_i32 s0, s0, -1
	s_mov_b32 s1, s14
	s_lshl_b64 s[0:1], s[0:1], 3
	s_add_u32 s0, s0, s8
	s_addc_u32 s1, s1, s9
	s_add_u32 s16, s0, 8
	s_addc_u32 s17, s1, 0
	s_mov_b64 s[18:19], s[2:3]
.LBB135_11:                             ; =>This Inner Loop Header: Depth=1
	s_load_dwordx2 s[20:21], s[16:17], 0x0
	s_waitcnt lgkmcnt(0)
	s_or_b64 s[0:1], s[18:19], s[20:21]
	s_mov_b32 s15, s1
	s_cmp_lg_u64 s[14:15], 0
	s_cbranch_scc0 .LBB135_16
; %bb.12:                               ;   in Loop: Header=BB135_11 Depth=1
	v_cvt_f32_u32_e32 v1, s20
	v_cvt_f32_u32_e32 v2, s21
	s_sub_u32 s0, 0, s20
	s_subb_u32 s1, 0, s21
	v_mac_f32_e32 v1, 0x4f800000, v2
	v_rcp_f32_e32 v1, v1
	v_mul_f32_e32 v1, 0x5f7ffffc, v1
	v_mul_f32_e32 v2, 0x2f800000, v1
	v_trunc_f32_e32 v2, v2
	v_mac_f32_e32 v1, 0xcf800000, v2
	v_cvt_u32_f32_e32 v2, v2
	v_cvt_u32_f32_e32 v1, v1
	v_readfirstlane_b32 s11, v2
	v_readfirstlane_b32 s15, v1
	s_mul_i32 s22, s0, s11
	s_mul_hi_u32 s24, s0, s15
	s_mul_i32 s23, s1, s15
	s_add_i32 s22, s24, s22
	s_mul_i32 s25, s0, s15
	s_add_i32 s22, s22, s23
	s_mul_hi_u32 s23, s15, s22
	s_mul_i32 s24, s15, s22
	s_mul_hi_u32 s15, s15, s25
	s_add_u32 s15, s15, s24
	s_addc_u32 s23, 0, s23
	s_mul_hi_u32 s26, s11, s25
	s_mul_i32 s25, s11, s25
	s_add_u32 s15, s15, s25
	s_mul_hi_u32 s24, s11, s22
	s_addc_u32 s15, s23, s26
	s_addc_u32 s23, s24, 0
	s_mul_i32 s22, s11, s22
	s_add_u32 s15, s15, s22
	s_addc_u32 s22, 0, s23
	v_add_co_u32_e32 v1, vcc, s15, v1
	s_cmp_lg_u64 vcc, 0
	s_addc_u32 s11, s11, s22
	v_readfirstlane_b32 s22, v1
	s_mul_i32 s15, s0, s11
	s_mul_hi_u32 s23, s0, s22
	s_add_i32 s15, s23, s15
	s_mul_i32 s1, s1, s22
	s_add_i32 s15, s15, s1
	s_mul_i32 s0, s0, s22
	s_mul_hi_u32 s23, s11, s0
	s_mul_i32 s24, s11, s0
	s_mul_i32 s26, s22, s15
	s_mul_hi_u32 s0, s22, s0
	s_mul_hi_u32 s25, s22, s15
	s_add_u32 s0, s0, s26
	s_addc_u32 s22, 0, s25
	s_add_u32 s0, s0, s24
	s_mul_hi_u32 s1, s11, s15
	s_addc_u32 s0, s22, s23
	s_addc_u32 s1, s1, 0
	s_mul_i32 s15, s11, s15
	s_add_u32 s0, s0, s15
	s_addc_u32 s1, 0, s1
	v_add_co_u32_e32 v1, vcc, s0, v1
	s_cmp_lg_u64 vcc, 0
	s_addc_u32 s0, s11, s1
	v_readfirstlane_b32 s15, v1
	s_mul_i32 s11, s18, s0
	s_mul_hi_u32 s22, s18, s15
	s_mul_hi_u32 s1, s18, s0
	s_add_u32 s11, s22, s11
	s_addc_u32 s1, 0, s1
	s_mul_hi_u32 s23, s19, s15
	s_mul_i32 s15, s19, s15
	s_add_u32 s11, s11, s15
	s_mul_hi_u32 s22, s19, s0
	s_addc_u32 s1, s1, s23
	s_addc_u32 s11, s22, 0
	s_mul_i32 s0, s19, s0
	s_add_u32 s15, s1, s0
	s_addc_u32 s11, 0, s11
	s_mul_i32 s0, s20, s11
	s_mul_hi_u32 s1, s20, s15
	s_add_i32 s0, s1, s0
	s_mul_i32 s1, s21, s15
	s_add_i32 s22, s0, s1
	s_mul_i32 s1, s20, s15
	v_mov_b32_e32 v1, s1
	s_sub_i32 s0, s19, s22
	v_sub_co_u32_e32 v1, vcc, s18, v1
	s_cmp_lg_u64 vcc, 0
	s_subb_u32 s23, s0, s21
	v_subrev_co_u32_e64 v2, s[0:1], s20, v1
	s_cmp_lg_u64 s[0:1], 0
	s_subb_u32 s0, s23, 0
	s_cmp_ge_u32 s0, s21
	v_readfirstlane_b32 s23, v2
	s_cselect_b32 s1, -1, 0
	s_cmp_ge_u32 s23, s20
	s_cselect_b32 s23, -1, 0
	s_cmp_eq_u32 s0, s21
	s_cselect_b32 s0, s23, s1
	s_add_u32 s1, s15, 1
	s_addc_u32 s23, s11, 0
	s_add_u32 s24, s15, 2
	s_addc_u32 s25, s11, 0
	s_cmp_lg_u32 s0, 0
	s_cselect_b32 s0, s24, s1
	s_cselect_b32 s1, s25, s23
	s_cmp_lg_u64 vcc, 0
	s_subb_u32 s22, s19, s22
	s_cmp_ge_u32 s22, s21
	v_readfirstlane_b32 s24, v1
	s_cselect_b32 s23, -1, 0
	s_cmp_ge_u32 s24, s20
	s_cselect_b32 s24, -1, 0
	s_cmp_eq_u32 s22, s21
	s_cselect_b32 s22, s24, s23
	s_cmp_lg_u32 s22, 0
	s_cselect_b32 s65, s1, s11
	s_cselect_b32 s64, s0, s15
	s_cbranch_execnz .LBB135_14
.LBB135_13:                             ;   in Loop: Header=BB135_11 Depth=1
	v_cvt_f32_u32_e32 v1, s20
	s_sub_i32 s0, 0, s20
	s_mov_b32 s65, s14
	v_rcp_iflag_f32_e32 v1, v1
	v_mul_f32_e32 v1, 0x4f7ffffe, v1
	v_cvt_u32_f32_e32 v1, v1
	v_readfirstlane_b32 s1, v1
	s_mul_i32 s0, s0, s1
	s_mul_hi_u32 s0, s1, s0
	s_add_i32 s1, s1, s0
	s_mul_hi_u32 s0, s18, s1
	s_mul_i32 s11, s0, s20
	s_sub_i32 s11, s18, s11
	s_add_i32 s1, s0, 1
	s_sub_i32 s15, s11, s20
	s_cmp_ge_u32 s11, s20
	s_cselect_b32 s0, s1, s0
	s_cselect_b32 s11, s15, s11
	s_add_i32 s1, s0, 1
	s_cmp_ge_u32 s11, s20
	s_cselect_b32 s64, s1, s0
.LBB135_14:                             ;   in Loop: Header=BB135_11 Depth=1
	s_mul_i32 s0, s64, s21
	s_mul_hi_u32 s1, s64, s20
	s_add_i32 s11, s1, s0
	s_load_dwordx2 s[0:1], s[16:17], 0xc8
	s_mul_i32 s15, s65, s20
	s_add_i32 s11, s11, s15
	s_mul_i32 s15, s64, s20
	s_sub_u32 s15, s18, s15
	s_subb_u32 s11, s19, s11
	s_waitcnt lgkmcnt(0)
	s_mul_i32 s11, s0, s11
	s_mul_hi_u32 s18, s0, s15
	s_add_i32 s11, s18, s11
	s_mul_i32 s1, s1, s15
	s_add_i32 s11, s11, s1
	s_mul_i32 s0, s0, s15
	s_add_u32 s58, s0, s58
	s_addc_u32 s59, s11, s59
	s_add_i32 s7, s7, -1
	s_add_u32 s16, s16, -8
	s_addc_u32 s17, s17, -1
	s_cmp_gt_u32 s7, 2
	s_cbranch_scc0 .LBB135_17
; %bb.15:                               ;   in Loop: Header=BB135_11 Depth=1
	s_mov_b64 s[18:19], s[64:65]
	s_branch .LBB135_11
.LBB135_16:                             ;   in Loop: Header=BB135_11 Depth=1
                                        ; implicit-def: $sgpr64_sgpr65
	s_branch .LBB135_13
.LBB135_17:
	s_load_dword s11, s[4:5], 0x4d8
	s_load_dwordx2 s[0:1], s[8:9], 0xd0
                                        ; kill: killed $sgpr8 killed $sgpr9
	s_mov_b64 s[8:9], 0
	s_waitcnt lgkmcnt(0)
	v_writelane_b32 v54, s0, 6
	v_writelane_b32 v54, s1, 7
	s_add_u32 s0, s4, 0x340
	s_addc_u32 s1, s5, 0
	s_cmp_lt_i32 s11, 2
	s_cbranch_scc1 .LBB135_25
; %bb.18:
	s_mov_b32 s14, 0
	s_add_i32 s8, s11, -1
	s_mov_b32 s9, s14
	s_add_i32 s7, s11, 1
	s_lshl_b64 s[8:9], s[8:9], 3
	s_add_u32 s0, s8, s0
	s_addc_u32 s1, s9, s1
	s_add_u32 s16, s0, 8
	s_addc_u32 s17, s1, 0
	s_mov_b64 s[8:9], 0
.LBB135_19:                             ; =>This Inner Loop Header: Depth=1
	s_load_dwordx2 s[18:19], s[16:17], 0x0
	s_waitcnt lgkmcnt(0)
	s_or_b64 s[0:1], s[2:3], s[18:19]
	s_mov_b32 s15, s1
	s_cmp_lg_u64 s[14:15], 0
	s_cbranch_scc0 .LBB135_24
; %bb.20:                               ;   in Loop: Header=BB135_19 Depth=1
	v_cvt_f32_u32_e32 v1, s18
	v_cvt_f32_u32_e32 v2, s19
	s_sub_u32 s0, 0, s18
	s_subb_u32 s1, 0, s19
	v_mac_f32_e32 v1, 0x4f800000, v2
	v_rcp_f32_e32 v1, v1
	v_mul_f32_e32 v1, 0x5f7ffffc, v1
	v_mul_f32_e32 v2, 0x2f800000, v1
	v_trunc_f32_e32 v2, v2
	v_mac_f32_e32 v1, 0xcf800000, v2
	v_cvt_u32_f32_e32 v2, v2
	v_cvt_u32_f32_e32 v1, v1
	v_readfirstlane_b32 s11, v2
	v_readfirstlane_b32 s15, v1
	s_mul_i32 s20, s0, s11
	s_mul_hi_u32 s22, s0, s15
	s_mul_i32 s21, s1, s15
	s_add_i32 s20, s22, s20
	s_mul_i32 s23, s0, s15
	s_add_i32 s20, s20, s21
	s_mul_hi_u32 s21, s15, s20
	s_mul_i32 s22, s15, s20
	s_mul_hi_u32 s15, s15, s23
	s_add_u32 s15, s15, s22
	s_addc_u32 s21, 0, s21
	s_mul_hi_u32 s24, s11, s23
	s_mul_i32 s23, s11, s23
	s_add_u32 s15, s15, s23
	s_mul_hi_u32 s22, s11, s20
	s_addc_u32 s15, s21, s24
	s_addc_u32 s21, s22, 0
	s_mul_i32 s20, s11, s20
	s_add_u32 s15, s15, s20
	s_addc_u32 s20, 0, s21
	v_add_co_u32_e32 v1, vcc, s15, v1
	s_cmp_lg_u64 vcc, 0
	s_addc_u32 s11, s11, s20
	v_readfirstlane_b32 s20, v1
	s_mul_i32 s15, s0, s11
	s_mul_hi_u32 s21, s0, s20
	s_add_i32 s15, s21, s15
	s_mul_i32 s1, s1, s20
	s_add_i32 s15, s15, s1
	s_mul_i32 s0, s0, s20
	s_mul_hi_u32 s21, s11, s0
	s_mul_i32 s22, s11, s0
	s_mul_i32 s24, s20, s15
	s_mul_hi_u32 s0, s20, s0
	s_mul_hi_u32 s23, s20, s15
	s_add_u32 s0, s0, s24
	s_addc_u32 s20, 0, s23
	s_add_u32 s0, s0, s22
	s_mul_hi_u32 s1, s11, s15
	s_addc_u32 s0, s20, s21
	s_addc_u32 s1, s1, 0
	s_mul_i32 s15, s11, s15
	s_add_u32 s0, s0, s15
	s_addc_u32 s1, 0, s1
	v_add_co_u32_e32 v1, vcc, s0, v1
	s_cmp_lg_u64 vcc, 0
	s_addc_u32 s0, s11, s1
	v_readfirstlane_b32 s15, v1
	s_mul_i32 s11, s2, s0
	s_mul_hi_u32 s20, s2, s15
	s_mul_hi_u32 s1, s2, s0
	s_add_u32 s11, s20, s11
	s_addc_u32 s1, 0, s1
	s_mul_hi_u32 s21, s3, s15
	s_mul_i32 s15, s3, s15
	s_add_u32 s11, s11, s15
	s_mul_hi_u32 s20, s3, s0
	s_addc_u32 s1, s1, s21
	s_addc_u32 s11, s20, 0
	s_mul_i32 s0, s3, s0
	s_add_u32 s15, s1, s0
	s_addc_u32 s11, 0, s11
	s_mul_i32 s0, s18, s11
	s_mul_hi_u32 s1, s18, s15
	s_add_i32 s0, s1, s0
	s_mul_i32 s1, s19, s15
	s_add_i32 s20, s0, s1
	s_mul_i32 s1, s18, s15
	v_mov_b32_e32 v1, s1
	s_sub_i32 s0, s3, s20
	v_sub_co_u32_e32 v1, vcc, s2, v1
	s_cmp_lg_u64 vcc, 0
	s_subb_u32 s21, s0, s19
	v_subrev_co_u32_e64 v2, s[0:1], s18, v1
	s_cmp_lg_u64 s[0:1], 0
	s_subb_u32 s0, s21, 0
	s_cmp_ge_u32 s0, s19
	v_readfirstlane_b32 s21, v2
	s_cselect_b32 s1, -1, 0
	s_cmp_ge_u32 s21, s18
	s_cselect_b32 s21, -1, 0
	s_cmp_eq_u32 s0, s19
	s_cselect_b32 s0, s21, s1
	s_add_u32 s1, s15, 1
	s_addc_u32 s21, s11, 0
	s_add_u32 s22, s15, 2
	s_addc_u32 s23, s11, 0
	s_cmp_lg_u32 s0, 0
	s_cselect_b32 s0, s22, s1
	s_cselect_b32 s1, s23, s21
	s_cmp_lg_u64 vcc, 0
	s_subb_u32 s20, s3, s20
	s_cmp_ge_u32 s20, s19
	v_readfirstlane_b32 s22, v1
	s_cselect_b32 s21, -1, 0
	s_cmp_ge_u32 s22, s18
	s_cselect_b32 s22, -1, 0
	s_cmp_eq_u32 s20, s19
	s_cselect_b32 s20, s22, s21
	s_cmp_lg_u32 s20, 0
	s_cselect_b32 s21, s1, s11
	s_cselect_b32 s20, s0, s15
	s_cbranch_execnz .LBB135_22
.LBB135_21:                             ;   in Loop: Header=BB135_19 Depth=1
	v_cvt_f32_u32_e32 v1, s18
	s_sub_i32 s0, 0, s18
	s_mov_b32 s21, s14
	v_rcp_iflag_f32_e32 v1, v1
	v_mul_f32_e32 v1, 0x4f7ffffe, v1
	v_cvt_u32_f32_e32 v1, v1
	v_readfirstlane_b32 s1, v1
	s_mul_i32 s0, s0, s1
	s_mul_hi_u32 s0, s1, s0
	s_add_i32 s1, s1, s0
	s_mul_hi_u32 s0, s2, s1
	s_mul_i32 s11, s0, s18
	s_sub_i32 s11, s2, s11
	s_add_i32 s1, s0, 1
	s_sub_i32 s15, s11, s18
	s_cmp_ge_u32 s11, s18
	s_cselect_b32 s0, s1, s0
	s_cselect_b32 s11, s15, s11
	s_add_i32 s1, s0, 1
	s_cmp_ge_u32 s11, s18
	s_cselect_b32 s20, s1, s0
.LBB135_22:                             ;   in Loop: Header=BB135_19 Depth=1
	s_mul_i32 s0, s20, s19
	s_mul_hi_u32 s1, s20, s18
	s_add_i32 s11, s1, s0
	s_load_dwordx2 s[0:1], s[16:17], 0xc8
	s_mul_i32 s15, s21, s18
	s_add_i32 s11, s11, s15
	s_mul_i32 s15, s20, s18
	s_sub_u32 s2, s2, s15
	s_subb_u32 s3, s3, s11
	s_waitcnt lgkmcnt(0)
	s_mul_i32 s3, s0, s3
	s_mul_hi_u32 s11, s0, s2
	s_add_i32 s3, s11, s3
	s_mul_i32 s1, s1, s2
	s_add_i32 s3, s3, s1
	s_mul_i32 s0, s0, s2
	s_add_u32 s8, s0, s8
	s_addc_u32 s9, s3, s9
	s_add_i32 s7, s7, -1
	s_add_u32 s16, s16, -8
	s_addc_u32 s17, s17, -1
	s_cmp_gt_u32 s7, 2
	s_cbranch_scc0 .LBB135_26
; %bb.23:                               ;   in Loop: Header=BB135_19 Depth=1
	s_mov_b64 s[2:3], s[20:21]
	s_branch .LBB135_19
.LBB135_24:                             ;   in Loop: Header=BB135_19 Depth=1
                                        ; implicit-def: $sgpr20_sgpr21
	s_branch .LBB135_21
.LBB135_25:
	s_mov_b64 s[20:21], s[2:3]
.LBB135_26:
	s_load_dwordx2 s[2:3], s[4:5], 0x410
	s_load_dwordx2 s[0:1], s[4:5], 0x0
	v_mov_b32_e32 v1, 0
	v_pk_mov_b32 v[2:3], 0, 0
	v_cmp_gt_u64_e64 s[16:17], s[52:53], v[0:1]
	s_waitcnt lgkmcnt(0)
	s_mul_i32 s7, s2, s21
	v_writelane_b32 v54, s0, 8
	v_writelane_b32 v54, s1, 9
	s_load_dwordx2 s[0:1], s[4:5], 0x1a0
	s_mul_hi_u32 s11, s2, s20
	s_add_i32 s7, s11, s7
	s_mul_i32 s3, s3, s20
	s_add_i32 s3, s7, s3
	s_waitcnt lgkmcnt(0)
	v_writelane_b32 v54, s0, 10
	v_writelane_b32 v54, s1, 11
	s_load_dwordx2 s[0:1], s[4:5], 0x340
	s_mul_i32 s2, s2, s20
	s_mov_b64 s[14:15], exec
	v_writelane_b32 v54, s16, 12
	v_writelane_b32 v54, s17, 13
	s_and_b64 s[16:17], s[14:15], s[16:17]
	s_mov_b64 exec, s[16:17]
	s_cbranch_execz .LBB135_30
; %bb.27:
	s_load_dword s7, s[12:13], 0xc
	v_mad_u64_u32 v[2:3], s[18:19], s56, v0, 0
	v_mov_b32_e32 v4, v3
	v_mad_u64_u32 v[4:5], s[18:19], s57, v0, v[4:5]
	s_lshl_b64 s[16:17], s[2:3], 1
	s_waitcnt lgkmcnt(0)
	s_and_b32 s7, s7, 0xffff
	s_lshl_b64 s[18:19], s[8:9], 1
	s_add_u32 s18, s0, s18
	s_addc_u32 s19, s1, s19
	v_mov_b32_e32 v3, v4
	s_add_u32 s16, s18, s16
	v_lshlrev_b64 v[2:3], 1, v[2:3]
	s_addc_u32 s17, s19, s17
	v_mov_b32_e32 v5, s17
	v_add_co_u32_e32 v4, vcc, s16, v2
	s_mul_i32 s16, s57, s7
	s_mul_hi_u32 s17, s56, s7
	s_add_i32 s17, s17, s16
	s_mul_i32 s16, s56, s7
	s_mov_b32 s11, 0
	s_lshl_b64 s[18:19], s[16:17], 1
	v_addc_co_u32_e32 v5, vcc, v5, v3, vcc
	s_mov_b64 s[16:17], 0
	v_pk_mov_b32 v[2:3], 0, 0
	v_mov_b32_e32 v8, s11
	v_mov_b32_e32 v9, s19
	v_pk_mov_b32 v[6:7], v[0:1], v[0:1] op_sel:[0,1]
.LBB135_28:                             ; =>This Inner Loop Header: Depth=1
	global_load_ushort v10, v[4:5], off
	v_add_co_u32_e32 v6, vcc, s7, v6
	v_addc_co_u32_e32 v7, vcc, v7, v8, vcc
	v_add_co_u32_e32 v4, vcc, s18, v4
	v_addc_co_u32_e32 v5, vcc, v5, v9, vcc
	v_cmp_le_u64_e32 vcc, s[52:53], v[6:7]
	s_or_b64 s[16:17], vcc, s[16:17]
	s_waitcnt vmcnt(0)
	v_cmp_u_f16_e32 vcc, v10, v10
	v_cndmask_b32_e64 v10, 0, 1, vcc
	v_add_co_u32_e32 v2, vcc, v2, v10
	v_addc_co_u32_e32 v3, vcc, 0, v3, vcc
	s_andn2_b64 exec, exec, s[16:17]
	s_cbranch_execnz .LBB135_28
; %bb.29:
	s_or_b64 exec, exec, s[16:17]
.LBB135_30:
	s_or_b64 exec, exec, s[14:15]
	v_cmp_eq_u32_e64 s[16:17], 0, v0
	s_mov_b64 s[14:15], exec
	v_writelane_b32 v54, s16, 14
	v_writelane_b32 v54, s17, 15
	s_and_b64 s[16:17], s[14:15], s[16:17]
	s_mov_b64 exec, s[16:17]
	s_cbranch_execz .LBB135_32
; %bb.31:
	v_mov_b32_e32 v4, 0
	v_mov_b32_e32 v5, v4
	ds_write_b64 v4, v[4:5] offset:5136
.LBB135_32:
	s_or_b64 exec, exec, s[14:15]
	s_mov_b64 s[16:17], 0
	v_cmp_ne_u64_e32 vcc, 0, v[2:3]
	s_waitcnt lgkmcnt(0)
	s_barrier
	s_and_saveexec_b64 s[14:15], vcc
	s_cbranch_execz .LBB135_37
; %bb.33:
	s_mov_b64 s[18:19], exec
.LBB135_34:                             ; =>This Inner Loop Header: Depth=1
	s_ff1_i32_b64 s7, s[18:19]
	v_readlane_b32 s20, v2, s7
	v_readlane_b32 s11, v3, s7
	s_add_u32 s16, s16, s20
	s_addc_u32 s17, s17, s11
	s_lshl_b64 s[20:21], 1, s7
	s_andn2_b64 s[18:19], s[18:19], s[20:21]
	s_cmp_lg_u64 s[18:19], 0
	s_cbranch_scc1 .LBB135_34
; %bb.35:
	v_mbcnt_lo_u32_b32 v2, exec_lo, 0
	v_mbcnt_hi_u32_b32 v2, exec_hi, v2
	v_cmp_eq_u32_e32 vcc, 0, v2
	s_and_saveexec_b64 s[18:19], vcc
	s_xor_b64 s[18:19], exec, s[18:19]
	s_cbranch_execz .LBB135_37
; %bb.36:
	v_mov_b32_e32 v4, 0
	v_pk_mov_b32 v[2:3], s[16:17], s[16:17] op_sel:[0,1]
	ds_add_u64 v4, v[2:3] offset:5136
.LBB135_37:
	s_or_b64 exec, exec, s[14:15]
	v_mov_b32_e32 v11, 0
	s_waitcnt lgkmcnt(0)
	s_barrier
	ds_read_b64 v[2:3], v11 offset:5136
	s_waitcnt lgkmcnt(0)
	v_readfirstlane_b32 s14, v2
	v_readfirstlane_b32 s15, v3
	s_mov_b64 s[16:17], exec
	v_readlane_b32 s18, v54, 14
	v_readlane_b32 s19, v54, 15
	s_and_b64 s[18:19], s[16:17], s[18:19]
	s_mov_b64 exec, s[18:19]
	s_cbranch_execz .LBB135_39
; %bb.38:
	v_mov_b32_e32 v2, 0
	v_mov_b32_e32 v4, s52
	;; [unrolled: 1-line block ×4, first 2 shown]
	ds_write_b32 v2, v2 offset:5144
	ds_write_b128 v2, v[2:5] offset:5120
.LBB135_39:
	s_or_b64 exec, exec, s[16:17]
	s_load_dword s7, s[4:5], 0x4f8
	v_cmp_lt_i64_e64 s[4:5], s[14:15], 1
	s_waitcnt lgkmcnt(0)
	s_barrier
	s_bitcmp1_b32 s7, 0
	s_cselect_b64 s[16:17], -1, 0
	s_not_b64 s[14:15], s[14:15]
	s_or_b64 s[4:5], s[16:17], s[4:5]
	s_add_u32 s14, s14, s52
	s_addc_u32 s15, s15, s53
	s_lshr_b64 s[14:15], s[14:15], 1
	s_add_u32 s7, s14, 1
	s_addc_u32 s11, s15, 0
	s_and_b64 s[4:5], s[4:5], exec
	s_cselect_b32 s51, s11, s53
	s_cselect_b32 s50, s7, s52
	s_lshl_b64 s[2:3], s[2:3], 1
	s_lshl_b64 s[74:75], s[8:9], 1
	s_add_u32 s14, s0, s2
	v_mbcnt_lo_u32_b32 v2, -1, 0
	s_load_dword s7, s[12:13], 0xc
	s_addc_u32 s15, s1, s3
	v_mbcnt_hi_u32_b32 v40, -1, v2
	v_cmp_gt_u32_e64 s[4:5], 2, v0
	v_mov_b32_e32 v2, 0x600
	s_add_u32 s91, s14, s74
	v_cmp_gt_u32_e32 vcc, 64, v0
	v_cmp_gt_i32_e64 s[8:9], 4, v40
	v_writelane_b32 v54, s4, 16
	v_mov_b32_e32 v3, 0
	s_addc_u32 s87, s15, s75
	s_and_b64 s[48:49], vcc, s[8:9]
	v_writelane_b32 v54, s5, 17
	v_cmp_gt_u64_e64 s[4:5], s[52:53], v[2:3]
	v_mad_u64_u32 v[2:3], s[8:9], v0, s56, 0
	v_writelane_b32 v54, s4, 18
	v_mov_b32_e32 v4, v3
	v_writelane_b32 v54, s5, 19
	v_mad_u64_u32 v[4:5], s[8:9], v0, s57, v[4:5]
	s_waitcnt lgkmcnt(0)
	v_cmp_gt_u16_e64 s[4:5], s7, 63
	s_and_b32 s33, s7, 0xffff
	s_bfe_u32 s8, s7, 0xa0006
	v_writelane_b32 v54, s4, 20
	v_writelane_b32 v54, s5, 21
	s_add_u32 s4, s33, -1
	s_addc_u32 s5, 0, -1
	v_writelane_b32 v54, s4, 22
	s_add_u32 s4, s4, s52
	s_addc_u32 s69, s5, s53
	s_cmp_lt_u32 s6, s10
	s_cselect_b32 s6, 12, 18
	s_add_u32 s78, s12, s6
	s_addc_u32 s79, s13, 0
	s_add_i32 s6, s8, -1
	s_bfe_u32 s7, s33, 0x30006
	v_mov_b32_e32 v3, v4
	v_writelane_b32 v54, s4, 23
	s_cmp_gt_u32 s6, 6
	v_lshlrev_b64 v[4:5], 1, v[2:3]
	v_writelane_b32 v54, s5, 24
	s_cselect_b64 s[4:5], -1, 0
	v_mov_b32_e32 v6, s87
	v_add_co_u32_e32 v16, vcc, s91, v4
	v_writelane_b32 v54, s4, 25
	s_and_b32 s92, s8, 0x3f8
	v_addc_co_u32_e32 v17, vcc, v6, v5, vcc
	v_lshrrev_b32_e32 v6, 4, v0
	v_writelane_b32 v54, s5, 26
	s_cmp_lg_u32 s7, 0
	v_and_b32_e32 v43, 60, v6
	v_lshlrev_b32_e32 v6, 2, v40
	v_writelane_b32 v54, s7, 27
	s_cselect_b64 s[4:5], -1, 0
	s_add_u32 s6, s2, s74
	v_and_b32_e32 v44, 0x100, v6
	v_lshlrev_b64 v[6:7], v40, -1
	v_writelane_b32 v54, s4, 28
	s_addc_u32 s7, s3, s75
	v_lshlrev_b32_e32 v45, 3, v0
	v_not_b32_e32 v19, v7
	v_not_b32_e32 v18, v6
	v_writelane_b32 v54, s5, 29
	s_add_u32 s4, s0, s6
	v_or_b32_e32 v9, 6, v45
	v_pk_mov_b32 v[6:7], s[14:15], s[14:15] op_sel:[0,1]
	s_addc_u32 s5, s1, s7
	v_mad_u64_u32 v[20:21], s[6:7], s56, v9, v[6:7]
	v_mov_b32_e32 v8, v21
	v_writelane_b32 v54, s4, 30
	v_mad_u64_u32 v[8:9], s[6:7], s57, v9, v[8:9]
	v_writelane_b32 v54, s5, 31
	s_lshl_b64 s[4:5], s[56:57], 1
	v_or_b32_e32 v9, 4, v45
	v_writelane_b32 v54, s4, 32
	v_mad_u64_u32 v[22:23], s[6:7], s56, v9, v[6:7]
	v_writelane_b32 v54, s5, 33
	v_mov_b32_e32 v21, v8
	s_lshl_b64 s[4:5], s[56:57], 3
	v_mov_b32_e32 v8, v23
	v_writelane_b32 v54, s4, 34
	v_mad_u64_u32 v[8:9], s[6:7], s57, v9, v[8:9]
	v_cmp_eq_u32_e64 s[46:47], 0, v40
	v_writelane_b32 v54, s5, 35
	v_mov_b32_e32 v23, v8
	v_or_b32_e32 v8, 2, v45
	v_mad_u64_u32 v[24:25], s[6:7], s56, v8, v[6:7]
	s_lshl_b32 s80, s33, 1
	v_writelane_b32 v54, s46, 36
	v_mov_b32_e32 v6, v25
	s_add_u32 s0, s0, s74
	v_writelane_b32 v54, s47, 37
	v_mad_u64_u32 v[6:7], s[6:7], s57, v8, v[6:7]
	v_lshlrev_b64 v[2:3], 3, v[2:3]
	s_addc_u32 s1, s1, s75
	v_writelane_b32 v54, s48, 38
	v_mov_b32_e32 v25, v6
	v_mov_b32_e32 v6, s15
	v_add_co_u32_e32 v26, vcc, s14, v2
	s_add_u32 s0, s0, s2
	v_writelane_b32 v54, s49, 39
	v_addc_co_u32_e32 v27, vcc, v6, v3, vcc
	v_mov_b32_e32 v2, 0xc00
	s_addc_u32 s1, s1, s3
	v_writelane_b32 v54, s78, 40
	v_lshl_or_b32 v46, v40, 3, v2
	v_mov_b32_e32 v2, s1
	v_add_co_u32_e32 v12, vcc, s0, v4
	s_mul_i32 s0, s57, s33
	s_mul_hi_u32 s1, s56, s33
	v_writelane_b32 v54, s79, 41
	s_mov_b32 s77, 0
	v_lshlrev_b32_e32 v41, 1, v0
	s_add_i32 s1, s1, s0
	s_mul_i32 s0, s56, s33
	v_writelane_b32 v54, s91, 42
	v_mov_b32_e32 v15, 0
	v_add_u32_e32 v42, 0xc00, v41
	v_lshlrev_b32_e32 v14, 2, v0
	s_mov_b32 s86, s77
	v_addc_co_u32_e32 v13, vcc, v2, v5, vcc
	s_lshl_b64 s[72:73], s[0:1], 1
	s_mov_b32 s94, 14
	s_mov_b64 s[66:67], 0
	s_movk_i32 s90, 0x3c00
	v_mov_b32_e32 v47, 0xffff
	v_mov_b32_e32 v48, 0x8000
	;; [unrolled: 1-line block ×3, first 2 shown]
	v_mov_b32_e32 v50, -1
	v_mov_b32_e32 v51, 0x5040100
	v_mov_b32_e32 v52, 0
	s_mov_b32 s93, 0
	s_mov_b32 s60, 0
	s_mov_b32 s81, 0
	v_writelane_b32 v54, s92, 43
                                        ; implicit-def: $sgpr36_sgpr37
                                        ; implicit-def: $sgpr42_sgpr43
                                        ; implicit-def: $sgpr88_sgpr89
                                        ; implicit-def: $sgpr40_sgpr41
                                        ; implicit-def: $sgpr34_sgpr35
                                        ; implicit-def: $sgpr54_sgpr55
	v_writelane_b32 v54, s87, 44
	s_branch .LBB135_44
.LBB135_40:                             ;   in Loop: Header=BB135_44 Depth=1
	s_xor_b32 s93, s93, 1
	s_add_i32 s10, s94, -2
	s_cmp_eq_u32 s94, 0
	s_mov_b64 s[2:3], 0
	s_cselect_b64 s[6:7], -1, 0
	s_mov_b32 s94, s10
.LBB135_41:                             ;   in Loop: Header=BB135_44 Depth=1
	s_andn2_b64 s[10:11], s[20:21], exec
	s_and_b64 s[2:3], s[2:3], exec
	s_or_b64 s[20:21], s[10:11], s[2:3]
	s_andn2_b64 s[22:23], s[22:23], exec
	s_andn2_b64 s[18:19], s[18:19], exec
	s_orn2_b64 s[14:15], s[6:7], exec
.LBB135_42:                             ;   in Loop: Header=BB135_44 Depth=1
	s_or_b64 exec, exec, s[0:1]
	s_andn2_b64 s[0:1], s[54:55], exec
	s_and_b64 s[2:3], s[20:21], exec
	s_or_b64 s[54:55], s[0:1], s[2:3]
	s_andn2_b64 s[0:1], s[34:35], exec
	s_and_b64 s[2:3], s[22:23], exec
	s_or_b64 s[34:35], s[0:1], s[2:3]
	;; [unrolled: 3-line block ×3, first 2 shown]
	s_orn2_b64 s[14:15], s[14:15], exec
.LBB135_43:                             ;   in Loop: Header=BB135_44 Depth=1
	s_or_b64 exec, exec, s[12:13]
	s_and_b64 s[0:1], exec, s[14:15]
	s_or_b64 s[66:67], s[0:1], s[66:67]
	s_andn2_b64 s[0:1], s[88:89], exec
	s_and_b64 s[2:3], s[54:55], exec
	s_or_b64 s[88:89], s[0:1], s[2:3]
	s_andn2_b64 s[0:1], s[42:43], exec
	s_and_b64 s[2:3], s[34:35], exec
	;; [unrolled: 3-line block ×3, first 2 shown]
	v_mov_b32_e32 v2, s60
	s_or_b64 s[36:37], s[0:1], s[2:3]
	s_andn2_b64 exec, exec, s[66:67]
	s_cbranch_execz .LBB135_310
.LBB135_44:                             ; =>This Loop Header: Depth=1
                                        ;     Child Loop BB135_49 Depth 2
                                        ;     Child Loop BB135_64 Depth 2
	;; [unrolled: 1-line block ×16, first 2 shown]
	ds_read_b128 v[2:5], v11 offset:5120
	s_waitcnt lgkmcnt(0)
	v_readfirstlane_b32 s1, v3
	v_readfirstlane_b32 s0, v2
	s_cmp_lg_u64 s[0:1], 0
	s_cbranch_scc1 .LBB135_71
; %bb.45:                               ;   in Loop: Header=BB135_44 Depth=1
	v_readlane_b32 s0, v54, 18
	v_readlane_b32 s1, v54, 19
	s_and_b64 vcc, exec, s[0:1]
	s_cbranch_vccz .LBB135_57
; %bb.46:                               ;   in Loop: Header=BB135_44 Depth=1
	s_mov_b64 s[0:1], 0x601
	v_cmp_gt_u64_e32 vcc, s[0:1], v[4:5]
	s_mov_b64 s[0:1], 0
	s_mov_b64 s[2:3], 0
	s_cbranch_vccz .LBB135_58
; %bb.47:                               ;   in Loop: Header=BB135_44 Depth=1
	global_load_ushort v6, v11, s[78:79]
	global_load_ushort v7, v[16:17], off
	v_readlane_b32 s2, v54, 30
	v_readlane_b32 s3, v54, 31
	;; [unrolled: 1-line block ×3, first 2 shown]
	v_pk_mov_b32 v[2:3], s[2:3], s[2:3] op_sel:[0,1]
	v_readlane_b32 s5, v54, 33
	s_mov_b64 s[2:3], 0
	s_waitcnt vmcnt(1)
	v_readfirstlane_b32 s6, v6
	s_and_b32 s6, 0xffff, s6
	v_add_u32_e32 v5, s6, v0
	s_mul_i32 s10, s5, s6
	s_mul_hi_u32 s11, s4, s6
	s_mul_i32 s18, s4, s6
	v_mad_u64_u32 v[2:3], s[6:7], s4, v5, v[2:3]
	v_mov_b32_e32 v4, v3
	v_mad_u64_u32 v[4:5], s[6:7], s5, v5, v[4:5]
	s_add_i32 s19, s11, s10
	v_mov_b32_e32 v3, v4
	v_pk_mov_b32 v[4:5], v[0:1], v[0:1] op_sel:[0,1]
	s_branch .LBB135_49
.LBB135_48:                             ;   in Loop: Header=BB135_49 Depth=2
	s_or_b64 exec, exec, s[6:7]
	v_mov_b32_e32 v7, s19
	v_add_co_u32_e32 v2, vcc, s18, v2
	v_addc_co_u32_e32 v3, vcc, v3, v7, vcc
	v_mov_b32_e32 v7, v8
	s_andn2_b64 exec, exec, s[2:3]
	s_cbranch_execz .LBB135_174
.LBB135_49:                             ;   Parent Loop BB135_44 Depth=1
                                        ; =>  This Inner Loop Header: Depth=2
	v_add_co_u32_sdwa v4, vcc, v4, v6 dst_sel:DWORD dst_unused:UNUSED_PAD src0_sel:DWORD src1_sel:WORD_0
	v_addc_co_u32_e32 v5, vcc, 0, v5, vcc
	v_cmp_gt_u64_e64 s[6:7], s[52:53], v[4:5]
	v_cmp_le_u64_e32 vcc, s[52:53], v[4:5]
	s_waitcnt lgkmcnt(0)
	v_mov_b32_e32 v9, 0
	v_mov_b32_e32 v8, 0
	s_and_saveexec_b64 s[10:11], s[6:7]
	s_cbranch_execz .LBB135_51
; %bb.50:                               ;   in Loop: Header=BB135_49 Depth=2
	global_load_ushort v8, v[2:3], off
.LBB135_51:                             ;   in Loop: Header=BB135_49 Depth=2
	s_or_b64 exec, exec, s[10:11]
	s_waitcnt vmcnt(0)
	v_cmp_lt_i16_e64 s[6:7], -1, v7
	v_cndmask_b32_e64 v10, v47, v48, s[6:7]
	v_xor_b32_sdwa v10, v10, v7 dst_sel:DWORD dst_unused:UNUSED_PAD src0_sel:DWORD src1_sel:WORD_0
	v_cmp_o_f16_e64 s[6:7], v7, v7
	v_cndmask_b32_e64 v10, v47, v10, s[6:7]
	v_and_b32_e32 v10, s81, v10
	v_cmp_eq_u32_e64 s[10:11], s60, v10
	s_cmp_lg_u64 s[10:11], 0
	s_cselect_b64 s[6:7], -1, 0
	s_and_b64 s[6:7], s[46:47], s[6:7]
	s_and_saveexec_b64 s[12:13], s[6:7]
	s_cbranch_execz .LBB135_55
; %bb.52:                               ;   in Loop: Header=BB135_49 Depth=2
	s_mov_b64 s[16:17], exec
	v_mbcnt_lo_u32_b32 v9, s16, 0
	v_mbcnt_hi_u32_b32 v9, s17, v9
	s_bcnt1_i32_b64 s20, s[10:11]
	v_cmp_eq_u32_e64 s[6:7], 0, v9
                                        ; implicit-def: $vgpr10
	s_and_saveexec_b64 s[14:15], s[6:7]
	s_cbranch_execz .LBB135_54
; %bb.53:                               ;   in Loop: Header=BB135_49 Depth=2
	s_bcnt1_i32_b64 s6, s[16:17]
	s_mul_i32 s6, s20, s6
	v_mov_b32_e32 v10, s6
	ds_add_rtn_u32 v10, v11, v10 offset:5144
.LBB135_54:                             ;   in Loop: Header=BB135_49 Depth=2
	s_or_b64 exec, exec, s[14:15]
	s_waitcnt lgkmcnt(0)
	v_readfirstlane_b32 s6, v10
	v_mov_b32_e32 v10, s6
	v_mad_u32_u24 v9, s20, v9, v10
.LBB135_55:                             ;   in Loop: Header=BB135_49 Depth=2
	s_or_b64 exec, exec, s[12:13]
	ds_bpermute_b32 v9, v44, v9
	s_and_b64 s[6:7], exec, vcc
	s_or_b64 s[2:3], s[6:7], s[2:3]
	s_and_saveexec_b64 s[6:7], s[10:11]
	s_cbranch_execz .LBB135_48
; %bb.56:                               ;   in Loop: Header=BB135_49 Depth=2
	v_and_b32_e32 v28, s10, v18
	v_and_b32_e32 v10, s11, v19
	v_bcnt_u32_b32 v28, v28, 0
	v_bcnt_u32_b32 v10, v10, v28
	v_lshlrev_b32_e32 v10, 1, v10
	s_waitcnt lgkmcnt(0)
	v_lshl_add_u32 v9, v9, 1, v10
	ds_write_b16 v9, v7
	s_branch .LBB135_48
.LBB135_57:                             ;   in Loop: Header=BB135_44 Depth=1
	s_mov_b64 s[0:1], -1
	s_mov_b64 s[2:3], 0
.LBB135_58:                             ;   in Loop: Header=BB135_44 Depth=1
	s_and_b64 vcc, exec, s[0:1]
	s_cbranch_vccz .LBB135_69
.LBB135_59:                             ;   in Loop: Header=BB135_44 Depth=1
	v_mov_b32_e32 v6, 0
	s_mov_b64 s[0:1], exec
	v_readlane_b32 s2, v54, 12
	v_readlane_b32 s3, v54, 13
	s_and_b64 s[2:3], s[0:1], s[2:3]
	s_mov_b64 exec, s[2:3]
	s_cbranch_execz .LBB135_61
; %bb.60:                               ;   in Loop: Header=BB135_44 Depth=1
	global_load_ushort v6, v[16:17], off
.LBB135_61:                             ;   in Loop: Header=BB135_44 Depth=1
	s_or_b64 exec, exec, s[0:1]
	s_mov_b64 s[0:1], exec
	v_readlane_b32 s2, v54, 12
	v_readlane_b32 s3, v54, 13
	s_and_b64 s[2:3], s[0:1], s[2:3]
	s_mov_b64 exec, s[2:3]
	s_cbranch_execz .LBB135_66
; %bb.62:                               ;   in Loop: Header=BB135_44 Depth=1
	global_load_ushort v7, v11, s[78:79]
	v_readlane_b32 s2, v54, 30
	v_readlane_b32 s3, v54, 31
	;; [unrolled: 1-line block ×3, first 2 shown]
	v_pk_mov_b32 v[2:3], s[2:3], s[2:3] op_sel:[0,1]
	v_readlane_b32 s5, v54, 33
	s_mov_b64 s[2:3], 0
	v_mov_b32_e32 v8, v41
	s_waitcnt vmcnt(0)
	v_readfirstlane_b32 s6, v7
	s_and_b32 s6, 0xffff, s6
	v_add_u32_e32 v5, s6, v0
	s_lshl_b32 s12, s6, 1
	s_mul_i32 s10, s5, s6
	s_mul_hi_u32 s11, s4, s6
	s_mul_i32 s13, s4, s6
	v_mad_u64_u32 v[2:3], s[6:7], s4, v5, v[2:3]
	v_mov_b32_e32 v4, v3
	v_mad_u64_u32 v[4:5], s[6:7], s5, v5, v[4:5]
	s_add_i32 s14, s11, s10
	v_mov_b32_e32 v3, v4
	v_pk_mov_b32 v[4:5], v[0:1], v[0:1] op_sel:[0,1]
	s_branch .LBB135_64
.LBB135_63:                             ;   in Loop: Header=BB135_64 Depth=2
	s_or_b64 exec, exec, s[10:11]
	s_and_b64 s[6:7], exec, vcc
	ds_write_b16 v8, v6
	v_mov_b32_e32 v6, s14
	v_add_co_u32_e32 v2, vcc, s13, v2
	s_or_b64 s[2:3], s[6:7], s[2:3]
	v_add_u32_e32 v8, s12, v8
	v_addc_co_u32_e32 v3, vcc, v3, v6, vcc
	s_waitcnt vmcnt(0)
	v_mov_b32_e32 v6, v9
	s_andn2_b64 exec, exec, s[2:3]
	s_cbranch_execz .LBB135_66
.LBB135_64:                             ;   Parent Loop BB135_44 Depth=1
                                        ; =>  This Inner Loop Header: Depth=2
	v_add_co_u32_sdwa v4, vcc, v4, v7 dst_sel:DWORD dst_unused:UNUSED_PAD src0_sel:DWORD src1_sel:WORD_0
	v_addc_co_u32_e32 v5, vcc, 0, v5, vcc
	v_cmp_gt_u64_e64 s[6:7], s[52:53], v[4:5]
	v_cmp_le_u64_e32 vcc, s[52:53], v[4:5]
	v_mov_b32_e32 v9, 0
	s_and_saveexec_b64 s[10:11], s[6:7]
	s_cbranch_execz .LBB135_63
; %bb.65:                               ;   in Loop: Header=BB135_64 Depth=2
	global_load_ushort v9, v[2:3], off
	s_branch .LBB135_63
.LBB135_66:                             ;   in Loop: Header=BB135_44 Depth=1
	s_or_b64 exec, exec, s[0:1]
	s_waitcnt lgkmcnt(0)
	s_barrier
	s_mov_b64 s[0:1], exec
	v_readlane_b32 s2, v54, 14
	v_readlane_b32 s3, v54, 15
	s_and_b64 s[2:3], s[0:1], s[2:3]
	s_mov_b64 exec, s[2:3]
	s_cbranch_execz .LBB135_68
; %bb.67:                               ;   in Loop: Header=BB135_44 Depth=1
	v_pk_mov_b32 v[2:3], s[52:53], s[52:53] op_sel:[0,1]
	ds_write_b64 v11, v[2:3] offset:5120
.LBB135_68:                             ;   in Loop: Header=BB135_44 Depth=1
	s_or_b64 exec, exec, s[0:1]
	s_mov_b64 s[2:3], -1
	s_waitcnt lgkmcnt(0)
	s_barrier
                                        ; implicit-def: $sgpr0_sgpr1
.LBB135_69:                             ;   in Loop: Header=BB135_44 Depth=1
	s_and_b64 vcc, exec, s[2:3]
	s_cbranch_vccz .LBB135_71
; %bb.70:                               ;   in Loop: Header=BB135_44 Depth=1
	ds_read_b64 v[2:3], v11 offset:5120
	s_waitcnt lgkmcnt(0)
	v_readfirstlane_b32 s0, v2
.LBB135_71:                             ;   in Loop: Header=BB135_44 Depth=1
	s_cmp_lt_i32 s0, 1
	s_cbranch_scc0 .LBB135_86
; %bb.72:                               ;   in Loop: Header=BB135_44 Depth=1
	global_load_ushort v2, v11, s[78:79]
	s_mov_b32 s2, s77
	s_mov_b32 s3, s53
	s_waitcnt vmcnt(0)
	v_readfirstlane_b32 s1, v2
	s_and_b32 s1, s1, 0xffff
	s_lshl_b32 s61, s1, 2
	s_cmp_lg_u64 s[2:3], 0
	s_cbranch_scc0 .LBB135_106
; %bb.73:                               ;   in Loop: Header=BB135_44 Depth=1
	v_cvt_f32_u32_e32 v2, s61
	s_sub_u32 s2, 0, s61
	s_subb_u32 s3, 0, 0
	v_mac_f32_e32 v2, 0, v49
	v_rcp_f32_e32 v2, v2
	v_mul_f32_e32 v2, 0x5f7ffffc, v2
	v_mul_f32_e32 v3, 0x2f800000, v2
	v_trunc_f32_e32 v3, v3
	v_mac_f32_e32 v2, 0xcf800000, v3
	v_cvt_u32_f32_e32 v3, v3
	v_cvt_u32_f32_e32 v2, v2
	v_readfirstlane_b32 s6, v3
	v_readfirstlane_b32 s7, v2
	s_mul_i32 s10, s2, s6
	s_mul_hi_u32 s12, s2, s7
	s_mul_i32 s11, s3, s7
	s_add_i32 s10, s12, s10
	s_mul_i32 s13, s2, s7
	s_add_i32 s10, s10, s11
	s_mul_hi_u32 s12, s7, s13
	s_mul_hi_u32 s11, s7, s10
	s_mul_i32 s7, s7, s10
	s_add_u32 s7, s12, s7
	s_addc_u32 s11, 0, s11
	s_mul_hi_u32 s14, s6, s13
	s_mul_i32 s13, s6, s13
	s_add_u32 s7, s7, s13
	s_mul_hi_u32 s12, s6, s10
	s_addc_u32 s7, s11, s14
	s_addc_u32 s11, s12, 0
	s_mul_i32 s10, s6, s10
	s_add_u32 s7, s7, s10
	s_addc_u32 s10, 0, s11
	v_add_co_u32_e32 v2, vcc, s7, v2
	s_cmp_lg_u64 vcc, 0
	s_addc_u32 s6, s6, s10
	v_readfirstlane_b32 s10, v2
	s_mul_i32 s7, s2, s6
	s_mul_hi_u32 s11, s2, s10
	s_add_i32 s7, s11, s7
	s_mul_i32 s3, s3, s10
	s_add_i32 s7, s7, s3
	s_mul_i32 s2, s2, s10
	s_mul_hi_u32 s11, s6, s2
	s_mul_i32 s12, s6, s2
	s_mul_i32 s14, s10, s7
	s_mul_hi_u32 s2, s10, s2
	s_mul_hi_u32 s13, s10, s7
	s_add_u32 s2, s2, s14
	s_addc_u32 s10, 0, s13
	s_add_u32 s2, s2, s12
	s_mul_hi_u32 s3, s6, s7
	s_addc_u32 s2, s10, s11
	s_addc_u32 s3, s3, 0
	s_mul_i32 s7, s6, s7
	s_add_u32 s2, s2, s7
	s_addc_u32 s3, 0, s3
	v_add_co_u32_e32 v2, vcc, s2, v2
	s_cmp_lg_u64 vcc, 0
	s_addc_u32 s2, s6, s3
	v_readfirstlane_b32 s7, v2
	s_mul_i32 s6, s52, s2
	s_mul_hi_u32 s10, s52, s7
	s_mul_hi_u32 s3, s52, s2
	s_add_u32 s6, s10, s6
	s_addc_u32 s3, 0, s3
	s_mul_hi_u32 s11, s53, s7
	s_mul_i32 s7, s53, s7
	s_add_u32 s6, s6, s7
	s_mul_hi_u32 s10, s53, s2
	s_addc_u32 s3, s3, s11
	s_addc_u32 s6, s10, 0
	s_mul_i32 s2, s53, s2
	s_add_u32 s2, s3, s2
	s_addc_u32 s3, 0, s6
	s_mul_hi_u32 s6, s61, s2
	s_mul_i32 s2, s61, s2
	s_mul_i32 s3, s61, s3
	v_mov_b32_e32 v2, s2
	s_add_i32 s6, s6, s3
	v_sub_co_u32_e32 v2, vcc, s52, v2
	s_cmp_lg_u64 vcc, 0
	s_subb_u32 s2, s53, s6
	v_subrev_co_u32_e32 v3, vcc, s61, v2
	s_cmp_lg_u64 vcc, 0
	s_subb_u32 s3, s2, 0
	v_subrev_co_u32_e32 v4, vcc, s61, v3
	s_cmp_lg_u64 vcc, 0
	s_subb_u32 s6, s3, 0
	v_cmp_le_u32_e32 vcc, s61, v3
	s_cmp_eq_u32 s3, 0
	v_cndmask_b32_e64 v5, 0, -1, vcc
	s_cselect_b64 vcc, -1, 0
	v_cndmask_b32_e32 v5, -1, v5, vcc
	v_mov_b32_e32 v6, s3
	v_mov_b32_e32 v7, s6
	v_cmp_ne_u32_e32 vcc, 0, v5
	v_cndmask_b32_e32 v5, v6, v7, vcc
	v_cndmask_b32_e32 v4, v3, v4, vcc
	v_cmp_le_u32_e32 vcc, s61, v2
	s_cmp_eq_u32 s2, 0
	v_cndmask_b32_e64 v3, 0, -1, vcc
	s_cselect_b64 vcc, -1, 0
	v_cndmask_b32_e32 v3, -1, v3, vcc
	v_mov_b32_e32 v6, s2
	v_cmp_ne_u32_e32 vcc, 0, v3
	v_cndmask_b32_e32 v3, v6, v5, vcc
	v_cndmask_b32_e32 v2, v2, v4, vcc
	s_mov_b64 s[84:85], s[42:43]
	s_cbranch_execnz .LBB135_75
.LBB135_74:                             ;   in Loop: Header=BB135_44 Depth=1
	v_cvt_f32_u32_e32 v2, s61
	s_sub_i32 s2, 0, s61
	v_rcp_iflag_f32_e32 v2, v2
	v_mul_f32_e32 v2, 0x4f7ffffe, v2
	v_cvt_u32_f32_e32 v2, v2
	v_mul_lo_u32 v3, s2, v2
	v_mul_hi_u32 v3, v2, v3
	v_add_u32_e32 v2, v2, v3
	v_mul_hi_u32 v2, s52, v2
	v_mul_lo_u32 v2, v2, s61
	v_sub_u32_e32 v2, s52, v2
	v_subrev_u32_e32 v3, s61, v2
	v_cmp_le_u32_e32 vcc, s61, v2
	v_cndmask_b32_e32 v2, v2, v3, vcc
	v_subrev_u32_e32 v3, s61, v2
	v_cmp_le_u32_e32 vcc, s61, v2
	v_cndmask_b32_e32 v10, v2, v3, vcc
	v_pk_mov_b32 v[2:3], v[10:11], v[10:11] op_sel:[0,1]
.LBB135_75:                             ;   in Loop: Header=BB135_44 Depth=1
	v_mov_b32_e32 v4, s53
	v_sub_co_u32_e32 v28, vcc, s52, v2
	v_subb_co_u32_e32 v29, vcc, v4, v3, vcc
	v_pk_mov_b32 v[2:3], 0, 0
	v_cmp_gt_u64_e32 vcc, v[28:29], v[14:15]
	s_mov_b64 s[82:83], 0
	v_pk_mov_b32 v[4:5], v[2:3], v[2:3] op_sel:[0,1]
	v_pk_mov_b32 v[6:7], v[2:3], v[2:3] op_sel:[0,1]
	;; [unrolled: 1-line block ×3, first 2 shown]
	s_and_saveexec_b64 s[2:3], vcc
	s_cbranch_execz .LBB135_79
; %bb.76:                               ;   in Loop: Header=BB135_44 Depth=1
	v_readlane_b32 s10, v54, 34
	v_readlane_b32 s11, v54, 35
	s_mul_i32 s6, s11, s1
	s_mul_hi_u32 s7, s10, s1
	s_mov_b32 s87, s93
	s_mov_b64 s[70:71], s[36:37]
	s_mov_b64 s[62:63], s[34:35]
	;; [unrolled: 1-line block ×3, first 2 shown]
	s_mov_b32 s93, s69
	s_mov_b64 s[90:91], s[50:51]
	s_mov_b64 s[4:5], s[64:65]
	s_mov_b32 s92, s94
	s_and_b32 s76, s94, 0xfe
	s_add_i32 s64, s7, s6
	s_mul_i32 s65, s10, s1
	v_pk_mov_b32 v[30:31], v[26:27], v[26:27] op_sel:[0,1]
	v_pk_mov_b32 v[32:33], v[24:25], v[24:25] op_sel:[0,1]
	;; [unrolled: 1-line block ×4, first 2 shown]
	s_mov_b64 s[26:27], 0
	s_mov_b64 s[68:69], 0
	;; [unrolled: 1-line block ×4, first 2 shown]
	v_pk_mov_b32 v[38:39], v[14:15], v[14:15] op_sel:[0,1]
.LBB135_77:                             ;   Parent Loop BB135_44 Depth=1
                                        ; =>  This Inner Loop Header: Depth=2
	v_mov_b32_e32 v7, s75
	v_add_co_u32_e32 v2, vcc, s74, v32
	v_add_co_u32_e64 v8, s[18:19], s74, v30
	v_add_co_u32_e64 v4, s[10:11], s74, v34
	v_add_co_u32_e64 v6, s[12:13], s74, v36
	v_addc_co_u32_e64 v9, s[18:19], v31, v7, s[18:19]
	v_addc_co_u32_e32 v3, vcc, v33, v7, vcc
	v_addc_co_u32_e64 v5, vcc, v35, v7, s[10:11]
	v_addc_co_u32_e64 v7, vcc, v37, v7, s[12:13]
	global_load_ushort v8, v[8:9], off
	s_nop 0
	global_load_ushort v2, v[2:3], off
	s_nop 0
	;; [unrolled: 2-line block ×3, first 2 shown]
	global_load_ushort v4, v[6:7], off
	v_mov_b32_e32 v10, s64
	v_add_co_u32_e64 v36, s[6:7], s65, v36
	v_addc_co_u32_e64 v37, vcc, v37, v10, s[6:7]
	v_add_co_u32_e64 v34, s[14:15], s65, v34
	v_addc_co_u32_e64 v35, vcc, v35, v10, s[14:15]
	;; [unrolled: 2-line block ×4, first 2 shown]
	v_add_co_u32_e64 v38, s[22:23], s61, v38
	v_addc_co_u32_e64 v39, s[22:23], 0, v39, s[22:23]
	v_cmp_ge_u64_e32 vcc, v[38:39], v[28:29]
	s_waitcnt vmcnt(3)
	v_cmp_lt_i16_e64 s[6:7], -1, v8
	v_cndmask_b32_e64 v5, v47, v48, s[6:7]
	s_waitcnt vmcnt(2)
	v_cmp_lt_i16_e64 s[6:7], -1, v2
	v_cndmask_b32_e64 v6, v47, v48, s[6:7]
	;; [unrolled: 3-line block ×4, first 2 shown]
	v_xor_b32_sdwa v6, v6, v2 dst_sel:DWORD dst_unused:UNUSED_PAD src0_sel:DWORD src1_sel:WORD_0
	v_cmp_o_f16_e64 s[6:7], v2, v2
	v_xor_b32_sdwa v2, v7, v3 dst_sel:DWORD dst_unused:UNUSED_PAD src0_sel:DWORD src1_sel:WORD_0
	v_cmp_o_f16_e64 s[10:11], v3, v3
	;; [unrolled: 2-line block ×4, first 2 shown]
	v_cndmask_b32_e64 v4, v47, v4, s[14:15]
	v_cndmask_b32_e64 v5, v47, v6, s[6:7]
	v_and_b32_e32 v6, s81, v4
	v_bfe_u32 v4, v4, s76, 2
	v_cndmask_b32_e64 v2, v47, v2, s[10:11]
	v_and_b32_e32 v7, s81, v5
	v_bfe_u32 v5, v5, s76, 2
	v_cmp_eq_u32_e64 s[16:17], s60, v6
	v_cmp_eq_u32_e64 s[6:7], 0, v4
	v_cndmask_b32_e64 v3, v47, v3, s[12:13]
	v_and_b32_e32 v8, s81, v2
	v_bfe_u32 v2, v2, s76, 2
	v_cmp_eq_u32_e64 s[14:15], s60, v7
	v_cmp_eq_u32_e64 s[28:29], 0, v5
	s_and_b64 s[6:7], s[16:17], s[6:7]
	v_and_b32_e32 v9, s81, v3
	v_bfe_u32 v3, v3, s76, 2
	v_cmp_eq_u32_e64 s[12:13], s60, v8
	v_cmp_eq_u32_e64 s[30:31], 0, v2
	;; [unrolled: 1-line block ×5, first 2 shown]
	v_cndmask_b32_e64 v2, 0, 1, s[6:7]
	s_and_b64 s[6:7], s[14:15], s[28:29]
	v_cmp_eq_u32_e64 s[10:11], s60, v9
	v_cmp_eq_u32_e64 s[34:35], 0, v3
	;; [unrolled: 1-line block ×5, first 2 shown]
	v_cndmask_b32_e64 v3, 0, 1, s[6:7]
	s_and_b64 s[6:7], s[12:13], s[30:31]
	v_cmp_eq_u32_e64 s[36:37], 1, v4
	v_cmp_eq_u32_e64 s[44:45], 2, v4
	v_cmp_eq_u32_e64 s[24:25], 3, v4
	v_cndmask_b32_e64 v4, 0, 1, s[6:7]
	s_and_b64 s[6:7], s[10:11], s[34:35]
	v_cmp_eq_u32_e64 s[38:39], 1, v5
	v_cmp_eq_u32_e64 s[46:47], 2, v5
	;; [unrolled: 1-line block ×3, first 2 shown]
	v_cndmask_b32_e64 v5, 0, 1, s[6:7]
	v_cmp_ne_u32_e64 s[6:7], 0, v2
	v_cmp_ne_u32_e64 s[28:29], 0, v3
	v_cmp_ne_u32_e64 s[30:31], 0, v4
	v_cmp_ne_u32_e64 s[34:35], 0, v5
	s_bcnt1_i32_b64 s6, s[6:7]
	s_bcnt1_i32_b64 s7, s[28:29]
	s_bcnt1_i32_b64 s28, s[30:31]
	s_bcnt1_i32_b64 s29, s[34:35]
	s_add_u32 s6, s6, s78
	s_addc_u32 s30, 0, s79
	s_add_u32 s6, s6, s7
	s_addc_u32 s7, s30, 0
	s_add_u32 s6, s6, s28
	s_addc_u32 s7, s7, 0
	s_add_u32 s78, s6, s29
	s_addc_u32 s79, s7, 0
	s_and_b64 s[6:7], s[16:17], s[36:37]
	v_cndmask_b32_e64 v4, 0, 1, s[6:7]
	s_and_b64 s[6:7], s[14:15], s[38:39]
	v_cndmask_b32_e64 v5, 0, 1, s[6:7]
	s_and_b64 s[6:7], s[12:13], s[40:41]
	v_cndmask_b32_e64 v6, 0, 1, s[6:7]
	s_and_b64 s[6:7], s[10:11], s[42:43]
	v_cndmask_b32_e64 v7, 0, 1, s[6:7]
	v_cmp_ne_u32_e64 s[6:7], 0, v4
	v_cmp_ne_u32_e64 s[28:29], 0, v5
	v_cmp_ne_u32_e64 s[30:31], 0, v6
	v_cmp_ne_u32_e64 s[34:35], 0, v7
	s_bcnt1_i32_b64 s6, s[6:7]
	s_bcnt1_i32_b64 s7, s[28:29]
	s_bcnt1_i32_b64 s28, s[30:31]
	s_bcnt1_i32_b64 s29, s[34:35]
	s_add_u32 s6, s6, s94
	s_addc_u32 s30, 0, s95
	s_add_u32 s6, s6, s7
	s_addc_u32 s7, s30, 0
	s_add_u32 s6, s6, s28
	s_addc_u32 s7, s7, 0
	s_add_u32 s94, s6, s29
	s_addc_u32 s95, s7, 0
	s_and_b64 s[6:7], s[16:17], s[44:45]
	v_cndmask_b32_e64 v6, 0, 1, s[6:7]
	s_and_b64 s[6:7], s[14:15], s[46:47]
	v_cndmask_b32_e64 v7, 0, 1, s[6:7]
	s_and_b64 s[6:7], s[12:13], s[48:49]
	v_cndmask_b32_e64 v8, 0, 1, s[6:7]
	s_and_b64 s[6:7], s[10:11], s[50:51]
	;; [unrolled: 24-line block ×3, first 2 shown]
	v_cndmask_b32_e64 v53, 0, 1, s[6:7]
	v_cmp_ne_u32_e64 s[6:7], 0, v8
	v_cmp_ne_u32_e64 s[10:11], 0, v9
	;; [unrolled: 1-line block ×4, first 2 shown]
	s_bcnt1_i32_b64 s6, s[6:7]
	s_bcnt1_i32_b64 s7, s[10:11]
	;; [unrolled: 1-line block ×4, first 2 shown]
	s_add_u32 s6, s6, s26
	s_addc_u32 s12, 0, s27
	s_add_u32 s6, s6, s7
	s_addc_u32 s7, s12, 0
	;; [unrolled: 2-line block ×4, first 2 shown]
	v_pk_mov_b32 v[2:3], s[78:79], s[78:79] op_sel:[0,1]
	v_pk_mov_b32 v[4:5], s[94:95], s[94:95] op_sel:[0,1]
	;; [unrolled: 1-line block ×3, first 2 shown]
	s_or_b64 s[82:83], vcc, s[82:83]
	v_pk_mov_b32 v[8:9], s[26:27], s[26:27] op_sel:[0,1]
	s_andn2_b64 exec, exec, s[82:83]
	s_cbranch_execnz .LBB135_77
; %bb.78:                               ;   in Loop: Header=BB135_44 Depth=1
	s_or_b64 exec, exec, s[82:83]
	v_readlane_b32 s46, v54, 36
	v_readlane_b32 s48, v54, 38
	;; [unrolled: 1-line block ×3, first 2 shown]
	s_mov_b64 s[64:65], s[4:5]
	v_readlane_b32 s47, v54, 37
	v_readlane_b32 s49, v54, 39
	s_mov_b64 s[50:51], s[90:91]
	s_mov_b32 s69, s93
	v_readlane_b32 s79, v54, 41
	s_movk_i32 s90, 0x3c00
	s_mov_b32 s94, s92
	s_mov_b64 s[40:41], s[8:9]
	s_mov_b64 s[34:35], s[62:63]
	;; [unrolled: 1-line block ×3, first 2 shown]
	v_readlane_b32 s91, v54, 42
	v_readlane_b32 s92, v54, 43
	s_mov_b32 s93, s87
	v_readlane_b32 s87, v54, 44
.LBB135_79:                             ;   in Loop: Header=BB135_44 Depth=1
	s_or_b64 exec, exec, s[2:3]
	v_add_co_u32_e32 v28, vcc, v28, v0
	v_addc_co_u32_e32 v29, vcc, 0, v29, vcc
	v_cmp_gt_u64_e32 vcc, s[52:53], v[28:29]
	v_mov_b32_e32 v10, 0
	s_and_saveexec_b64 s[2:3], vcc
	s_mov_b64 s[42:43], s[84:85]
	s_cbranch_execz .LBB135_81
; %bb.80:                               ;   in Loop: Header=BB135_44 Depth=1
	v_mul_lo_u32 v10, v29, s56
	v_mul_lo_u32 v32, v28, s57
	v_mad_u64_u32 v[30:31], s[6:7], v28, s56, 0
	v_add3_u32 v31, v31, v32, v10
	v_lshlrev_b64 v[30:31], 1, v[30:31]
	v_mov_b32_e32 v10, s87
	v_add_co_u32_e64 v30, s[6:7], s91, v30
	v_addc_co_u32_e64 v31, s[6:7], v10, v31, s[6:7]
	global_load_ushort v10, v[30:31], off
.LBB135_81:                             ;   in Loop: Header=BB135_44 Depth=1
	s_or_b64 exec, exec, s[2:3]
	s_and_saveexec_b64 s[2:3], vcc
	s_cbranch_execz .LBB135_88
; %bb.82:                               ;   in Loop: Header=BB135_44 Depth=1
	s_and_b32 s14, s94, 0xfe
	s_mov_b64 s[10:11], 0
	s_branch .LBB135_84
.LBB135_83:                             ;   in Loop: Header=BB135_84 Depth=2
	s_or_b64 exec, exec, s[12:13]
	s_and_b64 s[6:7], exec, vcc
	s_waitcnt vmcnt(0)
	v_cmp_lt_i16_e32 vcc, -1, v10
	v_cndmask_b32_e32 v31, v47, v48, vcc
	v_xor_b32_sdwa v31, v31, v10 dst_sel:DWORD dst_unused:UNUSED_PAD src0_sel:DWORD src1_sel:WORD_0
	v_cmp_o_f16_e32 vcc, v10, v10
	v_cndmask_b32_e32 v10, v47, v31, vcc
	v_and_b32_e32 v31, s81, v10
	v_bfe_u32 v10, v10, s14, 2
	s_or_b64 s[10:11], s[6:7], s[10:11]
	v_cmp_eq_u32_e32 vcc, s60, v31
	v_cmp_eq_u32_e64 s[6:7], 0, v10
	s_and_b64 s[6:7], vcc, s[6:7]
	v_cndmask_b32_e64 v31, 0, 1, s[6:7]
	v_cmp_ne_u32_e64 s[6:7], 0, v31
	s_bcnt1_i32_b64 s6, s[6:7]
	v_add_co_u32_e64 v2, s[6:7], s6, v2
	v_addc_co_u32_e64 v3, s[6:7], 0, v3, s[6:7]
	v_cmp_eq_u32_e64 s[6:7], 1, v10
	s_and_b64 s[6:7], vcc, s[6:7]
	v_cndmask_b32_e64 v31, 0, 1, s[6:7]
	v_cmp_ne_u32_e64 s[6:7], 0, v31
	s_bcnt1_i32_b64 s6, s[6:7]
	v_add_co_u32_e64 v4, s[6:7], s6, v4
	v_addc_co_u32_e64 v5, s[6:7], 0, v5, s[6:7]
	;; [unrolled: 7-line block ×3, first 2 shown]
	v_cmp_eq_u32_e64 s[6:7], 3, v10
	s_and_b64 s[6:7], vcc, s[6:7]
	v_cndmask_b32_e64 v10, 0, 1, s[6:7]
	v_cmp_ne_u32_e32 vcc, 0, v10
	s_bcnt1_i32_b64 s6, vcc
	v_add_co_u32_e32 v8, vcc, s6, v8
	v_addc_co_u32_e32 v9, vcc, 0, v9, vcc
	v_mov_b32_e32 v10, v30
	s_andn2_b64 exec, exec, s[10:11]
	s_cbranch_execz .LBB135_87
.LBB135_84:                             ;   Parent Loop BB135_44 Depth=1
                                        ; =>  This Inner Loop Header: Depth=2
	v_mov_b32_e32 v30, s77
	v_add_co_u32_e32 v28, vcc, s1, v28
	v_addc_co_u32_e32 v29, vcc, v29, v30, vcc
	v_cmp_gt_u64_e64 s[6:7], s[52:53], v[28:29]
	v_cmp_le_u64_e32 vcc, s[52:53], v[28:29]
	v_mov_b32_e32 v30, 0
	s_and_saveexec_b64 s[12:13], s[6:7]
	s_cbranch_execz .LBB135_83
; %bb.85:                               ;   in Loop: Header=BB135_84 Depth=2
	v_mul_lo_u32 v32, v29, s56
	v_mul_lo_u32 v33, v28, s57
	v_mad_u64_u32 v[30:31], s[6:7], v28, s56, 0
	v_add3_u32 v31, v31, v33, v32
	v_lshlrev_b64 v[30:31], 1, v[30:31]
	v_mov_b32_e32 v32, s87
	v_add_co_u32_e64 v30, s[6:7], s91, v30
	v_addc_co_u32_e64 v31, s[6:7], v32, v31, s[6:7]
	global_load_ushort v30, v[30:31], off
	s_branch .LBB135_83
.LBB135_86:                             ;   in Loop: Header=BB135_44 Depth=1
                                        ; implicit-def: $vgpr8_vgpr9
                                        ; implicit-def: $vgpr4_vgpr5
	s_cbranch_execnz .LBB135_89
	s_branch .LBB135_98
.LBB135_87:                             ;   in Loop: Header=BB135_44 Depth=1
	s_or_b64 exec, exec, s[10:11]
.LBB135_88:                             ;   in Loop: Header=BB135_44 Depth=1
	s_or_b64 exec, exec, s[2:3]
	s_branch .LBB135_98
.LBB135_89:                             ;   in Loop: Header=BB135_44 Depth=1
	global_load_ushort v8, v11, s[78:79]
	s_mov_b64 s[2:3], 0
	s_waitcnt vmcnt(0)
	v_readfirstlane_b32 s1, v8
	s_and_b32 s1, 0xffff, s1
	s_lshl_b32 s1, s1, 2
	v_cvt_f32_u32_e32 v2, s1
	s_sub_i32 s6, 0, s1
	v_and_b32_e32 v30, 0xffff, v8
	v_rcp_iflag_f32_e32 v6, v2
	v_pk_mov_b32 v[2:3], 0, 0
	v_pk_mov_b32 v[4:5], v[2:3], v[2:3] op_sel:[0,1]
	v_mul_f32_e32 v6, 0x4f7ffffe, v6
	v_cvt_u32_f32_e32 v9, v6
	v_pk_mov_b32 v[6:7], v[2:3], v[2:3] op_sel:[0,1]
	v_readfirstlane_b32 s7, v9
	s_mul_i32 s6, s6, s7
	s_mul_hi_u32 s6, s7, s6
	s_add_i32 s7, s7, s6
	s_mul_hi_u32 s6, s0, s7
	s_mul_i32 s6, s6, s1
	s_sub_i32 s6, s0, s6
	s_sub_i32 s7, s6, s1
	s_cmp_ge_u32 s6, s1
	s_cselect_b32 s6, s7, s6
	s_sub_i32 s7, s6, s1
	s_cmp_ge_u32 s6, s1
	s_cselect_b32 s6, s7, s6
	s_sub_i32 s76, s0, s6
	v_cmp_gt_u32_e32 vcc, s76, v14
	v_pk_mov_b32 v[8:9], v[2:3], v[2:3] op_sel:[0,1]
	s_and_saveexec_b64 s[26:27], vcc
	s_cbranch_execz .LBB135_93
; %bb.90:                               ;   in Loop: Header=BB135_44 Depth=1
	s_mov_b64 s[84:85], s[42:43]
	s_mov_b64 s[70:71], s[36:37]
	;; [unrolled: 1-line block ×4, first 2 shown]
	s_mov_b32 s91, s69
	s_mov_b64 s[4:5], s[50:51]
	s_mov_b32 s92, s94
	s_and_b32 s61, s94, 0xfe
	v_lshlrev_b32_e32 v10, 3, v30
	v_mov_b32_e32 v31, v45
	s_mov_b64 s[68:69], 0
	s_mov_b64 s[78:79], 0
	;; [unrolled: 1-line block ×4, first 2 shown]
	v_pk_mov_b32 v[28:29], v[14:15], v[14:15] op_sel:[0,1]
.LBB135_91:                             ;   Parent Loop BB135_44 Depth=1
                                        ; =>  This Inner Loop Header: Depth=2
	ds_read_b64 v[2:3], v31
	v_add_co_u32_e32 v28, vcc, s1, v28
	v_addc_co_u32_e32 v29, vcc, 0, v29, vcc
	s_waitcnt lgkmcnt(0)
	v_cmp_lt_i16_e64 s[6:7], -1, v2
	v_cndmask_b32_e64 v4, v47, v48, s[6:7]
	v_cmp_gt_i16_sdwa s[6:7], v2, v50 src0_sel:WORD_1 src1_sel:DWORD
	v_cndmask_b32_e64 v5, v47, v48, s[6:7]
	v_cmp_lt_i16_e64 s[6:7], -1, v3
	v_cndmask_b32_e64 v6, v47, v48, s[6:7]
	v_cmp_gt_i16_sdwa s[6:7], v3, v50 src0_sel:WORD_1 src1_sel:DWORD
	v_cndmask_b32_e64 v7, v47, v48, s[6:7]
	v_xor_b32_sdwa v6, v6, v3 dst_sel:DWORD dst_unused:UNUSED_PAD src0_sel:DWORD src1_sel:WORD_0
	v_cmp_o_f16_e64 s[10:11], v3, v3
	v_xor_b32_sdwa v7, v7, v3 dst_sel:DWORD dst_unused:UNUSED_PAD src0_sel:DWORD src1_sel:WORD_1
	v_cmp_o_f16_sdwa s[12:13], v3, v3 src0_sel:WORD_1 src1_sel:WORD_1
	v_xor_b32_sdwa v3, v4, v2 dst_sel:DWORD dst_unused:UNUSED_PAD src0_sel:DWORD src1_sel:WORD_0
	v_cmp_o_f16_e64 s[14:15], v2, v2
	v_xor_b32_sdwa v5, v5, v2 dst_sel:DWORD dst_unused:UNUSED_PAD src0_sel:DWORD src1_sel:WORD_1
	v_cmp_o_f16_sdwa s[6:7], v2, v2 src0_sel:WORD_1 src1_sel:WORD_1
	v_cndmask_b32_e64 v2, v47, v3, s[14:15]
	v_cndmask_b32_e64 v3, v47, v5, s[6:7]
	;; [unrolled: 1-line block ×3, first 2 shown]
	v_and_b32_e32 v6, s81, v2
	v_bfe_u32 v2, v2, s61, 2
	v_cndmask_b32_e64 v5, v47, v7, s[12:13]
	v_and_b32_e32 v7, s81, v3
	v_bfe_u32 v3, v3, s61, 2
	v_cmp_eq_u32_e64 s[16:17], s60, v6
	v_cmp_eq_u32_e64 s[6:7], 0, v2
	v_and_b32_e32 v8, s81, v4
	v_bfe_u32 v4, v4, s61, 2
	v_cmp_eq_u32_e64 s[14:15], s60, v7
	v_cmp_eq_u32_e64 s[28:29], 0, v3
	s_and_b64 s[6:7], s[16:17], s[6:7]
	v_and_b32_e32 v9, s81, v5
	v_bfe_u32 v5, v5, s61, 2
	v_cmp_eq_u32_e64 s[12:13], s60, v8
	v_cmp_eq_u32_e64 s[30:31], 0, v4
	;; [unrolled: 1-line block ×5, first 2 shown]
	v_cndmask_b32_e64 v2, 0, 1, s[6:7]
	s_and_b64 s[6:7], s[14:15], s[28:29]
	v_cmp_eq_u32_e64 s[10:11], s60, v9
	v_cmp_eq_u32_e64 s[34:35], 0, v5
	;; [unrolled: 1-line block ×5, first 2 shown]
	v_cndmask_b32_e64 v3, 0, 1, s[6:7]
	s_and_b64 s[6:7], s[12:13], s[30:31]
	v_cmp_eq_u32_e64 s[40:41], 1, v4
	v_cmp_eq_u32_e64 s[48:49], 2, v4
	;; [unrolled: 1-line block ×3, first 2 shown]
	v_cndmask_b32_e64 v4, 0, 1, s[6:7]
	s_and_b64 s[6:7], s[10:11], s[34:35]
	v_cmp_eq_u32_e64 s[42:43], 1, v5
	v_cmp_eq_u32_e64 s[50:51], 2, v5
	;; [unrolled: 1-line block ×3, first 2 shown]
	v_cndmask_b32_e64 v5, 0, 1, s[6:7]
	v_cmp_ne_u32_e64 s[6:7], 0, v2
	v_cmp_ne_u32_e64 s[28:29], 0, v3
	v_cmp_ne_u32_e64 s[30:31], 0, v4
	v_cmp_ne_u32_e64 s[34:35], 0, v5
	s_bcnt1_i32_b64 s6, s[6:7]
	s_bcnt1_i32_b64 s7, s[28:29]
	s_bcnt1_i32_b64 s28, s[30:31]
	s_bcnt1_i32_b64 s29, s[34:35]
	s_add_u32 s6, s6, s94
	s_addc_u32 s30, 0, s95
	s_add_u32 s6, s6, s7
	s_addc_u32 s7, s30, 0
	s_add_u32 s6, s6, s28
	s_addc_u32 s7, s7, 0
	s_add_u32 s94, s6, s29
	s_addc_u32 s95, s7, 0
	s_and_b64 s[6:7], s[16:17], s[36:37]
	v_cndmask_b32_e64 v4, 0, 1, s[6:7]
	s_and_b64 s[6:7], s[14:15], s[38:39]
	v_cndmask_b32_e64 v5, 0, 1, s[6:7]
	s_and_b64 s[6:7], s[12:13], s[40:41]
	v_cndmask_b32_e64 v6, 0, 1, s[6:7]
	s_and_b64 s[6:7], s[10:11], s[42:43]
	v_cndmask_b32_e64 v7, 0, 1, s[6:7]
	v_cmp_ne_u32_e64 s[6:7], 0, v4
	v_cmp_ne_u32_e64 s[28:29], 0, v5
	v_cmp_ne_u32_e64 s[30:31], 0, v6
	v_cmp_ne_u32_e64 s[34:35], 0, v7
	s_bcnt1_i32_b64 s6, s[6:7]
	s_bcnt1_i32_b64 s7, s[28:29]
	s_bcnt1_i32_b64 s28, s[30:31]
	s_bcnt1_i32_b64 s29, s[34:35]
	s_add_u32 s6, s6, s82
	s_addc_u32 s30, 0, s83
	s_add_u32 s6, s6, s7
	s_addc_u32 s7, s30, 0
	s_add_u32 s6, s6, s28
	s_addc_u32 s7, s7, 0
	s_add_u32 s82, s6, s29
	s_addc_u32 s83, s7, 0
	s_and_b64 s[6:7], s[16:17], s[44:45]
	v_cndmask_b32_e64 v6, 0, 1, s[6:7]
	s_and_b64 s[6:7], s[14:15], s[46:47]
	v_cndmask_b32_e64 v7, 0, 1, s[6:7]
	s_and_b64 s[6:7], s[12:13], s[48:49]
	v_cndmask_b32_e64 v8, 0, 1, s[6:7]
	s_and_b64 s[6:7], s[10:11], s[50:51]
	;; [unrolled: 24-line block ×3, first 2 shown]
	v_cndmask_b32_e64 v33, 0, 1, s[6:7]
	v_cmp_ne_u32_e64 s[6:7], 0, v8
	v_cmp_ne_u32_e64 s[10:11], 0, v9
	;; [unrolled: 1-line block ×4, first 2 shown]
	s_bcnt1_i32_b64 s6, s[6:7]
	s_bcnt1_i32_b64 s7, s[10:11]
	;; [unrolled: 1-line block ×4, first 2 shown]
	s_add_u32 s6, s6, s68
	s_addc_u32 s12, 0, s69
	s_add_u32 s6, s6, s7
	s_addc_u32 s7, s12, 0
	;; [unrolled: 2-line block ×3, first 2 shown]
	s_add_u32 s68, s6, s11
	v_cmp_le_u64_e32 vcc, s[76:77], v[28:29]
	s_addc_u32 s69, s7, 0
	v_add_u32_e32 v31, v31, v10
	v_pk_mov_b32 v[2:3], s[94:95], s[94:95] op_sel:[0,1]
	v_pk_mov_b32 v[4:5], s[82:83], s[82:83] op_sel:[0,1]
	;; [unrolled: 1-line block ×3, first 2 shown]
	s_or_b64 s[2:3], vcc, s[2:3]
	v_pk_mov_b32 v[8:9], s[68:69], s[68:69] op_sel:[0,1]
	s_andn2_b64 exec, exec, s[2:3]
	s_cbranch_execnz .LBB135_91
; %bb.92:                               ;   in Loop: Header=BB135_44 Depth=1
	s_or_b64 exec, exec, s[2:3]
	v_readlane_b32 s46, v54, 36
	v_readlane_b32 s48, v54, 38
	;; [unrolled: 1-line block ×5, first 2 shown]
	s_mov_b64 s[50:51], s[4:5]
	s_mov_b32 s69, s91
	v_readlane_b32 s79, v54, 41
	s_movk_i32 s90, 0x3c00
	s_mov_b32 s94, s92
	s_mov_b64 s[40:41], s[8:9]
	s_mov_b64 s[34:35], s[62:63]
	;; [unrolled: 1-line block ×4, first 2 shown]
	v_readlane_b32 s91, v54, 42
	v_readlane_b32 s92, v54, 43
	;; [unrolled: 1-line block ×3, first 2 shown]
.LBB135_93:                             ;   in Loop: Header=BB135_44 Depth=1
	s_or_b64 exec, exec, s[26:27]
	v_add_u32_e32 v10, s76, v0
	v_cmp_gt_u32_e32 vcc, s0, v10
	s_and_saveexec_b64 s[2:3], vcc
	s_cbranch_execz .LBB135_97
; %bb.94:                               ;   in Loop: Header=BB135_44 Depth=1
	s_and_b32 s76, s0, 0x7fffffff
	s_and_b32 s18, s94, 0xfe
	v_lshlrev_b32_e32 v31, 1, v10
	v_lshlrev_b32_e32 v32, 1, v30
	s_mov_b64 s[0:1], 0
	v_pk_mov_b32 v[28:29], v[10:11], v[10:11] op_sel:[0,1]
.LBB135_95:                             ;   Parent Loop BB135_44 Depth=1
                                        ; =>  This Inner Loop Header: Depth=2
	ds_read_u16 v10, v31
	v_add_co_u32_e32 v28, vcc, v28, v30
	v_addc_co_u32_e32 v29, vcc, 0, v29, vcc
	s_waitcnt lgkmcnt(0)
	v_cmp_lt_i16_e64 s[6:7], -1, v10
	v_cndmask_b32_e64 v33, v47, v48, s[6:7]
	v_xor_b32_sdwa v33, v33, v10 dst_sel:DWORD dst_unused:UNUSED_PAD src0_sel:DWORD src1_sel:WORD_0
	v_cmp_o_f16_e64 s[6:7], v10, v10
	v_cndmask_b32_e64 v10, v47, v33, s[6:7]
	v_and_b32_e32 v33, s81, v10
	v_bfe_u32 v10, v10, s18, 2
	v_cmp_eq_u32_e64 s[6:7], s60, v33
	v_cmp_eq_u32_e64 s[10:11], 0, v10
	;; [unrolled: 1-line block ×3, first 2 shown]
	s_and_b64 s[10:11], s[6:7], s[10:11]
	v_cmp_eq_u32_e64 s[14:15], 2, v10
	v_cmp_eq_u32_e64 s[16:17], 3, v10
	v_cndmask_b32_e64 v10, 0, 1, s[10:11]
	s_and_b64 s[10:11], s[6:7], s[12:13]
	v_cndmask_b32_e64 v33, 0, 1, s[10:11]
	s_and_b64 s[10:11], s[6:7], s[14:15]
	s_and_b64 s[6:7], s[6:7], s[16:17]
	v_cndmask_b32_e64 v34, 0, 1, s[10:11]
	v_cndmask_b32_e64 v35, 0, 1, s[6:7]
	v_cmp_ne_u32_e64 s[6:7], 0, v10
	v_cmp_ne_u32_e64 s[10:11], 0, v33
	;; [unrolled: 1-line block ×4, first 2 shown]
	v_cmp_le_u64_e32 vcc, s[76:77], v[28:29]
	s_bcnt1_i32_b64 s6, s[6:7]
	s_bcnt1_i32_b64 s7, s[10:11]
	;; [unrolled: 1-line block ×4, first 2 shown]
	s_or_b64 s[0:1], vcc, s[0:1]
	v_add_co_u32_e32 v2, vcc, s6, v2
	v_addc_co_u32_e32 v3, vcc, 0, v3, vcc
	v_add_co_u32_e32 v4, vcc, s7, v4
	v_addc_co_u32_e32 v5, vcc, 0, v5, vcc
	;; [unrolled: 2-line block ×3, first 2 shown]
	v_add_co_u32_e32 v8, vcc, s11, v8
	v_add_u32_e32 v31, v31, v32
	v_addc_co_u32_e32 v9, vcc, 0, v9, vcc
	s_andn2_b64 exec, exec, s[0:1]
	s_cbranch_execnz .LBB135_95
; %bb.96:                               ;   in Loop: Header=BB135_44 Depth=1
	s_or_b64 exec, exec, s[0:1]
.LBB135_97:                             ;   in Loop: Header=BB135_44 Depth=1
	s_or_b64 exec, exec, s[2:3]
.LBB135_98:                             ;   in Loop: Header=BB135_44 Depth=1
	s_lshl_b32 s2, s93, 6
	s_and_saveexec_b64 s[0:1], s[46:47]
	s_cbranch_execz .LBB135_100
; %bb.99:                               ;   in Loop: Header=BB135_44 Depth=1
	s_waitcnt vmcnt(0)
	v_or_b32_e32 v10, s2, v43
	v_lshlrev_b32_e32 v10, 3, v10
	ds_write_b128 v10, v[2:5] offset:3072
	ds_write_b128 v10, v[6:9] offset:3088
.LBB135_100:                            ;   in Loop: Header=BB135_44 Depth=1
	s_or_b64 exec, exec, s[0:1]
	s_waitcnt lgkmcnt(0)
	s_barrier
	s_and_saveexec_b64 s[0:1], s[48:49]
	s_cbranch_execz .LBB135_112
; %bb.101:                              ;   in Loop: Header=BB135_44 Depth=1
	v_readlane_b32 s4, v54, 20
	v_readlane_b32 s5, v54, 21
	s_andn2_b64 vcc, exec, s[4:5]
	v_pk_mov_b32 v[2:3], 0, 0
	s_cbranch_vccnz .LBB135_111
; %bb.102:                              ;   in Loop: Header=BB135_44 Depth=1
	v_readlane_b32 s4, v54, 25
	v_readlane_b32 s5, v54, 26
	s_andn2_b64 vcc, exec, s[4:5]
	s_cbranch_vccnz .LBB135_107
; %bb.103:                              ;   in Loop: Header=BB135_44 Depth=1
	v_lshl_add_u32 v4, s93, 9, v46
	s_mov_b32 s3, 0
	v_pk_mov_b32 v[2:3], 0, 0
.LBB135_104:                            ;   Parent Loop BB135_44 Depth=1
                                        ; =>  This Inner Loop Header: Depth=2
	s_waitcnt vmcnt(0)
	ds_read2_b64 v[6:9], v4 offset1:4
	ds_read2_b64 v[28:31], v4 offset0:8 offset1:12
	ds_read2_b64 v[32:35], v4 offset0:16 offset1:20
	ds_read2_b64 v[36:39], v4 offset0:24 offset1:28
	s_add_i32 s3, s3, 8
	s_waitcnt lgkmcnt(3)
	v_add_co_u32_e32 v2, vcc, v6, v2
	v_addc_co_u32_e32 v3, vcc, v7, v3, vcc
	v_add_co_u32_e32 v2, vcc, v8, v2
	v_addc_co_u32_e32 v3, vcc, v9, v3, vcc
	s_waitcnt lgkmcnt(2)
	v_add_co_u32_e32 v2, vcc, v28, v2
	v_addc_co_u32_e32 v3, vcc, v29, v3, vcc
	v_add_co_u32_e32 v2, vcc, v30, v2
	v_addc_co_u32_e32 v3, vcc, v31, v3, vcc
	;; [unrolled: 5-line block ×3, first 2 shown]
	s_waitcnt lgkmcnt(0)
	v_add_co_u32_e32 v2, vcc, v36, v2
	v_addc_co_u32_e32 v3, vcc, v37, v3, vcc
	v_add_co_u32_e32 v2, vcc, v38, v2
	v_add_u32_e32 v4, 0x100, v4
	s_cmp_eq_u32 s92, s3
	v_addc_co_u32_e32 v3, vcc, v39, v3, vcc
	s_cbranch_scc0 .LBB135_104
; %bb.105:                              ;   in Loop: Header=BB135_44 Depth=1
	s_mov_b32 s3, s92
	s_branch .LBB135_108
.LBB135_106:                            ;   in Loop: Header=BB135_44 Depth=1
                                        ; implicit-def: $vgpr2_vgpr3
	s_mov_b64 s[84:85], s[42:43]
	s_branch .LBB135_74
.LBB135_107:                            ;   in Loop: Header=BB135_44 Depth=1
	s_mov_b32 s3, 0
	v_pk_mov_b32 v[2:3], 0, 0
.LBB135_108:                            ;   in Loop: Header=BB135_44 Depth=1
	v_readlane_b32 s4, v54, 28
	v_readlane_b32 s5, v54, 29
	s_andn2_b64 vcc, exec, s[4:5]
	s_cbranch_vccnz .LBB135_111
; %bb.109:                              ;   in Loop: Header=BB135_44 Depth=1
	s_lshl_b32 s6, s93, 9
	s_lshl_b32 s3, s3, 5
	s_add_i32 s6, s6, s3
	v_add_u32_e32 v4, s6, v46
	v_readlane_b32 s3, v54, 27
.LBB135_110:                            ;   Parent Loop BB135_44 Depth=1
                                        ; =>  This Inner Loop Header: Depth=2
	s_waitcnt vmcnt(0)
	ds_read_b64 v[6:7], v4
	s_add_i32 s3, s3, -1
	v_add_u32_e32 v4, 32, v4
	s_cmp_lg_u32 s3, 0
	s_waitcnt lgkmcnt(0)
	v_add_co_u32_e32 v2, vcc, v6, v2
	v_addc_co_u32_e32 v3, vcc, v7, v3, vcc
	s_cbranch_scc1 .LBB135_110
.LBB135_111:                            ;   in Loop: Header=BB135_44 Depth=1
	v_add_lshl_u32 v4, s2, v40, 3
	ds_write_b64 v4, v[2:3] offset:3072
.LBB135_112:                            ;   in Loop: Header=BB135_44 Depth=1
	s_or_b64 exec, exec, s[0:1]
	s_lshl_b32 s0, s2, 3
	s_waitcnt vmcnt(0)
	v_mov_b32_e32 v6, s0
	s_waitcnt lgkmcnt(0)
	s_barrier
	ds_read_b128 v[2:5], v6 offset:3072
	ds_read_b128 v[6:9], v6 offset:3088
	s_and_b32 s38, s94, 0xfe
	s_lshl_b32 s44, 3, s38
	s_not_b32 s39, s44
	s_waitcnt lgkmcnt(1)
	v_readfirstlane_b32 s1, v3
	v_readfirstlane_b32 s0, v2
	s_cmp_eq_u64 s[0:1], 1
	s_cselect_b64 s[2:3], -1, 0
	s_cmp_eq_u64 s[50:51], 1
	s_cselect_b64 s[6:7], -1, 0
	s_and_b64 s[18:19], s[2:3], s[6:7]
	v_readfirstlane_b32 s28, v4
	v_readfirstlane_b32 s29, v5
	s_waitcnt lgkmcnt(0)
	v_readfirstlane_b32 s16, v6
	v_readfirstlane_b32 s17, v7
	;; [unrolled: 1-line block ×4, first 2 shown]
	s_mov_b64 s[14:15], -1
	s_and_b64 vcc, exec, s[18:19]
	s_cbranch_vccz .LBB135_127
; %bb.113:                              ;   in Loop: Header=BB135_44 Depth=1
	ds_read_b64 v[2:3], v11 offset:5120
	v_readlane_b32 s4, v54, 16
	v_readlane_b32 s5, v54, 17
	s_waitcnt lgkmcnt(0)
	s_barrier
	v_readfirstlane_b32 s2, v2
	v_readfirstlane_b32 s3, v3
	s_and_saveexec_b64 s[6:7], s[4:5]
	s_cbranch_execz .LBB135_115
; %bb.114:                              ;   in Loop: Header=BB135_44 Depth=1
	ds_write_b16 v42, v15
.LBB135_115:                            ;   in Loop: Header=BB135_44 Depth=1
	s_or_b64 exec, exec, s[6:7]
	s_and_b32 s60, s60, s39
	s_or_b32 s81, s81, s44
	s_cmp_eq_u64 s[2:3], 0
	s_waitcnt lgkmcnt(0)
	s_barrier
	s_cbranch_scc1 .LBB135_128
; %bb.116:                              ;   in Loop: Header=BB135_44 Depth=1
	v_readlane_b32 s4, v54, 22
	s_add_u32 s20, s4, s2
	v_readlane_b32 s4, v54, 24
	s_addc_u32 s7, s4, s3
	s_mov_b32 s6, s77
	s_cmp_lg_u64 s[6:7], 0
	s_cbranch_scc0 .LBB135_173
; %bb.117:                              ;   in Loop: Header=BB135_44 Depth=1
	v_cvt_f32_u32_e32 v2, s33
	s_sub_u32 s6, 0, s33
	s_subb_u32 s12, 0, 0
	v_mac_f32_e32 v2, 0, v49
	v_rcp_f32_e32 v2, v2
	v_mul_f32_e32 v2, 0x5f7ffffc, v2
	v_mul_f32_e32 v3, 0x2f800000, v2
	v_trunc_f32_e32 v3, v3
	v_mac_f32_e32 v2, 0xcf800000, v3
	v_cvt_u32_f32_e32 v3, v3
	v_cvt_u32_f32_e32 v2, v2
	v_readfirstlane_b32 s13, v3
	v_readfirstlane_b32 s21, v2
	s_mul_i32 s22, s6, s13
	s_mul_hi_u32 s24, s6, s21
	s_mul_i32 s23, s12, s21
	s_add_i32 s22, s24, s22
	s_mul_i32 s25, s6, s21
	s_add_i32 s22, s22, s23
	s_mul_hi_u32 s24, s21, s25
	s_mul_hi_u32 s23, s21, s22
	s_mul_i32 s21, s21, s22
	s_add_u32 s21, s24, s21
	s_addc_u32 s23, 0, s23
	s_mul_hi_u32 s26, s13, s25
	s_mul_i32 s25, s13, s25
	s_add_u32 s21, s21, s25
	s_mul_hi_u32 s24, s13, s22
	s_addc_u32 s21, s23, s26
	s_addc_u32 s23, s24, 0
	s_mul_i32 s22, s13, s22
	s_add_u32 s21, s21, s22
	s_addc_u32 s22, 0, s23
	v_add_co_u32_e32 v2, vcc, s21, v2
	s_cmp_lg_u64 vcc, 0
	s_addc_u32 s13, s13, s22
	v_readfirstlane_b32 s22, v2
	s_mul_i32 s21, s6, s13
	s_mul_hi_u32 s23, s6, s22
	s_add_i32 s21, s23, s21
	s_mul_i32 s12, s12, s22
	s_add_i32 s21, s21, s12
	s_mul_i32 s6, s6, s22
	s_mul_hi_u32 s23, s13, s6
	s_mul_i32 s24, s13, s6
	s_mul_i32 s26, s22, s21
	s_mul_hi_u32 s6, s22, s6
	s_mul_hi_u32 s25, s22, s21
	s_add_u32 s6, s6, s26
	s_addc_u32 s22, 0, s25
	s_add_u32 s6, s6, s24
	s_mul_hi_u32 s12, s13, s21
	s_addc_u32 s6, s22, s23
	s_addc_u32 s12, s12, 0
	s_mul_i32 s21, s13, s21
	s_add_u32 s6, s6, s21
	s_addc_u32 s12, 0, s12
	v_add_co_u32_e32 v2, vcc, s6, v2
	s_cmp_lg_u64 vcc, 0
	s_addc_u32 s6, s13, s12
	v_readfirstlane_b32 s21, v2
	s_mul_i32 s13, s20, s6
	s_mul_hi_u32 s22, s20, s21
	s_mul_hi_u32 s12, s20, s6
	s_add_u32 s13, s22, s13
	s_addc_u32 s12, 0, s12
	s_mul_hi_u32 s23, s7, s21
	s_mul_i32 s21, s7, s21
	s_add_u32 s13, s13, s21
	s_mul_hi_u32 s22, s7, s6
	s_addc_u32 s12, s12, s23
	s_addc_u32 s13, s22, 0
	s_mul_i32 s6, s7, s6
	s_add_u32 s6, s12, s6
	s_addc_u32 s12, 0, s13
	s_mul_hi_u32 s13, s33, s6
	s_mul_i32 s6, s33, s6
	s_mul_i32 s12, s33, s12
	v_mov_b32_e32 v2, s6
	s_add_i32 s13, s13, s12
	v_sub_co_u32_e32 v2, vcc, s20, v2
	s_cmp_lg_u64 vcc, 0
	s_subb_u32 s6, s7, s13
	v_subrev_co_u32_e32 v3, vcc, s33, v2
	s_cmp_lg_u64 vcc, 0
	s_subb_u32 s12, s6, 0
	v_subrev_co_u32_e32 v4, vcc, s33, v3
	s_cmp_lg_u64 vcc, 0
	s_subb_u32 s13, s12, 0
	v_cmp_le_u32_e32 vcc, s33, v3
	s_cmp_eq_u32 s12, 0
	v_cndmask_b32_e64 v5, 0, -1, vcc
	s_cselect_b64 vcc, -1, 0
	v_cndmask_b32_e32 v5, -1, v5, vcc
	v_mov_b32_e32 v6, s12
	v_mov_b32_e32 v7, s13
	v_cmp_ne_u32_e32 vcc, 0, v5
	v_cndmask_b32_e32 v5, v6, v7, vcc
	v_cndmask_b32_e32 v4, v3, v4, vcc
	v_cmp_le_u32_e32 vcc, s33, v2
	s_cmp_eq_u32 s6, 0
	v_cndmask_b32_e64 v3, 0, -1, vcc
	s_cselect_b64 vcc, -1, 0
	v_cndmask_b32_e32 v3, -1, v3, vcc
	v_mov_b32_e32 v6, s6
	v_cmp_ne_u32_e32 vcc, 0, v3
	v_cndmask_b32_e32 v3, v6, v5, vcc
	v_cndmask_b32_e32 v2, v2, v4, vcc
	s_cbranch_execnz .LBB135_119
.LBB135_118:                            ;   in Loop: Header=BB135_44 Depth=1
	v_cvt_f32_u32_e32 v2, s33
	s_sub_i32 s6, 0, s33
	v_rcp_iflag_f32_e32 v2, v2
	v_mul_f32_e32 v2, 0x4f7ffffe, v2
	v_cvt_u32_f32_e32 v2, v2
	v_mul_lo_u32 v3, s6, v2
	v_mul_hi_u32 v3, v2, v3
	v_add_u32_e32 v2, v2, v3
	v_mul_hi_u32 v2, s20, v2
	v_mul_lo_u32 v2, v2, s33
	v_sub_u32_e32 v2, s20, v2
	v_subrev_u32_e32 v3, s33, v2
	v_cmp_le_u32_e32 vcc, s33, v2
	v_cndmask_b32_e32 v2, v2, v3, vcc
	v_subrev_u32_e32 v3, s33, v2
	v_cmp_le_u32_e32 vcc, s33, v2
	v_cndmask_b32_e32 v10, v2, v3, vcc
	v_pk_mov_b32 v[2:3], v[10:11], v[10:11] op_sel:[0,1]
.LBB135_119:                            ;   in Loop: Header=BB135_44 Depth=1
	v_mov_b32_e32 v4, s7
	v_sub_co_u32_e32 v2, vcc, s20, v2
	v_subb_co_u32_e32 v3, vcc, v4, v3, vcc
	v_cmp_gt_u64_e32 vcc, v[2:3], v[0:1]
	s_mov_b64 s[6:7], 0
                                        ; implicit-def: $vgpr52
	s_and_saveexec_b64 s[12:13], vcc
	s_cbranch_execz .LBB135_130
; %bb.120:                              ;   in Loop: Header=BB135_44 Depth=1
	s_mov_b64 s[20:21], 0
	v_mov_b32_e32 v6, v41
	v_pk_mov_b32 v[4:5], v[0:1], v[0:1] op_sel:[0,1]
                                        ; implicit-def: $sgpr22_sgpr23
	s_branch .LBB135_122
.LBB135_121:                            ;   in Loop: Header=BB135_122 Depth=2
	s_or_b64 exec, exec, s[6:7]
	s_waitcnt lgkmcnt(0)
	s_barrier
	ds_read_b32 v7, v11 offset:3072
	v_mov_b32_e32 v8, s86
	v_add_co_u32_e64 v4, s[6:7], s33, v4
	v_addc_co_u32_e64 v5, s[6:7], v5, v8, s[6:7]
	s_waitcnt lgkmcnt(0)
	v_cmp_neq_f16_e32 vcc, 0, v7
	v_cmp_ge_u64_e64 s[6:7], v[4:5], v[2:3]
	s_or_b64 s[6:7], s[6:7], vcc
	s_and_b64 s[6:7], exec, s[6:7]
	s_or_b64 s[20:21], s[6:7], s[20:21]
	s_andn2_b64 s[6:7], s[22:23], exec
	s_and_b64 s[22:23], vcc, exec
	v_add_u32_e32 v6, s80, v6
	s_or_b64 s[22:23], s[6:7], s[22:23]
	s_barrier
	s_andn2_b64 exec, exec, s[20:21]
	s_cbranch_execz .LBB135_129
.LBB135_122:                            ;   Parent Loop BB135_44 Depth=1
                                        ; =>  This Inner Loop Header: Depth=2
	v_cmp_gt_u64_e32 vcc, s[2:3], v[4:5]
	v_mov_b32_e32 v7, 0
	s_and_saveexec_b64 s[6:7], vcc
	s_cbranch_execz .LBB135_124
; %bb.123:                              ;   in Loop: Header=BB135_122 Depth=2
	ds_read_u16 v7, v6
.LBB135_124:                            ;   in Loop: Header=BB135_122 Depth=2
	s_or_b64 exec, exec, s[6:7]
	s_and_saveexec_b64 s[6:7], vcc
	s_cbranch_execz .LBB135_121
; %bb.125:                              ;   in Loop: Header=BB135_122 Depth=2
	s_waitcnt lgkmcnt(0)
	v_cmp_lt_i16_e32 vcc, -1, v7
	v_cndmask_b32_e32 v8, v47, v48, vcc
	v_xor_b32_sdwa v8, v8, v7 dst_sel:DWORD dst_unused:UNUSED_PAD src0_sel:DWORD src1_sel:WORD_0
	v_cmp_o_f16_e32 vcc, v7, v7
	v_cndmask_b32_e32 v8, v47, v8, vcc
	v_and_b32_e32 v8, s81, v8
	v_cmp_eq_u32_e32 vcc, s60, v8
	s_and_b64 exec, exec, vcc
	s_cbranch_execz .LBB135_121
; %bb.126:                              ;   in Loop: Header=BB135_122 Depth=2
	v_perm_b32 v7, v7, s90, v51
	ds_write_b32 v11, v7 offset:3072
	s_branch .LBB135_121
.LBB135_127:                            ;   in Loop: Header=BB135_44 Depth=1
	s_mov_b64 s[6:7], -1
                                        ; implicit-def: $sgpr2_sgpr3
                                        ; implicit-def: $sgpr20_sgpr21
                                        ; implicit-def: $sgpr12_sgpr13
	s_branch .LBB135_144
.LBB135_128:                            ;   in Loop: Header=BB135_44 Depth=1
	s_mov_b64 s[2:3], -1
	s_mov_b64 s[6:7], 0
                                        ; implicit-def: $sgpr12_sgpr13
                                        ; implicit-def: $vgpr52
	s_mov_b64 s[20:21], s[2:3]
	s_cbranch_execnz .LBB135_131
	s_branch .LBB135_144
.LBB135_129:                            ;   in Loop: Header=BB135_44 Depth=1
	s_or_b64 exec, exec, s[20:21]
	v_lshrrev_b32_e32 v52, 16, v7
	s_and_b64 s[6:7], s[22:23], exec
.LBB135_130:                            ;   in Loop: Header=BB135_44 Depth=1
	s_or_b64 exec, exec, s[12:13]
	s_mov_b64 s[12:13], -1
	s_mov_b64 s[2:3], 0
	s_mov_b64 s[20:21], s[2:3]
	s_branch .LBB135_144
.LBB135_131:                            ;   in Loop: Header=BB135_44 Depth=1
	s_mov_b32 s68, s77
	s_cmp_lg_u64 s[68:69], 0
	s_cbranch_scc0 .LBB135_177
; %bb.132:                              ;   in Loop: Header=BB135_44 Depth=1
	v_cvt_f32_u32_e32 v2, s33
	s_sub_u32 s2, 0, s33
	s_subb_u32 s3, 0, 0
	v_readlane_b32 s4, v54, 23
	v_mac_f32_e32 v2, 0, v49
	v_rcp_f32_e32 v2, v2
	v_mul_f32_e32 v2, 0x5f7ffffc, v2
	v_mul_f32_e32 v3, 0x2f800000, v2
	v_trunc_f32_e32 v3, v3
	v_mac_f32_e32 v2, 0xcf800000, v3
	v_cvt_u32_f32_e32 v3, v3
	v_cvt_u32_f32_e32 v2, v2
	v_readfirstlane_b32 s6, v3
	v_readfirstlane_b32 s7, v2
	s_mul_i32 s12, s2, s6
	s_mul_hi_u32 s20, s2, s7
	s_mul_i32 s13, s3, s7
	s_add_i32 s12, s20, s12
	s_mul_i32 s21, s2, s7
	s_add_i32 s12, s12, s13
	s_mul_hi_u32 s20, s7, s21
	s_mul_hi_u32 s13, s7, s12
	s_mul_i32 s7, s7, s12
	s_add_u32 s7, s20, s7
	s_addc_u32 s13, 0, s13
	s_mul_hi_u32 s22, s6, s21
	s_mul_i32 s21, s6, s21
	s_add_u32 s7, s7, s21
	s_mul_hi_u32 s20, s6, s12
	s_addc_u32 s7, s13, s22
	s_addc_u32 s13, s20, 0
	s_mul_i32 s12, s6, s12
	s_add_u32 s7, s7, s12
	s_addc_u32 s12, 0, s13
	v_add_co_u32_e32 v2, vcc, s7, v2
	s_cmp_lg_u64 vcc, 0
	s_addc_u32 s6, s6, s12
	v_readfirstlane_b32 s12, v2
	s_mul_i32 s7, s2, s6
	s_mul_hi_u32 s13, s2, s12
	s_add_i32 s7, s13, s7
	s_mul_i32 s3, s3, s12
	s_add_i32 s7, s7, s3
	s_mul_i32 s2, s2, s12
	s_mul_hi_u32 s13, s6, s2
	s_mul_i32 s20, s6, s2
	s_mul_i32 s22, s12, s7
	s_mul_hi_u32 s2, s12, s2
	s_mul_hi_u32 s21, s12, s7
	s_add_u32 s2, s2, s22
	s_addc_u32 s12, 0, s21
	s_add_u32 s2, s2, s20
	s_mul_hi_u32 s3, s6, s7
	s_addc_u32 s2, s12, s13
	s_addc_u32 s3, s3, 0
	s_mul_i32 s7, s6, s7
	s_add_u32 s2, s2, s7
	s_addc_u32 s3, 0, s3
	v_add_co_u32_e32 v2, vcc, s2, v2
	s_cmp_lg_u64 vcc, 0
	s_addc_u32 s2, s6, s3
	v_readfirstlane_b32 s7, v2
	s_mul_i32 s6, s4, s2
	s_mul_hi_u32 s12, s4, s7
	s_mul_hi_u32 s3, s4, s2
	s_add_u32 s6, s12, s6
	s_addc_u32 s3, 0, s3
	s_mul_hi_u32 s13, s69, s7
	s_mul_i32 s7, s69, s7
	s_add_u32 s6, s6, s7
	s_mul_hi_u32 s12, s69, s2
	s_addc_u32 s3, s3, s13
	s_addc_u32 s6, s12, 0
	s_mul_i32 s2, s69, s2
	s_add_u32 s2, s3, s2
	s_addc_u32 s3, 0, s6
	s_mul_hi_u32 s6, s33, s2
	s_mul_i32 s2, s33, s2
	s_mul_i32 s3, s33, s3
	v_mov_b32_e32 v2, s2
	s_add_i32 s6, s6, s3
	v_sub_co_u32_e32 v2, vcc, s4, v2
	s_cmp_lg_u64 vcc, 0
	s_subb_u32 s2, s69, s6
	v_subrev_co_u32_e32 v3, vcc, s33, v2
	s_cmp_lg_u64 vcc, 0
	s_subb_u32 s3, s2, 0
	v_subrev_co_u32_e32 v4, vcc, s33, v3
	s_cmp_lg_u64 vcc, 0
	s_subb_u32 s6, s3, 0
	v_cmp_le_u32_e32 vcc, s33, v3
	s_cmp_eq_u32 s3, 0
	v_cndmask_b32_e64 v5, 0, -1, vcc
	s_cselect_b64 vcc, -1, 0
	v_cndmask_b32_e32 v5, -1, v5, vcc
	v_mov_b32_e32 v6, s3
	v_mov_b32_e32 v7, s6
	v_cmp_ne_u32_e32 vcc, 0, v5
	v_cndmask_b32_e32 v5, v6, v7, vcc
	v_cndmask_b32_e32 v4, v3, v4, vcc
	v_cmp_le_u32_e32 vcc, s33, v2
	s_cmp_eq_u32 s2, 0
	v_cndmask_b32_e64 v3, 0, -1, vcc
	s_cselect_b64 vcc, -1, 0
	v_cndmask_b32_e32 v3, -1, v3, vcc
	v_mov_b32_e32 v6, s2
	v_cmp_ne_u32_e32 vcc, 0, v3
	v_cndmask_b32_e32 v3, v6, v5, vcc
	v_cndmask_b32_e32 v2, v2, v4, vcc
	s_cbranch_execnz .LBB135_134
.LBB135_133:                            ;   in Loop: Header=BB135_44 Depth=1
	v_cvt_f32_u32_e32 v2, s33
	s_sub_i32 s2, 0, s33
	v_rcp_iflag_f32_e32 v2, v2
	v_mul_f32_e32 v2, 0x4f7ffffe, v2
	v_cvt_u32_f32_e32 v2, v2
	v_mul_lo_u32 v3, s2, v2
	v_mul_hi_u32 v3, v2, v3
	v_add_u32_e32 v2, v2, v3
	v_readlane_b32 s2, v54, 23
	v_mul_hi_u32 v2, s2, v2
	v_mul_lo_u32 v2, v2, s33
	v_sub_u32_e32 v2, s2, v2
	v_subrev_u32_e32 v3, s33, v2
	v_cmp_le_u32_e32 vcc, s33, v2
	v_cndmask_b32_e32 v2, v2, v3, vcc
	v_subrev_u32_e32 v3, s33, v2
	v_cmp_le_u32_e32 vcc, s33, v2
	v_cndmask_b32_e32 v10, v2, v3, vcc
	v_pk_mov_b32 v[2:3], v[10:11], v[10:11] op_sel:[0,1]
.LBB135_134:                            ;   in Loop: Header=BB135_44 Depth=1
	v_readlane_b32 s2, v54, 23
	v_mov_b32_e32 v4, s69
	v_sub_co_u32_e32 v2, vcc, s2, v2
	v_subb_co_u32_e32 v3, vcc, v4, v3, vcc
	v_cmp_gt_u64_e32 vcc, v[2:3], v[0:1]
	s_mov_b64 s[6:7], 0
                                        ; implicit-def: $vgpr52
	s_and_saveexec_b64 s[2:3], vcc
	s_cbranch_execz .LBB135_143
; %bb.135:                              ;   in Loop: Header=BB135_44 Depth=1
	s_mov_b64 s[12:13], 0
	v_pk_mov_b32 v[4:5], v[12:13], v[12:13] op_sel:[0,1]
	v_pk_mov_b32 v[6:7], v[0:1], v[0:1] op_sel:[0,1]
                                        ; implicit-def: $sgpr20_sgpr21
	s_branch .LBB135_137
.LBB135_136:                            ;   in Loop: Header=BB135_137 Depth=2
	s_or_b64 exec, exec, s[6:7]
	s_waitcnt lgkmcnt(0)
	s_barrier
	s_waitcnt vmcnt(0)
	ds_read_b32 v8, v11 offset:3072
	v_mov_b32_e32 v9, s86
	v_add_co_u32_e64 v6, s[6:7], s33, v6
	v_addc_co_u32_e64 v7, s[6:7], v7, v9, s[6:7]
	s_waitcnt lgkmcnt(0)
	v_cmp_neq_f16_e32 vcc, 0, v8
	v_cmp_ge_u64_e64 s[6:7], v[6:7], v[2:3]
	s_or_b64 s[22:23], s[6:7], vcc
	v_mov_b32_e32 v9, s73
	v_add_co_u32_e64 v4, s[6:7], s72, v4
	v_addc_co_u32_e64 v5, s[6:7], v5, v9, s[6:7]
	s_and_b64 s[6:7], exec, s[22:23]
	s_or_b64 s[12:13], s[6:7], s[12:13]
	s_andn2_b64 s[6:7], s[20:21], exec
	s_and_b64 s[20:21], vcc, exec
	s_or_b64 s[20:21], s[6:7], s[20:21]
	s_barrier
	s_andn2_b64 exec, exec, s[12:13]
	s_cbranch_execz .LBB135_142
.LBB135_137:                            ;   Parent Loop BB135_44 Depth=1
                                        ; =>  This Inner Loop Header: Depth=2
	v_cmp_gt_u64_e32 vcc, s[52:53], v[6:7]
	v_mov_b32_e32 v8, 0
	s_and_saveexec_b64 s[6:7], vcc
	s_cbranch_execz .LBB135_139
; %bb.138:                              ;   in Loop: Header=BB135_137 Depth=2
	global_load_ushort v8, v[4:5], off
.LBB135_139:                            ;   in Loop: Header=BB135_137 Depth=2
	s_or_b64 exec, exec, s[6:7]
	s_and_saveexec_b64 s[6:7], vcc
	s_cbranch_execz .LBB135_136
; %bb.140:                              ;   in Loop: Header=BB135_137 Depth=2
	s_waitcnt vmcnt(0)
	v_cmp_lt_i16_e32 vcc, -1, v8
	v_cndmask_b32_e32 v9, v47, v48, vcc
	v_xor_b32_sdwa v9, v9, v8 dst_sel:DWORD dst_unused:UNUSED_PAD src0_sel:DWORD src1_sel:WORD_0
	v_cmp_o_f16_e32 vcc, v8, v8
	v_cndmask_b32_e32 v9, v47, v9, vcc
	v_and_b32_e32 v9, s81, v9
	v_cmp_eq_u32_e32 vcc, s60, v9
	s_and_b64 exec, exec, vcc
	s_cbranch_execz .LBB135_136
; %bb.141:                              ;   in Loop: Header=BB135_137 Depth=2
	v_perm_b32 v8, v8, s90, v51
	ds_write_b32 v11, v8 offset:3072
	s_branch .LBB135_136
.LBB135_142:                            ;   in Loop: Header=BB135_44 Depth=1
	s_or_b64 exec, exec, s[12:13]
	v_lshrrev_b32_e32 v52, 16, v8
	s_and_b64 s[6:7], s[20:21], exec
.LBB135_143:                            ;   in Loop: Header=BB135_44 Depth=1
	s_or_b64 exec, exec, s[2:3]
	s_mov_b64 s[20:21], -1
	s_mov_b64 s[2:3], 0
	s_mov_b64 s[12:13], 0
.LBB135_144:                            ;   in Loop: Header=BB135_44 Depth=1
	s_andn2_b64 s[8:9], s[54:55], exec
	s_and_b64 s[2:3], s[2:3], exec
	s_or_b64 s[54:55], s[8:9], s[2:3]
	s_andn2_b64 s[2:3], s[34:35], exec
	s_and_b64 s[20:21], s[20:21], exec
	s_or_b64 s[34:35], s[2:3], s[20:21]
	;; [unrolled: 3-line block ×3, first 2 shown]
	s_and_saveexec_b64 s[12:13], s[6:7]
	s_cbranch_execz .LBB135_43
; %bb.145:                              ;   in Loop: Header=BB135_44 Depth=1
	s_xor_b64 s[2:3], s[18:19], -1
	s_andn2_b64 vcc, exec, s[2:3]
	s_mov_b32 s45, 1
	s_cbranch_vccnz .LBB135_156
; %bb.146:                              ;   in Loop: Header=BB135_44 Depth=1
	v_pk_mov_b32 v[2:3], s[0:1], s[0:1] op_sel:[0,1]
	v_cmp_gt_u64_e32 vcc, s[50:51], v[2:3]
	s_mov_b64 s[2:3], -1
                                        ; implicit-def: $sgpr45
                                        ; implicit-def: $sgpr6
                                        ; implicit-def: $sgpr7
	s_cbranch_vccnz .LBB135_152
; %bb.147:                              ;   in Loop: Header=BB135_44 Depth=1
	ds_read_b64 v[2:3], v11 offset:5120
	s_waitcnt lgkmcnt(0)
	v_cmp_ne_u64_e32 vcc, 0, v[2:3]
	s_cbranch_vccnz .LBB135_151
; %bb.148:                              ;   in Loop: Header=BB135_44 Depth=1
	v_readlane_b32 s4, v54, 14
	v_readlane_b32 s5, v54, 15
	s_and_saveexec_b64 s[2:3], s[4:5]
	s_cbranch_execz .LBB135_150
; %bb.149:                              ;   in Loop: Header=BB135_44 Depth=1
	v_pk_mov_b32 v[2:3], s[0:1], s[0:1] op_sel:[0,1]
	ds_write_b64 v11, v[2:3] offset:5128
.LBB135_150:                            ;   in Loop: Header=BB135_44 Depth=1
	s_or_b64 exec, exec, s[2:3]
	s_waitcnt lgkmcnt(0)
	s_barrier
.LBB135_151:                            ;   in Loop: Header=BB135_44 Depth=1
	s_and_b32 s6, s60, s39
	s_or_b32 s7, s81, s44
	s_mov_b64 s[2:3], 0
	s_mov_b32 s45, 8
.LBB135_152:                            ;   in Loop: Header=BB135_44 Depth=1
	s_andn2_b64 vcc, exec, s[2:3]
	s_cbranch_vccnz .LBB135_154
; %bb.153:                              ;   in Loop: Header=BB135_44 Depth=1
	s_sub_u32 s50, s50, s0
	s_subb_u32 s51, s51, s1
	s_mov_b64 s[2:3], -1
	s_mov_b32 s45, 0
	s_mov_b32 s6, s60
	;; [unrolled: 1-line block ×3, first 2 shown]
.LBB135_154:                            ;   in Loop: Header=BB135_44 Depth=1
	s_mov_b32 s81, s7
	s_mov_b32 s60, s6
	s_mov_b64 s[14:15], -1
	s_and_b64 vcc, exec, s[2:3]
	s_cbranch_vccnz .LBB135_157
.LBB135_155:                            ;   in Loop: Header=BB135_44 Depth=1
	s_mov_b64 s[2:3], -1
                                        ; implicit-def: $sgpr18_sgpr19
                                        ; implicit-def: $sgpr22_sgpr23
                                        ; implicit-def: $sgpr20_sgpr21
	s_and_saveexec_b64 s[0:1], s[2:3]
	s_xor_b64 s[0:1], exec, s[0:1]
	s_cbranch_execz .LBB135_42
	s_branch .LBB135_306
.LBB135_156:                            ;   in Loop: Header=BB135_44 Depth=1
	s_mov_b64 s[50:51], 1
	s_mov_b64 s[14:15], -1
	s_branch .LBB135_155
.LBB135_157:                            ;   in Loop: Header=BB135_44 Depth=1
	s_cmp_eq_u64 s[28:29], 1
	s_cselect_b64 s[0:1], -1, 0
	s_cmp_eq_u64 s[50:51], 1
	s_cselect_b64 s[2:3], -1, 0
	s_and_b64 s[0:1], s[0:1], s[2:3]
	s_mov_b64 s[6:7], -1
	s_and_b64 vcc, exec, s[0:1]
	s_cbranch_vccz .LBB135_172
; %bb.158:                              ;   in Loop: Header=BB135_44 Depth=1
	ds_read_b64 v[2:3], v11 offset:5120
	v_readlane_b32 s4, v54, 16
	v_readlane_b32 s5, v54, 17
	s_waitcnt lgkmcnt(0)
	s_barrier
	v_readfirstlane_b32 s2, v2
	v_readfirstlane_b32 s3, v3
	s_and_saveexec_b64 s[6:7], s[4:5]
	s_cbranch_execz .LBB135_160
; %bb.159:                              ;   in Loop: Header=BB135_44 Depth=1
	ds_write_b16 v42, v15
.LBB135_160:                            ;   in Loop: Header=BB135_44 Depth=1
	s_or_b64 exec, exec, s[6:7]
	s_lshl_b32 s6, 1, s38
	s_and_b32 s7, s60, s39
	s_or_b32 s60, s7, s6
	s_or_b32 s81, s81, s44
	s_cmp_eq_u64 s[2:3], 0
	s_waitcnt lgkmcnt(0)
	s_barrier
	s_cbranch_scc1 .LBB135_178
; %bb.161:                              ;   in Loop: Header=BB135_44 Depth=1
	v_readlane_b32 s4, v54, 22
	s_add_u32 s20, s4, s2
	v_readlane_b32 s4, v54, 24
	s_addc_u32 s7, s4, s3
	s_mov_b32 s6, s77
	s_cmp_lg_u64 s[6:7], 0
	s_cbranch_scc0 .LBB135_223
; %bb.162:                              ;   in Loop: Header=BB135_44 Depth=1
	v_cvt_f32_u32_e32 v2, s33
	s_sub_u32 s6, 0, s33
	s_subb_u32 s18, 0, 0
	v_mac_f32_e32 v2, 0, v49
	v_rcp_f32_e32 v2, v2
	v_mul_f32_e32 v2, 0x5f7ffffc, v2
	v_mul_f32_e32 v3, 0x2f800000, v2
	v_trunc_f32_e32 v3, v3
	v_mac_f32_e32 v2, 0xcf800000, v3
	v_cvt_u32_f32_e32 v3, v3
	v_cvt_u32_f32_e32 v2, v2
	v_readfirstlane_b32 s19, v3
	v_readfirstlane_b32 s21, v2
	s_mul_i32 s22, s6, s19
	s_mul_hi_u32 s24, s6, s21
	s_mul_i32 s23, s18, s21
	s_add_i32 s22, s24, s22
	s_mul_i32 s25, s6, s21
	s_add_i32 s22, s22, s23
	s_mul_hi_u32 s24, s21, s25
	s_mul_hi_u32 s23, s21, s22
	s_mul_i32 s21, s21, s22
	s_add_u32 s21, s24, s21
	s_addc_u32 s23, 0, s23
	s_mul_hi_u32 s26, s19, s25
	s_mul_i32 s25, s19, s25
	s_add_u32 s21, s21, s25
	s_mul_hi_u32 s24, s19, s22
	s_addc_u32 s21, s23, s26
	s_addc_u32 s23, s24, 0
	s_mul_i32 s22, s19, s22
	s_add_u32 s21, s21, s22
	s_addc_u32 s22, 0, s23
	v_add_co_u32_e32 v2, vcc, s21, v2
	s_cmp_lg_u64 vcc, 0
	s_addc_u32 s19, s19, s22
	v_readfirstlane_b32 s22, v2
	s_mul_i32 s21, s6, s19
	s_mul_hi_u32 s23, s6, s22
	s_add_i32 s21, s23, s21
	s_mul_i32 s18, s18, s22
	s_add_i32 s21, s21, s18
	s_mul_i32 s6, s6, s22
	s_mul_hi_u32 s23, s19, s6
	s_mul_i32 s24, s19, s6
	s_mul_i32 s26, s22, s21
	s_mul_hi_u32 s6, s22, s6
	s_mul_hi_u32 s25, s22, s21
	s_add_u32 s6, s6, s26
	s_addc_u32 s22, 0, s25
	s_add_u32 s6, s6, s24
	s_mul_hi_u32 s18, s19, s21
	s_addc_u32 s6, s22, s23
	s_addc_u32 s18, s18, 0
	s_mul_i32 s21, s19, s21
	s_add_u32 s6, s6, s21
	s_addc_u32 s18, 0, s18
	v_add_co_u32_e32 v2, vcc, s6, v2
	s_cmp_lg_u64 vcc, 0
	s_addc_u32 s6, s19, s18
	v_readfirstlane_b32 s21, v2
	s_mul_i32 s19, s20, s6
	s_mul_hi_u32 s22, s20, s21
	s_mul_hi_u32 s18, s20, s6
	s_add_u32 s19, s22, s19
	s_addc_u32 s18, 0, s18
	s_mul_hi_u32 s23, s7, s21
	s_mul_i32 s21, s7, s21
	s_add_u32 s19, s19, s21
	s_mul_hi_u32 s22, s7, s6
	s_addc_u32 s18, s18, s23
	s_addc_u32 s19, s22, 0
	s_mul_i32 s6, s7, s6
	s_add_u32 s6, s18, s6
	s_addc_u32 s18, 0, s19
	s_mul_hi_u32 s19, s33, s6
	s_mul_i32 s6, s33, s6
	s_mul_i32 s18, s33, s18
	v_mov_b32_e32 v2, s6
	s_add_i32 s19, s19, s18
	v_sub_co_u32_e32 v2, vcc, s20, v2
	s_cmp_lg_u64 vcc, 0
	s_subb_u32 s6, s7, s19
	v_subrev_co_u32_e32 v3, vcc, s33, v2
	s_cmp_lg_u64 vcc, 0
	s_subb_u32 s18, s6, 0
	v_subrev_co_u32_e32 v4, vcc, s33, v3
	s_cmp_lg_u64 vcc, 0
	s_subb_u32 s19, s18, 0
	v_cmp_le_u32_e32 vcc, s33, v3
	s_cmp_eq_u32 s18, 0
	v_cndmask_b32_e64 v5, 0, -1, vcc
	s_cselect_b64 vcc, -1, 0
	v_cndmask_b32_e32 v5, -1, v5, vcc
	v_mov_b32_e32 v6, s18
	v_mov_b32_e32 v7, s19
	v_cmp_ne_u32_e32 vcc, 0, v5
	v_cndmask_b32_e32 v5, v6, v7, vcc
	v_cndmask_b32_e32 v4, v3, v4, vcc
	v_cmp_le_u32_e32 vcc, s33, v2
	s_cmp_eq_u32 s6, 0
	v_cndmask_b32_e64 v3, 0, -1, vcc
	s_cselect_b64 vcc, -1, 0
	v_cndmask_b32_e32 v3, -1, v3, vcc
	v_mov_b32_e32 v6, s6
	v_cmp_ne_u32_e32 vcc, 0, v3
	v_cndmask_b32_e32 v3, v6, v5, vcc
	v_cndmask_b32_e32 v2, v2, v4, vcc
	s_cbranch_execnz .LBB135_164
.LBB135_163:                            ;   in Loop: Header=BB135_44 Depth=1
	v_cvt_f32_u32_e32 v2, s33
	s_sub_i32 s6, 0, s33
	v_rcp_iflag_f32_e32 v2, v2
	v_mul_f32_e32 v2, 0x4f7ffffe, v2
	v_cvt_u32_f32_e32 v2, v2
	v_mul_lo_u32 v3, s6, v2
	v_mul_hi_u32 v3, v2, v3
	v_add_u32_e32 v2, v2, v3
	v_mul_hi_u32 v2, s20, v2
	v_mul_lo_u32 v2, v2, s33
	v_sub_u32_e32 v2, s20, v2
	v_subrev_u32_e32 v3, s33, v2
	v_cmp_le_u32_e32 vcc, s33, v2
	v_cndmask_b32_e32 v2, v2, v3, vcc
	v_subrev_u32_e32 v3, s33, v2
	v_cmp_le_u32_e32 vcc, s33, v2
	v_cndmask_b32_e32 v10, v2, v3, vcc
	v_pk_mov_b32 v[2:3], v[10:11], v[10:11] op_sel:[0,1]
.LBB135_164:                            ;   in Loop: Header=BB135_44 Depth=1
	v_mov_b32_e32 v4, s7
	v_sub_co_u32_e32 v2, vcc, s20, v2
	v_subb_co_u32_e32 v3, vcc, v4, v3, vcc
	v_cmp_gt_u64_e32 vcc, v[2:3], v[0:1]
	s_mov_b64 s[6:7], 0
                                        ; implicit-def: $vgpr52
	s_and_saveexec_b64 s[18:19], vcc
	s_cbranch_execz .LBB135_180
; %bb.165:                              ;   in Loop: Header=BB135_44 Depth=1
	s_mov_b64 s[20:21], 0
	v_mov_b32_e32 v6, v41
	v_pk_mov_b32 v[4:5], v[0:1], v[0:1] op_sel:[0,1]
                                        ; implicit-def: $sgpr22_sgpr23
	s_branch .LBB135_167
.LBB135_166:                            ;   in Loop: Header=BB135_167 Depth=2
	s_or_b64 exec, exec, s[6:7]
	s_waitcnt lgkmcnt(0)
	s_barrier
	ds_read_b32 v7, v11 offset:3072
	v_mov_b32_e32 v8, s86
	v_add_co_u32_e64 v4, s[6:7], s33, v4
	v_addc_co_u32_e64 v5, s[6:7], v5, v8, s[6:7]
	s_waitcnt lgkmcnt(0)
	v_cmp_neq_f16_e32 vcc, 0, v7
	v_cmp_ge_u64_e64 s[6:7], v[4:5], v[2:3]
	s_or_b64 s[6:7], s[6:7], vcc
	s_and_b64 s[6:7], exec, s[6:7]
	s_or_b64 s[20:21], s[6:7], s[20:21]
	s_andn2_b64 s[6:7], s[22:23], exec
	s_and_b64 s[22:23], vcc, exec
	v_add_u32_e32 v6, s80, v6
	s_or_b64 s[22:23], s[6:7], s[22:23]
	s_barrier
	s_andn2_b64 exec, exec, s[20:21]
	s_cbranch_execz .LBB135_179
.LBB135_167:                            ;   Parent Loop BB135_44 Depth=1
                                        ; =>  This Inner Loop Header: Depth=2
	v_cmp_gt_u64_e32 vcc, s[2:3], v[4:5]
	v_mov_b32_e32 v7, 0
	s_and_saveexec_b64 s[6:7], vcc
	s_cbranch_execz .LBB135_169
; %bb.168:                              ;   in Loop: Header=BB135_167 Depth=2
	ds_read_u16 v7, v6
.LBB135_169:                            ;   in Loop: Header=BB135_167 Depth=2
	s_or_b64 exec, exec, s[6:7]
	s_and_saveexec_b64 s[6:7], vcc
	s_cbranch_execz .LBB135_166
; %bb.170:                              ;   in Loop: Header=BB135_167 Depth=2
	s_waitcnt lgkmcnt(0)
	v_cmp_lt_i16_e32 vcc, -1, v7
	v_cndmask_b32_e32 v8, v47, v48, vcc
	v_xor_b32_sdwa v8, v8, v7 dst_sel:DWORD dst_unused:UNUSED_PAD src0_sel:DWORD src1_sel:WORD_0
	v_cmp_o_f16_e32 vcc, v7, v7
	v_cndmask_b32_e32 v8, v47, v8, vcc
	v_and_b32_e32 v8, s81, v8
	v_cmp_eq_u32_e32 vcc, s60, v8
	s_and_b64 exec, exec, vcc
	s_cbranch_execz .LBB135_166
; %bb.171:                              ;   in Loop: Header=BB135_167 Depth=2
	v_perm_b32 v7, v7, s90, v51
	ds_write_b32 v11, v7 offset:3072
	s_branch .LBB135_166
.LBB135_172:                            ;   in Loop: Header=BB135_44 Depth=1
                                        ; implicit-def: $sgpr20_sgpr21
                                        ; implicit-def: $sgpr22_sgpr23
                                        ; implicit-def: $sgpr18_sgpr19
	s_branch .LBB135_194
.LBB135_173:                            ;   in Loop: Header=BB135_44 Depth=1
                                        ; implicit-def: $vgpr2_vgpr3
	s_branch .LBB135_118
.LBB135_174:                            ;   in Loop: Header=BB135_44 Depth=1
	s_or_b64 exec, exec, s[2:3]
	v_readlane_b32 s4, v54, 14
	v_readlane_b32 s5, v54, 15
	s_waitcnt lgkmcnt(0)
	s_barrier
	s_and_saveexec_b64 s[2:3], s[4:5]
	s_cbranch_execz .LBB135_176
; %bb.175:                              ;   in Loop: Header=BB135_44 Depth=1
	ds_read_b32 v2, v11 offset:5144
	s_waitcnt lgkmcnt(0)
	v_ashrrev_i32_e32 v3, 31, v2
	ds_write_b64 v11, v[2:3] offset:5120
.LBB135_176:                            ;   in Loop: Header=BB135_44 Depth=1
	s_or_b64 exec, exec, s[2:3]
	s_waitcnt lgkmcnt(0)
	s_barrier
	s_mov_b64 s[2:3], -1
	s_and_b64 vcc, exec, s[0:1]
	s_cbranch_vccnz .LBB135_59
	s_branch .LBB135_69
.LBB135_177:                            ;   in Loop: Header=BB135_44 Depth=1
                                        ; implicit-def: $vgpr2_vgpr3
	s_branch .LBB135_133
.LBB135_178:                            ;   in Loop: Header=BB135_44 Depth=1
	s_mov_b64 s[20:21], -1
	s_mov_b64 s[6:7], 0
                                        ; implicit-def: $sgpr18_sgpr19
                                        ; implicit-def: $vgpr52
	s_mov_b64 s[22:23], s[20:21]
	s_cbranch_execnz .LBB135_181
	s_branch .LBB135_194
.LBB135_179:                            ;   in Loop: Header=BB135_44 Depth=1
	s_or_b64 exec, exec, s[20:21]
	v_lshrrev_b32_e32 v52, 16, v7
	s_and_b64 s[6:7], s[22:23], exec
.LBB135_180:                            ;   in Loop: Header=BB135_44 Depth=1
	s_or_b64 exec, exec, s[18:19]
	s_mov_b64 s[18:19], -1
	s_mov_b64 s[20:21], 0
	s_mov_b64 s[22:23], s[20:21]
	s_branch .LBB135_194
.LBB135_181:                            ;   in Loop: Header=BB135_44 Depth=1
	s_mov_b32 s68, s77
	s_cmp_lg_u64 s[68:69], 0
	s_cbranch_scc0 .LBB135_224
; %bb.182:                              ;   in Loop: Header=BB135_44 Depth=1
	v_cvt_f32_u32_e32 v2, s33
	s_sub_u32 s2, 0, s33
	s_subb_u32 s3, 0, 0
	v_readlane_b32 s4, v54, 23
	v_mac_f32_e32 v2, 0, v49
	v_rcp_f32_e32 v2, v2
	v_mul_f32_e32 v2, 0x5f7ffffc, v2
	v_mul_f32_e32 v3, 0x2f800000, v2
	v_trunc_f32_e32 v3, v3
	v_mac_f32_e32 v2, 0xcf800000, v3
	v_cvt_u32_f32_e32 v3, v3
	v_cvt_u32_f32_e32 v2, v2
	v_readfirstlane_b32 s6, v3
	v_readfirstlane_b32 s7, v2
	s_mul_i32 s18, s2, s6
	s_mul_hi_u32 s20, s2, s7
	s_mul_i32 s19, s3, s7
	s_add_i32 s18, s20, s18
	s_mul_i32 s21, s2, s7
	s_add_i32 s18, s18, s19
	s_mul_hi_u32 s20, s7, s21
	s_mul_hi_u32 s19, s7, s18
	s_mul_i32 s7, s7, s18
	s_add_u32 s7, s20, s7
	s_addc_u32 s19, 0, s19
	s_mul_hi_u32 s22, s6, s21
	s_mul_i32 s21, s6, s21
	s_add_u32 s7, s7, s21
	s_mul_hi_u32 s20, s6, s18
	s_addc_u32 s7, s19, s22
	s_addc_u32 s19, s20, 0
	s_mul_i32 s18, s6, s18
	s_add_u32 s7, s7, s18
	s_addc_u32 s18, 0, s19
	v_add_co_u32_e32 v2, vcc, s7, v2
	s_cmp_lg_u64 vcc, 0
	s_addc_u32 s6, s6, s18
	v_readfirstlane_b32 s18, v2
	s_mul_i32 s7, s2, s6
	s_mul_hi_u32 s19, s2, s18
	s_add_i32 s7, s19, s7
	s_mul_i32 s3, s3, s18
	s_add_i32 s7, s7, s3
	s_mul_i32 s2, s2, s18
	s_mul_hi_u32 s19, s6, s2
	s_mul_i32 s20, s6, s2
	s_mul_i32 s22, s18, s7
	s_mul_hi_u32 s2, s18, s2
	s_mul_hi_u32 s21, s18, s7
	s_add_u32 s2, s2, s22
	s_addc_u32 s18, 0, s21
	s_add_u32 s2, s2, s20
	s_mul_hi_u32 s3, s6, s7
	s_addc_u32 s2, s18, s19
	s_addc_u32 s3, s3, 0
	s_mul_i32 s7, s6, s7
	s_add_u32 s2, s2, s7
	s_addc_u32 s3, 0, s3
	v_add_co_u32_e32 v2, vcc, s2, v2
	s_cmp_lg_u64 vcc, 0
	s_addc_u32 s2, s6, s3
	v_readfirstlane_b32 s7, v2
	s_mul_i32 s6, s4, s2
	s_mul_hi_u32 s18, s4, s7
	s_mul_hi_u32 s3, s4, s2
	s_add_u32 s6, s18, s6
	s_addc_u32 s3, 0, s3
	s_mul_hi_u32 s19, s69, s7
	s_mul_i32 s7, s69, s7
	s_add_u32 s6, s6, s7
	s_mul_hi_u32 s18, s69, s2
	s_addc_u32 s3, s3, s19
	s_addc_u32 s6, s18, 0
	s_mul_i32 s2, s69, s2
	s_add_u32 s2, s3, s2
	s_addc_u32 s3, 0, s6
	s_mul_hi_u32 s6, s33, s2
	s_mul_i32 s2, s33, s2
	s_mul_i32 s3, s33, s3
	v_mov_b32_e32 v2, s2
	s_add_i32 s6, s6, s3
	v_sub_co_u32_e32 v2, vcc, s4, v2
	s_cmp_lg_u64 vcc, 0
	s_subb_u32 s2, s69, s6
	v_subrev_co_u32_e32 v3, vcc, s33, v2
	s_cmp_lg_u64 vcc, 0
	s_subb_u32 s3, s2, 0
	v_subrev_co_u32_e32 v4, vcc, s33, v3
	s_cmp_lg_u64 vcc, 0
	s_subb_u32 s6, s3, 0
	v_cmp_le_u32_e32 vcc, s33, v3
	s_cmp_eq_u32 s3, 0
	v_cndmask_b32_e64 v5, 0, -1, vcc
	s_cselect_b64 vcc, -1, 0
	v_cndmask_b32_e32 v5, -1, v5, vcc
	v_mov_b32_e32 v6, s3
	v_mov_b32_e32 v7, s6
	v_cmp_ne_u32_e32 vcc, 0, v5
	v_cndmask_b32_e32 v5, v6, v7, vcc
	v_cndmask_b32_e32 v4, v3, v4, vcc
	v_cmp_le_u32_e32 vcc, s33, v2
	s_cmp_eq_u32 s2, 0
	v_cndmask_b32_e64 v3, 0, -1, vcc
	s_cselect_b64 vcc, -1, 0
	v_cndmask_b32_e32 v3, -1, v3, vcc
	v_mov_b32_e32 v6, s2
	v_cmp_ne_u32_e32 vcc, 0, v3
	v_cndmask_b32_e32 v3, v6, v5, vcc
	v_cndmask_b32_e32 v2, v2, v4, vcc
	s_cbranch_execnz .LBB135_184
.LBB135_183:                            ;   in Loop: Header=BB135_44 Depth=1
	v_cvt_f32_u32_e32 v2, s33
	s_sub_i32 s2, 0, s33
	v_rcp_iflag_f32_e32 v2, v2
	v_mul_f32_e32 v2, 0x4f7ffffe, v2
	v_cvt_u32_f32_e32 v2, v2
	v_mul_lo_u32 v3, s2, v2
	v_mul_hi_u32 v3, v2, v3
	v_add_u32_e32 v2, v2, v3
	v_readlane_b32 s2, v54, 23
	v_mul_hi_u32 v2, s2, v2
	v_mul_lo_u32 v2, v2, s33
	v_sub_u32_e32 v2, s2, v2
	v_subrev_u32_e32 v3, s33, v2
	v_cmp_le_u32_e32 vcc, s33, v2
	v_cndmask_b32_e32 v2, v2, v3, vcc
	v_subrev_u32_e32 v3, s33, v2
	v_cmp_le_u32_e32 vcc, s33, v2
	v_cndmask_b32_e32 v10, v2, v3, vcc
	v_pk_mov_b32 v[2:3], v[10:11], v[10:11] op_sel:[0,1]
.LBB135_184:                            ;   in Loop: Header=BB135_44 Depth=1
	v_readlane_b32 s2, v54, 23
	v_mov_b32_e32 v4, s69
	v_sub_co_u32_e32 v2, vcc, s2, v2
	v_subb_co_u32_e32 v3, vcc, v4, v3, vcc
	v_cmp_gt_u64_e32 vcc, v[2:3], v[0:1]
	s_mov_b64 s[6:7], 0
                                        ; implicit-def: $vgpr52
	s_and_saveexec_b64 s[2:3], vcc
	s_cbranch_execz .LBB135_193
; %bb.185:                              ;   in Loop: Header=BB135_44 Depth=1
	s_mov_b64 s[18:19], 0
	v_pk_mov_b32 v[4:5], v[12:13], v[12:13] op_sel:[0,1]
	v_pk_mov_b32 v[6:7], v[0:1], v[0:1] op_sel:[0,1]
                                        ; implicit-def: $sgpr20_sgpr21
	s_branch .LBB135_187
.LBB135_186:                            ;   in Loop: Header=BB135_187 Depth=2
	s_or_b64 exec, exec, s[6:7]
	s_waitcnt lgkmcnt(0)
	s_barrier
	s_waitcnt vmcnt(0)
	ds_read_b32 v8, v11 offset:3072
	v_mov_b32_e32 v9, s86
	v_add_co_u32_e64 v6, s[6:7], s33, v6
	v_addc_co_u32_e64 v7, s[6:7], v7, v9, s[6:7]
	s_waitcnt lgkmcnt(0)
	v_cmp_neq_f16_e32 vcc, 0, v8
	v_cmp_ge_u64_e64 s[6:7], v[6:7], v[2:3]
	s_or_b64 s[22:23], s[6:7], vcc
	v_mov_b32_e32 v9, s73
	v_add_co_u32_e64 v4, s[6:7], s72, v4
	v_addc_co_u32_e64 v5, s[6:7], v5, v9, s[6:7]
	s_and_b64 s[6:7], exec, s[22:23]
	s_or_b64 s[18:19], s[6:7], s[18:19]
	s_andn2_b64 s[6:7], s[20:21], exec
	s_and_b64 s[20:21], vcc, exec
	s_or_b64 s[20:21], s[6:7], s[20:21]
	s_barrier
	s_andn2_b64 exec, exec, s[18:19]
	s_cbranch_execz .LBB135_192
.LBB135_187:                            ;   Parent Loop BB135_44 Depth=1
                                        ; =>  This Inner Loop Header: Depth=2
	v_cmp_gt_u64_e32 vcc, s[52:53], v[6:7]
	v_mov_b32_e32 v8, 0
	s_and_saveexec_b64 s[6:7], vcc
	s_cbranch_execz .LBB135_189
; %bb.188:                              ;   in Loop: Header=BB135_187 Depth=2
	global_load_ushort v8, v[4:5], off
.LBB135_189:                            ;   in Loop: Header=BB135_187 Depth=2
	s_or_b64 exec, exec, s[6:7]
	s_and_saveexec_b64 s[6:7], vcc
	s_cbranch_execz .LBB135_186
; %bb.190:                              ;   in Loop: Header=BB135_187 Depth=2
	s_waitcnt vmcnt(0)
	v_cmp_lt_i16_e32 vcc, -1, v8
	v_cndmask_b32_e32 v9, v47, v48, vcc
	v_xor_b32_sdwa v9, v9, v8 dst_sel:DWORD dst_unused:UNUSED_PAD src0_sel:DWORD src1_sel:WORD_0
	v_cmp_o_f16_e32 vcc, v8, v8
	v_cndmask_b32_e32 v9, v47, v9, vcc
	v_and_b32_e32 v9, s81, v9
	v_cmp_eq_u32_e32 vcc, s60, v9
	s_and_b64 exec, exec, vcc
	s_cbranch_execz .LBB135_186
; %bb.191:                              ;   in Loop: Header=BB135_187 Depth=2
	v_perm_b32 v8, v8, s90, v51
	ds_write_b32 v11, v8 offset:3072
	s_branch .LBB135_186
.LBB135_192:                            ;   in Loop: Header=BB135_44 Depth=1
	s_or_b64 exec, exec, s[18:19]
	v_lshrrev_b32_e32 v52, 16, v8
	s_and_b64 s[6:7], s[20:21], exec
.LBB135_193:                            ;   in Loop: Header=BB135_44 Depth=1
	s_or_b64 exec, exec, s[2:3]
	s_mov_b64 s[22:23], -1
	s_mov_b64 s[20:21], 0
	s_mov_b64 s[18:19], 0
.LBB135_194:                            ;   in Loop: Header=BB135_44 Depth=1
	s_mov_b64 s[2:3], 0
                                        ; implicit-def: $sgpr45
	s_and_saveexec_b64 s[24:25], s[6:7]
	s_cbranch_execz .LBB135_305
; %bb.195:                              ;   in Loop: Header=BB135_44 Depth=1
	s_xor_b64 s[0:1], s[0:1], -1
	s_andn2_b64 vcc, exec, s[0:1]
	s_mov_b32 s45, 1
	s_cbranch_vccnz .LBB135_206
; %bb.196:                              ;   in Loop: Header=BB135_44 Depth=1
	v_pk_mov_b32 v[2:3], s[28:29], s[28:29] op_sel:[0,1]
	v_cmp_gt_u64_e32 vcc, s[50:51], v[2:3]
	s_mov_b64 s[0:1], -1
                                        ; implicit-def: $sgpr45
                                        ; implicit-def: $sgpr2
                                        ; implicit-def: $sgpr3
	s_cbranch_vccnz .LBB135_202
; %bb.197:                              ;   in Loop: Header=BB135_44 Depth=1
	ds_read_b64 v[2:3], v11 offset:5120
	s_waitcnt lgkmcnt(0)
	v_cmp_ne_u64_e32 vcc, 0, v[2:3]
	s_cbranch_vccnz .LBB135_201
; %bb.198:                              ;   in Loop: Header=BB135_44 Depth=1
	s_mov_b64 s[0:1], exec
	v_readlane_b32 s2, v54, 14
	v_readlane_b32 s3, v54, 15
	s_and_b64 s[2:3], s[0:1], s[2:3]
	s_mov_b64 exec, s[2:3]
	s_cbranch_execz .LBB135_200
; %bb.199:                              ;   in Loop: Header=BB135_44 Depth=1
	v_pk_mov_b32 v[2:3], s[28:29], s[28:29] op_sel:[0,1]
	ds_write_b64 v11, v[2:3] offset:5128
.LBB135_200:                            ;   in Loop: Header=BB135_44 Depth=1
	s_or_b64 exec, exec, s[0:1]
	s_waitcnt lgkmcnt(0)
	s_barrier
.LBB135_201:                            ;   in Loop: Header=BB135_44 Depth=1
	s_lshl_b32 s0, 1, s38
	s_and_b32 s1, s60, s39
	s_or_b32 s2, s1, s0
	s_or_b32 s3, s81, s44
	s_mov_b64 s[0:1], 0
	s_mov_b32 s45, 8
.LBB135_202:                            ;   in Loop: Header=BB135_44 Depth=1
	s_andn2_b64 vcc, exec, s[0:1]
	s_cbranch_vccnz .LBB135_204
; %bb.203:                              ;   in Loop: Header=BB135_44 Depth=1
	s_sub_u32 s50, s50, s28
	s_subb_u32 s51, s51, s29
	s_mov_b64 s[0:1], -1
	s_mov_b32 s45, 0
	s_mov_b32 s2, s60
	;; [unrolled: 1-line block ×3, first 2 shown]
.LBB135_204:                            ;   in Loop: Header=BB135_44 Depth=1
	s_mov_b32 s81, s3
	s_mov_b32 s60, s2
	s_andn2_b64 vcc, exec, s[0:1]
	s_mov_b64 s[6:7], -1
	s_cbranch_vccz .LBB135_207
.LBB135_205:                            ;   in Loop: Header=BB135_44 Depth=1
	s_mov_b64 s[70:71], s[88:89]
                                        ; implicit-def: $sgpr28_sgpr29
                                        ; implicit-def: $sgpr30_sgpr31
                                        ; implicit-def: $sgpr0_sgpr1
	s_branch .LBB135_304
.LBB135_206:                            ;   in Loop: Header=BB135_44 Depth=1
	s_mov_b64 s[50:51], 1
	s_mov_b64 s[6:7], -1
	s_cbranch_execnz .LBB135_205
.LBB135_207:                            ;   in Loop: Header=BB135_44 Depth=1
	s_cmp_eq_u64 s[16:17], 1
	s_cselect_b64 s[0:1], -1, 0
	s_cmp_eq_u64 s[50:51], 1
	s_cselect_b64 s[2:3], -1, 0
	s_mov_b64 s[62:63], s[36:37]
	s_and_b64 s[36:37], s[0:1], s[2:3]
	s_mov_b64 s[8:9], s[34:35]
	s_mov_b64 s[2:3], -1
	s_and_b64 vcc, exec, s[36:37]
	s_cbranch_vccz .LBB135_222
; %bb.208:                              ;   in Loop: Header=BB135_44 Depth=1
	ds_read_b64 v[2:3], v11 offset:5120
	v_readlane_b32 s4, v54, 16
	v_readlane_b32 s5, v54, 17
	s_waitcnt lgkmcnt(0)
	s_barrier
	v_readfirstlane_b32 s0, v2
	v_readfirstlane_b32 s1, v3
	s_and_saveexec_b64 s[2:3], s[4:5]
	s_cbranch_execz .LBB135_210
; %bb.209:                              ;   in Loop: Header=BB135_44 Depth=1
	ds_write_b16 v42, v15
.LBB135_210:                            ;   in Loop: Header=BB135_44 Depth=1
	s_or_b64 exec, exec, s[2:3]
	s_lshl_b32 s2, 2, s38
	s_and_b32 s3, s60, s39
	s_or_b32 s60, s3, s2
	s_or_b32 s81, s81, s44
	s_cmp_eq_u64 s[0:1], 0
	s_mov_b64 s[70:71], s[88:89]
	s_waitcnt lgkmcnt(0)
	s_barrier
	s_cbranch_scc1 .LBB135_225
; %bb.211:                              ;   in Loop: Header=BB135_44 Depth=1
	v_readlane_b32 s2, v54, 22
	s_add_u32 s26, s2, s0
	v_readlane_b32 s2, v54, 24
	s_addc_u32 s3, s2, s1
	s_mov_b32 s2, s77
	s_cmp_lg_u64 s[2:3], 0
	s_cbranch_scc0 .LBB135_270
; %bb.212:                              ;   in Loop: Header=BB135_44 Depth=1
	v_cvt_f32_u32_e32 v2, s33
	s_sub_u32 s2, 0, s33
	s_subb_u32 s6, 0, 0
	v_mac_f32_e32 v2, 0, v49
	v_rcp_f32_e32 v2, v2
	v_mul_f32_e32 v2, 0x5f7ffffc, v2
	v_mul_f32_e32 v3, 0x2f800000, v2
	v_trunc_f32_e32 v3, v3
	v_mac_f32_e32 v2, 0xcf800000, v3
	v_cvt_u32_f32_e32 v3, v3
	v_cvt_u32_f32_e32 v2, v2
	v_readfirstlane_b32 s7, v3
	v_readfirstlane_b32 s27, v2
	s_mul_i32 s28, s2, s7
	s_mul_hi_u32 s30, s2, s27
	s_mul_i32 s29, s6, s27
	s_add_i32 s28, s30, s28
	s_mul_i32 s31, s2, s27
	s_add_i32 s28, s28, s29
	s_mul_hi_u32 s30, s27, s31
	s_mul_hi_u32 s29, s27, s28
	s_mul_i32 s27, s27, s28
	s_add_u32 s27, s30, s27
	s_addc_u32 s29, 0, s29
	s_mul_hi_u32 s34, s7, s31
	s_mul_i32 s31, s7, s31
	s_add_u32 s27, s27, s31
	s_mul_hi_u32 s30, s7, s28
	s_addc_u32 s27, s29, s34
	s_addc_u32 s29, s30, 0
	s_mul_i32 s28, s7, s28
	s_add_u32 s27, s27, s28
	s_addc_u32 s28, 0, s29
	v_add_co_u32_e32 v2, vcc, s27, v2
	s_cmp_lg_u64 vcc, 0
	s_addc_u32 s7, s7, s28
	v_readfirstlane_b32 s28, v2
	s_mul_i32 s27, s2, s7
	s_mul_hi_u32 s29, s2, s28
	s_add_i32 s27, s29, s27
	s_mul_i32 s6, s6, s28
	s_add_i32 s27, s27, s6
	s_mul_i32 s2, s2, s28
	s_mul_hi_u32 s29, s7, s2
	s_mul_i32 s30, s7, s2
	s_mul_i32 s34, s28, s27
	s_mul_hi_u32 s2, s28, s2
	s_mul_hi_u32 s31, s28, s27
	s_add_u32 s2, s2, s34
	s_addc_u32 s28, 0, s31
	s_add_u32 s2, s2, s30
	s_mul_hi_u32 s6, s7, s27
	s_addc_u32 s2, s28, s29
	s_addc_u32 s6, s6, 0
	s_mul_i32 s27, s7, s27
	s_add_u32 s2, s2, s27
	s_addc_u32 s6, 0, s6
	v_add_co_u32_e32 v2, vcc, s2, v2
	s_cmp_lg_u64 vcc, 0
	s_addc_u32 s2, s7, s6
	v_readfirstlane_b32 s27, v2
	s_mul_i32 s7, s26, s2
	s_mul_hi_u32 s28, s26, s27
	s_mul_hi_u32 s6, s26, s2
	s_add_u32 s7, s28, s7
	s_addc_u32 s6, 0, s6
	s_mul_hi_u32 s29, s3, s27
	s_mul_i32 s27, s3, s27
	s_add_u32 s7, s7, s27
	s_mul_hi_u32 s28, s3, s2
	s_addc_u32 s6, s6, s29
	s_addc_u32 s7, s28, 0
	s_mul_i32 s2, s3, s2
	s_add_u32 s2, s6, s2
	s_addc_u32 s6, 0, s7
	s_mul_hi_u32 s7, s33, s2
	s_mul_i32 s2, s33, s2
	s_mul_i32 s6, s33, s6
	v_mov_b32_e32 v2, s2
	s_add_i32 s7, s7, s6
	v_sub_co_u32_e32 v2, vcc, s26, v2
	s_cmp_lg_u64 vcc, 0
	s_subb_u32 s2, s3, s7
	v_subrev_co_u32_e32 v3, vcc, s33, v2
	s_cmp_lg_u64 vcc, 0
	s_subb_u32 s6, s2, 0
	v_subrev_co_u32_e32 v4, vcc, s33, v3
	s_cmp_lg_u64 vcc, 0
	s_subb_u32 s7, s6, 0
	v_cmp_le_u32_e32 vcc, s33, v3
	s_cmp_eq_u32 s6, 0
	v_cndmask_b32_e64 v5, 0, -1, vcc
	s_cselect_b64 vcc, -1, 0
	v_cndmask_b32_e32 v5, -1, v5, vcc
	v_mov_b32_e32 v6, s6
	v_mov_b32_e32 v7, s7
	v_cmp_ne_u32_e32 vcc, 0, v5
	v_cndmask_b32_e32 v5, v6, v7, vcc
	v_cndmask_b32_e32 v4, v3, v4, vcc
	v_cmp_le_u32_e32 vcc, s33, v2
	s_cmp_eq_u32 s2, 0
	v_cndmask_b32_e64 v3, 0, -1, vcc
	s_cselect_b64 vcc, -1, 0
	v_cndmask_b32_e32 v3, -1, v3, vcc
	v_mov_b32_e32 v6, s2
	v_cmp_ne_u32_e32 vcc, 0, v3
	v_cndmask_b32_e32 v3, v6, v5, vcc
	v_cndmask_b32_e32 v2, v2, v4, vcc
	s_cbranch_execnz .LBB135_214
.LBB135_213:                            ;   in Loop: Header=BB135_44 Depth=1
	v_cvt_f32_u32_e32 v2, s33
	s_sub_i32 s2, 0, s33
	v_rcp_iflag_f32_e32 v2, v2
	v_mul_f32_e32 v2, 0x4f7ffffe, v2
	v_cvt_u32_f32_e32 v2, v2
	v_mul_lo_u32 v3, s2, v2
	v_mul_hi_u32 v3, v2, v3
	v_add_u32_e32 v2, v2, v3
	v_mul_hi_u32 v2, s26, v2
	v_mul_lo_u32 v2, v2, s33
	v_sub_u32_e32 v2, s26, v2
	v_subrev_u32_e32 v3, s33, v2
	v_cmp_le_u32_e32 vcc, s33, v2
	v_cndmask_b32_e32 v2, v2, v3, vcc
	v_subrev_u32_e32 v3, s33, v2
	v_cmp_le_u32_e32 vcc, s33, v2
	v_cndmask_b32_e32 v10, v2, v3, vcc
	v_pk_mov_b32 v[2:3], v[10:11], v[10:11] op_sel:[0,1]
.LBB135_214:                            ;   in Loop: Header=BB135_44 Depth=1
	v_mov_b32_e32 v4, s3
	v_sub_co_u32_e32 v2, vcc, s26, v2
	v_subb_co_u32_e32 v3, vcc, v4, v3, vcc
	v_cmp_gt_u64_e32 vcc, v[2:3], v[0:1]
	s_mov_b64 s[2:3], 0
                                        ; implicit-def: $vgpr52
	s_and_saveexec_b64 s[26:27], vcc
	s_cbranch_execz .LBB135_227
; %bb.215:                              ;   in Loop: Header=BB135_44 Depth=1
	v_mov_b32_e32 v6, v41
	v_pk_mov_b32 v[4:5], v[0:1], v[0:1] op_sel:[0,1]
                                        ; implicit-def: $sgpr28_sgpr29
	s_branch .LBB135_217
.LBB135_216:                            ;   in Loop: Header=BB135_217 Depth=2
	s_or_b64 exec, exec, s[6:7]
	s_waitcnt lgkmcnt(0)
	s_barrier
	ds_read_b32 v7, v11 offset:3072
	v_mov_b32_e32 v8, s86
	v_add_co_u32_e64 v4, s[6:7], s33, v4
	v_addc_co_u32_e64 v5, s[6:7], v5, v8, s[6:7]
	s_waitcnt lgkmcnt(0)
	v_cmp_neq_f16_e32 vcc, 0, v7
	v_cmp_ge_u64_e64 s[6:7], v[4:5], v[2:3]
	s_or_b64 s[6:7], s[6:7], vcc
	s_and_b64 s[6:7], exec, s[6:7]
	s_or_b64 s[2:3], s[6:7], s[2:3]
	s_andn2_b64 s[6:7], s[28:29], exec
	s_and_b64 s[28:29], vcc, exec
	v_add_u32_e32 v6, s80, v6
	s_or_b64 s[28:29], s[6:7], s[28:29]
	s_barrier
	s_andn2_b64 exec, exec, s[2:3]
	s_cbranch_execz .LBB135_226
.LBB135_217:                            ;   Parent Loop BB135_44 Depth=1
                                        ; =>  This Inner Loop Header: Depth=2
	v_cmp_gt_u64_e32 vcc, s[0:1], v[4:5]
	v_mov_b32_e32 v7, 0
	s_and_saveexec_b64 s[6:7], vcc
	s_cbranch_execz .LBB135_219
; %bb.218:                              ;   in Loop: Header=BB135_217 Depth=2
	ds_read_u16 v7, v6
.LBB135_219:                            ;   in Loop: Header=BB135_217 Depth=2
	s_or_b64 exec, exec, s[6:7]
	s_and_saveexec_b64 s[6:7], vcc
	s_cbranch_execz .LBB135_216
; %bb.220:                              ;   in Loop: Header=BB135_217 Depth=2
	s_waitcnt lgkmcnt(0)
	v_cmp_lt_i16_e32 vcc, -1, v7
	v_cndmask_b32_e32 v8, v47, v48, vcc
	v_xor_b32_sdwa v8, v8, v7 dst_sel:DWORD dst_unused:UNUSED_PAD src0_sel:DWORD src1_sel:WORD_0
	v_cmp_o_f16_e32 vcc, v7, v7
	v_cndmask_b32_e32 v8, v47, v8, vcc
	v_and_b32_e32 v8, s81, v8
	v_cmp_eq_u32_e32 vcc, s60, v8
	s_and_b64 exec, exec, vcc
	s_cbranch_execz .LBB135_216
; %bb.221:                              ;   in Loop: Header=BB135_217 Depth=2
	v_perm_b32 v7, v7, s90, v51
	ds_write_b32 v11, v7 offset:3072
	s_branch .LBB135_216
.LBB135_222:                            ;   in Loop: Header=BB135_44 Depth=1
	s_mov_b64 s[70:71], s[88:89]
                                        ; implicit-def: $sgpr0_sgpr1
                                        ; implicit-def: $sgpr30_sgpr31
                                        ; implicit-def: $sgpr28_sgpr29
	s_branch .LBB135_241
.LBB135_223:                            ;   in Loop: Header=BB135_44 Depth=1
                                        ; implicit-def: $vgpr2_vgpr3
	s_branch .LBB135_163
.LBB135_224:                            ;   in Loop: Header=BB135_44 Depth=1
                                        ; implicit-def: $vgpr2_vgpr3
	s_branch .LBB135_183
.LBB135_225:                            ;   in Loop: Header=BB135_44 Depth=1
	s_mov_b64 s[0:1], -1
	s_mov_b64 s[2:3], 0
                                        ; implicit-def: $sgpr28_sgpr29
                                        ; implicit-def: $vgpr52
	s_mov_b64 s[30:31], s[0:1]
	s_cbranch_execnz .LBB135_228
	s_branch .LBB135_241
.LBB135_226:                            ;   in Loop: Header=BB135_44 Depth=1
	s_or_b64 exec, exec, s[2:3]
	v_lshrrev_b32_e32 v52, 16, v7
	s_and_b64 s[2:3], s[28:29], exec
.LBB135_227:                            ;   in Loop: Header=BB135_44 Depth=1
	s_or_b64 exec, exec, s[26:27]
	s_mov_b64 s[28:29], -1
	s_mov_b64 s[0:1], 0
	s_mov_b64 s[30:31], s[0:1]
	s_branch .LBB135_241
.LBB135_228:                            ;   in Loop: Header=BB135_44 Depth=1
	s_mov_b32 s68, s77
	s_cmp_lg_u64 s[68:69], 0
	s_cbranch_scc0 .LBB135_271
; %bb.229:                              ;   in Loop: Header=BB135_44 Depth=1
	v_cvt_f32_u32_e32 v2, s33
	s_sub_u32 s0, 0, s33
	s_subb_u32 s1, 0, 0
	v_readlane_b32 s4, v54, 23
	v_mac_f32_e32 v2, 0, v49
	v_rcp_f32_e32 v2, v2
	v_mul_f32_e32 v2, 0x5f7ffffc, v2
	v_mul_f32_e32 v3, 0x2f800000, v2
	v_trunc_f32_e32 v3, v3
	v_mac_f32_e32 v2, 0xcf800000, v3
	v_cvt_u32_f32_e32 v3, v3
	v_cvt_u32_f32_e32 v2, v2
	v_readfirstlane_b32 s2, v3
	v_readfirstlane_b32 s3, v2
	s_mul_i32 s6, s0, s2
	s_mul_hi_u32 s26, s0, s3
	s_mul_i32 s7, s1, s3
	s_add_i32 s6, s26, s6
	s_mul_i32 s27, s0, s3
	s_add_i32 s6, s6, s7
	s_mul_hi_u32 s26, s3, s27
	s_mul_hi_u32 s7, s3, s6
	s_mul_i32 s3, s3, s6
	s_add_u32 s3, s26, s3
	s_addc_u32 s7, 0, s7
	s_mul_hi_u32 s28, s2, s27
	s_mul_i32 s27, s2, s27
	s_add_u32 s3, s3, s27
	s_mul_hi_u32 s26, s2, s6
	s_addc_u32 s3, s7, s28
	s_addc_u32 s7, s26, 0
	s_mul_i32 s6, s2, s6
	s_add_u32 s3, s3, s6
	s_addc_u32 s6, 0, s7
	v_add_co_u32_e32 v2, vcc, s3, v2
	s_cmp_lg_u64 vcc, 0
	s_addc_u32 s2, s2, s6
	v_readfirstlane_b32 s6, v2
	s_mul_i32 s3, s0, s2
	s_mul_hi_u32 s7, s0, s6
	s_add_i32 s3, s7, s3
	s_mul_i32 s1, s1, s6
	s_add_i32 s3, s3, s1
	s_mul_i32 s0, s0, s6
	s_mul_hi_u32 s7, s2, s0
	s_mul_i32 s26, s2, s0
	s_mul_i32 s28, s6, s3
	s_mul_hi_u32 s0, s6, s0
	s_mul_hi_u32 s27, s6, s3
	s_add_u32 s0, s0, s28
	s_addc_u32 s6, 0, s27
	s_add_u32 s0, s0, s26
	s_mul_hi_u32 s1, s2, s3
	s_addc_u32 s0, s6, s7
	s_addc_u32 s1, s1, 0
	s_mul_i32 s3, s2, s3
	s_add_u32 s0, s0, s3
	s_addc_u32 s1, 0, s1
	v_add_co_u32_e32 v2, vcc, s0, v2
	s_cmp_lg_u64 vcc, 0
	s_addc_u32 s0, s2, s1
	v_readfirstlane_b32 s3, v2
	s_mul_i32 s2, s4, s0
	s_mul_hi_u32 s6, s4, s3
	s_mul_hi_u32 s1, s4, s0
	s_add_u32 s2, s6, s2
	s_addc_u32 s1, 0, s1
	s_mul_hi_u32 s7, s69, s3
	s_mul_i32 s3, s69, s3
	s_add_u32 s2, s2, s3
	s_mul_hi_u32 s6, s69, s0
	s_addc_u32 s1, s1, s7
	s_addc_u32 s2, s6, 0
	s_mul_i32 s0, s69, s0
	s_add_u32 s0, s1, s0
	s_addc_u32 s1, 0, s2
	s_mul_hi_u32 s2, s33, s0
	s_mul_i32 s0, s33, s0
	s_mul_i32 s1, s33, s1
	v_mov_b32_e32 v2, s0
	s_add_i32 s2, s2, s1
	v_sub_co_u32_e32 v2, vcc, s4, v2
	s_cmp_lg_u64 vcc, 0
	s_subb_u32 s0, s69, s2
	v_subrev_co_u32_e32 v3, vcc, s33, v2
	s_cmp_lg_u64 vcc, 0
	s_subb_u32 s1, s0, 0
	v_subrev_co_u32_e32 v4, vcc, s33, v3
	s_cmp_lg_u64 vcc, 0
	s_subb_u32 s2, s1, 0
	v_cmp_le_u32_e32 vcc, s33, v3
	s_cmp_eq_u32 s1, 0
	v_cndmask_b32_e64 v5, 0, -1, vcc
	s_cselect_b64 vcc, -1, 0
	v_cndmask_b32_e32 v5, -1, v5, vcc
	v_mov_b32_e32 v6, s1
	v_mov_b32_e32 v7, s2
	v_cmp_ne_u32_e32 vcc, 0, v5
	v_cndmask_b32_e32 v5, v6, v7, vcc
	v_cndmask_b32_e32 v4, v3, v4, vcc
	v_cmp_le_u32_e32 vcc, s33, v2
	s_cmp_eq_u32 s0, 0
	v_cndmask_b32_e64 v3, 0, -1, vcc
	s_cselect_b64 vcc, -1, 0
	v_cndmask_b32_e32 v3, -1, v3, vcc
	v_mov_b32_e32 v6, s0
	v_cmp_ne_u32_e32 vcc, 0, v3
	v_cndmask_b32_e32 v3, v6, v5, vcc
	v_cndmask_b32_e32 v2, v2, v4, vcc
	s_cbranch_execnz .LBB135_231
.LBB135_230:                            ;   in Loop: Header=BB135_44 Depth=1
	v_cvt_f32_u32_e32 v2, s33
	s_sub_i32 s0, 0, s33
	v_rcp_iflag_f32_e32 v2, v2
	v_mul_f32_e32 v2, 0x4f7ffffe, v2
	v_cvt_u32_f32_e32 v2, v2
	v_mul_lo_u32 v3, s0, v2
	v_mul_hi_u32 v3, v2, v3
	v_add_u32_e32 v2, v2, v3
	v_readlane_b32 s0, v54, 23
	v_mul_hi_u32 v2, s0, v2
	v_mul_lo_u32 v2, v2, s33
	v_sub_u32_e32 v2, s0, v2
	v_subrev_u32_e32 v3, s33, v2
	v_cmp_le_u32_e32 vcc, s33, v2
	v_cndmask_b32_e32 v2, v2, v3, vcc
	v_subrev_u32_e32 v3, s33, v2
	v_cmp_le_u32_e32 vcc, s33, v2
	v_cndmask_b32_e32 v10, v2, v3, vcc
	v_pk_mov_b32 v[2:3], v[10:11], v[10:11] op_sel:[0,1]
.LBB135_231:                            ;   in Loop: Header=BB135_44 Depth=1
	v_readlane_b32 s0, v54, 23
	v_mov_b32_e32 v4, s69
	v_sub_co_u32_e32 v2, vcc, s0, v2
	v_subb_co_u32_e32 v3, vcc, v4, v3, vcc
	v_cmp_gt_u64_e32 vcc, v[2:3], v[0:1]
	s_mov_b64 s[2:3], 0
                                        ; implicit-def: $vgpr52
	s_and_saveexec_b64 s[0:1], vcc
	s_cbranch_execz .LBB135_240
; %bb.232:                              ;   in Loop: Header=BB135_44 Depth=1
	v_pk_mov_b32 v[4:5], v[12:13], v[12:13] op_sel:[0,1]
	v_pk_mov_b32 v[6:7], v[0:1], v[0:1] op_sel:[0,1]
                                        ; implicit-def: $sgpr26_sgpr27
	s_branch .LBB135_234
.LBB135_233:                            ;   in Loop: Header=BB135_234 Depth=2
	s_or_b64 exec, exec, s[6:7]
	s_waitcnt lgkmcnt(0)
	s_barrier
	s_waitcnt vmcnt(0)
	ds_read_b32 v8, v11 offset:3072
	v_mov_b32_e32 v9, s86
	v_add_co_u32_e64 v6, s[6:7], s33, v6
	v_addc_co_u32_e64 v7, s[6:7], v7, v9, s[6:7]
	s_waitcnt lgkmcnt(0)
	v_cmp_neq_f16_e32 vcc, 0, v8
	v_cmp_ge_u64_e64 s[6:7], v[6:7], v[2:3]
	s_or_b64 s[28:29], s[6:7], vcc
	v_mov_b32_e32 v9, s73
	v_add_co_u32_e64 v4, s[6:7], s72, v4
	v_addc_co_u32_e64 v5, s[6:7], v5, v9, s[6:7]
	s_and_b64 s[6:7], exec, s[28:29]
	s_or_b64 s[2:3], s[6:7], s[2:3]
	s_andn2_b64 s[6:7], s[26:27], exec
	s_and_b64 s[26:27], vcc, exec
	s_or_b64 s[26:27], s[6:7], s[26:27]
	s_barrier
	s_andn2_b64 exec, exec, s[2:3]
	s_cbranch_execz .LBB135_239
.LBB135_234:                            ;   Parent Loop BB135_44 Depth=1
                                        ; =>  This Inner Loop Header: Depth=2
	v_cmp_gt_u64_e32 vcc, s[52:53], v[6:7]
	v_mov_b32_e32 v8, 0
	s_and_saveexec_b64 s[6:7], vcc
	s_cbranch_execz .LBB135_236
; %bb.235:                              ;   in Loop: Header=BB135_234 Depth=2
	global_load_ushort v8, v[4:5], off
.LBB135_236:                            ;   in Loop: Header=BB135_234 Depth=2
	s_or_b64 exec, exec, s[6:7]
	s_and_saveexec_b64 s[6:7], vcc
	s_cbranch_execz .LBB135_233
; %bb.237:                              ;   in Loop: Header=BB135_234 Depth=2
	s_waitcnt vmcnt(0)
	v_cmp_lt_i16_e32 vcc, -1, v8
	v_cndmask_b32_e32 v9, v47, v48, vcc
	v_xor_b32_sdwa v9, v9, v8 dst_sel:DWORD dst_unused:UNUSED_PAD src0_sel:DWORD src1_sel:WORD_0
	v_cmp_o_f16_e32 vcc, v8, v8
	v_cndmask_b32_e32 v9, v47, v9, vcc
	v_and_b32_e32 v9, s81, v9
	v_cmp_eq_u32_e32 vcc, s60, v9
	s_and_b64 exec, exec, vcc
	s_cbranch_execz .LBB135_233
; %bb.238:                              ;   in Loop: Header=BB135_234 Depth=2
	v_perm_b32 v8, v8, s90, v51
	ds_write_b32 v11, v8 offset:3072
	s_branch .LBB135_233
.LBB135_239:                            ;   in Loop: Header=BB135_44 Depth=1
	s_or_b64 exec, exec, s[2:3]
	v_lshrrev_b32_e32 v52, 16, v8
	s_and_b64 s[2:3], s[26:27], exec
.LBB135_240:                            ;   in Loop: Header=BB135_44 Depth=1
	s_or_b64 exec, exec, s[0:1]
	s_mov_b64 s[30:31], -1
	s_mov_b64 s[0:1], 0
	s_mov_b64 s[28:29], 0
.LBB135_241:                            ;   in Loop: Header=BB135_44 Depth=1
	s_mov_b64 s[6:7], 0
                                        ; implicit-def: $sgpr45
	s_and_saveexec_b64 s[34:35], s[2:3]
	s_cbranch_execz .LBB135_303
; %bb.242:                              ;   in Loop: Header=BB135_44 Depth=1
	s_xor_b64 s[2:3], s[36:37], -1
	s_andn2_b64 vcc, exec, s[2:3]
	s_mov_b32 s45, 1
	s_cbranch_vccnz .LBB135_253
; %bb.243:                              ;   in Loop: Header=BB135_44 Depth=1
	v_pk_mov_b32 v[2:3], s[16:17], s[16:17] op_sel:[0,1]
	v_cmp_gt_u64_e32 vcc, s[50:51], v[2:3]
	s_mov_b64 s[2:3], -1
                                        ; implicit-def: $sgpr45
                                        ; implicit-def: $sgpr6
                                        ; implicit-def: $sgpr7
	s_cbranch_vccnz .LBB135_249
; %bb.244:                              ;   in Loop: Header=BB135_44 Depth=1
	ds_read_b64 v[2:3], v11 offset:5120
	s_waitcnt lgkmcnt(0)
	v_cmp_ne_u64_e32 vcc, 0, v[2:3]
	s_cbranch_vccnz .LBB135_248
; %bb.245:                              ;   in Loop: Header=BB135_44 Depth=1
	v_readlane_b32 s4, v54, 14
	v_readlane_b32 s5, v54, 15
	s_and_saveexec_b64 s[2:3], s[4:5]
	s_cbranch_execz .LBB135_247
; %bb.246:                              ;   in Loop: Header=BB135_44 Depth=1
	v_pk_mov_b32 v[2:3], s[16:17], s[16:17] op_sel:[0,1]
	ds_write_b64 v11, v[2:3] offset:5128
.LBB135_247:                            ;   in Loop: Header=BB135_44 Depth=1
	s_or_b64 exec, exec, s[2:3]
	s_waitcnt lgkmcnt(0)
	s_barrier
.LBB135_248:                            ;   in Loop: Header=BB135_44 Depth=1
	s_lshl_b32 s2, 2, s38
	s_and_b32 s3, s60, s39
	s_or_b32 s6, s3, s2
	s_or_b32 s7, s81, s44
	s_mov_b64 s[2:3], 0
	s_mov_b32 s45, 8
.LBB135_249:                            ;   in Loop: Header=BB135_44 Depth=1
	s_mov_b64 s[88:89], s[42:43]
	s_mov_b64 s[82:83], s[40:41]
	s_andn2_b64 vcc, exec, s[2:3]
	s_cbranch_vccnz .LBB135_251
; %bb.250:                              ;   in Loop: Header=BB135_44 Depth=1
	s_sub_u32 s50, s50, s16
	s_subb_u32 s51, s51, s17
	s_mov_b64 s[2:3], -1
	s_mov_b32 s45, 0
	s_mov_b32 s6, s60
	;; [unrolled: 1-line block ×3, first 2 shown]
.LBB135_251:                            ;   in Loop: Header=BB135_44 Depth=1
	s_mov_b32 s81, s7
	s_mov_b32 s60, s6
	s_andn2_b64 vcc, exec, s[2:3]
	s_mov_b64 s[40:41], -1
	s_cbranch_vccz .LBB135_254
.LBB135_252:                            ;   in Loop: Header=BB135_44 Depth=1
                                        ; implicit-def: $sgpr2_sgpr3
                                        ; implicit-def: $sgpr26_sgpr27
                                        ; implicit-def: $sgpr6_sgpr7
	s_branch .LBB135_302
.LBB135_253:                            ;   in Loop: Header=BB135_44 Depth=1
	s_mov_b64 s[88:89], s[42:43]
	s_mov_b64 s[82:83], s[40:41]
	;; [unrolled: 1-line block ×3, first 2 shown]
	s_mov_b64 s[40:41], -1
	s_cbranch_execnz .LBB135_252
.LBB135_254:                            ;   in Loop: Header=BB135_44 Depth=1
	s_cmp_eq_u64 s[10:11], 1
	s_cselect_b64 s[2:3], -1, 0
	s_cmp_eq_u64 s[50:51], 1
	s_cselect_b64 s[6:7], -1, 0
	s_and_b64 s[16:17], s[2:3], s[6:7]
	s_mov_b64 s[36:37], -1
	s_and_b64 vcc, exec, s[16:17]
	s_cbranch_vccz .LBB135_269
; %bb.255:                              ;   in Loop: Header=BB135_44 Depth=1
	ds_read_b64 v[2:3], v11 offset:5120
	v_readlane_b32 s4, v54, 16
	v_readlane_b32 s5, v54, 17
	s_waitcnt lgkmcnt(0)
	s_barrier
	v_readfirstlane_b32 s2, v2
	v_readfirstlane_b32 s3, v3
	s_and_saveexec_b64 s[6:7], s[4:5]
	s_cbranch_execz .LBB135_257
; %bb.256:                              ;   in Loop: Header=BB135_44 Depth=1
	ds_write_b16 v42, v15
.LBB135_257:                            ;   in Loop: Header=BB135_44 Depth=1
	s_or_b64 exec, exec, s[6:7]
	s_or_b32 s60, s60, s44
	s_or_b32 s81, s81, s44
	s_cmp_eq_u64 s[2:3], 0
	s_waitcnt lgkmcnt(0)
	s_barrier
	s_cbranch_scc1 .LBB135_272
; %bb.258:                              ;   in Loop: Header=BB135_44 Depth=1
	v_readlane_b32 s4, v54, 22
	s_add_u32 s36, s4, s2
	v_readlane_b32 s4, v54, 24
	s_addc_u32 s7, s4, s3
	s_mov_b32 s6, s77
	s_cmp_lg_u64 s[6:7], 0
	s_cbranch_scc0 .LBB135_308
; %bb.259:                              ;   in Loop: Header=BB135_44 Depth=1
	v_cvt_f32_u32_e32 v2, s33
	s_sub_u32 s6, 0, s33
	s_subb_u32 s26, 0, 0
	v_mac_f32_e32 v2, 0, v49
	v_rcp_f32_e32 v2, v2
	v_mul_f32_e32 v2, 0x5f7ffffc, v2
	v_mul_f32_e32 v3, 0x2f800000, v2
	v_trunc_f32_e32 v3, v3
	v_mac_f32_e32 v2, 0xcf800000, v3
	v_cvt_u32_f32_e32 v3, v3
	v_cvt_u32_f32_e32 v2, v2
	v_readfirstlane_b32 s27, v3
	v_readfirstlane_b32 s37, v2
	s_mul_i32 s38, s6, s27
	s_mul_hi_u32 s40, s6, s37
	s_mul_i32 s39, s26, s37
	s_add_i32 s38, s40, s38
	s_mul_i32 s41, s6, s37
	s_add_i32 s38, s38, s39
	s_mul_hi_u32 s40, s37, s41
	s_mul_hi_u32 s39, s37, s38
	s_mul_i32 s37, s37, s38
	s_add_u32 s37, s40, s37
	s_addc_u32 s39, 0, s39
	s_mul_hi_u32 s42, s27, s41
	s_mul_i32 s41, s27, s41
	s_add_u32 s37, s37, s41
	s_mul_hi_u32 s40, s27, s38
	s_addc_u32 s37, s39, s42
	s_addc_u32 s39, s40, 0
	s_mul_i32 s38, s27, s38
	s_add_u32 s37, s37, s38
	s_addc_u32 s38, 0, s39
	v_add_co_u32_e32 v2, vcc, s37, v2
	s_cmp_lg_u64 vcc, 0
	s_addc_u32 s27, s27, s38
	v_readfirstlane_b32 s38, v2
	s_mul_i32 s37, s6, s27
	s_mul_hi_u32 s39, s6, s38
	s_add_i32 s37, s39, s37
	s_mul_i32 s26, s26, s38
	s_add_i32 s37, s37, s26
	s_mul_i32 s6, s6, s38
	s_mul_hi_u32 s39, s27, s6
	s_mul_i32 s40, s27, s6
	s_mul_i32 s42, s38, s37
	s_mul_hi_u32 s6, s38, s6
	s_mul_hi_u32 s41, s38, s37
	s_add_u32 s6, s6, s42
	s_addc_u32 s38, 0, s41
	s_add_u32 s6, s6, s40
	s_mul_hi_u32 s26, s27, s37
	s_addc_u32 s6, s38, s39
	s_addc_u32 s26, s26, 0
	s_mul_i32 s37, s27, s37
	s_add_u32 s6, s6, s37
	s_addc_u32 s26, 0, s26
	v_add_co_u32_e32 v2, vcc, s6, v2
	s_cmp_lg_u64 vcc, 0
	s_addc_u32 s6, s27, s26
	v_readfirstlane_b32 s37, v2
	s_mul_i32 s27, s36, s6
	s_mul_hi_u32 s38, s36, s37
	s_mul_hi_u32 s26, s36, s6
	s_add_u32 s27, s38, s27
	s_addc_u32 s26, 0, s26
	s_mul_hi_u32 s39, s7, s37
	s_mul_i32 s37, s7, s37
	s_add_u32 s27, s27, s37
	s_mul_hi_u32 s38, s7, s6
	s_addc_u32 s26, s26, s39
	s_addc_u32 s27, s38, 0
	s_mul_i32 s6, s7, s6
	s_add_u32 s6, s26, s6
	s_addc_u32 s26, 0, s27
	s_mul_hi_u32 s27, s33, s6
	s_mul_i32 s6, s33, s6
	s_mul_i32 s26, s33, s26
	v_mov_b32_e32 v2, s6
	s_add_i32 s27, s27, s26
	v_sub_co_u32_e32 v2, vcc, s36, v2
	s_cmp_lg_u64 vcc, 0
	s_subb_u32 s6, s7, s27
	v_subrev_co_u32_e32 v3, vcc, s33, v2
	s_cmp_lg_u64 vcc, 0
	s_subb_u32 s26, s6, 0
	v_subrev_co_u32_e32 v4, vcc, s33, v3
	s_cmp_lg_u64 vcc, 0
	s_subb_u32 s27, s26, 0
	v_cmp_le_u32_e32 vcc, s33, v3
	s_cmp_eq_u32 s26, 0
	v_cndmask_b32_e64 v5, 0, -1, vcc
	s_cselect_b64 vcc, -1, 0
	v_cndmask_b32_e32 v5, -1, v5, vcc
	v_mov_b32_e32 v6, s26
	v_mov_b32_e32 v7, s27
	v_cmp_ne_u32_e32 vcc, 0, v5
	v_cndmask_b32_e32 v5, v6, v7, vcc
	v_cndmask_b32_e32 v4, v3, v4, vcc
	v_cmp_le_u32_e32 vcc, s33, v2
	s_cmp_eq_u32 s6, 0
	v_cndmask_b32_e64 v3, 0, -1, vcc
	s_cselect_b64 vcc, -1, 0
	v_cndmask_b32_e32 v3, -1, v3, vcc
	v_mov_b32_e32 v6, s6
	v_cmp_ne_u32_e32 vcc, 0, v3
	v_cndmask_b32_e32 v3, v6, v5, vcc
	v_cndmask_b32_e32 v2, v2, v4, vcc
	s_cbranch_execnz .LBB135_261
.LBB135_260:                            ;   in Loop: Header=BB135_44 Depth=1
	v_cvt_f32_u32_e32 v2, s33
	s_sub_i32 s6, 0, s33
	v_rcp_iflag_f32_e32 v2, v2
	v_mul_f32_e32 v2, 0x4f7ffffe, v2
	v_cvt_u32_f32_e32 v2, v2
	v_mul_lo_u32 v3, s6, v2
	v_mul_hi_u32 v3, v2, v3
	v_add_u32_e32 v2, v2, v3
	v_mul_hi_u32 v2, s36, v2
	v_mul_lo_u32 v2, v2, s33
	v_sub_u32_e32 v2, s36, v2
	v_subrev_u32_e32 v3, s33, v2
	v_cmp_le_u32_e32 vcc, s33, v2
	v_cndmask_b32_e32 v2, v2, v3, vcc
	v_subrev_u32_e32 v3, s33, v2
	v_cmp_le_u32_e32 vcc, s33, v2
	v_cndmask_b32_e32 v10, v2, v3, vcc
	v_pk_mov_b32 v[2:3], v[10:11], v[10:11] op_sel:[0,1]
.LBB135_261:                            ;   in Loop: Header=BB135_44 Depth=1
	v_mov_b32_e32 v4, s7
	v_sub_co_u32_e32 v2, vcc, s36, v2
	v_subb_co_u32_e32 v3, vcc, v4, v3, vcc
	v_cmp_gt_u64_e32 vcc, v[2:3], v[0:1]
	s_mov_b64 s[36:37], 0
                                        ; implicit-def: $vgpr52
	s_and_saveexec_b64 s[26:27], vcc
	s_cbranch_execz .LBB135_274
; %bb.262:                              ;   in Loop: Header=BB135_44 Depth=1
	v_mov_b32_e32 v6, v41
	v_pk_mov_b32 v[4:5], v[0:1], v[0:1] op_sel:[0,1]
                                        ; implicit-def: $sgpr38_sgpr39
	s_branch .LBB135_264
.LBB135_263:                            ;   in Loop: Header=BB135_264 Depth=2
	s_or_b64 exec, exec, s[6:7]
	s_waitcnt lgkmcnt(0)
	s_barrier
	ds_read_b32 v7, v11 offset:3072
	v_mov_b32_e32 v8, s86
	v_add_co_u32_e64 v4, s[6:7], s33, v4
	v_addc_co_u32_e64 v5, s[6:7], v5, v8, s[6:7]
	s_waitcnt lgkmcnt(0)
	v_cmp_neq_f16_e32 vcc, 0, v7
	v_cmp_ge_u64_e64 s[6:7], v[4:5], v[2:3]
	s_or_b64 s[6:7], s[6:7], vcc
	s_and_b64 s[6:7], exec, s[6:7]
	s_or_b64 s[36:37], s[6:7], s[36:37]
	s_andn2_b64 s[6:7], s[38:39], exec
	s_and_b64 s[38:39], vcc, exec
	v_add_u32_e32 v6, s80, v6
	s_or_b64 s[38:39], s[6:7], s[38:39]
	s_barrier
	s_andn2_b64 exec, exec, s[36:37]
	s_cbranch_execz .LBB135_273
.LBB135_264:                            ;   Parent Loop BB135_44 Depth=1
                                        ; =>  This Inner Loop Header: Depth=2
	v_cmp_gt_u64_e32 vcc, s[2:3], v[4:5]
	v_mov_b32_e32 v7, 0
	s_and_saveexec_b64 s[6:7], vcc
	s_cbranch_execz .LBB135_266
; %bb.265:                              ;   in Loop: Header=BB135_264 Depth=2
	ds_read_u16 v7, v6
.LBB135_266:                            ;   in Loop: Header=BB135_264 Depth=2
	s_or_b64 exec, exec, s[6:7]
	s_and_saveexec_b64 s[6:7], vcc
	s_cbranch_execz .LBB135_263
; %bb.267:                              ;   in Loop: Header=BB135_264 Depth=2
	s_waitcnt lgkmcnt(0)
	v_cmp_lt_i16_e32 vcc, -1, v7
	v_cndmask_b32_e32 v8, v47, v48, vcc
	v_xor_b32_sdwa v8, v8, v7 dst_sel:DWORD dst_unused:UNUSED_PAD src0_sel:DWORD src1_sel:WORD_0
	v_cmp_o_f16_e32 vcc, v7, v7
	v_cndmask_b32_e32 v8, v47, v8, vcc
	v_and_b32_e32 v8, s81, v8
	v_cmp_eq_u32_e32 vcc, s60, v8
	s_and_b64 exec, exec, vcc
	s_cbranch_execz .LBB135_263
; %bb.268:                              ;   in Loop: Header=BB135_264 Depth=2
	v_perm_b32 v7, v7, s90, v51
	ds_write_b32 v11, v7 offset:3072
	s_branch .LBB135_263
.LBB135_269:                            ;   in Loop: Header=BB135_44 Depth=1
                                        ; implicit-def: $sgpr2_sgpr3
                                        ; implicit-def: $sgpr26_sgpr27
                                        ; implicit-def: $sgpr6_sgpr7
	s_branch .LBB135_288
.LBB135_270:                            ;   in Loop: Header=BB135_44 Depth=1
                                        ; implicit-def: $vgpr2_vgpr3
	s_andn2_b64 vcc, exec, s[6:7]
	s_cbranch_vccz .LBB135_213
	s_branch .LBB135_214
.LBB135_271:                            ;   in Loop: Header=BB135_44 Depth=1
                                        ; implicit-def: $vgpr2_vgpr3
	s_branch .LBB135_230
.LBB135_272:                            ;   in Loop: Header=BB135_44 Depth=1
	s_mov_b64 s[2:3], -1
	s_mov_b64 s[36:37], 0
                                        ; implicit-def: $sgpr6_sgpr7
                                        ; implicit-def: $vgpr52
	s_mov_b64 s[26:27], s[2:3]
	s_cbranch_execnz .LBB135_275
	s_branch .LBB135_288
.LBB135_273:                            ;   in Loop: Header=BB135_44 Depth=1
	s_or_b64 exec, exec, s[36:37]
	v_lshrrev_b32_e32 v52, 16, v7
	s_and_b64 s[36:37], s[38:39], exec
.LBB135_274:                            ;   in Loop: Header=BB135_44 Depth=1
	s_or_b64 exec, exec, s[26:27]
	s_mov_b64 s[6:7], -1
	s_mov_b64 s[2:3], 0
	s_mov_b64 s[26:27], s[2:3]
	s_branch .LBB135_288
.LBB135_275:                            ;   in Loop: Header=BB135_44 Depth=1
	s_mov_b32 s68, s77
	s_cmp_lg_u64 s[68:69], 0
	s_cbranch_scc0 .LBB135_309
; %bb.276:                              ;   in Loop: Header=BB135_44 Depth=1
	v_cvt_f32_u32_e32 v2, s33
	s_sub_u32 s2, 0, s33
	s_subb_u32 s3, 0, 0
	v_readlane_b32 s4, v54, 23
	v_mac_f32_e32 v2, 0, v49
	v_rcp_f32_e32 v2, v2
	v_mul_f32_e32 v2, 0x5f7ffffc, v2
	v_mul_f32_e32 v3, 0x2f800000, v2
	v_trunc_f32_e32 v3, v3
	v_mac_f32_e32 v2, 0xcf800000, v3
	v_cvt_u32_f32_e32 v3, v3
	v_cvt_u32_f32_e32 v2, v2
	v_readfirstlane_b32 s6, v3
	v_readfirstlane_b32 s7, v2
	s_mul_i32 s26, s2, s6
	s_mul_hi_u32 s36, s2, s7
	s_mul_i32 s27, s3, s7
	s_add_i32 s26, s36, s26
	s_mul_i32 s37, s2, s7
	s_add_i32 s26, s26, s27
	s_mul_hi_u32 s36, s7, s37
	s_mul_hi_u32 s27, s7, s26
	s_mul_i32 s7, s7, s26
	s_add_u32 s7, s36, s7
	s_addc_u32 s27, 0, s27
	s_mul_hi_u32 s38, s6, s37
	s_mul_i32 s37, s6, s37
	s_add_u32 s7, s7, s37
	s_mul_hi_u32 s36, s6, s26
	s_addc_u32 s7, s27, s38
	s_addc_u32 s27, s36, 0
	s_mul_i32 s26, s6, s26
	s_add_u32 s7, s7, s26
	s_addc_u32 s26, 0, s27
	v_add_co_u32_e32 v2, vcc, s7, v2
	s_cmp_lg_u64 vcc, 0
	s_addc_u32 s6, s6, s26
	v_readfirstlane_b32 s26, v2
	s_mul_i32 s7, s2, s6
	s_mul_hi_u32 s27, s2, s26
	s_add_i32 s7, s27, s7
	s_mul_i32 s3, s3, s26
	s_add_i32 s7, s7, s3
	s_mul_i32 s2, s2, s26
	s_mul_hi_u32 s27, s6, s2
	s_mul_i32 s36, s6, s2
	s_mul_i32 s38, s26, s7
	s_mul_hi_u32 s2, s26, s2
	s_mul_hi_u32 s37, s26, s7
	s_add_u32 s2, s2, s38
	s_addc_u32 s26, 0, s37
	s_add_u32 s2, s2, s36
	s_mul_hi_u32 s3, s6, s7
	s_addc_u32 s2, s26, s27
	s_addc_u32 s3, s3, 0
	s_mul_i32 s7, s6, s7
	s_add_u32 s2, s2, s7
	s_addc_u32 s3, 0, s3
	v_add_co_u32_e32 v2, vcc, s2, v2
	s_cmp_lg_u64 vcc, 0
	s_addc_u32 s2, s6, s3
	v_readfirstlane_b32 s7, v2
	s_mul_i32 s6, s4, s2
	s_mul_hi_u32 s26, s4, s7
	s_mul_hi_u32 s3, s4, s2
	s_add_u32 s6, s26, s6
	s_addc_u32 s3, 0, s3
	s_mul_hi_u32 s27, s69, s7
	s_mul_i32 s7, s69, s7
	s_add_u32 s6, s6, s7
	s_mul_hi_u32 s26, s69, s2
	s_addc_u32 s3, s3, s27
	s_addc_u32 s6, s26, 0
	s_mul_i32 s2, s69, s2
	s_add_u32 s2, s3, s2
	s_addc_u32 s3, 0, s6
	s_mul_hi_u32 s6, s33, s2
	s_mul_i32 s2, s33, s2
	s_mul_i32 s3, s33, s3
	v_mov_b32_e32 v2, s2
	s_add_i32 s6, s6, s3
	v_sub_co_u32_e32 v2, vcc, s4, v2
	s_cmp_lg_u64 vcc, 0
	s_subb_u32 s2, s69, s6
	v_subrev_co_u32_e32 v3, vcc, s33, v2
	s_cmp_lg_u64 vcc, 0
	s_subb_u32 s3, s2, 0
	v_subrev_co_u32_e32 v4, vcc, s33, v3
	s_cmp_lg_u64 vcc, 0
	s_subb_u32 s6, s3, 0
	v_cmp_le_u32_e32 vcc, s33, v3
	s_cmp_eq_u32 s3, 0
	v_cndmask_b32_e64 v5, 0, -1, vcc
	s_cselect_b64 vcc, -1, 0
	v_cndmask_b32_e32 v5, -1, v5, vcc
	v_mov_b32_e32 v6, s3
	v_mov_b32_e32 v7, s6
	v_cmp_ne_u32_e32 vcc, 0, v5
	v_cndmask_b32_e32 v5, v6, v7, vcc
	v_cndmask_b32_e32 v4, v3, v4, vcc
	v_cmp_le_u32_e32 vcc, s33, v2
	s_cmp_eq_u32 s2, 0
	v_cndmask_b32_e64 v3, 0, -1, vcc
	s_cselect_b64 vcc, -1, 0
	v_cndmask_b32_e32 v3, -1, v3, vcc
	v_mov_b32_e32 v6, s2
	v_cmp_ne_u32_e32 vcc, 0, v3
	v_cndmask_b32_e32 v3, v6, v5, vcc
	v_cndmask_b32_e32 v2, v2, v4, vcc
	s_cbranch_execnz .LBB135_278
.LBB135_277:                            ;   in Loop: Header=BB135_44 Depth=1
	v_cvt_f32_u32_e32 v2, s33
	s_sub_i32 s2, 0, s33
	v_rcp_iflag_f32_e32 v2, v2
	v_mul_f32_e32 v2, 0x4f7ffffe, v2
	v_cvt_u32_f32_e32 v2, v2
	v_mul_lo_u32 v3, s2, v2
	v_mul_hi_u32 v3, v2, v3
	v_add_u32_e32 v2, v2, v3
	v_readlane_b32 s2, v54, 23
	v_mul_hi_u32 v2, s2, v2
	v_mul_lo_u32 v2, v2, s33
	v_sub_u32_e32 v2, s2, v2
	v_subrev_u32_e32 v3, s33, v2
	v_cmp_le_u32_e32 vcc, s33, v2
	v_cndmask_b32_e32 v2, v2, v3, vcc
	v_subrev_u32_e32 v3, s33, v2
	v_cmp_le_u32_e32 vcc, s33, v2
	v_cndmask_b32_e32 v10, v2, v3, vcc
	v_pk_mov_b32 v[2:3], v[10:11], v[10:11] op_sel:[0,1]
.LBB135_278:                            ;   in Loop: Header=BB135_44 Depth=1
	v_readlane_b32 s2, v54, 23
	v_mov_b32_e32 v4, s69
	v_sub_co_u32_e32 v2, vcc, s2, v2
	v_subb_co_u32_e32 v3, vcc, v4, v3, vcc
	v_cmp_gt_u64_e32 vcc, v[2:3], v[0:1]
	s_mov_b64 s[36:37], 0
                                        ; implicit-def: $vgpr52
	s_and_saveexec_b64 s[2:3], vcc
	s_cbranch_execz .LBB135_287
; %bb.279:                              ;   in Loop: Header=BB135_44 Depth=1
	s_mov_b64 s[26:27], 0
	v_pk_mov_b32 v[4:5], v[12:13], v[12:13] op_sel:[0,1]
	v_pk_mov_b32 v[6:7], v[0:1], v[0:1] op_sel:[0,1]
                                        ; implicit-def: $sgpr36_sgpr37
	s_branch .LBB135_281
.LBB135_280:                            ;   in Loop: Header=BB135_281 Depth=2
	s_or_b64 exec, exec, s[6:7]
	s_waitcnt lgkmcnt(0)
	s_barrier
	s_waitcnt vmcnt(0)
	ds_read_b32 v8, v11 offset:3072
	v_mov_b32_e32 v9, s86
	v_add_co_u32_e64 v6, s[6:7], s33, v6
	v_addc_co_u32_e64 v7, s[6:7], v7, v9, s[6:7]
	s_waitcnt lgkmcnt(0)
	v_cmp_neq_f16_e32 vcc, 0, v8
	v_cmp_ge_u64_e64 s[6:7], v[6:7], v[2:3]
	s_or_b64 s[38:39], s[6:7], vcc
	v_mov_b32_e32 v9, s73
	v_add_co_u32_e64 v4, s[6:7], s72, v4
	v_addc_co_u32_e64 v5, s[6:7], v5, v9, s[6:7]
	s_and_b64 s[6:7], exec, s[38:39]
	s_or_b64 s[26:27], s[6:7], s[26:27]
	s_andn2_b64 s[6:7], s[36:37], exec
	s_and_b64 s[36:37], vcc, exec
	s_or_b64 s[36:37], s[6:7], s[36:37]
	s_barrier
	s_andn2_b64 exec, exec, s[26:27]
	s_cbranch_execz .LBB135_286
.LBB135_281:                            ;   Parent Loop BB135_44 Depth=1
                                        ; =>  This Inner Loop Header: Depth=2
	v_cmp_gt_u64_e32 vcc, s[52:53], v[6:7]
	v_mov_b32_e32 v8, 0
	s_and_saveexec_b64 s[6:7], vcc
	s_cbranch_execz .LBB135_283
; %bb.282:                              ;   in Loop: Header=BB135_281 Depth=2
	global_load_ushort v8, v[4:5], off
.LBB135_283:                            ;   in Loop: Header=BB135_281 Depth=2
	s_or_b64 exec, exec, s[6:7]
	s_and_saveexec_b64 s[6:7], vcc
	s_cbranch_execz .LBB135_280
; %bb.284:                              ;   in Loop: Header=BB135_281 Depth=2
	s_waitcnt vmcnt(0)
	v_cmp_lt_i16_e32 vcc, -1, v8
	v_cndmask_b32_e32 v9, v47, v48, vcc
	v_xor_b32_sdwa v9, v9, v8 dst_sel:DWORD dst_unused:UNUSED_PAD src0_sel:DWORD src1_sel:WORD_0
	v_cmp_o_f16_e32 vcc, v8, v8
	v_cndmask_b32_e32 v9, v47, v9, vcc
	v_and_b32_e32 v9, s81, v9
	v_cmp_eq_u32_e32 vcc, s60, v9
	s_and_b64 exec, exec, vcc
	s_cbranch_execz .LBB135_280
; %bb.285:                              ;   in Loop: Header=BB135_281 Depth=2
	v_perm_b32 v8, v8, s90, v51
	ds_write_b32 v11, v8 offset:3072
	s_branch .LBB135_280
.LBB135_286:                            ;   in Loop: Header=BB135_44 Depth=1
	s_or_b64 exec, exec, s[26:27]
	v_lshrrev_b32_e32 v52, 16, v8
	s_and_b64 s[36:37], s[36:37], exec
.LBB135_287:                            ;   in Loop: Header=BB135_44 Depth=1
	s_or_b64 exec, exec, s[2:3]
	s_mov_b64 s[26:27], -1
	s_mov_b64 s[2:3], 0
	s_mov_b64 s[6:7], 0
.LBB135_288:                            ;   in Loop: Header=BB135_44 Depth=1
	s_mov_b64 s[40:41], 0
                                        ; implicit-def: $sgpr45
                                        ; implicit-def: $sgpr42_sgpr43
	s_and_saveexec_b64 s[38:39], s[36:37]
	s_cbranch_execz .LBB135_301
; %bb.289:                              ;   in Loop: Header=BB135_44 Depth=1
	s_xor_b64 s[16:17], s[16:17], -1
	s_mov_b64 s[42:43], 1
	s_andn2_b64 vcc, exec, s[16:17]
	s_mov_b32 s45, 1
	s_cbranch_vccnz .LBB135_300
; %bb.290:                              ;   in Loop: Header=BB135_44 Depth=1
	v_pk_mov_b32 v[2:3], s[10:11], s[10:11] op_sel:[0,1]
	v_cmp_gt_u64_e32 vcc, s[50:51], v[2:3]
	s_cbranch_vccnz .LBB135_296
; %bb.291:                              ;   in Loop: Header=BB135_44 Depth=1
	ds_read_b64 v[2:3], v11 offset:5120
	s_waitcnt lgkmcnt(0)
	v_cmp_ne_u64_e32 vcc, 0, v[2:3]
	s_cbranch_vccnz .LBB135_295
; %bb.292:                              ;   in Loop: Header=BB135_44 Depth=1
	v_readlane_b32 s4, v54, 14
	v_readlane_b32 s5, v54, 15
	s_and_saveexec_b64 s[16:17], s[4:5]
	s_cbranch_execz .LBB135_294
; %bb.293:                              ;   in Loop: Header=BB135_44 Depth=1
	v_pk_mov_b32 v[2:3], s[10:11], s[10:11] op_sel:[0,1]
	ds_write_b64 v11, v[2:3] offset:5128
.LBB135_294:                            ;   in Loop: Header=BB135_44 Depth=1
	s_or_b64 exec, exec, s[16:17]
	s_waitcnt lgkmcnt(0)
	s_barrier
.LBB135_295:                            ;   in Loop: Header=BB135_44 Depth=1
	s_or_b32 s36, s60, s44
	s_or_b32 s37, s81, s44
	s_mov_b64 s[16:17], 0
	s_mov_b32 s45, 8
	s_branch .LBB135_297
.LBB135_296:                            ;   in Loop: Header=BB135_44 Depth=1
	s_mov_b64 s[16:17], -1
                                        ; implicit-def: $sgpr45
                                        ; implicit-def: $sgpr36
                                        ; implicit-def: $sgpr37
.LBB135_297:                            ;   in Loop: Header=BB135_44 Depth=1
	s_andn2_b64 vcc, exec, s[16:17]
	s_cbranch_vccnz .LBB135_299
; %bb.298:                              ;   in Loop: Header=BB135_44 Depth=1
	s_sub_u32 s50, s50, s10
	s_subb_u32 s51, s51, s11
	s_mov_b32 s45, 8
	s_mov_b32 s36, s60
	;; [unrolled: 1-line block ×3, first 2 shown]
.LBB135_299:                            ;   in Loop: Header=BB135_44 Depth=1
	s_mov_b64 s[42:43], s[50:51]
	s_mov_b32 s60, s36
	s_mov_b32 s81, s37
.LBB135_300:                            ;   in Loop: Header=BB135_44 Depth=1
	s_mov_b64 s[40:41], exec
.LBB135_301:                            ;   in Loop: Header=BB135_44 Depth=1
	s_or_b64 exec, exec, s[38:39]
	s_mov_b64 s[50:51], s[42:43]
.LBB135_302:                            ;   in Loop: Header=BB135_44 Depth=1
	s_andn2_b64 s[0:1], s[0:1], exec
	s_and_b64 s[2:3], s[2:3], exec
	s_or_b64 s[0:1], s[0:1], s[2:3]
	s_andn2_b64 s[2:3], s[30:31], exec
	s_and_b64 s[10:11], s[26:27], exec
	s_or_b64 s[30:31], s[2:3], s[10:11]
	;; [unrolled: 3-line block ×3, first 2 shown]
	s_and_b64 s[6:7], s[40:41], exec
	s_mov_b64 s[40:41], s[82:83]
	s_mov_b64 s[42:43], s[88:89]
.LBB135_303:                            ;   in Loop: Header=BB135_44 Depth=1
	s_or_b64 exec, exec, s[34:35]
	s_mov_b64 s[34:35], s[8:9]
	s_mov_b64 s[36:37], s[62:63]
.LBB135_304:                            ;   in Loop: Header=BB135_44 Depth=1
	s_andn2_b64 s[2:3], s[20:21], exec
	s_and_b64 s[0:1], s[0:1], exec
	s_or_b64 s[20:21], s[2:3], s[0:1]
	s_andn2_b64 s[0:1], s[22:23], exec
	s_and_b64 s[2:3], s[30:31], exec
	s_or_b64 s[22:23], s[0:1], s[2:3]
	;; [unrolled: 3-line block ×3, first 2 shown]
	s_and_b64 s[2:3], s[6:7], exec
	s_mov_b64 s[88:89], s[70:71]
.LBB135_305:                            ;   in Loop: Header=BB135_44 Depth=1
	s_or_b64 exec, exec, s[24:25]
	s_and_saveexec_b64 s[0:1], s[2:3]
	s_xor_b64 s[0:1], exec, s[0:1]
	s_cbranch_execz .LBB135_42
.LBB135_306:                            ;   in Loop: Header=BB135_44 Depth=1
	s_and_b32 s2, s45, -9
	s_cmp_eq_u32 s2, 0
	s_cbranch_scc1 .LBB135_40
; %bb.307:                              ;   in Loop: Header=BB135_44 Depth=1
	s_mov_b64 s[2:3], -1
                                        ; implicit-def: $sgpr81
                                        ; implicit-def: $sgpr50_sgpr51
                                        ; implicit-def: $sgpr94
                                        ; implicit-def: $sgpr93
	s_mov_b64 s[6:7], -1
	s_branch .LBB135_41
.LBB135_308:                            ;   in Loop: Header=BB135_44 Depth=1
                                        ; implicit-def: $vgpr2_vgpr3
	s_branch .LBB135_260
.LBB135_309:                            ;   in Loop: Header=BB135_44 Depth=1
                                        ; implicit-def: $vgpr2_vgpr3
	s_branch .LBB135_277
.LBB135_310:
	s_or_b64 exec, exec, s[66:67]
	s_xor_b64 s[4:5], s[42:43], -1
	s_xor_b64 s[2:3], s[36:37], -1
	;; [unrolled: 1-line block ×3, first 2 shown]
	s_mov_b64 s[0:1], 0
	s_and_saveexec_b64 s[8:9], s[2:3]
	s_xor_b64 s[2:3], exec, s[8:9]
	s_cbranch_execnz .LBB135_315
; %bb.311:
	s_andn2_saveexec_b64 s[2:3], s[2:3]
	s_cbranch_execnz .LBB135_328
.LBB135_312:
	s_or_b64 exec, exec, s[2:3]
	s_and_saveexec_b64 s[2:3], s[0:1]
.LBB135_313:
	; divergent unreachable
.LBB135_314:
	s_endpgm
.LBB135_315:
	s_and_saveexec_b64 s[0:1], s[4:5]
	s_xor_b64 s[4:5], exec, s[0:1]
	s_cbranch_execz .LBB135_326
; %bb.316:
	s_and_saveexec_b64 s[0:1], s[6:7]
	s_xor_b64 s[0:1], exec, s[0:1]
; %bb.317:
	v_and_b32_e32 v3, 0x8000, v2
	v_mov_b32_e32 v4, 0x8000
	v_mov_b32_e32 v5, 0xffff
	v_cmp_eq_u32_e32 vcc, 0, v3
	v_cndmask_b32_e32 v3, v4, v5, vcc
	v_xor_b32_e32 v52, v3, v2
; %bb.318:
	s_or_b64 exec, exec, s[0:1]
	v_readlane_b32 s6, v54, 2
	v_readlane_b32 s7, v54, 3
	;; [unrolled: 1-line block ×4, first 2 shown]
	s_mul_i32 s0, s8, s7
	s_mul_hi_u32 s1, s8, s6
	s_add_i32 s0, s1, s0
	s_mul_i32 s1, s9, s6
	s_add_i32 s1, s0, s1
	s_mul_i32 s0, s8, s6
	s_lshl_b64 s[0:1], s[0:1], 1
	v_readlane_b32 s6, v54, 8
	v_readlane_b32 s7, v54, 9
	s_add_u32 s6, s6, s0
	s_addc_u32 s7, s7, s1
	v_readlane_b32 s0, v54, 0
	v_readlane_b32 s1, v54, 1
	s_lshl_b64 s[0:1], s[0:1], 1
	s_add_u32 s0, s6, s0
	s_addc_u32 s1, s7, s1
	v_mov_b32_e32 v2, 0
	s_nop 0
	global_store_short v2, v52, s[0:1]
	s_mov_b64 s[6:7], exec
	v_readlane_b32 s0, v54, 12
	v_readlane_b32 s1, v54, 13
	s_and_b64 s[0:1], s[6:7], s[0:1]
	s_mov_b64 exec, s[0:1]
	s_cbranch_execz .LBB135_325
; %bb.319:
	v_cmp_u_f16_e32 vcc, v52, v52
	s_mov_b64 s[8:9], 0
	s_xor_b64 s[12:13], vcc, -1
                                        ; implicit-def: $sgpr10_sgpr11
                                        ; implicit-def: $sgpr16_sgpr17
                                        ; implicit-def: $sgpr14_sgpr15
	s_branch .LBB135_321
.LBB135_320:                            ;   in Loop: Header=BB135_321 Depth=1
	s_or_b64 exec, exec, s[0:1]
	s_and_b64 s[0:1], exec, s[16:17]
	s_or_b64 s[8:9], s[0:1], s[8:9]
	s_andn2_b64 s[0:1], s[10:11], exec
	s_and_b64 s[10:11], s[14:15], exec
	s_or_b64 s[10:11], s[0:1], s[10:11]
	s_andn2_b64 exec, exec, s[8:9]
	s_cbranch_execz .LBB135_323
.LBB135_321:                            ; =>This Inner Loop Header: Depth=1
	global_load_ushort v4, v[12:13], off
	v_pk_mov_b32 v[2:3], v[0:1], v[0:1] op_sel:[0,1]
	s_or_b64 s[14:15], s[14:15], exec
	s_or_b64 s[16:17], s[16:17], exec
                                        ; implicit-def: $vgpr0_vgpr1
	s_waitcnt vmcnt(0)
	v_cmp_o_f16_e64 s[0:1], v4, v4
	v_cmp_neq_f16_e32 vcc, v4, v52
	s_or_b64 s[0:1], s[12:13], s[0:1]
	s_and_b64 s[18:19], vcc, s[0:1]
	s_and_saveexec_b64 s[0:1], s[18:19]
	s_cbranch_execz .LBB135_320
; %bb.322:                              ;   in Loop: Header=BB135_321 Depth=1
	v_mov_b32_e32 v1, s86
	v_add_co_u32_e32 v0, vcc, s33, v2
	v_addc_co_u32_e32 v1, vcc, v3, v1, vcc
	v_mov_b32_e32 v4, s73
	v_add_co_u32_e32 v12, vcc, s72, v12
	v_addc_co_u32_e32 v13, vcc, v13, v4, vcc
	v_cmp_le_u64_e32 vcc, s[52:53], v[0:1]
	s_andn2_b64 s[16:17], s[16:17], exec
	s_and_b64 s[18:19], vcc, exec
	s_andn2_b64 s[14:15], s[14:15], exec
	s_or_b64 s[16:17], s[16:17], s[18:19]
	s_branch .LBB135_320
.LBB135_323:
	s_or_b64 exec, exec, s[8:9]
	s_and_saveexec_b64 s[0:1], s[10:11]
	s_xor_b64 s[0:1], exec, s[0:1]
	s_cbranch_execz .LBB135_325
; %bb.324:
	v_readlane_b32 s8, v54, 6
	v_readlane_b32 s9, v54, 7
	s_mul_i32 s0, s8, s65
	s_mul_hi_u32 s1, s8, s64
	s_add_i32 s0, s1, s0
	s_mul_i32 s1, s9, s64
	s_add_i32 s1, s0, s1
	s_mul_i32 s0, s8, s64
	s_lshl_b64 s[0:1], s[0:1], 3
	v_readlane_b32 s8, v54, 10
	v_readlane_b32 s9, v54, 11
	s_add_u32 s8, s8, s0
	s_addc_u32 s9, s9, s1
	s_lshl_b64 s[0:1], s[58:59], 3
	s_add_u32 s0, s8, s0
	s_addc_u32 s1, s9, s1
	v_mov_b32_e32 v0, 0
	global_store_dwordx2 v0, v[2:3], s[0:1]
.LBB135_325:
	s_or_b64 exec, exec, s[6:7]
.LBB135_326:
	s_or_saveexec_b64 s[0:1], s[4:5]
	s_mov_b64 s[4:5], 0
	s_xor_b64 exec, exec, s[0:1]
	s_cbranch_execnz .LBB135_329
.LBB135_327:
	s_or_b64 exec, exec, s[0:1]
	s_and_b64 s[0:1], s[4:5], exec
	s_andn2_saveexec_b64 s[2:3], s[2:3]
	s_cbranch_execz .LBB135_312
.LBB135_328:
	s_or_b64 s[0:1], s[0:1], exec
	s_trap 2
	s_or_b64 exec, exec, s[2:3]
	s_and_saveexec_b64 s[2:3], s[0:1]
	s_cbranch_execnz .LBB135_313
	s_branch .LBB135_314
.LBB135_329:
	s_mov_b64 s[4:5], exec
	s_trap 2
	s_branch .LBB135_327
	.section	.rodata,"a",@progbits
	.p2align	6, 0x0
	.amdhsa_kernel _ZN2at6native12_GLOBAL__N_112gatherMedianIN3c104HalfEmLin1EEEvNS_4cuda6detail10TensorInfoIT_T0_EENS7_IlS9_EENS7_IKS8_S9_EES9_S9_S9_b
		.amdhsa_group_segment_fixed_size 5152
		.amdhsa_private_segment_fixed_size 0
		.amdhsa_kernarg_size 1536
		.amdhsa_user_sgpr_count 6
		.amdhsa_user_sgpr_private_segment_buffer 1
		.amdhsa_user_sgpr_dispatch_ptr 0
		.amdhsa_user_sgpr_queue_ptr 0
		.amdhsa_user_sgpr_kernarg_segment_ptr 1
		.amdhsa_user_sgpr_dispatch_id 0
		.amdhsa_user_sgpr_flat_scratch_init 0
		.amdhsa_user_sgpr_kernarg_preload_length 0
		.amdhsa_user_sgpr_kernarg_preload_offset 0
		.amdhsa_user_sgpr_private_segment_size 0
		.amdhsa_uses_dynamic_stack 0
		.amdhsa_system_sgpr_private_segment_wavefront_offset 0
		.amdhsa_system_sgpr_workgroup_id_x 1
		.amdhsa_system_sgpr_workgroup_id_y 1
		.amdhsa_system_sgpr_workgroup_id_z 1
		.amdhsa_system_sgpr_workgroup_info 0
		.amdhsa_system_vgpr_workitem_id 0
		.amdhsa_next_free_vgpr 55
		.amdhsa_next_free_sgpr 96
		.amdhsa_accum_offset 56
		.amdhsa_reserve_vcc 1
		.amdhsa_reserve_flat_scratch 0
		.amdhsa_float_round_mode_32 0
		.amdhsa_float_round_mode_16_64 0
		.amdhsa_float_denorm_mode_32 3
		.amdhsa_float_denorm_mode_16_64 3
		.amdhsa_dx10_clamp 1
		.amdhsa_ieee_mode 1
		.amdhsa_fp16_overflow 0
		.amdhsa_tg_split 0
		.amdhsa_exception_fp_ieee_invalid_op 0
		.amdhsa_exception_fp_denorm_src 0
		.amdhsa_exception_fp_ieee_div_zero 0
		.amdhsa_exception_fp_ieee_overflow 0
		.amdhsa_exception_fp_ieee_underflow 0
		.amdhsa_exception_fp_ieee_inexact 0
		.amdhsa_exception_int_div_zero 0
	.end_amdhsa_kernel
	.section	.text._ZN2at6native12_GLOBAL__N_112gatherMedianIN3c104HalfEmLin1EEEvNS_4cuda6detail10TensorInfoIT_T0_EENS7_IlS9_EENS7_IKS8_S9_EES9_S9_S9_b,"axG",@progbits,_ZN2at6native12_GLOBAL__N_112gatherMedianIN3c104HalfEmLin1EEEvNS_4cuda6detail10TensorInfoIT_T0_EENS7_IlS9_EENS7_IKS8_S9_EES9_S9_S9_b,comdat
.Lfunc_end135:
	.size	_ZN2at6native12_GLOBAL__N_112gatherMedianIN3c104HalfEmLin1EEEvNS_4cuda6detail10TensorInfoIT_T0_EENS7_IlS9_EENS7_IKS8_S9_EES9_S9_S9_b, .Lfunc_end135-_ZN2at6native12_GLOBAL__N_112gatherMedianIN3c104HalfEmLin1EEEvNS_4cuda6detail10TensorInfoIT_T0_EENS7_IlS9_EENS7_IKS8_S9_EES9_S9_S9_b
                                        ; -- End function
	.section	.AMDGPU.csdata,"",@progbits
; Kernel info:
; codeLenInByte = 19176
; NumSgprs: 100
; NumVgprs: 55
; NumAgprs: 0
; TotalNumVgprs: 55
; ScratchSize: 0
; MemoryBound: 0
; FloatMode: 240
; IeeeMode: 1
; LDSByteSize: 5152 bytes/workgroup (compile time only)
; SGPRBlocks: 12
; VGPRBlocks: 6
; NumSGPRsForWavesPerEU: 100
; NumVGPRsForWavesPerEU: 55
; AccumOffset: 56
; Occupancy: 8
; WaveLimiterHint : 1
; COMPUTE_PGM_RSRC2:SCRATCH_EN: 0
; COMPUTE_PGM_RSRC2:USER_SGPR: 6
; COMPUTE_PGM_RSRC2:TRAP_HANDLER: 0
; COMPUTE_PGM_RSRC2:TGID_X_EN: 1
; COMPUTE_PGM_RSRC2:TGID_Y_EN: 1
; COMPUTE_PGM_RSRC2:TGID_Z_EN: 1
; COMPUTE_PGM_RSRC2:TIDIG_COMP_CNT: 0
; COMPUTE_PGM_RSRC3_GFX90A:ACCUM_OFFSET: 13
; COMPUTE_PGM_RSRC3_GFX90A:TG_SPLIT: 0
	.section	.text._ZN2at6native12_GLOBAL__N_112gatherMedianIN3c108BFloat16EjLi1EEEvNS_4cuda6detail10TensorInfoIT_T0_EENS7_IlS9_EENS7_IKS8_S9_EES9_S9_S9_b,"axG",@progbits,_ZN2at6native12_GLOBAL__N_112gatherMedianIN3c108BFloat16EjLi1EEEvNS_4cuda6detail10TensorInfoIT_T0_EENS7_IlS9_EENS7_IKS8_S9_EES9_S9_S9_b,comdat
	.globl	_ZN2at6native12_GLOBAL__N_112gatherMedianIN3c108BFloat16EjLi1EEEvNS_4cuda6detail10TensorInfoIT_T0_EENS7_IlS9_EENS7_IKS8_S9_EES9_S9_S9_b ; -- Begin function _ZN2at6native12_GLOBAL__N_112gatherMedianIN3c108BFloat16EjLi1EEEvNS_4cuda6detail10TensorInfoIT_T0_EENS7_IlS9_EENS7_IKS8_S9_EES9_S9_S9_b
	.p2align	8
	.type	_ZN2at6native12_GLOBAL__N_112gatherMedianIN3c108BFloat16EjLi1EEEvNS_4cuda6detail10TensorInfoIT_T0_EENS7_IlS9_EENS7_IKS8_S9_EES9_S9_S9_b,@function
_ZN2at6native12_GLOBAL__N_112gatherMedianIN3c108BFloat16EjLi1EEEvNS_4cuda6detail10TensorInfoIT_T0_EENS7_IlS9_EENS7_IKS8_S9_EES9_S9_S9_b: ; @_ZN2at6native12_GLOBAL__N_112gatherMedianIN3c108BFloat16EjLi1EEEvNS_4cuda6detail10TensorInfoIT_T0_EENS7_IlS9_EENS7_IKS8_S9_EES9_S9_S9_b
; %bb.0:
	s_load_dwordx2 s[12:13], s[4:5], 0x298
	s_load_dwordx4 s[56:59], s[4:5], 0x288
	s_add_u32 s10, s4, 0x298
	s_addc_u32 s11, s5, 0
	s_waitcnt lgkmcnt(0)
	s_mul_i32 s0, s13, s8
	s_add_i32 s0, s0, s7
	s_mul_i32 s0, s0, s12
	s_add_i32 s7, s0, s6
	s_cmp_ge_u32 s7, s57
	s_cbranch_scc1 .LBB136_259
; %bb.1:
	s_load_dword s2, s[4:5], 0x21c
	s_load_dwordx2 s[0:1], s[4:5], 0x1b0
	s_load_dwordx2 s[8:9], s[4:5], 0xd8
                                        ; implicit-def: $vgpr52 : SGPR spill to VGPR lane
	s_mov_b32 s3, 0
	v_mov_b32_e32 v2, 0
	s_waitcnt lgkmcnt(0)
	s_mul_i32 s2, s2, s7
	s_lshl_b64 s[2:3], s[2:3], 1
	v_writelane_b32 v52, s8, 0
	v_writelane_b32 v52, s9, 1
	s_load_dwordx2 s[8:9], s[4:5], 0x0
	s_add_u32 s57, s0, s2
	s_addc_u32 s33, s1, s3
	v_mul_lo_u32 v6, v0, s58
	v_cmp_gt_u32_e64 s[0:1], s56, v0
	s_waitcnt lgkmcnt(0)
	v_writelane_b32 v52, s8, 2
	v_writelane_b32 v52, s9, 3
	;; [unrolled: 1-line block ×3, first 2 shown]
	s_mov_b64 s[2:3], exec
	v_writelane_b32 v52, s0, 5
	v_writelane_b32 v52, s1, 6
	s_and_b64 s[0:1], s[2:3], s[0:1]
	s_mov_b64 exec, s[0:1]
	s_cbranch_execz .LBB136_5
; %bb.2:
	s_load_dword s0, s[10:11], 0xc
	v_mov_b32_e32 v5, 0
	v_mul_lo_u32 v4, v0, s58
	s_mov_b64 s[8:9], 0
	v_mov_b32_e32 v1, s33
	s_waitcnt lgkmcnt(0)
	s_and_b32 s0, s0, 0xffff
	s_mul_i32 s1, s58, s0
	v_mov_b32_e32 v2, v5
	v_mov_b32_e32 v3, v0
.LBB136_3:                              ; =>This Inner Loop Header: Depth=1
	v_lshlrev_b64 v[8:9], 1, v[4:5]
	v_add_co_u32_e32 v8, vcc, s57, v8
	v_addc_co_u32_e32 v9, vcc, v1, v9, vcc
	global_load_ushort v7, v[8:9], off
	v_add_u32_e32 v3, s0, v3
	v_cmp_le_u32_e32 vcc, s56, v3
	s_or_b64 s[8:9], vcc, s[8:9]
	v_add_u32_e32 v4, s1, v4
	s_waitcnt vmcnt(0)
	v_lshlrev_b32_e32 v7, 16, v7
	v_cmp_u_f32_e32 vcc, v7, v7
	v_addc_co_u32_e32 v2, vcc, 0, v2, vcc
	s_andn2_b64 exec, exec, s[8:9]
	s_cbranch_execnz .LBB136_3
; %bb.4:
	s_or_b64 exec, exec, s[8:9]
.LBB136_5:
	s_or_b64 exec, exec, s[2:3]
	s_load_dword s0, s[4:5], 0x144
                                        ; kill: killed $sgpr4 killed $sgpr5
	s_waitcnt lgkmcnt(0)
	v_writelane_b32 v52, s0, 9
	s_load_dword s0, s[4:5], 0x6c
	s_waitcnt lgkmcnt(0)
	v_writelane_b32 v52, s0, 10
	v_cmp_eq_u32_e64 s[0:1], 0, v0
	s_mov_b64 s[4:5], exec
	v_writelane_b32 v52, s0, 7
	v_writelane_b32 v52, s1, 8
	s_and_b64 s[0:1], s[4:5], s[0:1]
	s_mov_b64 exec, s[0:1]
	s_cbranch_execz .LBB136_7
; %bb.6:
	v_mov_b32_e32 v4, 0
	v_mov_b32_e32 v5, v4
	ds_write_b64 v4, v[4:5] offset:4096
.LBB136_7:
	s_or_b64 exec, exec, s[4:5]
	v_cmp_ne_u32_e32 vcc, 0, v2
	s_waitcnt lgkmcnt(0)
	s_barrier
	s_and_saveexec_b64 s[4:5], vcc
	s_cbranch_execz .LBB136_12
; %bb.8:
	s_mov_b64 s[14:15], exec
	v_mov_b32_e32 v1, 0
	s_mov_b64 s[8:9], 0
.LBB136_9:                              ; =>This Inner Loop Header: Depth=1
	s_ff1_i32_b64 s0, s[14:15]
	v_readlane_b32 s2, v2, s0
	v_readlane_b32 s1, v1, s0
	s_add_u32 s8, s8, s2
	s_addc_u32 s9, s9, s1
	s_lshl_b64 s[0:1], 1, s0
	s_andn2_b64 s[14:15], s[14:15], s[0:1]
	s_cmp_lg_u64 s[14:15], 0
	s_cbranch_scc1 .LBB136_9
; %bb.10:
	v_mbcnt_lo_u32_b32 v1, exec_lo, 0
	v_mbcnt_hi_u32_b32 v1, exec_hi, v1
	v_cmp_eq_u32_e32 vcc, 0, v1
	s_and_saveexec_b64 s[0:1], vcc
	s_xor_b64 s[0:1], exec, s[0:1]
	s_cbranch_execz .LBB136_12
; %bb.11:
	v_mov_b32_e32 v1, 0
	v_pk_mov_b32 v[2:3], s[8:9], s[8:9] op_sel:[0,1]
	ds_add_u64 v1, v[2:3] offset:4096
.LBB136_12:
	s_or_b64 exec, exec, s[4:5]
	v_mov_b32_e32 v1, 0
	s_waitcnt lgkmcnt(0)
	s_barrier
	ds_read_b64 v[2:3], v1 offset:4096
	s_bitcmp1_b32 s59, 0
	s_cselect_b64 s[0:1], -1, 0
	s_mov_b32 s3, s56
	s_waitcnt lgkmcnt(0)
	v_cmp_gt_i64_e32 vcc, 1, v[2:3]
	s_or_b64 s[0:1], s[0:1], vcc
	s_andn2_b64 vcc, exec, s[0:1]
	s_cbranch_vccnz .LBB136_14
; %bb.13:
	v_not_b32_e32 v1, v2
	v_not_b32_e32 v2, v3
	v_add_co_u32_e32 v1, vcc, s56, v1
	v_addc_co_u32_e32 v2, vcc, 0, v2, vcc
	v_lshrrev_b32_e32 v3, 31, v2
	v_add_co_u32_e32 v1, vcc, v1, v3
	v_addc_co_u32_e32 v2, vcc, 0, v2, vcc
	v_alignbit_b32 v1, v2, v1, 1
	v_readfirstlane_b32 s0, v1
	s_add_i32 s3, s0, 1
.LBB136_14:
	s_mov_b64 s[4:5], exec
	v_readlane_b32 s0, v52, 7
	v_readlane_b32 s1, v52, 8
	s_and_b64 s[0:1], s[4:5], s[0:1]
	s_mov_b64 exec, s[0:1]
	s_cbranch_execz .LBB136_16
; %bb.15:
	v_mov_b32_e32 v2, 0
	v_mov_b32_e32 v3, s56
	ds_write_b32 v2, v2 offset:4112
	ds_write_b64 v2, v[2:3] offset:4104
.LBB136_16:
	s_or_b64 exec, exec, s[4:5]
	s_waitcnt lgkmcnt(0)
	s_barrier
	s_load_dword s0, s[10:11], 0xc
	v_mbcnt_lo_u32_b32 v1, -1, 0
	v_mbcnt_hi_u32_b32 v13, -1, v1
	v_cmp_gt_u32_e32 vcc, 64, v0
	v_cmp_gt_i32_e64 s[4:5], 4, v13
	s_waitcnt lgkmcnt(0)
	s_and_b32 s59, s0, 0xffff
	s_bfe_u32 s8, s0, 0xa0006
	s_add_i32 s0, s59, -1
	s_lshl_b32 s80, s59, 2
	s_and_b64 s[66:67], vcc, s[4:5]
	v_writelane_b32 v52, s0, 11
	s_add_i32 s0, s0, s56
	s_cmpk_gt_u32 s56, 0x600
	s_cselect_b64 s[4:5], -1, 0
	v_mov_b32_e32 v9, 0
	v_writelane_b32 v52, s4, 12
	s_cmp_gt_u32 s59, 63
	v_writelane_b32 v52, s5, 13
	s_cselect_b64 s[4:5], -1, 0
	s_cmp_lt_u32 s6, s12
	v_mov_b32_e32 v7, v9
	v_writelane_b32 v52, s4, 14
	s_cselect_b32 s1, 12, 18
	v_lshlrev_b64 v[2:3], 1, v[6:7]
	v_writelane_b32 v52, s5, 15
	s_add_u32 s4, s10, s1
	v_mov_b32_e32 v7, s33
	v_add_co_u32_e32 v10, vcc, s57, v2
	s_addc_u32 s5, s11, 0
	s_add_i32 s1, s8, -2
	v_addc_co_u32_e32 v11, vcc, v7, v3, vcc
	v_lshlrev_b64 v[2:3], v13, -1
	s_lshr_b32 s2, s1, 1
	v_not_b32_e32 v12, v2
	v_cvt_f32_u32_e32 v2, s80
	s_add_i32 s2, s2, 1
	v_writelane_b32 v52, s4, 16
	s_cmpk_gt_u32 s59, 0x7f
	v_writelane_b32 v52, s5, 17
	s_cselect_b64 s[4:5], -1, 0
	s_and_b32 s9, s8, 0x3fe
	s_and_b32 s10, s2, 7
	v_writelane_b32 v52, s4, 18
	s_cmp_gt_u32 s1, 13
	v_rcp_iflag_f32_e32 v2, v2
	v_writelane_b32 v52, s5, 19
	s_cselect_b64 s[12:13], -1, 0
	v_writelane_b32 v52, s12, 20
	v_writelane_b32 v52, s13, 21
	s_and_b32 s1, s2, -8
	v_writelane_b32 v52, s1, 22
	s_cmp_lg_u32 s10, 0
	v_mul_f32_e32 v2, 0x4f7ffffe, v2
	v_writelane_b32 v52, s10, 23
	s_cselect_b64 s[10:11], -1, 0
	v_cvt_u32_f32_e32 v2, v2
	v_writelane_b32 v52, s10, 24
	v_writelane_b32 v52, s11, 25
	v_writelane_b32 v52, s8, 26
	s_cmp_lg_u32 s9, s8
	v_writelane_b32 v52, s9, 27
	s_cselect_b64 s[8:9], -1, 0
	s_sub_i32 s1, 0, s80
	v_readfirstlane_b32 s2, v2
	s_mul_i32 s1, s1, s2
	s_mul_hi_u32 s1, s2, s1
	s_add_i32 s79, s2, s1
	v_cvt_f32_u32_e32 v2, s59
	s_mul_hi_u32 s1, s56, s79
	s_mul_i32 s1, s1, s80
	s_sub_i32 s1, s56, s1
	s_sub_i32 s2, s1, s80
	v_rcp_iflag_f32_e32 v5, v2
	s_cmp_ge_u32 s1, s80
	s_cselect_b32 s1, s2, s1
	s_sub_i32 s2, s1, s80
	s_cmp_ge_u32 s1, s80
	v_mul_f32_e32 v5, 0x4f7ffffe, v5
	s_cselect_b32 s1, s2, s1
	v_cvt_u32_f32_e32 v5, v5
	v_lshlrev_b32_e32 v16, 2, v0
	v_writelane_b32 v52, s8, 28
	s_sub_i32 s72, s56, s1
	v_writelane_b32 v52, s9, 29
	v_cmp_gt_u32_e64 s[8:9], s72, v16
	v_writelane_b32 v52, s8, 30
	v_writelane_b32 v52, s9, 31
	s_sub_i32 s2, 0, s59
	v_readfirstlane_b32 s8, v5
	s_mul_i32 s2, s2, s8
	s_mul_hi_u32 s2, s8, s2
	s_add_i32 s2, s8, s2
	v_writelane_b32 v52, s2, 32
	s_mul_hi_u32 s2, s0, s2
	s_mul_i32 s2, s2, s59
	s_sub_i32 s2, s0, s2
	s_sub_i32 s8, s2, s59
	v_add_u32_e32 v21, s72, v0
	s_cmp_ge_u32 s2, s59
	v_lshrrev_b32_e32 v1, 4, v0
	v_mul_lo_u32 v8, v21, s58
	s_cselect_b32 s2, s8, s2
	v_and_b32_e32 v19, 60, v1
	v_not_b32_e32 v1, v3
	v_lshlrev_b64 v[2:3], 1, v[8:9]
	s_sub_i32 s8, s2, s59
	v_add_co_u32_e32 v14, vcc, s57, v2
	s_cmp_ge_u32 s2, s59
	v_mul_lo_u32 v2, s58, v16
	s_cselect_b32 s2, s8, s2
	v_add_u32_e32 v22, s58, v2
	v_or_b32_e32 v2, 2, v16
	s_sub_i32 s74, s0, s2
	v_mul_lo_u32 v23, s58, v2
	v_or_b32_e32 v2, 3, v16
	s_add_i32 s0, s59, s56
	v_mul_lo_u32 v24, s58, v2
	v_add_u32_e32 v2, s0, v0
	v_lshlrev_b32_e32 v17, 1, v0
	v_lshlrev_b32_e32 v4, 2, v13
	v_mov_b32_e32 v8, s33
	v_cmp_gt_u32_e64 s[8:9], s74, v0
	s_mul_i32 s78, s58, s59
	v_subrev_u32_e32 v2, s1, v2
	s_mov_b32 s64, 0
	v_cmp_eq_u32_e64 s[4:5], 0, v13
	v_cmp_gt_u32_e64 s[6:7], 2, v0
	v_add_u32_e32 v18, 0xc00, v17
	v_and_b32_e32 v20, 0x100, v4
	v_cmp_gt_u32_e64 s[10:11], s56, v21
	v_addc_co_u32_e32 v15, vcc, v8, v3, vcc
	v_writelane_b32 v52, s8, 33
	s_lshl_b32 s75, s78, 2
	v_lshlrev_b32_e32 v25, 2, v6
	v_mul_lo_u32 v26, s58, v2
	v_lshlrev_b32_e32 v27, 3, v0
	s_lshl_b32 s12, s59, 3
	s_lshl_b32 s13, s59, 1
	v_or_b32_e32 v28, 0xc00, v4
	s_mov_b32 s69, 14
	s_mov_b64 s[82:83], 0
	s_movk_i32 s68, 0x3f80
	v_mov_b32_e32 v29, 0xffff
	v_mov_b32_e32 v30, 0x8000
	v_mov_b32_e32 v31, -1
	v_mov_b32_e32 v32, 0xc00
	v_mov_b32_e32 v33, 0x5040100
	v_mov_b32_e32 v34, 0
	s_mov_b32 s0, 0
	s_mov_b32 s2, 0
	;; [unrolled: 1-line block ×3, first 2 shown]
	v_writelane_b32 v52, s9, 34
                                        ; implicit-def: $sgpr84_sgpr85
                                        ; implicit-def: $sgpr88_sgpr89
                                        ; implicit-def: $sgpr86_sgpr87
                                        ; implicit-def: $sgpr90_sgpr91
                                        ; implicit-def: $sgpr92_sgpr93
                                        ; implicit-def: $sgpr94_sgpr95
	s_branch .LBB136_21
.LBB136_17:                             ;   in Loop: Header=BB136_21 Depth=1
	s_xor_b32 s0, s0, 1
	s_add_i32 s3, s69, -2
	s_cmp_eq_u32 s69, 0
	s_mov_b64 s[18:19], 0
	s_cselect_b64 s[26:27], -1, 0
	s_mov_b32 s69, s3
.LBB136_18:                             ;   in Loop: Header=BB136_21 Depth=1
	s_andn2_b64 s[8:9], s[22:23], exec
	s_and_b64 s[18:19], s[18:19], exec
	s_or_b64 s[22:23], s[8:9], s[18:19]
	s_andn2_b64 s[24:25], s[24:25], exec
	s_andn2_b64 s[20:21], s[20:21], exec
	s_orn2_b64 s[18:19], s[26:27], exec
	s_mov_b32 s3, s35
.LBB136_19:                             ;   in Loop: Header=BB136_21 Depth=1
	s_or_b64 exec, exec, s[14:15]
	s_andn2_b64 s[8:9], s[94:95], exec
	s_and_b64 s[14:15], s[22:23], exec
	s_or_b64 s[94:95], s[8:9], s[14:15]
	s_andn2_b64 s[8:9], s[92:93], exec
	s_and_b64 s[14:15], s[24:25], exec
	s_or_b64 s[92:93], s[8:9], s[14:15]
	;; [unrolled: 3-line block ×3, first 2 shown]
	s_orn2_b64 s[18:19], s[18:19], exec
.LBB136_20:                             ;   in Loop: Header=BB136_21 Depth=1
	s_or_b64 exec, exec, s[16:17]
	s_and_b64 s[8:9], exec, s[18:19]
	s_or_b64 s[82:83], s[8:9], s[82:83]
	s_andn2_b64 s[8:9], s[86:87], exec
	s_and_b64 s[14:15], s[94:95], exec
	s_or_b64 s[86:87], s[8:9], s[14:15]
	s_andn2_b64 s[8:9], s[88:89], exec
	s_and_b64 s[14:15], s[92:93], exec
	s_or_b64 s[88:89], s[8:9], s[14:15]
	s_andn2_b64 s[8:9], s[84:85], exec
	s_and_b64 s[14:15], s[90:91], exec
	v_mov_b32_e32 v2, s2
	s_or_b64 s[84:85], s[8:9], s[14:15]
	s_andn2_b64 exec, exec, s[82:83]
	s_cbranch_execz .LBB136_255
.LBB136_21:                             ; =>This Loop Header: Depth=1
                                        ;     Child Loop BB136_26 Depth 2
                                        ;     Child Loop BB136_44 Depth 2
	;; [unrolled: 1-line block ×17, first 2 shown]
	ds_read_b64 v[2:3], v9 offset:4104
	s_waitcnt lgkmcnt(0)
	v_readfirstlane_b32 s65, v2
	s_cmp_lg_u32 s65, 0
	s_cbranch_scc1 .LBB136_51
; %bb.22:                               ;   in Loop: Header=BB136_21 Depth=1
	v_readlane_b32 s8, v52, 12
	v_readlane_b32 s9, v52, 13
	s_and_b64 vcc, exec, s[8:9]
	s_cbranch_vccz .LBB136_34
; %bb.23:                               ;   in Loop: Header=BB136_21 Depth=1
	s_movk_i32 s8, 0x601
	v_cmp_gt_u32_e32 vcc, s8, v3
	s_mov_b64 s[18:19], 0
	s_mov_b64 s[14:15], 0
	s_cbranch_vccz .LBB136_35
; %bb.24:                               ;   in Loop: Header=BB136_21 Depth=1
	v_readlane_b32 s8, v52, 16
	v_readlane_b32 s9, v52, 17
	s_nop 4
	global_load_ushort v2, v9, s[8:9]
	global_load_ushort v4, v[10:11], off
	s_mov_b64 s[20:21], 0
	s_waitcnt vmcnt(1)
	v_add_u32_e32 v5, v0, v2
	v_mul_lo_u32 v3, s58, v2
	v_mul_lo_u32 v8, s58, v5
	v_mov_b32_e32 v5, v0
	s_branch .LBB136_26
.LBB136_25:                             ;   in Loop: Header=BB136_26 Depth=2
	s_or_b64 exec, exec, s[16:17]
	v_add_u32_e32 v8, v8, v3
	v_mov_b32_e32 v4, v35
	s_andn2_b64 exec, exec, s[20:21]
	s_cbranch_execz .LBB136_36
.LBB136_26:                             ;   Parent Loop BB136_21 Depth=1
                                        ; =>  This Inner Loop Header: Depth=2
	v_add_u32_e32 v5, v5, v2
	v_cmp_gt_u32_e64 s[14:15], s56, v5
	v_cmp_le_u32_e32 vcc, s56, v5
	s_waitcnt lgkmcnt(0)
	v_mov_b32_e32 v36, 0
	v_mov_b32_e32 v35, 0
	s_and_saveexec_b64 s[16:17], s[14:15]
	s_cbranch_execz .LBB136_28
; %bb.27:                               ;   in Loop: Header=BB136_26 Depth=2
	v_lshlrev_b64 v[38:39], 1, v[8:9]
	v_add_co_u32_e64 v38, s[14:15], s57, v38
	v_addc_co_u32_e64 v39, s[14:15], v7, v39, s[14:15]
	global_load_ushort v35, v[38:39], off
.LBB136_28:                             ;   in Loop: Header=BB136_26 Depth=2
	s_or_b64 exec, exec, s[16:17]
	s_waitcnt vmcnt(0)
	v_cmp_lt_i16_e64 s[14:15], -1, v4
	v_cndmask_b32_e64 v37, v29, v30, s[14:15]
	v_lshlrev_b32_e32 v38, 16, v4
	v_xor_b32_sdwa v37, v37, v4 dst_sel:DWORD dst_unused:UNUSED_PAD src0_sel:DWORD src1_sel:WORD_0
	v_cmp_o_f32_e64 s[14:15], v38, v38
	v_cndmask_b32_e64 v37, v29, v37, s[14:15]
	v_and_b32_e32 v37, s1, v37
	v_cmp_eq_u32_e64 s[14:15], s2, v37
	s_cmp_lg_u64 s[14:15], 0
	s_cselect_b64 s[8:9], -1, 0
	s_and_b64 s[8:9], s[4:5], s[8:9]
	s_and_saveexec_b64 s[22:23], s[8:9]
	s_cbranch_execz .LBB136_32
; %bb.29:                               ;   in Loop: Header=BB136_26 Depth=2
	s_mov_b64 s[26:27], exec
	v_mbcnt_lo_u32_b32 v36, s26, 0
	v_mbcnt_hi_u32_b32 v36, s27, v36
	s_bcnt1_i32_b64 s8, s[14:15]
	v_cmp_eq_u32_e64 s[16:17], 0, v36
                                        ; implicit-def: $vgpr37
	s_and_saveexec_b64 s[24:25], s[16:17]
	s_cbranch_execz .LBB136_31
; %bb.30:                               ;   in Loop: Header=BB136_26 Depth=2
	s_bcnt1_i32_b64 s9, s[26:27]
	s_mul_i32 s9, s8, s9
	v_mov_b32_e32 v37, s9
	ds_add_rtn_u32 v37, v9, v37 offset:4112
.LBB136_31:                             ;   in Loop: Header=BB136_26 Depth=2
	s_or_b64 exec, exec, s[24:25]
	s_waitcnt lgkmcnt(0)
	v_readfirstlane_b32 s9, v37
	v_mov_b32_e32 v37, s9
	v_mad_u32_u24 v36, s8, v36, v37
.LBB136_32:                             ;   in Loop: Header=BB136_26 Depth=2
	s_or_b64 exec, exec, s[22:23]
	ds_bpermute_b32 v36, v20, v36
	s_and_b64 s[8:9], exec, vcc
	s_or_b64 s[20:21], s[8:9], s[20:21]
	s_and_saveexec_b64 s[16:17], s[14:15]
	s_cbranch_execz .LBB136_25
; %bb.33:                               ;   in Loop: Header=BB136_26 Depth=2
	v_and_b32_e32 v38, s14, v12
	v_and_b32_e32 v37, s15, v1
	v_bcnt_u32_b32 v38, v38, 0
	v_bcnt_u32_b32 v37, v37, v38
	v_lshlrev_b32_e32 v37, 1, v37
	s_waitcnt lgkmcnt(0)
	v_lshl_add_u32 v36, v36, 1, v37
	ds_write_b16 v36, v4
	s_branch .LBB136_25
.LBB136_34:                             ;   in Loop: Header=BB136_21 Depth=1
	s_mov_b64 s[14:15], 0
                                        ; implicit-def: $sgpr65
	s_cbranch_execnz .LBB136_39
	s_branch .LBB136_49
.LBB136_35:                             ;   in Loop: Header=BB136_21 Depth=1
	s_mov_b32 s65, 0
	s_and_b64 vcc, exec, s[18:19]
	s_cbranch_vccnz .LBB136_39
	s_branch .LBB136_49
.LBB136_36:                             ;   in Loop: Header=BB136_21 Depth=1
	s_or_b64 exec, exec, s[20:21]
	s_waitcnt lgkmcnt(0)
	s_barrier
	s_mov_b64 s[14:15], exec
	v_readlane_b32 s8, v52, 7
	v_readlane_b32 s9, v52, 8
	s_and_b64 s[8:9], s[14:15], s[8:9]
	s_mov_b64 exec, s[8:9]
	s_cbranch_execz .LBB136_38
; %bb.37:                               ;   in Loop: Header=BB136_21 Depth=1
	ds_read_b32 v2, v9 offset:4112
	s_waitcnt lgkmcnt(0)
	ds_write_b32 v9, v2 offset:4104
.LBB136_38:                             ;   in Loop: Header=BB136_21 Depth=1
	s_or_b64 exec, exec, s[14:15]
	s_waitcnt lgkmcnt(0)
	s_barrier
	s_mov_b64 s[14:15], -1
	s_mov_b32 s65, 0
	s_and_b64 vcc, exec, s[18:19]
	s_cbranch_vccz .LBB136_49
.LBB136_39:                             ;   in Loop: Header=BB136_21 Depth=1
	v_mov_b32_e32 v2, 0
	s_mov_b64 s[14:15], exec
	v_readlane_b32 s8, v52, 5
	v_readlane_b32 s9, v52, 6
	s_and_b64 s[8:9], s[14:15], s[8:9]
	s_mov_b64 exec, s[8:9]
	s_cbranch_execz .LBB136_41
; %bb.40:                               ;   in Loop: Header=BB136_21 Depth=1
	global_load_ushort v2, v[10:11], off
.LBB136_41:                             ;   in Loop: Header=BB136_21 Depth=1
	s_or_b64 exec, exec, s[14:15]
	s_mov_b64 s[16:17], exec
	v_readlane_b32 s8, v52, 5
	v_readlane_b32 s9, v52, 6
	s_and_b64 s[8:9], s[16:17], s[8:9]
	s_mov_b64 exec, s[8:9]
	s_cbranch_execz .LBB136_46
; %bb.42:                               ;   in Loop: Header=BB136_21 Depth=1
	v_readlane_b32 s8, v52, 16
	v_readlane_b32 s9, v52, 17
	s_mov_b64 s[18:19], 0
	v_mov_b32_e32 v4, v17
	v_mov_b32_e32 v36, v0
	s_nop 1
	global_load_ushort v3, v9, s[8:9]
	s_waitcnt vmcnt(0)
	v_add_u32_e32 v8, v0, v3
	v_lshlrev_b32_e32 v5, 1, v3
	v_mul_lo_u32 v35, s58, v3
	v_mul_lo_u32 v8, s58, v8
	s_branch .LBB136_44
.LBB136_43:                             ;   in Loop: Header=BB136_44 Depth=2
	s_or_b64 exec, exec, s[20:21]
	s_and_b64 s[8:9], exec, vcc
	s_or_b64 s[18:19], s[8:9], s[18:19]
	ds_write_b16 v4, v2
	v_add_u32_e32 v4, v4, v5
	v_add_u32_e32 v8, v8, v35
	s_waitcnt vmcnt(0)
	v_mov_b32_e32 v2, v37
	s_andn2_b64 exec, exec, s[18:19]
	s_cbranch_execz .LBB136_46
.LBB136_44:                             ;   Parent Loop BB136_21 Depth=1
                                        ; =>  This Inner Loop Header: Depth=2
	v_add_u32_e32 v36, v36, v3
	v_cmp_gt_u32_e64 s[14:15], s56, v36
	v_cmp_le_u32_e32 vcc, s56, v36
	v_mov_b32_e32 v37, 0
	s_and_saveexec_b64 s[20:21], s[14:15]
	s_cbranch_execz .LBB136_43
; %bb.45:                               ;   in Loop: Header=BB136_44 Depth=2
	v_lshlrev_b64 v[38:39], 1, v[8:9]
	v_mov_b32_e32 v37, s33
	v_add_co_u32_e64 v38, s[14:15], s57, v38
	v_addc_co_u32_e64 v39, s[14:15], v37, v39, s[14:15]
	global_load_ushort v37, v[38:39], off
	s_branch .LBB136_43
.LBB136_46:                             ;   in Loop: Header=BB136_21 Depth=1
	s_or_b64 exec, exec, s[16:17]
	s_waitcnt lgkmcnt(0)
	s_barrier
	s_mov_b64 s[14:15], exec
	v_readlane_b32 s8, v52, 7
	v_readlane_b32 s9, v52, 8
	s_and_b64 s[8:9], s[14:15], s[8:9]
	s_mov_b64 exec, s[8:9]
	s_cbranch_execz .LBB136_48
; %bb.47:                               ;   in Loop: Header=BB136_21 Depth=1
	s_waitcnt vmcnt(0)
	v_mov_b32_e32 v2, s56
	ds_write_b32 v9, v2 offset:4104
.LBB136_48:                             ;   in Loop: Header=BB136_21 Depth=1
	s_or_b64 exec, exec, s[14:15]
	s_mov_b64 s[14:15], -1
	s_waitcnt lgkmcnt(0)
	s_barrier
                                        ; implicit-def: $sgpr65
.LBB136_49:                             ;   in Loop: Header=BB136_21 Depth=1
	s_and_b64 vcc, exec, s[14:15]
	s_cbranch_vccz .LBB136_51
; %bb.50:                               ;   in Loop: Header=BB136_21 Depth=1
	s_waitcnt vmcnt(0)
	ds_read_b32 v2, v9 offset:4104
	s_waitcnt lgkmcnt(0)
	v_readfirstlane_b32 s65, v2
.LBB136_51:                             ;   in Loop: Header=BB136_21 Depth=1
	s_cmp_lt_i32 s65, 1
	s_cbranch_scc0 .LBB136_63
; %bb.52:                               ;   in Loop: Header=BB136_21 Depth=1
	s_waitcnt vmcnt(0)
	v_mov_b32_e32 v2, 0
	s_mov_b32 s48, 0
	v_mov_b32_e32 v3, 0
	v_mov_b32_e32 v4, v2
	;; [unrolled: 1-line block ×3, first 2 shown]
	s_mov_b64 s[44:45], exec
	v_readlane_b32 s8, v52, 30
	v_readlane_b32 s9, v52, 31
	s_and_b64 s[8:9], s[44:45], s[8:9]
	s_mov_b64 exec, s[8:9]
	s_cbranch_execz .LBB136_56
; %bb.53:                               ;   in Loop: Header=BB136_21 Depth=1
	s_and_b32 s49, s69, 0xfe
	s_mov_b64 s[46:47], 0
	s_mov_b32 s50, 0
	s_mov_b32 s51, 0
	;; [unrolled: 1-line block ×4, first 2 shown]
	v_mov_b32_e32 v35, v16
.LBB136_54:                             ;   Parent Loop BB136_21 Depth=1
                                        ; =>  This Inner Loop Header: Depth=2
	v_add_u32_e32 v8, s48, v25
	v_lshlrev_b64 v[2:3], 1, v[8:9]
	v_mov_b32_e32 v38, s33
	v_add_u32_e32 v8, s48, v22
	v_add_co_u32_e64 v2, s[14:15], s57, v2
	v_lshlrev_b64 v[4:5], 1, v[8:9]
	v_addc_co_u32_e64 v3, s[14:15], v38, v3, s[14:15]
	v_add_u32_e32 v8, s48, v23
	global_load_ushort v39, v[2:3], off
	v_add_co_u32_e64 v2, s[14:15], s57, v4
	v_lshlrev_b64 v[36:37], 1, v[8:9]
	v_add_u32_e32 v8, s48, v24
	v_addc_co_u32_e64 v3, s[14:15], v38, v5, s[14:15]
	v_lshlrev_b64 v[4:5], 1, v[8:9]
	global_load_ushort v8, v[2:3], off
	v_add_co_u32_e64 v2, s[14:15], s57, v36
	v_addc_co_u32_e64 v3, s[14:15], v38, v37, s[14:15]
	global_load_ushort v36, v[2:3], off
	v_add_co_u32_e64 v2, s[14:15], s57, v4
	v_addc_co_u32_e64 v3, s[14:15], v38, v5, s[14:15]
	global_load_ushort v2, v[2:3], off
	v_add_u32_e32 v35, s80, v35
	v_cmp_le_u32_e32 vcc, s72, v35
	s_add_i32 s48, s48, s75
	s_waitcnt vmcnt(3)
	v_cmp_lt_i16_e64 s[14:15], -1, v39
	v_lshlrev_b32_e32 v3, 16, v39
	v_cndmask_b32_e64 v4, v29, v30, s[14:15]
	v_xor_b32_sdwa v4, v4, v39 dst_sel:DWORD dst_unused:UNUSED_PAD src0_sel:DWORD src1_sel:WORD_0
	s_waitcnt vmcnt(2)
	v_cmp_lt_i16_e64 s[14:15], -1, v8
	v_cndmask_b32_e64 v37, v29, v30, s[14:15]
	v_cmp_o_f32_e64 s[14:15], v3, v3
	v_lshlrev_b32_e32 v5, 16, v8
	v_cndmask_b32_e64 v4, v29, v4, s[14:15]
	s_waitcnt vmcnt(1)
	v_cmp_lt_i16_e64 s[14:15], -1, v36
	v_xor_b32_sdwa v8, v37, v8 dst_sel:DWORD dst_unused:UNUSED_PAD src0_sel:DWORD src1_sel:WORD_0
	v_cndmask_b32_e64 v37, v29, v30, s[14:15]
	v_cmp_o_f32_e64 s[14:15], v5, v5
	v_lshlrev_b32_e32 v3, 16, v36
	v_cndmask_b32_e64 v8, v29, v8, s[14:15]
	s_waitcnt vmcnt(0)
	v_cmp_lt_i16_e64 s[14:15], -1, v2
	v_xor_b32_sdwa v36, v37, v36 dst_sel:DWORD dst_unused:UNUSED_PAD src0_sel:DWORD src1_sel:WORD_0
	v_cndmask_b32_e64 v37, v29, v30, s[14:15]
	v_and_b32_e32 v38, s1, v4
	v_bfe_u32 v4, v4, s49, 2
	v_cmp_o_f32_e64 s[14:15], v3, v3
	v_cndmask_b32_e64 v3, v29, v36, s[14:15]
	v_cmp_eq_u32_e64 s[14:15], s2, v38
	v_cmp_eq_u32_e64 s[16:17], 0, v4
	v_lshlrev_b32_e32 v5, 16, v2
	v_cmp_eq_u32_e64 s[18:19], 1, v4
	s_and_b64 s[8:9], s[14:15], s[16:17]
	v_and_b32_e32 v36, s1, v8
	v_bfe_u32 v8, v8, s49, 2
	v_cmp_eq_u32_e64 s[20:21], 2, v4
	v_cmp_o_f32_e64 s[24:25], v5, v5
	v_cndmask_b32_e64 v5, 0, 1, s[8:9]
	s_and_b64 s[8:9], s[14:15], s[18:19]
	v_xor_b32_sdwa v2, v37, v2 dst_sel:DWORD dst_unused:UNUSED_PAD src0_sel:DWORD src1_sel:WORD_0
	v_cmp_eq_u32_e64 s[22:23], 3, v4
	v_cmp_eq_u32_e64 s[26:27], 0, v8
	;; [unrolled: 1-line block ×5, first 2 shown]
	v_cndmask_b32_e64 v8, 0, 1, s[8:9]
	s_and_b64 s[8:9], s[14:15], s[20:21]
	v_cndmask_b32_e64 v2, v29, v2, s[24:25]
	v_cmp_eq_u32_e64 s[24:25], s2, v36
	v_cndmask_b32_e64 v36, 0, 1, s[8:9]
	s_and_b64 s[8:9], s[14:15], s[22:23]
	v_and_b32_e32 v4, s1, v3
	v_bfe_u32 v3, v3, s49, 2
	v_cndmask_b32_e64 v37, 0, 1, s[8:9]
	s_and_b64 s[8:9], s[24:25], s[26:27]
	v_cmp_eq_u32_e64 s[16:17], 0, v3
	v_cmp_eq_u32_e64 s[18:19], 1, v3
	;; [unrolled: 1-line block ×4, first 2 shown]
	v_cndmask_b32_e64 v3, 0, 1, s[8:9]
	s_and_b64 s[8:9], s[24:25], s[28:29]
	v_cmp_ne_u32_e64 s[36:37], 0, v5
	v_cndmask_b32_e64 v5, 0, 1, s[8:9]
	s_and_b64 s[8:9], s[24:25], s[30:31]
	v_cmp_eq_u32_e64 s[14:15], s2, v4
	v_cmp_ne_u32_e64 s[26:27], 0, v8
	v_cndmask_b32_e64 v8, 0, 1, s[8:9]
	s_and_b64 s[8:9], s[24:25], s[34:35]
	v_and_b32_e32 v4, s1, v2
	v_bfe_u32 v2, v2, s49, 2
	v_cmp_ne_u32_e64 s[28:29], 0, v36
	v_cndmask_b32_e64 v36, 0, 1, s[8:9]
	s_and_b64 s[8:9], s[14:15], s[16:17]
	v_cmp_eq_u32_e64 s[34:35], 0, v2
	v_cmp_eq_u32_e64 s[38:39], 1, v2
	;; [unrolled: 1-line block ×4, first 2 shown]
	v_cndmask_b32_e64 v2, 0, 1, s[8:9]
	s_and_b64 s[8:9], s[14:15], s[18:19]
	s_bcnt1_i32_b64 s54, s[36:37]
	v_cmp_ne_u32_e64 s[36:37], 0, v3
	v_cndmask_b32_e64 v3, 0, 1, s[8:9]
	s_and_b64 s[8:9], s[14:15], s[20:21]
	v_cmp_eq_u32_e64 s[24:25], s2, v4
	v_cndmask_b32_e64 v4, 0, 1, s[8:9]
	s_and_b64 s[8:9], s[14:15], s[22:23]
	v_cmp_ne_u32_e64 s[16:17], 0, v5
	v_cndmask_b32_e64 v5, 0, 1, s[8:9]
	s_and_b64 s[8:9], s[24:25], s[34:35]
	v_cmp_ne_u32_e64 s[14:15], 0, v2
	;; [unrolled: 3-line block ×3, first 2 shown]
	s_bcnt1_i32_b64 s26, s[26:27]
	s_bcnt1_i32_b64 s27, s[28:29]
	v_cmp_ne_u32_e64 s[18:19], 0, v8
	s_bcnt1_i32_b64 s29, s[16:17]
	v_cmp_ne_u32_e64 s[16:17], 0, v3
	v_cndmask_b32_e64 v3, 0, 1, s[8:9]
	s_and_b64 s[8:9], s[24:25], s[40:41]
	s_bcnt1_i32_b64 s28, s[30:31]
	v_cmp_ne_u32_e64 s[20:21], 0, v36
	s_bcnt1_i32_b64 s30, s[18:19]
	v_cmp_ne_u32_e64 s[18:19], 0, v4
	v_cndmask_b32_e64 v4, 0, 1, s[8:9]
	s_and_b64 s[8:9], s[24:25], s[42:43]
	s_bcnt1_i32_b64 s22, s[36:37]
	s_add_i32 s23, s53, s54
	s_add_i32 s26, s52, s26
	;; [unrolled: 1-line block ×3, first 2 shown]
	s_bcnt1_i32_b64 s31, s[20:21]
	v_cmp_ne_u32_e64 s[20:21], 0, v5
	v_cndmask_b32_e64 v5, 0, 1, s[8:9]
	s_add_i32 s8, s50, s28
	s_bcnt1_i32_b64 s9, s[14:15]
	v_cmp_ne_u32_e64 s[14:15], 0, v2
	s_add_i32 s22, s23, s22
	s_bcnt1_i32_b64 s23, s[16:17]
	v_cmp_ne_u32_e64 s[16:17], 0, v3
	;; [unrolled: 3-line block ×4, first 2 shown]
	s_add_i32 s8, s8, s31
	s_bcnt1_i32_b64 s14, s[14:15]
	s_add_i32 s9, s22, s9
	s_bcnt1_i32_b64 s15, s[16:17]
	;; [unrolled: 2-line block ×4, first 2 shown]
	s_add_i32 s8, s8, s27
	s_add_i32 s53, s9, s14
	;; [unrolled: 1-line block ×5, first 2 shown]
	s_or_b64 s[46:47], vcc, s[46:47]
	v_mov_b32_e32 v2, s53
	v_mov_b32_e32 v3, s52
	;; [unrolled: 1-line block ×4, first 2 shown]
	s_andn2_b64 exec, exec, s[46:47]
	s_cbranch_execnz .LBB136_54
; %bb.55:                               ;   in Loop: Header=BB136_21 Depth=1
	s_or_b64 exec, exec, s[46:47]
.LBB136_56:                             ;   in Loop: Header=BB136_21 Depth=1
	s_or_b64 exec, exec, s[44:45]
	v_mov_b32_e32 v35, 0
	s_and_saveexec_b64 s[14:15], s[10:11]
	s_cbranch_execz .LBB136_58
; %bb.57:                               ;   in Loop: Header=BB136_21 Depth=1
	global_load_ushort v35, v[14:15], off
.LBB136_58:                             ;   in Loop: Header=BB136_21 Depth=1
	s_or_b64 exec, exec, s[14:15]
	s_mov_b64 s[16:17], 0
	s_mov_b64 s[60:61], 0
	s_and_saveexec_b64 s[18:19], s[10:11]
	s_cbranch_execz .LBB136_65
; %bb.59:                               ;   in Loop: Header=BB136_21 Depth=1
	s_and_b32 s8, s69, 0xfe
	s_mov_b64 s[20:21], 0
	v_mov_b32_e32 v8, v26
	v_mov_b32_e32 v36, v21
	s_branch .LBB136_61
.LBB136_60:                             ;   in Loop: Header=BB136_61 Depth=2
	s_or_b64 exec, exec, s[22:23]
	s_and_b64 s[14:15], exec, vcc
	s_waitcnt vmcnt(0)
	v_cmp_lt_i16_e32 vcc, -1, v35
	v_cndmask_b32_e32 v38, v29, v30, vcc
	v_lshlrev_b32_e32 v39, 16, v35
	v_xor_b32_sdwa v35, v38, v35 dst_sel:DWORD dst_unused:UNUSED_PAD src0_sel:DWORD src1_sel:WORD_0
	v_cmp_o_f32_e32 vcc, v39, v39
	v_cndmask_b32_e32 v35, v29, v35, vcc
	v_and_b32_e32 v38, s1, v35
	v_bfe_u32 v35, v35, s8, 2
	s_or_b64 s[20:21], s[14:15], s[20:21]
	v_cmp_eq_u32_e32 vcc, s2, v38
	v_cmp_eq_u32_e64 s[14:15], 0, v35
	s_and_b64 s[14:15], vcc, s[14:15]
	v_cndmask_b32_e64 v38, 0, 1, s[14:15]
	v_cmp_ne_u32_e64 s[14:15], 0, v38
	s_bcnt1_i32_b64 s9, s[14:15]
	v_cmp_eq_u32_e64 s[14:15], 1, v35
	s_and_b64 s[14:15], vcc, s[14:15]
	v_cndmask_b32_e64 v38, 0, 1, s[14:15]
	v_cmp_ne_u32_e64 s[14:15], 0, v38
	v_add_u32_e32 v2, s9, v2
	s_bcnt1_i32_b64 s9, s[14:15]
	v_cmp_eq_u32_e64 s[14:15], 2, v35
	s_and_b64 s[14:15], vcc, s[14:15]
	v_cndmask_b32_e64 v38, 0, 1, s[14:15]
	v_cmp_ne_u32_e64 s[14:15], 0, v38
	v_add_u32_e32 v3, s9, v3
	s_bcnt1_i32_b64 s9, s[14:15]
	v_cmp_eq_u32_e64 s[14:15], 3, v35
	s_and_b64 s[14:15], vcc, s[14:15]
	v_cndmask_b32_e64 v35, 0, 1, s[14:15]
	v_cmp_ne_u32_e32 vcc, 0, v35
	v_add_u32_e32 v4, s9, v4
	s_bcnt1_i32_b64 s9, vcc
	v_add_u32_e32 v5, s9, v5
	v_add_u32_e32 v8, s78, v8
	v_mov_b32_e32 v35, v37
	s_andn2_b64 exec, exec, s[20:21]
	s_cbranch_execz .LBB136_64
.LBB136_61:                             ;   Parent Loop BB136_21 Depth=1
                                        ; =>  This Inner Loop Header: Depth=2
	v_add_u32_e32 v36, s59, v36
	v_cmp_gt_u32_e64 s[14:15], s56, v36
	v_cmp_le_u32_e32 vcc, s56, v36
	v_mov_b32_e32 v37, 0
	s_and_saveexec_b64 s[22:23], s[14:15]
	s_cbranch_execz .LBB136_60
; %bb.62:                               ;   in Loop: Header=BB136_61 Depth=2
	v_lshlrev_b64 v[38:39], 1, v[8:9]
	v_mov_b32_e32 v37, s33
	v_add_co_u32_e64 v38, s[14:15], s57, v38
	v_addc_co_u32_e64 v39, s[14:15], v37, v39, s[14:15]
	global_load_ushort v37, v[38:39], off
	s_branch .LBB136_60
.LBB136_63:                             ;   in Loop: Header=BB136_21 Depth=1
	s_mov_b64 s[60:61], 0
                                        ; implicit-def: $vgpr5
	s_cbranch_execnz .LBB136_66
	s_branch .LBB136_75
.LBB136_64:                             ;   in Loop: Header=BB136_21 Depth=1
	s_or_b64 exec, exec, s[20:21]
	s_mov_b64 s[60:61], exec
.LBB136_65:                             ;   in Loop: Header=BB136_21 Depth=1
	s_or_b64 exec, exec, s[18:19]
	s_and_b64 vcc, exec, s[16:17]
	s_cbranch_vccz .LBB136_75
.LBB136_66:                             ;   in Loop: Header=BB136_21 Depth=1
	s_mul_hi_u32 s8, s65, s79
	s_mul_i32 s8, s8, s80
	s_sub_i32 s8, s65, s8
	s_sub_i32 s9, s8, s80
	s_cmp_ge_u32 s8, s80
	s_cselect_b32 s8, s9, s8
	s_sub_i32 s9, s8, s80
	s_cmp_ge_u32 s8, s80
	s_cselect_b32 s8, s9, s8
	s_sub_i32 s81, s65, s8
	v_cmp_gt_u32_e32 vcc, s81, v16
	s_mov_b32 s70, 0
	s_waitcnt vmcnt(0)
	v_mov_b32_e32 v2, 0
	v_mov_b32_e32 v3, 0
	;; [unrolled: 1-line block ×4, first 2 shown]
	s_and_saveexec_b64 s[62:63], vcc
	s_cbranch_execz .LBB136_70
; %bb.67:                               ;   in Loop: Header=BB136_21 Depth=1
	s_and_b32 s73, s69, 0xfe
	s_mov_b64 s[76:77], 0
	v_mov_b32_e32 v8, v27
	s_mov_b32 s71, 0
	s_mov_b32 s8, 0
	;; [unrolled: 1-line block ×3, first 2 shown]
	v_mov_b32_e32 v35, v16
.LBB136_68:                             ;   Parent Loop BB136_21 Depth=1
                                        ; =>  This Inner Loop Header: Depth=2
	ds_read_b64 v[2:3], v8
	v_add_u32_e32 v35, s80, v35
	v_cmp_le_u32_e32 vcc, s81, v35
	v_add_u32_e32 v8, s12, v8
	s_waitcnt lgkmcnt(0)
	v_cmp_lt_i16_e64 s[14:15], -1, v2
	v_cndmask_b32_e64 v38, v29, v30, s[14:15]
	v_cmp_gt_i16_sdwa s[14:15], v2, v31 src0_sel:WORD_1 src1_sel:DWORD
	v_lshlrev_b32_e32 v4, 16, v2
	v_cndmask_b32_e64 v39, v29, v30, s[14:15]
	v_cmp_lt_i16_e64 s[14:15], -1, v3
	v_and_b32_e32 v5, 0xffff0000, v2
	v_cndmask_b32_e64 v40, v29, v30, s[14:15]
	v_cmp_gt_i16_sdwa s[14:15], v3, v31 src0_sel:WORD_1 src1_sel:DWORD
	v_xor_b32_sdwa v39, v39, v2 dst_sel:DWORD dst_unused:UNUSED_PAD src0_sel:DWORD src1_sel:WORD_1
	v_xor_b32_sdwa v2, v38, v2 dst_sel:DWORD dst_unused:UNUSED_PAD src0_sel:DWORD src1_sel:WORD_0
	v_cmp_o_f32_e64 s[20:21], v4, v4
	v_lshlrev_b32_e32 v36, 16, v3
	v_cndmask_b32_e64 v41, v29, v30, s[14:15]
	v_cmp_o_f32_e64 s[14:15], v5, v5
	v_cndmask_b32_e64 v2, v29, v2, s[20:21]
	v_and_b32_e32 v37, 0xffff0000, v3
	v_xor_b32_sdwa v5, v40, v3 dst_sel:DWORD dst_unused:UNUSED_PAD src0_sel:DWORD src1_sel:WORD_0
	v_cmp_o_f32_e64 s[16:17], v36, v36
	v_cndmask_b32_e64 v4, v29, v39, s[14:15]
	v_and_b32_e32 v36, s1, v2
	v_bfe_u32 v2, v2, s73, 2
	v_xor_b32_sdwa v3, v41, v3 dst_sel:DWORD dst_unused:UNUSED_PAD src0_sel:DWORD src1_sel:WORD_1
	v_cmp_o_f32_e64 s[18:19], v37, v37
	v_cndmask_b32_e64 v5, v29, v5, s[16:17]
	v_and_b32_e32 v37, s1, v4
	v_bfe_u32 v4, v4, s73, 2
	v_cmp_eq_u32_e64 s[14:15], s2, v36
	v_cmp_eq_u32_e64 s[22:23], 0, v2
	v_cndmask_b32_e64 v3, v29, v3, s[18:19]
	v_and_b32_e32 v38, s1, v5
	v_bfe_u32 v5, v5, s73, 2
	v_cmp_eq_u32_e64 s[16:17], s2, v37
	v_cmp_eq_u32_e64 s[24:25], 0, v4
	s_and_b64 s[22:23], s[14:15], s[22:23]
	v_and_b32_e32 v39, s1, v3
	v_bfe_u32 v3, v3, s73, 2
	v_cmp_eq_u32_e64 s[18:19], s2, v38
	v_cmp_eq_u32_e64 s[26:27], 0, v5
	;; [unrolled: 1-line block ×5, first 2 shown]
	v_cndmask_b32_e64 v2, 0, 1, s[22:23]
	s_and_b64 s[22:23], s[16:17], s[24:25]
	v_cmp_eq_u32_e64 s[20:21], s2, v39
	v_cmp_eq_u32_e64 s[28:29], 0, v3
	;; [unrolled: 1-line block ×5, first 2 shown]
	v_cndmask_b32_e64 v3, 0, 1, s[22:23]
	s_and_b64 s[22:23], s[18:19], s[26:27]
	v_cmp_eq_u32_e64 s[34:35], 1, v4
	v_cmp_eq_u32_e64 s[42:43], 2, v4
	;; [unrolled: 1-line block ×3, first 2 shown]
	v_cndmask_b32_e64 v4, 0, 1, s[22:23]
	s_and_b64 s[22:23], s[20:21], s[28:29]
	v_cmp_eq_u32_e64 s[36:37], 1, v5
	v_cmp_eq_u32_e64 s[44:45], 2, v5
	;; [unrolled: 1-line block ×3, first 2 shown]
	v_cndmask_b32_e64 v5, 0, 1, s[22:23]
	s_and_b64 s[22:23], s[14:15], s[30:31]
	v_cndmask_b32_e64 v36, 0, 1, s[22:23]
	s_and_b64 s[22:23], s[16:17], s[34:35]
	;; [unrolled: 2-line block ×5, first 2 shown]
	s_and_b64 s[14:15], s[14:15], s[48:49]
	v_cndmask_b32_e64 v40, 0, 1, s[22:23]
	s_and_b64 s[22:23], s[16:17], s[42:43]
	v_cndmask_b32_e64 v44, 0, 1, s[14:15]
	;; [unrolled: 2-line block ×7, first 2 shown]
	v_cndmask_b32_e64 v47, 0, 1, s[14:15]
	v_cmp_ne_u32_e64 s[14:15], 0, v2
	v_cmp_ne_u32_e64 s[16:17], 0, v3
	;; [unrolled: 1-line block ×11, first 2 shown]
	s_bcnt1_i32_b64 s14, s[14:15]
	s_bcnt1_i32_b64 s15, s[16:17]
	;; [unrolled: 1-line block ×8, first 2 shown]
	v_cmp_ne_u32_e64 s[28:29], 0, v39
	v_cmp_ne_u32_e64 s[36:37], 0, v42
	;; [unrolled: 1-line block ×3, first 2 shown]
	s_bcnt1_i32_b64 s19, s[24:25]
	s_bcnt1_i32_b64 s23, s[34:35]
	;; [unrolled: 1-line block ×3, first 2 shown]
	s_add_i32 s9, s9, s14
	s_add_i32 s8, s8, s18
	;; [unrolled: 1-line block ×4, first 2 shown]
	v_cmp_ne_u32_e64 s[38:39], 0, v43
	v_cmp_ne_u32_e64 s[46:47], 0, v47
	s_bcnt1_i32_b64 s21, s[28:29]
	s_bcnt1_i32_b64 s24, s[36:37]
	;; [unrolled: 1-line block ×3, first 2 shown]
	s_add_i32 s9, s9, s15
	s_add_i32 s8, s8, s19
	;; [unrolled: 1-line block ×4, first 2 shown]
	s_bcnt1_i32_b64 s25, s[38:39]
	s_bcnt1_i32_b64 s29, s[46:47]
	s_add_i32 s9, s9, s16
	s_add_i32 s8, s8, s20
	;; [unrolled: 1-line block ×8, first 2 shown]
	s_or_b64 s[76:77], vcc, s[76:77]
	v_mov_b32_e32 v2, s9
	v_mov_b32_e32 v3, s8
	;; [unrolled: 1-line block ×4, first 2 shown]
	s_andn2_b64 exec, exec, s[76:77]
	s_cbranch_execnz .LBB136_68
; %bb.69:                               ;   in Loop: Header=BB136_21 Depth=1
	s_or_b64 exec, exec, s[76:77]
.LBB136_70:                             ;   in Loop: Header=BB136_21 Depth=1
	s_or_b64 exec, exec, s[62:63]
	v_add_u32_e32 v8, s81, v0
	v_cmp_gt_u32_e32 vcc, s65, v8
	s_and_saveexec_b64 s[24:25], vcc
	s_cbranch_execz .LBB136_74
; %bb.71:                               ;   in Loop: Header=BB136_21 Depth=1
	s_and_b32 s8, s69, 0xfe
	v_lshlrev_b32_e32 v35, 1, v8
	s_mov_b64 s[26:27], 0
.LBB136_72:                             ;   Parent Loop BB136_21 Depth=1
                                        ; =>  This Inner Loop Header: Depth=2
	ds_read_u16 v36, v35
	v_add_u32_e32 v8, s59, v8
	v_cmp_le_u32_e32 vcc, s65, v8
	v_add_u32_e32 v35, s13, v35
	s_waitcnt lgkmcnt(0)
	v_cmp_lt_i16_e64 s[14:15], -1, v36
	v_cndmask_b32_e64 v37, v29, v30, s[14:15]
	v_lshlrev_b32_e32 v38, 16, v36
	v_xor_b32_sdwa v36, v37, v36 dst_sel:DWORD dst_unused:UNUSED_PAD src0_sel:DWORD src1_sel:WORD_0
	v_cmp_o_f32_e64 s[14:15], v38, v38
	v_cndmask_b32_e64 v36, v29, v36, s[14:15]
	v_and_b32_e32 v37, s1, v36
	v_bfe_u32 v36, v36, s8, 2
	v_cmp_eq_u32_e64 s[14:15], s2, v37
	v_cmp_eq_u32_e64 s[16:17], 0, v36
	;; [unrolled: 1-line block ×3, first 2 shown]
	s_and_b64 s[16:17], s[14:15], s[16:17]
	v_cmp_eq_u32_e64 s[20:21], 2, v36
	v_cmp_eq_u32_e64 s[22:23], 3, v36
	v_cndmask_b32_e64 v36, 0, 1, s[16:17]
	s_and_b64 s[16:17], s[14:15], s[18:19]
	v_cndmask_b32_e64 v37, 0, 1, s[16:17]
	s_and_b64 s[16:17], s[14:15], s[20:21]
	s_and_b64 s[14:15], s[14:15], s[22:23]
	v_cndmask_b32_e64 v38, 0, 1, s[16:17]
	v_cndmask_b32_e64 v39, 0, 1, s[14:15]
	v_cmp_ne_u32_e64 s[14:15], 0, v36
	v_cmp_ne_u32_e64 s[16:17], 0, v37
	;; [unrolled: 1-line block ×4, first 2 shown]
	s_bcnt1_i32_b64 s9, s[14:15]
	s_bcnt1_i32_b64 s14, s[16:17]
	;; [unrolled: 1-line block ×4, first 2 shown]
	v_add_u32_e32 v2, s9, v2
	v_add_u32_e32 v3, s14, v3
	;; [unrolled: 1-line block ×3, first 2 shown]
	s_or_b64 s[26:27], vcc, s[26:27]
	v_add_u32_e32 v5, s16, v5
	s_andn2_b64 exec, exec, s[26:27]
	s_cbranch_execnz .LBB136_72
; %bb.73:                               ;   in Loop: Header=BB136_21 Depth=1
	s_or_b64 exec, exec, s[26:27]
	s_or_b64 s[60:61], s[60:61], exec
.LBB136_74:                             ;   in Loop: Header=BB136_21 Depth=1
	s_or_b64 exec, exec, s[24:25]
.LBB136_75:                             ;   in Loop: Header=BB136_21 Depth=1
	s_and_saveexec_b64 s[14:15], s[60:61]
	s_or_b64 exec, exec, s[14:15]
	s_lshl_b32 s8, s0, 6
	s_and_saveexec_b64 s[14:15], s[4:5]
	s_cbranch_execz .LBB136_77
; %bb.76:                               ;   in Loop: Header=BB136_21 Depth=1
	v_or_b32_e32 v8, s8, v19
	v_lshlrev_b32_e32 v8, 2, v8
	s_waitcnt vmcnt(0)
	ds_write_b128 v8, v[2:5] offset:3072
.LBB136_77:                             ;   in Loop: Header=BB136_21 Depth=1
	s_or_b64 exec, exec, s[14:15]
	s_waitcnt lgkmcnt(0)
	s_barrier
	s_and_saveexec_b64 s[14:15], s[66:67]
	s_cbranch_execz .LBB136_91
; %bb.78:                               ;   in Loop: Header=BB136_21 Depth=1
	v_readlane_b32 s16, v52, 14
	v_readlane_b32 s17, v52, 15
	v_add_u32_e32 v4, s8, v13
	s_andn2_b64 vcc, exec, s[16:17]
	s_waitcnt vmcnt(0)
	v_mov_b32_e32 v2, 0
	s_cbranch_vccnz .LBB136_90
; %bb.79:                               ;   in Loop: Header=BB136_21 Depth=1
	v_readlane_b32 s16, v52, 18
	v_readlane_b32 s17, v52, 19
	s_mov_b32 s9, 0
	s_and_b64 vcc, exec, s[16:17]
	v_mov_b32_e32 v2, 0
	s_cbranch_vccz .LBB136_83
; %bb.80:                               ;   in Loop: Header=BB136_21 Depth=1
	v_readlane_b32 s16, v52, 20
	v_readlane_b32 s17, v52, 21
	v_lshl_add_u32 v5, v4, 2, v32
	s_andn2_b64 vcc, exec, s[16:17]
	s_cbranch_vccnz .LBB136_84
; %bb.81:                               ;   in Loop: Header=BB136_21 Depth=1
	s_mov_b32 s17, 1
	s_mov_b32 s16, 0
	v_mov_b32_e32 v2, 0
	v_readlane_b32 s9, v52, 22
	v_mov_b32_e32 v3, 0
.LBB136_82:                             ;   Parent Loop BB136_21 Depth=1
                                        ; =>  This Inner Loop Header: Depth=2
	v_lshl_add_u32 v8, s16, 4, v5
	v_lshl_add_u32 v35, s17, 4, v5
	ds_read2_b32 v[36:37], v8 offset1:8
	ds_read2_b32 v[38:39], v35 offset1:8
	ds_read2_b32 v[40:41], v8 offset0:16 offset1:24
	ds_read2_b32 v[42:43], v35 offset0:16 offset1:24
	;; [unrolled: 1-line block ×6, first 2 shown]
	s_waitcnt lgkmcnt(7)
	v_add3_u32 v2, v36, v2, v37
	s_waitcnt lgkmcnt(6)
	v_add3_u32 v3, v38, v3, v39
	;; [unrolled: 2-line block ×3, first 2 shown]
	v_add3_u32 v2, v40, v2, v41
	s_add_i32 s17, s17, 16
	s_add_i32 s16, s16, 16
	s_add_i32 s9, s9, -8
	s_waitcnt lgkmcnt(3)
	v_add3_u32 v2, v44, v2, v45
	s_waitcnt lgkmcnt(2)
	v_add3_u32 v3, v46, v3, v47
	s_cmp_lg_u32 s9, 0
	s_waitcnt lgkmcnt(0)
	v_add3_u32 v3, v50, v3, v51
	v_add3_u32 v2, v48, v2, v49
	s_cbranch_scc1 .LBB136_82
	s_branch .LBB136_85
.LBB136_83:                             ;   in Loop: Header=BB136_21 Depth=1
	s_cbranch_execnz .LBB136_88
	s_branch .LBB136_90
.LBB136_84:                             ;   in Loop: Header=BB136_21 Depth=1
	s_mov_b32 s65, s64
	v_pk_mov_b32 v[2:3], s[64:65], s[64:65] op_sel:[0,1]
	s_mov_b32 s65, 1
	s_mov_b64 s[16:17], s[64:65]
.LBB136_85:                             ;   in Loop: Header=BB136_21 Depth=1
	v_readlane_b32 s18, v52, 24
	v_readlane_b32 s19, v52, 25
	s_andn2_b64 vcc, exec, s[18:19]
	v_readlane_b32 s9, v52, 23
	s_cbranch_vccnz .LBB136_87
.LBB136_86:                             ;   Parent Loop BB136_21 Depth=1
                                        ; =>  This Inner Loop Header: Depth=2
	v_lshl_add_u32 v8, s16, 4, v5
	v_lshl_add_u32 v35, s17, 4, v5
	ds_read_b32 v35, v35
	ds_read_b32 v8, v8
	s_add_i32 s17, s17, 2
	s_add_i32 s16, s16, 2
	s_add_i32 s9, s9, -1
	s_cmp_lg_u32 s9, 0
	s_waitcnt lgkmcnt(1)
	v_add_u32_e32 v3, v35, v3
	s_waitcnt lgkmcnt(0)
	v_add_u32_e32 v2, v8, v2
	s_cbranch_scc1 .LBB136_86
.LBB136_87:                             ;   in Loop: Header=BB136_21 Depth=1
	v_readlane_b32 s16, v52, 28
	v_add_u32_e32 v2, v2, v3
	v_readlane_b32 s9, v52, 27
	v_readlane_b32 s17, v52, 29
	s_and_b64 vcc, exec, s[16:17]
	s_cbranch_vccz .LBB136_90
.LBB136_88:                             ;   in Loop: Header=BB136_21 Depth=1
	s_lshl_b32 s16, s0, 8
	s_lshl_b32 s17, s9, 4
	s_add_i32 s16, s16, s17
	v_add_u32_e32 v3, s16, v28
	v_readlane_b32 s16, v52, 26
	s_sub_i32 s9, s16, s9
.LBB136_89:                             ;   Parent Loop BB136_21 Depth=1
                                        ; =>  This Inner Loop Header: Depth=2
	ds_read_b32 v5, v3
	s_add_i32 s9, s9, -1
	v_add_u32_e32 v3, 16, v3
	s_cmp_eq_u32 s9, 0
	s_waitcnt lgkmcnt(0)
	v_add_u32_e32 v2, v5, v2
	s_cbranch_scc0 .LBB136_89
.LBB136_90:                             ;   in Loop: Header=BB136_21 Depth=1
	v_lshlrev_b32_e32 v3, 2, v4
	ds_write_b32 v3, v2 offset:3072
.LBB136_91:                             ;   in Loop: Header=BB136_21 Depth=1
	s_or_b64 exec, exec, s[14:15]
	s_lshl_b32 s8, s8, 2
	s_waitcnt vmcnt(0)
	v_mov_b32_e32 v2, s8
	s_waitcnt lgkmcnt(0)
	s_barrier
	ds_read_b128 v[2:5], v2 offset:3072
	s_and_b32 s43, s69, 0xfe
	s_lshl_b32 s51, 3, s43
	s_not_b32 s44, s51
	s_mov_b64 s[18:19], -1
	s_waitcnt lgkmcnt(0)
	v_readfirstlane_b32 s28, v2
	s_cmp_eq_u32 s28, 1
	s_cselect_b64 s[8:9], -1, 0
	s_cmp_eq_u32 s3, 1
	s_cselect_b64 s[14:15], -1, 0
	s_and_b64 s[20:21], s[8:9], s[14:15]
	v_readfirstlane_b32 s34, v3
	v_readfirstlane_b32 s42, v4
	;; [unrolled: 1-line block ×3, first 2 shown]
	s_and_b64 vcc, exec, s[20:21]
	s_cbranch_vccz .LBB136_103
; %bb.92:                               ;   in Loop: Header=BB136_21 Depth=1
	ds_read_b32 v2, v9 offset:4104
	s_waitcnt lgkmcnt(0)
	s_barrier
	v_readfirstlane_b32 s8, v2
	s_and_saveexec_b64 s[14:15], s[6:7]
	s_cbranch_execz .LBB136_94
; %bb.93:                               ;   in Loop: Header=BB136_21 Depth=1
	ds_write_b16 v18, v9
.LBB136_94:                             ;   in Loop: Header=BB136_21 Depth=1
	s_or_b64 exec, exec, s[14:15]
	s_and_b32 s2, s2, s44
	s_or_b32 s1, s1, s51
	s_cmp_eq_u32 s8, 0
	s_waitcnt lgkmcnt(0)
	s_barrier
	s_cbranch_scc1 .LBB136_104
; %bb.95:                               ;   in Loop: Header=BB136_21 Depth=1
	v_readlane_b32 s9, v52, 11
	s_add_i32 s9, s8, s9
	v_readlane_b32 s14, v52, 32
	s_mul_hi_u32 s14, s9, s14
	s_mul_i32 s14, s14, s59
	s_sub_i32 s14, s9, s14
	s_sub_i32 s15, s14, s59
	s_cmp_ge_u32 s14, s59
	s_cselect_b32 s14, s15, s14
	s_sub_i32 s15, s14, s59
	s_cmp_ge_u32 s14, s59
	s_cselect_b32 s14, s15, s14
	s_sub_i32 s9, s9, s14
	v_cmp_gt_u32_e32 vcc, s9, v0
	s_mov_b64 s[14:15], 0
                                        ; implicit-def: $vgpr34
	s_and_saveexec_b64 s[16:17], vcc
	s_cbranch_execz .LBB136_106
; %bb.96:                               ;   in Loop: Header=BB136_21 Depth=1
	s_mov_b64 s[22:23], 0
	v_mov_b32_e32 v2, v17
	v_mov_b32_e32 v3, v0
                                        ; implicit-def: $sgpr24_sgpr25
	s_branch .LBB136_98
.LBB136_97:                             ;   in Loop: Header=BB136_98 Depth=2
	s_or_b64 exec, exec, s[14:15]
	s_waitcnt lgkmcnt(0)
	s_barrier
	ds_read_b32 v4, v9 offset:3072
	v_add_u32_e32 v3, s59, v3
	v_cmp_le_u32_e64 s[14:15], s9, v3
	v_add_u32_e32 v2, s13, v2
	s_waitcnt lgkmcnt(0)
	v_and_b32_e32 v5, 0x7fff, v4
	v_cmp_ne_u16_e32 vcc, 0, v5
	s_or_b64 s[14:15], s[14:15], vcc
	s_and_b64 s[14:15], exec, s[14:15]
	s_or_b64 s[22:23], s[14:15], s[22:23]
	s_andn2_b64 s[14:15], s[24:25], exec
	s_and_b64 s[24:25], vcc, exec
	s_or_b64 s[24:25], s[14:15], s[24:25]
	s_barrier
	s_andn2_b64 exec, exec, s[22:23]
	s_cbranch_execz .LBB136_105
.LBB136_98:                             ;   Parent Loop BB136_21 Depth=1
                                        ; =>  This Inner Loop Header: Depth=2
	v_cmp_gt_u32_e32 vcc, s8, v3
	v_mov_b32_e32 v4, 0
	s_and_saveexec_b64 s[14:15], vcc
	s_cbranch_execz .LBB136_100
; %bb.99:                               ;   in Loop: Header=BB136_98 Depth=2
	ds_read_u16 v4, v2
.LBB136_100:                            ;   in Loop: Header=BB136_98 Depth=2
	s_or_b64 exec, exec, s[14:15]
	s_and_saveexec_b64 s[14:15], vcc
	s_cbranch_execz .LBB136_97
; %bb.101:                              ;   in Loop: Header=BB136_98 Depth=2
	s_waitcnt lgkmcnt(0)
	v_cmp_lt_i16_e32 vcc, -1, v4
	v_cndmask_b32_e32 v5, v29, v30, vcc
	v_lshlrev_b32_e32 v8, 16, v4
	v_xor_b32_sdwa v5, v5, v4 dst_sel:DWORD dst_unused:UNUSED_PAD src0_sel:DWORD src1_sel:WORD_0
	v_cmp_o_f32_e32 vcc, v8, v8
	v_cndmask_b32_e32 v5, v29, v5, vcc
	v_and_b32_e32 v5, s1, v5
	v_cmp_eq_u32_e32 vcc, s2, v5
	s_and_b64 exec, exec, vcc
	s_cbranch_execz .LBB136_97
; %bb.102:                              ;   in Loop: Header=BB136_98 Depth=2
	v_perm_b32 v4, v4, s68, v33
	ds_write_b32 v9, v4 offset:3072
	s_branch .LBB136_97
.LBB136_103:                            ;   in Loop: Header=BB136_21 Depth=1
	s_mov_b64 s[14:15], -1
                                        ; implicit-def: $sgpr16_sgpr17
                                        ; implicit-def: $sgpr24_sgpr25
                                        ; implicit-def: $sgpr22_sgpr23
	s_branch .LBB136_117
.LBB136_104:                            ;   in Loop: Header=BB136_21 Depth=1
	s_mov_b64 s[16:17], -1
	s_mov_b64 s[14:15], 0
                                        ; implicit-def: $sgpr22_sgpr23
                                        ; implicit-def: $vgpr34
	s_mov_b64 s[24:25], s[16:17]
	s_cbranch_execnz .LBB136_107
	s_branch .LBB136_117
.LBB136_105:                            ;   in Loop: Header=BB136_21 Depth=1
	s_or_b64 exec, exec, s[22:23]
	v_lshrrev_b32_e32 v34, 16, v4
	s_and_b64 s[14:15], s[24:25], exec
.LBB136_106:                            ;   in Loop: Header=BB136_21 Depth=1
	s_or_b64 exec, exec, s[16:17]
	s_mov_b64 s[22:23], -1
	s_mov_b64 s[16:17], 0
	s_mov_b64 s[24:25], s[16:17]
	s_branch .LBB136_117
.LBB136_107:                            ;   in Loop: Header=BB136_21 Depth=1
	s_mov_b64 s[14:15], 0
                                        ; implicit-def: $vgpr34
	s_mov_b64 s[16:17], exec
	v_readlane_b32 s8, v52, 33
	v_readlane_b32 s9, v52, 34
	s_and_b64 s[8:9], s[16:17], s[8:9]
	s_mov_b64 exec, s[8:9]
	s_cbranch_execz .LBB136_116
; %bb.108:                              ;   in Loop: Header=BB136_21 Depth=1
	s_mov_b64 s[22:23], 0
	v_mov_b32_e32 v8, v6
	v_mov_b32_e32 v2, v0
                                        ; implicit-def: $sgpr24_sgpr25
	s_branch .LBB136_110
.LBB136_109:                            ;   in Loop: Header=BB136_110 Depth=2
	s_or_b64 exec, exec, s[14:15]
	s_waitcnt lgkmcnt(0)
	s_barrier
	s_waitcnt vmcnt(0)
	ds_read_b32 v3, v9 offset:3072
	v_add_u32_e32 v2, s59, v2
	v_cmp_le_u32_e64 s[14:15], s74, v2
	v_add_u32_e32 v8, s78, v8
	s_waitcnt lgkmcnt(0)
	v_and_b32_e32 v4, 0x7fff, v3
	v_cmp_ne_u16_e32 vcc, 0, v4
	s_or_b64 s[8:9], s[14:15], vcc
	s_and_b64 s[8:9], exec, s[8:9]
	s_or_b64 s[22:23], s[8:9], s[22:23]
	s_andn2_b64 s[8:9], s[24:25], exec
	s_and_b64 s[14:15], vcc, exec
	s_or_b64 s[24:25], s[8:9], s[14:15]
	s_barrier
	s_andn2_b64 exec, exec, s[22:23]
	s_cbranch_execz .LBB136_115
.LBB136_110:                            ;   Parent Loop BB136_21 Depth=1
                                        ; =>  This Inner Loop Header: Depth=2
	v_cmp_gt_u32_e32 vcc, s56, v2
	v_mov_b32_e32 v3, 0
	s_and_saveexec_b64 s[26:27], vcc
	s_cbranch_execz .LBB136_112
; %bb.111:                              ;   in Loop: Header=BB136_110 Depth=2
	v_lshlrev_b64 v[4:5], 1, v[8:9]
	v_mov_b32_e32 v3, s33
	v_add_co_u32_e64 v4, s[14:15], s57, v4
	v_addc_co_u32_e64 v5, s[14:15], v3, v5, s[14:15]
	global_load_ushort v3, v[4:5], off
.LBB136_112:                            ;   in Loop: Header=BB136_110 Depth=2
	s_or_b64 exec, exec, s[26:27]
	s_and_saveexec_b64 s[14:15], vcc
	s_cbranch_execz .LBB136_109
; %bb.113:                              ;   in Loop: Header=BB136_110 Depth=2
	s_waitcnt vmcnt(0)
	v_cmp_lt_i16_e32 vcc, -1, v3
	v_cndmask_b32_e32 v4, v29, v30, vcc
	v_lshlrev_b32_e32 v5, 16, v3
	v_xor_b32_sdwa v4, v4, v3 dst_sel:DWORD dst_unused:UNUSED_PAD src0_sel:DWORD src1_sel:WORD_0
	v_cmp_o_f32_e32 vcc, v5, v5
	v_cndmask_b32_e32 v4, v29, v4, vcc
	v_and_b32_e32 v4, s1, v4
	v_cmp_eq_u32_e32 vcc, s2, v4
	s_and_b64 exec, exec, vcc
	s_cbranch_execz .LBB136_109
; %bb.114:                              ;   in Loop: Header=BB136_110 Depth=2
	v_perm_b32 v3, v3, s68, v33
	ds_write_b32 v9, v3 offset:3072
	s_branch .LBB136_109
.LBB136_115:                            ;   in Loop: Header=BB136_21 Depth=1
	s_or_b64 exec, exec, s[22:23]
	v_lshrrev_b32_e32 v34, 16, v3
	s_and_b64 s[14:15], s[24:25], exec
.LBB136_116:                            ;   in Loop: Header=BB136_21 Depth=1
	s_or_b64 exec, exec, s[16:17]
	s_mov_b64 s[24:25], -1
	s_mov_b64 s[16:17], 0
	s_mov_b64 s[22:23], 0
.LBB136_117:                            ;   in Loop: Header=BB136_21 Depth=1
	s_andn2_b64 s[8:9], s[94:95], exec
	s_and_b64 s[16:17], s[16:17], exec
	s_or_b64 s[94:95], s[8:9], s[16:17]
	s_andn2_b64 s[8:9], s[92:93], exec
	s_and_b64 s[16:17], s[24:25], exec
	s_or_b64 s[92:93], s[8:9], s[16:17]
	;; [unrolled: 3-line block ×3, first 2 shown]
	s_and_saveexec_b64 s[16:17], s[14:15]
	s_cbranch_execz .LBB136_20
; %bb.118:                              ;   in Loop: Header=BB136_21 Depth=1
	s_xor_b64 s[8:9], s[20:21], -1
	s_mov_b64 s[14:15], 0
	s_andn2_b64 vcc, exec, s[8:9]
	s_mov_b32 s35, 1
	s_cbranch_vccnz .LBB136_129
; %bb.119:                              ;   in Loop: Header=BB136_21 Depth=1
	s_cmp_gt_u32 s3, s28
	s_mov_b64 s[14:15], -1
                                        ; implicit-def: $sgpr52
                                        ; implicit-def: $sgpr8
                                        ; implicit-def: $sgpr9
	s_cbranch_scc1 .LBB136_125
; %bb.120:                              ;   in Loop: Header=BB136_21 Depth=1
	ds_read_b32 v2, v9 offset:4104
	s_waitcnt lgkmcnt(0)
	v_cmp_ne_u32_e32 vcc, 0, v2
	s_cbranch_vccnz .LBB136_124
; %bb.121:                              ;   in Loop: Header=BB136_21 Depth=1
	s_mov_b64 s[14:15], exec
	v_readlane_b32 s8, v52, 7
	v_readlane_b32 s9, v52, 8
	s_and_b64 s[8:9], s[14:15], s[8:9]
	s_mov_b64 exec, s[8:9]
	s_cbranch_execz .LBB136_123
; %bb.122:                              ;   in Loop: Header=BB136_21 Depth=1
	v_mov_b32_e32 v2, s28
	ds_write_b32 v9, v2 offset:4108
.LBB136_123:                            ;   in Loop: Header=BB136_21 Depth=1
	s_or_b64 exec, exec, s[14:15]
	s_waitcnt lgkmcnt(0)
	s_barrier
.LBB136_124:                            ;   in Loop: Header=BB136_21 Depth=1
	s_and_b32 s8, s2, s44
	s_or_b32 s9, s1, s51
	s_mov_b64 s[14:15], 0
	s_mov_b32 s52, 8
.LBB136_125:                            ;   in Loop: Header=BB136_21 Depth=1
	s_andn2_b64 vcc, exec, s[14:15]
	s_cbranch_vccnz .LBB136_127
; %bb.126:                              ;   in Loop: Header=BB136_21 Depth=1
	s_sub_i32 s3, s3, s28
	s_mov_b64 s[14:15], -1
	s_mov_b32 s52, 0
	s_mov_b32 s8, s2
	;; [unrolled: 1-line block ×3, first 2 shown]
.LBB136_127:                            ;   in Loop: Header=BB136_21 Depth=1
	s_mov_b32 s1, s9
	s_mov_b32 s2, s8
	;; [unrolled: 1-line block ×3, first 2 shown]
	s_mov_b64 s[18:19], -1
	s_and_b64 vcc, exec, s[14:15]
	s_cbranch_vccnz .LBB136_130
.LBB136_128:                            ;   in Loop: Header=BB136_21 Depth=1
	s_mov_b64 s[30:31], -1
                                        ; implicit-def: $sgpr20_sgpr21
                                        ; implicit-def: $sgpr24_sgpr25
                                        ; implicit-def: $sgpr22_sgpr23
                                        ; implicit-def: $sgpr3
	s_and_saveexec_b64 s[8:9], s[30:31]
	s_xor_b64 s[14:15], exec, s[8:9]
	s_cbranch_execz .LBB136_19
	s_branch .LBB136_253
.LBB136_129:                            ;   in Loop: Header=BB136_21 Depth=1
	s_mov_b32 s52, 1
	s_mov_b64 s[18:19], -1
	s_and_b64 vcc, exec, s[14:15]
	s_cbranch_vccz .LBB136_128
.LBB136_130:                            ;   in Loop: Header=BB136_21 Depth=1
	s_cmp_eq_u32 s34, 1
	s_cselect_b64 s[8:9], -1, 0
	s_cmp_eq_u32 s35, 1
	s_cselect_b64 s[14:15], -1, 0
	s_and_b64 s[28:29], s[8:9], s[14:15]
	s_mov_b64 s[14:15], -1
	s_and_b64 vcc, exec, s[28:29]
	s_cbranch_vccz .LBB136_142
; %bb.131:                              ;   in Loop: Header=BB136_21 Depth=1
	ds_read_b32 v2, v9 offset:4104
	s_waitcnt lgkmcnt(0)
	s_barrier
	v_readfirstlane_b32 s3, v2
	s_and_saveexec_b64 s[14:15], s[6:7]
	s_cbranch_execz .LBB136_133
; %bb.132:                              ;   in Loop: Header=BB136_21 Depth=1
	ds_write_b16 v18, v9
.LBB136_133:                            ;   in Loop: Header=BB136_21 Depth=1
	s_or_b64 exec, exec, s[14:15]
	s_lshl_b32 s8, 1, s43
	s_and_b32 s2, s2, s44
	s_or_b32 s2, s2, s8
	s_or_b32 s1, s1, s51
	s_cmp_eq_u32 s3, 0
	s_waitcnt lgkmcnt(0)
	s_barrier
	s_cbranch_scc1 .LBB136_143
; %bb.134:                              ;   in Loop: Header=BB136_21 Depth=1
	v_readlane_b32 s8, v52, 11
	s_add_i32 s8, s3, s8
	v_readlane_b32 s9, v52, 32
	s_mul_hi_u32 s9, s8, s9
	s_mul_i32 s9, s9, s59
	s_sub_i32 s9, s8, s9
	s_sub_i32 s14, s9, s59
	s_cmp_ge_u32 s9, s59
	s_cselect_b32 s9, s14, s9
	s_sub_i32 s14, s9, s59
	s_cmp_ge_u32 s9, s59
	s_cselect_b32 s9, s14, s9
	s_sub_i32 s8, s8, s9
	v_cmp_gt_u32_e32 vcc, s8, v0
	s_mov_b64 s[14:15], 0
                                        ; implicit-def: $vgpr34
	s_and_saveexec_b64 s[20:21], vcc
	s_cbranch_execz .LBB136_145
; %bb.135:                              ;   in Loop: Header=BB136_21 Depth=1
	s_mov_b64 s[22:23], 0
	v_mov_b32_e32 v2, v17
	v_mov_b32_e32 v3, v0
                                        ; implicit-def: $sgpr24_sgpr25
	s_branch .LBB136_137
.LBB136_136:                            ;   in Loop: Header=BB136_137 Depth=2
	s_or_b64 exec, exec, s[14:15]
	s_waitcnt lgkmcnt(0)
	s_barrier
	ds_read_b32 v4, v9 offset:3072
	v_add_u32_e32 v3, s59, v3
	v_cmp_le_u32_e64 s[14:15], s8, v3
	v_add_u32_e32 v2, s13, v2
	s_waitcnt lgkmcnt(0)
	v_and_b32_e32 v5, 0x7fff, v4
	v_cmp_ne_u16_e32 vcc, 0, v5
	s_or_b64 s[14:15], s[14:15], vcc
	s_and_b64 s[14:15], exec, s[14:15]
	s_or_b64 s[22:23], s[14:15], s[22:23]
	s_andn2_b64 s[14:15], s[24:25], exec
	s_and_b64 s[24:25], vcc, exec
	s_or_b64 s[24:25], s[14:15], s[24:25]
	s_barrier
	s_andn2_b64 exec, exec, s[22:23]
	s_cbranch_execz .LBB136_144
.LBB136_137:                            ;   Parent Loop BB136_21 Depth=1
                                        ; =>  This Inner Loop Header: Depth=2
	v_cmp_gt_u32_e32 vcc, s3, v3
	v_mov_b32_e32 v4, 0
	s_and_saveexec_b64 s[14:15], vcc
	s_cbranch_execz .LBB136_139
; %bb.138:                              ;   in Loop: Header=BB136_137 Depth=2
	ds_read_u16 v4, v2
.LBB136_139:                            ;   in Loop: Header=BB136_137 Depth=2
	s_or_b64 exec, exec, s[14:15]
	s_and_saveexec_b64 s[14:15], vcc
	s_cbranch_execz .LBB136_136
; %bb.140:                              ;   in Loop: Header=BB136_137 Depth=2
	s_waitcnt lgkmcnt(0)
	v_cmp_lt_i16_e32 vcc, -1, v4
	v_cndmask_b32_e32 v5, v29, v30, vcc
	v_lshlrev_b32_e32 v8, 16, v4
	v_xor_b32_sdwa v5, v5, v4 dst_sel:DWORD dst_unused:UNUSED_PAD src0_sel:DWORD src1_sel:WORD_0
	v_cmp_o_f32_e32 vcc, v8, v8
	v_cndmask_b32_e32 v5, v29, v5, vcc
	v_and_b32_e32 v5, s1, v5
	v_cmp_eq_u32_e32 vcc, s2, v5
	s_and_b64 exec, exec, vcc
	s_cbranch_execz .LBB136_136
; %bb.141:                              ;   in Loop: Header=BB136_137 Depth=2
	v_perm_b32 v4, v4, s68, v33
	ds_write_b32 v9, v4 offset:3072
	s_branch .LBB136_136
.LBB136_142:                            ;   in Loop: Header=BB136_21 Depth=1
                                        ; implicit-def: $sgpr22_sgpr23
                                        ; implicit-def: $sgpr24_sgpr25
                                        ; implicit-def: $sgpr20_sgpr21
	s_branch .LBB136_156
.LBB136_143:                            ;   in Loop: Header=BB136_21 Depth=1
	s_mov_b64 s[22:23], -1
	s_mov_b64 s[14:15], 0
                                        ; implicit-def: $sgpr20_sgpr21
                                        ; implicit-def: $vgpr34
	s_mov_b64 s[24:25], s[22:23]
	s_cbranch_execnz .LBB136_146
	s_branch .LBB136_156
.LBB136_144:                            ;   in Loop: Header=BB136_21 Depth=1
	s_or_b64 exec, exec, s[22:23]
	v_lshrrev_b32_e32 v34, 16, v4
	s_and_b64 s[14:15], s[24:25], exec
.LBB136_145:                            ;   in Loop: Header=BB136_21 Depth=1
	s_or_b64 exec, exec, s[20:21]
	s_mov_b64 s[20:21], -1
	s_mov_b64 s[22:23], 0
	s_mov_b64 s[24:25], s[22:23]
	s_branch .LBB136_156
.LBB136_146:                            ;   in Loop: Header=BB136_21 Depth=1
	s_mov_b64 s[14:15], 0
                                        ; implicit-def: $vgpr34
	s_mov_b64 s[20:21], exec
	v_readlane_b32 s8, v52, 33
	v_readlane_b32 s9, v52, 34
	s_and_b64 s[8:9], s[20:21], s[8:9]
	s_mov_b64 exec, s[8:9]
	s_cbranch_execz .LBB136_155
; %bb.147:                              ;   in Loop: Header=BB136_21 Depth=1
	s_mov_b64 s[22:23], 0
	v_mov_b32_e32 v8, v6
	v_mov_b32_e32 v2, v0
                                        ; implicit-def: $sgpr24_sgpr25
	s_branch .LBB136_149
.LBB136_148:                            ;   in Loop: Header=BB136_149 Depth=2
	s_or_b64 exec, exec, s[14:15]
	s_waitcnt lgkmcnt(0)
	s_barrier
	s_waitcnt vmcnt(0)
	ds_read_b32 v3, v9 offset:3072
	v_add_u32_e32 v2, s59, v2
	v_cmp_le_u32_e64 s[14:15], s74, v2
	v_add_u32_e32 v8, s78, v8
	s_waitcnt lgkmcnt(0)
	v_and_b32_e32 v4, 0x7fff, v3
	v_cmp_ne_u16_e32 vcc, 0, v4
	s_or_b64 s[8:9], s[14:15], vcc
	s_and_b64 s[8:9], exec, s[8:9]
	s_or_b64 s[22:23], s[8:9], s[22:23]
	s_andn2_b64 s[8:9], s[24:25], exec
	s_and_b64 s[14:15], vcc, exec
	s_or_b64 s[24:25], s[8:9], s[14:15]
	s_barrier
	s_andn2_b64 exec, exec, s[22:23]
	s_cbranch_execz .LBB136_154
.LBB136_149:                            ;   Parent Loop BB136_21 Depth=1
                                        ; =>  This Inner Loop Header: Depth=2
	v_cmp_gt_u32_e32 vcc, s56, v2
	v_mov_b32_e32 v3, 0
	s_and_saveexec_b64 s[26:27], vcc
	s_cbranch_execz .LBB136_151
; %bb.150:                              ;   in Loop: Header=BB136_149 Depth=2
	v_lshlrev_b64 v[4:5], 1, v[8:9]
	v_mov_b32_e32 v3, s33
	v_add_co_u32_e64 v4, s[14:15], s57, v4
	v_addc_co_u32_e64 v5, s[14:15], v3, v5, s[14:15]
	global_load_ushort v3, v[4:5], off
.LBB136_151:                            ;   in Loop: Header=BB136_149 Depth=2
	s_or_b64 exec, exec, s[26:27]
	s_and_saveexec_b64 s[14:15], vcc
	s_cbranch_execz .LBB136_148
; %bb.152:                              ;   in Loop: Header=BB136_149 Depth=2
	s_waitcnt vmcnt(0)
	v_cmp_lt_i16_e32 vcc, -1, v3
	v_cndmask_b32_e32 v4, v29, v30, vcc
	v_lshlrev_b32_e32 v5, 16, v3
	v_xor_b32_sdwa v4, v4, v3 dst_sel:DWORD dst_unused:UNUSED_PAD src0_sel:DWORD src1_sel:WORD_0
	v_cmp_o_f32_e32 vcc, v5, v5
	v_cndmask_b32_e32 v4, v29, v4, vcc
	v_and_b32_e32 v4, s1, v4
	v_cmp_eq_u32_e32 vcc, s2, v4
	s_and_b64 exec, exec, vcc
	s_cbranch_execz .LBB136_148
; %bb.153:                              ;   in Loop: Header=BB136_149 Depth=2
	v_perm_b32 v3, v3, s68, v33
	ds_write_b32 v9, v3 offset:3072
	s_branch .LBB136_148
.LBB136_154:                            ;   in Loop: Header=BB136_21 Depth=1
	s_or_b64 exec, exec, s[22:23]
	v_lshrrev_b32_e32 v34, 16, v3
	s_and_b64 s[14:15], s[24:25], exec
.LBB136_155:                            ;   in Loop: Header=BB136_21 Depth=1
	s_or_b64 exec, exec, s[20:21]
	s_mov_b64 s[24:25], -1
	s_mov_b64 s[22:23], 0
	s_mov_b64 s[20:21], 0
.LBB136_156:                            ;   in Loop: Header=BB136_21 Depth=1
	s_mov_b64 s[30:31], 0
                                        ; implicit-def: $sgpr52
	s_and_saveexec_b64 s[26:27], s[14:15]
	s_cbranch_execz .LBB136_252
; %bb.157:                              ;   in Loop: Header=BB136_21 Depth=1
	s_xor_b64 s[8:9], s[28:29], -1
	s_mov_b64 s[14:15], 0
	s_andn2_b64 vcc, exec, s[8:9]
	s_mov_b32 s45, 1
	s_cbranch_vccnz .LBB136_168
; %bb.158:                              ;   in Loop: Header=BB136_21 Depth=1
	s_cmp_gt_u32 s35, s34
	s_mov_b64 s[14:15], -1
                                        ; implicit-def: $sgpr52
                                        ; implicit-def: $sgpr3
                                        ; implicit-def: $sgpr8
	s_cbranch_scc1 .LBB136_164
; %bb.159:                              ;   in Loop: Header=BB136_21 Depth=1
	ds_read_b32 v2, v9 offset:4104
	s_waitcnt lgkmcnt(0)
	v_cmp_ne_u32_e32 vcc, 0, v2
	s_cbranch_vccnz .LBB136_163
; %bb.160:                              ;   in Loop: Header=BB136_21 Depth=1
	s_mov_b64 s[14:15], exec
	v_readlane_b32 s8, v52, 7
	v_readlane_b32 s9, v52, 8
	s_and_b64 s[8:9], s[14:15], s[8:9]
	s_mov_b64 exec, s[8:9]
	s_cbranch_execz .LBB136_162
; %bb.161:                              ;   in Loop: Header=BB136_21 Depth=1
	v_mov_b32_e32 v2, s34
	ds_write_b32 v9, v2 offset:4108
.LBB136_162:                            ;   in Loop: Header=BB136_21 Depth=1
	s_or_b64 exec, exec, s[14:15]
	s_waitcnt lgkmcnt(0)
	s_barrier
.LBB136_163:                            ;   in Loop: Header=BB136_21 Depth=1
	s_lshl_b32 s3, 1, s43
	s_and_b32 s8, s2, s44
	s_or_b32 s3, s8, s3
	s_or_b32 s8, s1, s51
	s_mov_b64 s[14:15], 0
	s_mov_b32 s52, 8
.LBB136_164:                            ;   in Loop: Header=BB136_21 Depth=1
	s_andn2_b64 vcc, exec, s[14:15]
	s_cbranch_vccnz .LBB136_166
; %bb.165:                              ;   in Loop: Header=BB136_21 Depth=1
	s_sub_i32 s35, s35, s34
	s_mov_b64 s[14:15], -1
	s_mov_b32 s52, 0
	s_mov_b32 s3, s2
	;; [unrolled: 1-line block ×3, first 2 shown]
.LBB136_166:                            ;   in Loop: Header=BB136_21 Depth=1
	s_mov_b32 s1, s8
	s_mov_b32 s2, s3
	;; [unrolled: 1-line block ×3, first 2 shown]
	s_andn2_b64 vcc, exec, s[14:15]
	s_mov_b64 s[40:41], -1
	s_cbranch_vccz .LBB136_169
.LBB136_167:                            ;   in Loop: Header=BB136_21 Depth=1
                                        ; implicit-def: $sgpr30_sgpr31
                                        ; implicit-def: $sgpr34_sgpr35
                                        ; implicit-def: $sgpr28_sgpr29
	s_branch .LBB136_251
.LBB136_168:                            ;   in Loop: Header=BB136_21 Depth=1
	s_mov_b32 s52, 1
	s_andn2_b64 vcc, exec, s[14:15]
	s_mov_b64 s[40:41], -1
	s_cbranch_vccnz .LBB136_167
.LBB136_169:                            ;   in Loop: Header=BB136_21 Depth=1
	s_cmp_eq_u32 s42, 1
	s_cselect_b64 s[8:9], -1, 0
	s_cmp_eq_u32 s45, 1
	s_cselect_b64 s[14:15], -1, 0
	s_and_b64 s[38:39], s[8:9], s[14:15]
	s_mov_b64 s[14:15], -1
	s_and_b64 vcc, exec, s[38:39]
	s_cbranch_vccz .LBB136_181
; %bb.170:                              ;   in Loop: Header=BB136_21 Depth=1
	ds_read_b32 v2, v9 offset:4104
	s_waitcnt lgkmcnt(0)
	s_barrier
	v_readfirstlane_b32 s3, v2
	s_and_saveexec_b64 s[14:15], s[6:7]
	s_cbranch_execz .LBB136_172
; %bb.171:                              ;   in Loop: Header=BB136_21 Depth=1
	ds_write_b16 v18, v9
.LBB136_172:                            ;   in Loop: Header=BB136_21 Depth=1
	s_or_b64 exec, exec, s[14:15]
	s_lshl_b32 s8, 2, s43
	s_and_b32 s2, s2, s44
	s_or_b32 s2, s2, s8
	s_or_b32 s1, s1, s51
	s_cmp_eq_u32 s3, 0
	s_waitcnt lgkmcnt(0)
	s_barrier
	s_cbranch_scc1 .LBB136_182
; %bb.173:                              ;   in Loop: Header=BB136_21 Depth=1
	v_readlane_b32 s8, v52, 11
	s_add_i32 s8, s3, s8
	v_readlane_b32 s9, v52, 32
	s_mul_hi_u32 s9, s8, s9
	s_mul_i32 s9, s9, s59
	s_sub_i32 s9, s8, s9
	s_sub_i32 s14, s9, s59
	s_cmp_ge_u32 s9, s59
	s_cselect_b32 s9, s14, s9
	s_sub_i32 s14, s9, s59
	s_cmp_ge_u32 s9, s59
	s_cselect_b32 s9, s14, s9
	s_sub_i32 s8, s8, s9
	v_cmp_gt_u32_e32 vcc, s8, v0
	s_mov_b64 s[14:15], 0
                                        ; implicit-def: $vgpr34
	s_and_saveexec_b64 s[28:29], vcc
	s_cbranch_execz .LBB136_184
; %bb.174:                              ;   in Loop: Header=BB136_21 Depth=1
	v_mov_b32_e32 v2, v17
	v_mov_b32_e32 v3, v0
                                        ; implicit-def: $sgpr34_sgpr35
	s_branch .LBB136_176
.LBB136_175:                            ;   in Loop: Header=BB136_176 Depth=2
	s_or_b64 exec, exec, s[14:15]
	s_waitcnt lgkmcnt(0)
	s_barrier
	ds_read_b32 v4, v9 offset:3072
	v_add_u32_e32 v3, s59, v3
	v_cmp_le_u32_e64 s[14:15], s8, v3
	v_add_u32_e32 v2, s13, v2
	s_waitcnt lgkmcnt(0)
	v_and_b32_e32 v5, 0x7fff, v4
	v_cmp_ne_u16_e32 vcc, 0, v5
	s_or_b64 s[14:15], s[14:15], vcc
	s_and_b64 s[14:15], exec, s[14:15]
	s_or_b64 s[30:31], s[14:15], s[30:31]
	s_andn2_b64 s[14:15], s[34:35], exec
	s_and_b64 s[34:35], vcc, exec
	s_or_b64 s[34:35], s[14:15], s[34:35]
	s_barrier
	s_andn2_b64 exec, exec, s[30:31]
	s_cbranch_execz .LBB136_183
.LBB136_176:                            ;   Parent Loop BB136_21 Depth=1
                                        ; =>  This Inner Loop Header: Depth=2
	v_cmp_gt_u32_e32 vcc, s3, v3
	v_mov_b32_e32 v4, 0
	s_and_saveexec_b64 s[14:15], vcc
	s_cbranch_execz .LBB136_178
; %bb.177:                              ;   in Loop: Header=BB136_176 Depth=2
	ds_read_u16 v4, v2
.LBB136_178:                            ;   in Loop: Header=BB136_176 Depth=2
	s_or_b64 exec, exec, s[14:15]
	s_and_saveexec_b64 s[14:15], vcc
	s_cbranch_execz .LBB136_175
; %bb.179:                              ;   in Loop: Header=BB136_176 Depth=2
	s_waitcnt lgkmcnt(0)
	v_cmp_lt_i16_e32 vcc, -1, v4
	v_cndmask_b32_e32 v5, v29, v30, vcc
	v_lshlrev_b32_e32 v8, 16, v4
	v_xor_b32_sdwa v5, v5, v4 dst_sel:DWORD dst_unused:UNUSED_PAD src0_sel:DWORD src1_sel:WORD_0
	v_cmp_o_f32_e32 vcc, v8, v8
	v_cndmask_b32_e32 v5, v29, v5, vcc
	v_and_b32_e32 v5, s1, v5
	v_cmp_eq_u32_e32 vcc, s2, v5
	s_and_b64 exec, exec, vcc
	s_cbranch_execz .LBB136_175
; %bb.180:                              ;   in Loop: Header=BB136_176 Depth=2
	v_perm_b32 v4, v4, s68, v33
	ds_write_b32 v9, v4 offset:3072
	s_branch .LBB136_175
.LBB136_181:                            ;   in Loop: Header=BB136_21 Depth=1
                                        ; implicit-def: $sgpr28_sgpr29
                                        ; implicit-def: $sgpr34_sgpr35
                                        ; implicit-def: $sgpr30_sgpr31
	s_branch .LBB136_195
.LBB136_182:                            ;   in Loop: Header=BB136_21 Depth=1
	s_mov_b64 s[28:29], -1
	s_mov_b64 s[14:15], 0
                                        ; implicit-def: $sgpr30_sgpr31
                                        ; implicit-def: $vgpr34
	s_mov_b64 s[34:35], s[28:29]
	s_cbranch_execnz .LBB136_185
	s_branch .LBB136_195
.LBB136_183:                            ;   in Loop: Header=BB136_21 Depth=1
	s_or_b64 exec, exec, s[30:31]
	v_lshrrev_b32_e32 v34, 16, v4
	s_and_b64 s[14:15], s[34:35], exec
.LBB136_184:                            ;   in Loop: Header=BB136_21 Depth=1
	s_or_b64 exec, exec, s[28:29]
	s_mov_b64 s[30:31], -1
	s_mov_b64 s[28:29], 0
	s_mov_b64 s[34:35], s[28:29]
	s_branch .LBB136_195
.LBB136_185:                            ;   in Loop: Header=BB136_21 Depth=1
	s_mov_b64 s[14:15], 0
                                        ; implicit-def: $vgpr34
	s_mov_b64 s[28:29], exec
	v_readlane_b32 s8, v52, 33
	v_readlane_b32 s9, v52, 34
	s_and_b64 s[8:9], s[28:29], s[8:9]
	s_mov_b64 exec, s[8:9]
	s_cbranch_execz .LBB136_194
; %bb.186:                              ;   in Loop: Header=BB136_21 Depth=1
	s_mov_b64 s[30:31], 0
	v_mov_b32_e32 v8, v6
	v_mov_b32_e32 v2, v0
                                        ; implicit-def: $sgpr34_sgpr35
	s_branch .LBB136_188
.LBB136_187:                            ;   in Loop: Header=BB136_188 Depth=2
	s_or_b64 exec, exec, s[14:15]
	s_waitcnt lgkmcnt(0)
	s_barrier
	s_waitcnt vmcnt(0)
	ds_read_b32 v3, v9 offset:3072
	v_add_u32_e32 v2, s59, v2
	v_cmp_le_u32_e64 s[14:15], s74, v2
	v_add_u32_e32 v8, s78, v8
	s_waitcnt lgkmcnt(0)
	v_and_b32_e32 v4, 0x7fff, v3
	v_cmp_ne_u16_e32 vcc, 0, v4
	s_or_b64 s[8:9], s[14:15], vcc
	s_and_b64 s[8:9], exec, s[8:9]
	s_or_b64 s[30:31], s[8:9], s[30:31]
	s_andn2_b64 s[8:9], s[34:35], exec
	s_and_b64 s[14:15], vcc, exec
	s_or_b64 s[34:35], s[8:9], s[14:15]
	s_barrier
	s_andn2_b64 exec, exec, s[30:31]
	s_cbranch_execz .LBB136_193
.LBB136_188:                            ;   Parent Loop BB136_21 Depth=1
                                        ; =>  This Inner Loop Header: Depth=2
	v_cmp_gt_u32_e32 vcc, s56, v2
	v_mov_b32_e32 v3, 0
	s_and_saveexec_b64 s[36:37], vcc
	s_cbranch_execz .LBB136_190
; %bb.189:                              ;   in Loop: Header=BB136_188 Depth=2
	v_lshlrev_b64 v[4:5], 1, v[8:9]
	v_mov_b32_e32 v3, s33
	v_add_co_u32_e64 v4, s[14:15], s57, v4
	v_addc_co_u32_e64 v5, s[14:15], v3, v5, s[14:15]
	global_load_ushort v3, v[4:5], off
.LBB136_190:                            ;   in Loop: Header=BB136_188 Depth=2
	s_or_b64 exec, exec, s[36:37]
	s_and_saveexec_b64 s[14:15], vcc
	s_cbranch_execz .LBB136_187
; %bb.191:                              ;   in Loop: Header=BB136_188 Depth=2
	s_waitcnt vmcnt(0)
	v_cmp_lt_i16_e32 vcc, -1, v3
	v_cndmask_b32_e32 v4, v29, v30, vcc
	v_lshlrev_b32_e32 v5, 16, v3
	v_xor_b32_sdwa v4, v4, v3 dst_sel:DWORD dst_unused:UNUSED_PAD src0_sel:DWORD src1_sel:WORD_0
	v_cmp_o_f32_e32 vcc, v5, v5
	v_cndmask_b32_e32 v4, v29, v4, vcc
	v_and_b32_e32 v4, s1, v4
	v_cmp_eq_u32_e32 vcc, s2, v4
	s_and_b64 exec, exec, vcc
	s_cbranch_execz .LBB136_187
; %bb.192:                              ;   in Loop: Header=BB136_188 Depth=2
	v_perm_b32 v3, v3, s68, v33
	ds_write_b32 v9, v3 offset:3072
	s_branch .LBB136_187
.LBB136_193:                            ;   in Loop: Header=BB136_21 Depth=1
	s_or_b64 exec, exec, s[30:31]
	v_lshrrev_b32_e32 v34, 16, v3
	s_and_b64 s[14:15], s[34:35], exec
.LBB136_194:                            ;   in Loop: Header=BB136_21 Depth=1
	s_or_b64 exec, exec, s[28:29]
	s_mov_b64 s[34:35], -1
	s_mov_b64 s[28:29], 0
	s_mov_b64 s[30:31], 0
.LBB136_195:                            ;   in Loop: Header=BB136_21 Depth=1
	s_mov_b64 s[40:41], 0
                                        ; implicit-def: $sgpr52
	s_and_saveexec_b64 s[36:37], s[14:15]
	s_cbranch_execz .LBB136_250
; %bb.196:                              ;   in Loop: Header=BB136_21 Depth=1
	s_xor_b64 s[8:9], s[38:39], -1
	s_mov_b64 s[14:15], 0
	s_andn2_b64 vcc, exec, s[8:9]
	s_mov_b32 s3, 1
	s_cbranch_vccnz .LBB136_207
; %bb.197:                              ;   in Loop: Header=BB136_21 Depth=1
	s_cmp_gt_u32 s45, s42
	s_mov_b64 s[14:15], -1
                                        ; implicit-def: $sgpr52
                                        ; implicit-def: $sgpr3
                                        ; implicit-def: $sgpr8
	s_cbranch_scc1 .LBB136_203
; %bb.198:                              ;   in Loop: Header=BB136_21 Depth=1
	ds_read_b32 v2, v9 offset:4104
	s_waitcnt lgkmcnt(0)
	v_cmp_ne_u32_e32 vcc, 0, v2
	s_cbranch_vccnz .LBB136_202
; %bb.199:                              ;   in Loop: Header=BB136_21 Depth=1
	s_mov_b64 s[14:15], exec
	v_readlane_b32 s8, v52, 7
	v_readlane_b32 s9, v52, 8
	s_and_b64 s[8:9], s[14:15], s[8:9]
	s_mov_b64 exec, s[8:9]
	s_cbranch_execz .LBB136_201
; %bb.200:                              ;   in Loop: Header=BB136_21 Depth=1
	v_mov_b32_e32 v2, s42
	ds_write_b32 v9, v2 offset:4108
.LBB136_201:                            ;   in Loop: Header=BB136_21 Depth=1
	s_or_b64 exec, exec, s[14:15]
	s_waitcnt lgkmcnt(0)
	s_barrier
.LBB136_202:                            ;   in Loop: Header=BB136_21 Depth=1
	s_lshl_b32 s3, 2, s43
	s_and_b32 s8, s2, s44
	s_or_b32 s3, s8, s3
	s_or_b32 s8, s1, s51
	s_mov_b64 s[14:15], 0
	s_mov_b32 s52, 8
.LBB136_203:                            ;   in Loop: Header=BB136_21 Depth=1
	s_andn2_b64 vcc, exec, s[14:15]
	s_cbranch_vccnz .LBB136_205
; %bb.204:                              ;   in Loop: Header=BB136_21 Depth=1
	s_sub_i32 s45, s45, s42
	s_mov_b64 s[14:15], -1
	s_mov_b32 s52, 0
	s_mov_b32 s3, s2
	;; [unrolled: 1-line block ×3, first 2 shown]
.LBB136_205:                            ;   in Loop: Header=BB136_21 Depth=1
	s_mov_b32 s1, s8
	s_mov_b32 s2, s3
	;; [unrolled: 1-line block ×3, first 2 shown]
	s_andn2_b64 vcc, exec, s[14:15]
	s_mov_b64 s[48:49], -1
	s_cbranch_vccz .LBB136_208
.LBB136_206:                            ;   in Loop: Header=BB136_21 Depth=1
                                        ; implicit-def: $sgpr14_sgpr15
                                        ; implicit-def: $sgpr42_sgpr43
                                        ; implicit-def: $sgpr40_sgpr41
	s_branch .LBB136_249
.LBB136_207:                            ;   in Loop: Header=BB136_21 Depth=1
	s_mov_b32 s52, 1
	s_andn2_b64 vcc, exec, s[14:15]
	s_mov_b64 s[48:49], -1
	s_cbranch_vccnz .LBB136_206
.LBB136_208:                            ;   in Loop: Header=BB136_21 Depth=1
	s_cmp_eq_u32 s50, 1
	s_cselect_b64 s[8:9], -1, 0
	s_cmp_eq_u32 s3, 1
	s_cselect_b64 s[14:15], -1, 0
	s_and_b64 s[38:39], s[8:9], s[14:15]
	s_mov_b64 s[44:45], -1
	s_and_b64 vcc, exec, s[38:39]
	s_cbranch_vccz .LBB136_220
; %bb.209:                              ;   in Loop: Header=BB136_21 Depth=1
	ds_read_b32 v2, v9 offset:4104
	s_waitcnt lgkmcnt(0)
	s_barrier
	v_readfirstlane_b32 s8, v2
	s_and_saveexec_b64 s[14:15], s[6:7]
	s_cbranch_execz .LBB136_211
; %bb.210:                              ;   in Loop: Header=BB136_21 Depth=1
	ds_write_b16 v18, v9
.LBB136_211:                            ;   in Loop: Header=BB136_21 Depth=1
	s_or_b64 exec, exec, s[14:15]
	s_or_b32 s2, s2, s51
	s_or_b32 s1, s1, s51
	s_cmp_eq_u32 s8, 0
	s_waitcnt lgkmcnt(0)
	s_barrier
	s_cbranch_scc1 .LBB136_221
; %bb.212:                              ;   in Loop: Header=BB136_21 Depth=1
	v_readlane_b32 s9, v52, 11
	s_add_i32 s9, s8, s9
	v_readlane_b32 s14, v52, 32
	s_mul_hi_u32 s14, s9, s14
	s_mul_i32 s14, s14, s59
	s_sub_i32 s14, s9, s14
	s_sub_i32 s15, s14, s59
	s_cmp_ge_u32 s14, s59
	s_cselect_b32 s14, s15, s14
	s_sub_i32 s15, s14, s59
	s_cmp_ge_u32 s14, s59
	s_cselect_b32 s14, s15, s14
	s_sub_i32 s9, s9, s14
	v_cmp_gt_u32_e32 vcc, s9, v0
	s_mov_b64 s[44:45], 0
                                        ; implicit-def: $vgpr34
	s_and_saveexec_b64 s[40:41], vcc
	s_cbranch_execz .LBB136_223
; %bb.213:                              ;   in Loop: Header=BB136_21 Depth=1
	s_mov_b64 s[42:43], 0
	v_mov_b32_e32 v2, v17
	v_mov_b32_e32 v3, v0
                                        ; implicit-def: $sgpr44_sgpr45
	s_branch .LBB136_215
.LBB136_214:                            ;   in Loop: Header=BB136_215 Depth=2
	s_or_b64 exec, exec, s[14:15]
	s_waitcnt lgkmcnt(0)
	s_barrier
	ds_read_b32 v4, v9 offset:3072
	v_add_u32_e32 v3, s59, v3
	v_cmp_le_u32_e64 s[14:15], s9, v3
	v_add_u32_e32 v2, s13, v2
	s_waitcnt lgkmcnt(0)
	v_and_b32_e32 v5, 0x7fff, v4
	v_cmp_ne_u16_e32 vcc, 0, v5
	s_or_b64 s[14:15], s[14:15], vcc
	s_and_b64 s[14:15], exec, s[14:15]
	s_or_b64 s[42:43], s[14:15], s[42:43]
	s_andn2_b64 s[14:15], s[44:45], exec
	s_and_b64 s[44:45], vcc, exec
	s_or_b64 s[44:45], s[14:15], s[44:45]
	s_barrier
	s_andn2_b64 exec, exec, s[42:43]
	s_cbranch_execz .LBB136_222
.LBB136_215:                            ;   Parent Loop BB136_21 Depth=1
                                        ; =>  This Inner Loop Header: Depth=2
	v_cmp_gt_u32_e32 vcc, s8, v3
	v_mov_b32_e32 v4, 0
	s_and_saveexec_b64 s[14:15], vcc
	s_cbranch_execz .LBB136_217
; %bb.216:                              ;   in Loop: Header=BB136_215 Depth=2
	ds_read_u16 v4, v2
.LBB136_217:                            ;   in Loop: Header=BB136_215 Depth=2
	s_or_b64 exec, exec, s[14:15]
	s_and_saveexec_b64 s[14:15], vcc
	s_cbranch_execz .LBB136_214
; %bb.218:                              ;   in Loop: Header=BB136_215 Depth=2
	s_waitcnt lgkmcnt(0)
	v_cmp_lt_i16_e32 vcc, -1, v4
	v_cndmask_b32_e32 v5, v29, v30, vcc
	v_lshlrev_b32_e32 v8, 16, v4
	v_xor_b32_sdwa v5, v5, v4 dst_sel:DWORD dst_unused:UNUSED_PAD src0_sel:DWORD src1_sel:WORD_0
	v_cmp_o_f32_e32 vcc, v8, v8
	v_cndmask_b32_e32 v5, v29, v5, vcc
	v_and_b32_e32 v5, s1, v5
	v_cmp_eq_u32_e32 vcc, s2, v5
	s_and_b64 exec, exec, vcc
	s_cbranch_execz .LBB136_214
; %bb.219:                              ;   in Loop: Header=BB136_215 Depth=2
	v_perm_b32 v4, v4, s68, v33
	ds_write_b32 v9, v4 offset:3072
	s_branch .LBB136_214
.LBB136_220:                            ;   in Loop: Header=BB136_21 Depth=1
                                        ; implicit-def: $sgpr14_sgpr15
                                        ; implicit-def: $sgpr42_sgpr43
                                        ; implicit-def: $sgpr40_sgpr41
	s_branch .LBB136_234
.LBB136_221:                            ;   in Loop: Header=BB136_21 Depth=1
	s_mov_b64 s[14:15], -1
	s_mov_b64 s[44:45], 0
                                        ; implicit-def: $sgpr40_sgpr41
                                        ; implicit-def: $vgpr34
	s_mov_b64 s[42:43], s[14:15]
	s_cbranch_execnz .LBB136_224
	s_branch .LBB136_234
.LBB136_222:                            ;   in Loop: Header=BB136_21 Depth=1
	s_or_b64 exec, exec, s[42:43]
	v_lshrrev_b32_e32 v34, 16, v4
	s_and_b64 s[44:45], s[44:45], exec
.LBB136_223:                            ;   in Loop: Header=BB136_21 Depth=1
	s_or_b64 exec, exec, s[40:41]
	s_mov_b64 s[40:41], -1
	s_mov_b64 s[14:15], 0
	s_mov_b64 s[42:43], s[14:15]
	s_branch .LBB136_234
.LBB136_224:                            ;   in Loop: Header=BB136_21 Depth=1
	s_mov_b64 s[44:45], 0
                                        ; implicit-def: $vgpr34
	s_mov_b64 s[40:41], exec
	v_readlane_b32 s8, v52, 33
	v_readlane_b32 s9, v52, 34
	s_and_b64 s[8:9], s[40:41], s[8:9]
	s_mov_b64 exec, s[8:9]
	s_cbranch_execz .LBB136_233
; %bb.225:                              ;   in Loop: Header=BB136_21 Depth=1
	s_mov_b64 s[42:43], 0
	v_mov_b32_e32 v8, v6
	v_mov_b32_e32 v2, v0
                                        ; implicit-def: $sgpr44_sgpr45
	s_branch .LBB136_227
.LBB136_226:                            ;   in Loop: Header=BB136_227 Depth=2
	s_or_b64 exec, exec, s[14:15]
	s_waitcnt lgkmcnt(0)
	s_barrier
	s_waitcnt vmcnt(0)
	ds_read_b32 v3, v9 offset:3072
	v_add_u32_e32 v2, s59, v2
	v_cmp_le_u32_e64 s[14:15], s74, v2
	v_add_u32_e32 v8, s78, v8
	s_waitcnt lgkmcnt(0)
	v_and_b32_e32 v4, 0x7fff, v3
	v_cmp_ne_u16_e32 vcc, 0, v4
	s_or_b64 s[8:9], s[14:15], vcc
	s_and_b64 s[8:9], exec, s[8:9]
	s_or_b64 s[42:43], s[8:9], s[42:43]
	s_andn2_b64 s[8:9], s[44:45], exec
	s_and_b64 s[14:15], vcc, exec
	s_or_b64 s[44:45], s[8:9], s[14:15]
	s_barrier
	s_andn2_b64 exec, exec, s[42:43]
	s_cbranch_execz .LBB136_232
.LBB136_227:                            ;   Parent Loop BB136_21 Depth=1
                                        ; =>  This Inner Loop Header: Depth=2
	v_cmp_gt_u32_e32 vcc, s56, v2
	v_mov_b32_e32 v3, 0
	s_and_saveexec_b64 s[46:47], vcc
	s_cbranch_execz .LBB136_229
; %bb.228:                              ;   in Loop: Header=BB136_227 Depth=2
	v_lshlrev_b64 v[4:5], 1, v[8:9]
	v_mov_b32_e32 v3, s33
	v_add_co_u32_e64 v4, s[14:15], s57, v4
	v_addc_co_u32_e64 v5, s[14:15], v3, v5, s[14:15]
	global_load_ushort v3, v[4:5], off
.LBB136_229:                            ;   in Loop: Header=BB136_227 Depth=2
	s_or_b64 exec, exec, s[46:47]
	s_and_saveexec_b64 s[14:15], vcc
	s_cbranch_execz .LBB136_226
; %bb.230:                              ;   in Loop: Header=BB136_227 Depth=2
	s_waitcnt vmcnt(0)
	v_cmp_lt_i16_e32 vcc, -1, v3
	v_cndmask_b32_e32 v4, v29, v30, vcc
	v_lshlrev_b32_e32 v5, 16, v3
	v_xor_b32_sdwa v4, v4, v3 dst_sel:DWORD dst_unused:UNUSED_PAD src0_sel:DWORD src1_sel:WORD_0
	v_cmp_o_f32_e32 vcc, v5, v5
	v_cndmask_b32_e32 v4, v29, v4, vcc
	v_and_b32_e32 v4, s1, v4
	v_cmp_eq_u32_e32 vcc, s2, v4
	s_and_b64 exec, exec, vcc
	s_cbranch_execz .LBB136_226
; %bb.231:                              ;   in Loop: Header=BB136_227 Depth=2
	v_perm_b32 v3, v3, s68, v33
	ds_write_b32 v9, v3 offset:3072
	s_branch .LBB136_226
.LBB136_232:                            ;   in Loop: Header=BB136_21 Depth=1
	s_or_b64 exec, exec, s[42:43]
	v_lshrrev_b32_e32 v34, 16, v3
	s_and_b64 s[44:45], s[44:45], exec
.LBB136_233:                            ;   in Loop: Header=BB136_21 Depth=1
	s_or_b64 exec, exec, s[40:41]
	s_mov_b64 s[42:43], -1
	s_mov_b64 s[14:15], 0
	s_mov_b64 s[40:41], 0
.LBB136_234:                            ;   in Loop: Header=BB136_21 Depth=1
	s_mov_b64 s[48:49], 0
                                        ; implicit-def: $sgpr52
	s_and_saveexec_b64 s[46:47], s[44:45]
	s_cbranch_execz .LBB136_248
; %bb.235:                              ;   in Loop: Header=BB136_21 Depth=1
	s_xor_b64 s[8:9], s[38:39], -1
	s_andn2_b64 vcc, exec, s[8:9]
	s_mov_b32 s52, 1
	s_cbranch_vccnz .LBB136_242
; %bb.236:                              ;   in Loop: Header=BB136_21 Depth=1
	s_cmp_gt_u32 s3, s50
	s_cbranch_scc1 .LBB136_243
; %bb.237:                              ;   in Loop: Header=BB136_21 Depth=1
	ds_read_b32 v2, v9 offset:4104
	s_waitcnt lgkmcnt(0)
	v_cmp_ne_u32_e32 vcc, 0, v2
	s_cbranch_vccnz .LBB136_241
; %bb.238:                              ;   in Loop: Header=BB136_21 Depth=1
	s_mov_b64 s[38:39], exec
	v_readlane_b32 s8, v52, 7
	v_readlane_b32 s9, v52, 8
	s_and_b64 s[8:9], s[38:39], s[8:9]
	s_mov_b64 exec, s[8:9]
	s_cbranch_execz .LBB136_240
; %bb.239:                              ;   in Loop: Header=BB136_21 Depth=1
	v_mov_b32_e32 v2, s50
	ds_write_b32 v9, v2 offset:4108
.LBB136_240:                            ;   in Loop: Header=BB136_21 Depth=1
	s_or_b64 exec, exec, s[38:39]
	s_waitcnt lgkmcnt(0)
	s_barrier
.LBB136_241:                            ;   in Loop: Header=BB136_21 Depth=1
	s_or_b32 s8, s2, s51
	s_or_b32 s9, s1, s51
	s_mov_b64 s[38:39], 0
	s_mov_b32 s52, 8
	s_branch .LBB136_244
.LBB136_242:                            ;   in Loop: Header=BB136_21 Depth=1
	s_mov_b32 s3, 1
	s_branch .LBB136_247
.LBB136_243:                            ;   in Loop: Header=BB136_21 Depth=1
	s_mov_b64 s[38:39], -1
                                        ; implicit-def: $sgpr52
                                        ; implicit-def: $sgpr8
                                        ; implicit-def: $sgpr9
.LBB136_244:                            ;   in Loop: Header=BB136_21 Depth=1
	s_andn2_b64 vcc, exec, s[38:39]
	s_cbranch_vccnz .LBB136_246
; %bb.245:                              ;   in Loop: Header=BB136_21 Depth=1
	s_sub_i32 s3, s3, s50
	s_mov_b32 s52, 8
	s_mov_b32 s8, s2
	;; [unrolled: 1-line block ×3, first 2 shown]
.LBB136_246:                            ;   in Loop: Header=BB136_21 Depth=1
	s_mov_b32 s2, s8
	s_mov_b32 s1, s9
.LBB136_247:                            ;   in Loop: Header=BB136_21 Depth=1
	s_mov_b64 s[48:49], exec
.LBB136_248:                            ;   in Loop: Header=BB136_21 Depth=1
	s_or_b64 exec, exec, s[46:47]
.LBB136_249:                            ;   in Loop: Header=BB136_21 Depth=1
	s_andn2_b64 s[8:9], s[28:29], exec
	s_and_b64 s[14:15], s[14:15], exec
	s_or_b64 s[28:29], s[8:9], s[14:15]
	s_andn2_b64 s[8:9], s[34:35], exec
	s_and_b64 s[14:15], s[42:43], exec
	s_or_b64 s[34:35], s[8:9], s[14:15]
	;; [unrolled: 3-line block ×3, first 2 shown]
	s_and_b64 s[40:41], s[48:49], exec
	s_mov_b32 s45, s3
.LBB136_250:                            ;   in Loop: Header=BB136_21 Depth=1
	s_or_b64 exec, exec, s[36:37]
.LBB136_251:                            ;   in Loop: Header=BB136_21 Depth=1
	s_andn2_b64 s[8:9], s[22:23], exec
	s_and_b64 s[14:15], s[28:29], exec
	s_or_b64 s[22:23], s[8:9], s[14:15]
	s_andn2_b64 s[8:9], s[24:25], exec
	s_and_b64 s[14:15], s[34:35], exec
	s_or_b64 s[24:25], s[8:9], s[14:15]
	;; [unrolled: 3-line block ×3, first 2 shown]
	s_and_b64 s[30:31], s[40:41], exec
	s_mov_b32 s35, s45
.LBB136_252:                            ;   in Loop: Header=BB136_21 Depth=1
	s_or_b64 exec, exec, s[26:27]
                                        ; implicit-def: $sgpr3
	s_and_saveexec_b64 s[8:9], s[30:31]
	s_xor_b64 s[14:15], exec, s[8:9]
	s_cbranch_execz .LBB136_19
.LBB136_253:                            ;   in Loop: Header=BB136_21 Depth=1
	s_and_b32 s3, s52, -9
	s_cmp_eq_u32 s3, 0
	s_cbranch_scc1 .LBB136_17
; %bb.254:                              ;   in Loop: Header=BB136_21 Depth=1
	s_mov_b64 s[18:19], -1
                                        ; implicit-def: $sgpr1
                                        ; implicit-def: $sgpr35
                                        ; implicit-def: $sgpr69
                                        ; implicit-def: $sgpr0
	s_mov_b64 s[26:27], -1
	s_branch .LBB136_18
.LBB136_255:
	s_or_b64 exec, exec, s[82:83]
	s_xor_b64 s[8:9], s[88:89], -1
	s_xor_b64 s[0:1], s[84:85], -1
	s_xor_b64 s[6:7], s[86:87], -1
	s_mov_b64 s[4:5], 0
	s_and_saveexec_b64 s[2:3], s[0:1]
	s_xor_b64 s[2:3], exec, s[2:3]
	s_cbranch_execnz .LBB136_260
; %bb.256:
	s_andn2_saveexec_b64 s[0:1], s[2:3]
	s_cbranch_execnz .LBB136_273
.LBB136_257:
	s_or_b64 exec, exec, s[0:1]
	s_and_saveexec_b64 s[0:1], s[4:5]
.LBB136_258:
	; divergent unreachable
.LBB136_259:
	s_endpgm
.LBB136_260:
	s_and_saveexec_b64 s[0:1], s[8:9]
	s_xor_b64 s[4:5], exec, s[0:1]
	s_cbranch_execz .LBB136_271
; %bb.261:
	s_and_saveexec_b64 s[0:1], s[6:7]
	s_xor_b64 s[6:7], exec, s[0:1]
; %bb.262:
	v_and_b32_e32 v1, 0x8000, v2
	v_mov_b32_e32 v3, 0x8000
	v_mov_b32_e32 v4, 0xffff
	v_cmp_eq_u32_e32 vcc, 0, v1
	v_cndmask_b32_e32 v1, v3, v4, vcc
	v_xor_b32_e32 v34, v1, v2
; %bb.263:
	s_or_b64 exec, exec, s[6:7]
	v_readlane_b32 s0, v52, 4
	v_readlane_b32 s1, v52, 10
	s_mul_i32 s0, s1, s0
	s_mov_b32 s1, 0
	s_lshl_b64 s[0:1], s[0:1], 1
	v_readlane_b32 s6, v52, 2
	v_readlane_b32 s7, v52, 3
	s_add_u32 s0, s6, s0
	s_addc_u32 s1, s7, s1
	v_mov_b32_e32 v7, 0
	global_store_short v7, v34, s[0:1]
	s_mov_b64 s[6:7], exec
	v_readlane_b32 s0, v52, 5
	v_readlane_b32 s1, v52, 6
	s_and_b64 s[0:1], s[6:7], s[0:1]
	s_mov_b64 exec, s[0:1]
	s_cbranch_execz .LBB136_270
; %bb.264:
	v_lshlrev_b32_e32 v1, 16, v34
	v_cmp_u_f32_e32 vcc, v1, v1
	s_mov_b64 s[8:9], 0
	v_mov_b32_e32 v3, s33
	s_xor_b64 s[12:13], vcc, -1
                                        ; implicit-def: $sgpr10_sgpr11
                                        ; implicit-def: $sgpr16_sgpr17
                                        ; implicit-def: $sgpr14_sgpr15
	s_branch .LBB136_266
.LBB136_265:                            ;   in Loop: Header=BB136_266 Depth=1
	s_or_b64 exec, exec, s[0:1]
	s_and_b64 s[0:1], exec, s[16:17]
	s_or_b64 s[8:9], s[0:1], s[8:9]
	s_andn2_b64 s[0:1], s[10:11], exec
	s_and_b64 s[10:11], s[14:15], exec
	s_or_b64 s[10:11], s[0:1], s[10:11]
	s_andn2_b64 exec, exec, s[8:9]
	s_cbranch_execz .LBB136_268
.LBB136_266:                            ; =>This Inner Loop Header: Depth=1
	v_lshlrev_b64 v[4:5], 1, v[6:7]
	v_add_co_u32_e32 v4, vcc, s57, v4
	v_addc_co_u32_e32 v5, vcc, v3, v5, vcc
	global_load_ushort v4, v[4:5], off
	v_mov_b32_e32 v2, v0
	s_or_b64 s[14:15], s[14:15], exec
	s_or_b64 s[16:17], s[16:17], exec
	s_waitcnt vmcnt(0)
	v_lshlrev_b32_e32 v0, 16, v4
	v_cmp_o_f32_e64 s[0:1], v0, v0
	v_cmp_neq_f32_e32 vcc, v0, v1
	s_or_b64 s[0:1], s[12:13], s[0:1]
	s_and_b64 s[18:19], vcc, s[0:1]
                                        ; implicit-def: $vgpr0
	s_and_saveexec_b64 s[0:1], s[18:19]
	s_cbranch_execz .LBB136_265
; %bb.267:                              ;   in Loop: Header=BB136_266 Depth=1
	v_add_u32_e32 v0, s59, v2
	v_cmp_le_u32_e32 vcc, s56, v0
	s_andn2_b64 s[16:17], s[16:17], exec
	s_and_b64 s[18:19], vcc, exec
	v_add_u32_e32 v6, s78, v6
	s_andn2_b64 s[14:15], s[14:15], exec
	s_or_b64 s[16:17], s[16:17], s[18:19]
	s_branch .LBB136_265
.LBB136_268:
	s_or_b64 exec, exec, s[8:9]
	s_and_saveexec_b64 s[0:1], s[10:11]
	s_xor_b64 s[0:1], exec, s[0:1]
	s_cbranch_execz .LBB136_270
; %bb.269:
	v_readlane_b32 s0, v52, 4
	v_readlane_b32 s1, v52, 9
	s_mul_i32 s0, s1, s0
	s_mov_b32 s1, 0
	s_lshl_b64 s[0:1], s[0:1], 3
	v_readlane_b32 s8, v52, 0
	v_readlane_b32 s9, v52, 1
	s_add_u32 s0, s8, s0
	s_addc_u32 s1, s9, s1
	v_mov_b32_e32 v3, 0
	global_store_dwordx2 v3, v[2:3], s[0:1]
.LBB136_270:
	s_or_b64 exec, exec, s[6:7]
.LBB136_271:
	s_or_saveexec_b64 s[0:1], s[4:5]
	s_mov_b64 s[4:5], 0
	s_xor_b64 exec, exec, s[0:1]
	s_cbranch_execnz .LBB136_274
.LBB136_272:
	s_or_b64 exec, exec, s[0:1]
	s_and_b64 s[4:5], s[4:5], exec
	s_andn2_saveexec_b64 s[0:1], s[2:3]
	s_cbranch_execz .LBB136_257
.LBB136_273:
	s_or_b64 s[4:5], s[4:5], exec
	s_trap 2
	s_or_b64 exec, exec, s[0:1]
	s_and_saveexec_b64 s[0:1], s[4:5]
	s_cbranch_execnz .LBB136_258
	s_branch .LBB136_259
.LBB136_274:
	s_mov_b64 s[4:5], exec
	s_trap 2
	s_branch .LBB136_272
	.section	.rodata,"a",@progbits
	.p2align	6, 0x0
	.amdhsa_kernel _ZN2at6native12_GLOBAL__N_112gatherMedianIN3c108BFloat16EjLi1EEEvNS_4cuda6detail10TensorInfoIT_T0_EENS7_IlS9_EENS7_IKS8_S9_EES9_S9_S9_b
		.amdhsa_group_segment_fixed_size 4120
		.amdhsa_private_segment_fixed_size 0
		.amdhsa_kernarg_size 920
		.amdhsa_user_sgpr_count 6
		.amdhsa_user_sgpr_private_segment_buffer 1
		.amdhsa_user_sgpr_dispatch_ptr 0
		.amdhsa_user_sgpr_queue_ptr 0
		.amdhsa_user_sgpr_kernarg_segment_ptr 1
		.amdhsa_user_sgpr_dispatch_id 0
		.amdhsa_user_sgpr_flat_scratch_init 0
		.amdhsa_user_sgpr_kernarg_preload_length 0
		.amdhsa_user_sgpr_kernarg_preload_offset 0
		.amdhsa_user_sgpr_private_segment_size 0
		.amdhsa_uses_dynamic_stack 0
		.amdhsa_system_sgpr_private_segment_wavefront_offset 0
		.amdhsa_system_sgpr_workgroup_id_x 1
		.amdhsa_system_sgpr_workgroup_id_y 1
		.amdhsa_system_sgpr_workgroup_id_z 1
		.amdhsa_system_sgpr_workgroup_info 0
		.amdhsa_system_vgpr_workitem_id 0
		.amdhsa_next_free_vgpr 53
		.amdhsa_next_free_sgpr 96
		.amdhsa_accum_offset 56
		.amdhsa_reserve_vcc 1
		.amdhsa_reserve_flat_scratch 0
		.amdhsa_float_round_mode_32 0
		.amdhsa_float_round_mode_16_64 0
		.amdhsa_float_denorm_mode_32 3
		.amdhsa_float_denorm_mode_16_64 3
		.amdhsa_dx10_clamp 1
		.amdhsa_ieee_mode 1
		.amdhsa_fp16_overflow 0
		.amdhsa_tg_split 0
		.amdhsa_exception_fp_ieee_invalid_op 0
		.amdhsa_exception_fp_denorm_src 0
		.amdhsa_exception_fp_ieee_div_zero 0
		.amdhsa_exception_fp_ieee_overflow 0
		.amdhsa_exception_fp_ieee_underflow 0
		.amdhsa_exception_fp_ieee_inexact 0
		.amdhsa_exception_int_div_zero 0
	.end_amdhsa_kernel
	.section	.text._ZN2at6native12_GLOBAL__N_112gatherMedianIN3c108BFloat16EjLi1EEEvNS_4cuda6detail10TensorInfoIT_T0_EENS7_IlS9_EENS7_IKS8_S9_EES9_S9_S9_b,"axG",@progbits,_ZN2at6native12_GLOBAL__N_112gatherMedianIN3c108BFloat16EjLi1EEEvNS_4cuda6detail10TensorInfoIT_T0_EENS7_IlS9_EENS7_IKS8_S9_EES9_S9_S9_b,comdat
.Lfunc_end136:
	.size	_ZN2at6native12_GLOBAL__N_112gatherMedianIN3c108BFloat16EjLi1EEEvNS_4cuda6detail10TensorInfoIT_T0_EENS7_IlS9_EENS7_IKS8_S9_EES9_S9_S9_b, .Lfunc_end136-_ZN2at6native12_GLOBAL__N_112gatherMedianIN3c108BFloat16EjLi1EEEvNS_4cuda6detail10TensorInfoIT_T0_EENS7_IlS9_EENS7_IKS8_S9_EES9_S9_S9_b
                                        ; -- End function
	.section	.AMDGPU.csdata,"",@progbits
; Kernel info:
; codeLenInByte = 10672
; NumSgprs: 100
; NumVgprs: 53
; NumAgprs: 0
; TotalNumVgprs: 53
; ScratchSize: 0
; MemoryBound: 0
; FloatMode: 240
; IeeeMode: 1
; LDSByteSize: 4120 bytes/workgroup (compile time only)
; SGPRBlocks: 12
; VGPRBlocks: 6
; NumSGPRsForWavesPerEU: 100
; NumVGPRsForWavesPerEU: 53
; AccumOffset: 56
; Occupancy: 8
; WaveLimiterHint : 1
; COMPUTE_PGM_RSRC2:SCRATCH_EN: 0
; COMPUTE_PGM_RSRC2:USER_SGPR: 6
; COMPUTE_PGM_RSRC2:TRAP_HANDLER: 0
; COMPUTE_PGM_RSRC2:TGID_X_EN: 1
; COMPUTE_PGM_RSRC2:TGID_Y_EN: 1
; COMPUTE_PGM_RSRC2:TGID_Z_EN: 1
; COMPUTE_PGM_RSRC2:TIDIG_COMP_CNT: 0
; COMPUTE_PGM_RSRC3_GFX90A:ACCUM_OFFSET: 13
; COMPUTE_PGM_RSRC3_GFX90A:TG_SPLIT: 0
	.section	.text._ZN2at6native12_GLOBAL__N_112gatherMedianIN3c108BFloat16EjLi2EEEvNS_4cuda6detail10TensorInfoIT_T0_EENS7_IlS9_EENS7_IKS8_S9_EES9_S9_S9_b,"axG",@progbits,_ZN2at6native12_GLOBAL__N_112gatherMedianIN3c108BFloat16EjLi2EEEvNS_4cuda6detail10TensorInfoIT_T0_EENS7_IlS9_EENS7_IKS8_S9_EES9_S9_S9_b,comdat
	.globl	_ZN2at6native12_GLOBAL__N_112gatherMedianIN3c108BFloat16EjLi2EEEvNS_4cuda6detail10TensorInfoIT_T0_EENS7_IlS9_EENS7_IKS8_S9_EES9_S9_S9_b ; -- Begin function _ZN2at6native12_GLOBAL__N_112gatherMedianIN3c108BFloat16EjLi2EEEvNS_4cuda6detail10TensorInfoIT_T0_EENS7_IlS9_EENS7_IKS8_S9_EES9_S9_S9_b
	.p2align	8
	.type	_ZN2at6native12_GLOBAL__N_112gatherMedianIN3c108BFloat16EjLi2EEEvNS_4cuda6detail10TensorInfoIT_T0_EENS7_IlS9_EENS7_IKS8_S9_EES9_S9_S9_b,@function
_ZN2at6native12_GLOBAL__N_112gatherMedianIN3c108BFloat16EjLi2EEEvNS_4cuda6detail10TensorInfoIT_T0_EENS7_IlS9_EENS7_IKS8_S9_EES9_S9_S9_b: ; @_ZN2at6native12_GLOBAL__N_112gatherMedianIN3c108BFloat16EjLi2EEEvNS_4cuda6detail10TensorInfoIT_T0_EENS7_IlS9_EENS7_IKS8_S9_EES9_S9_S9_b
; %bb.0:
	s_load_dwordx2 s[12:13], s[4:5], 0x298
	s_load_dwordx4 s[56:59], s[4:5], 0x288
	s_add_u32 s10, s4, 0x298
	s_addc_u32 s11, s5, 0
	s_waitcnt lgkmcnt(0)
	s_mul_i32 s0, s13, s8
	s_add_i32 s0, s0, s7
	s_mul_i32 s0, s0, s12
	s_add_i32 s14, s0, s6
	s_cmp_ge_u32 s14, s57
	s_cbranch_scc1 .LBB137_259
; %bb.1:
	s_load_dword s8, s[4:5], 0xc
	s_load_dword s9, s[4:5], 0xe4
	;; [unrolled: 1-line block ×3, first 2 shown]
	s_load_dwordx2 s[0:1], s[4:5], 0x1b0
	s_load_dwordx2 s[2:3], s[4:5], 0x144
                                        ; implicit-def: $vgpr52 : SGPR spill to VGPR lane
	s_waitcnt lgkmcnt(0)
	v_cvt_f32_u32_e32 v1, s8
	v_cvt_f32_u32_e32 v2, s9
                                        ; kill: killed $sgpr4 killed $sgpr5
	v_mul_lo_u32 v6, v0, s58
	v_writelane_b32 v52, s2, 0
	v_writelane_b32 v52, s3, 1
	s_load_dwordx2 s[2:3], s[4:5], 0xd8
	v_rcp_iflag_f32_e32 v1, v1
	v_rcp_iflag_f32_e32 v2, v2
	v_mul_f32_e32 v1, 0x4f7ffffe, v1
	s_waitcnt lgkmcnt(0)
	v_writelane_b32 v52, s2, 2
	v_writelane_b32 v52, s3, 3
	s_load_dwordx2 s[2:3], s[4:5], 0x6c
	v_cvt_u32_f32_e32 v1, v1
	v_mul_f32_e32 v2, 0x4f7ffffe, v2
	v_cvt_u32_f32_e32 v2, v2
	s_waitcnt lgkmcnt(0)
	v_writelane_b32 v52, s2, 4
	v_writelane_b32 v52, s3, 5
	s_load_dwordx2 s[2:3], s[4:5], 0x0
	s_waitcnt lgkmcnt(0)
	v_writelane_b32 v52, s2, 6
	v_writelane_b32 v52, s3, 7
	s_load_dwordx2 s[2:3], s[4:5], 0x21c
	v_writelane_b32 v52, s8, 8
	s_sub_i32 s4, 0, s8
	v_readfirstlane_b32 s8, v1
	v_cvt_f32_u32_e32 v1, s7
	s_mul_i32 s4, s4, s8
	s_mul_hi_u32 s4, s8, s4
	s_add_i32 s8, s8, s4
	v_rcp_iflag_f32_e32 v1, v1
	s_mul_hi_u32 s4, s14, s8
	v_writelane_b32 v52, s4, 9
	s_sub_i32 s4, 0, s9
	v_readfirstlane_b32 s8, v2
	v_mul_f32_e32 v1, 0x4f7ffffe, v1
	s_mul_i32 s4, s4, s8
	v_cvt_u32_f32_e32 v1, v1
	s_mul_hi_u32 s4, s8, s4
	s_add_i32 s8, s8, s4
	v_writelane_b32 v52, s9, 10
	s_mul_hi_u32 s4, s14, s8
	v_writelane_b32 v52, s4, 11
	s_sub_i32 s4, 0, s7
	v_readfirstlane_b32 s8, v1
	s_mul_i32 s4, s4, s8
	s_mul_hi_u32 s4, s8, s4
	s_add_i32 s8, s8, s4
	s_mul_hi_u32 s4, s14, s8
	s_mul_i32 s8, s4, s7
	s_sub_i32 s8, s14, s8
	s_add_i32 s9, s4, 1
	s_sub_i32 s13, s8, s7
	s_cmp_ge_u32 s8, s7
	s_cselect_b32 s4, s9, s4
	s_cselect_b32 s8, s13, s8
	s_add_i32 s9, s4, 1
	s_cmp_ge_u32 s8, s7
	s_cselect_b32 s4, s9, s4
	s_mul_i32 s7, s4, s7
	s_sub_i32 s7, s14, s7
	s_waitcnt lgkmcnt(0)
	s_mul_i32 s7, s7, s3
	s_mul_i32 s2, s4, s2
	s_mov_b32 s5, 0
	s_add_i32 s4, s2, s7
	s_lshl_b64 s[2:3], s[4:5], 1
	s_add_u32 s57, s0, s2
	s_addc_u32 s82, s1, s3
	v_mov_b32_e32 v2, 0
	v_writelane_b32 v52, s14, 12
	v_cmp_gt_u32_e64 s[0:1], s56, v0
	s_mov_b64 s[2:3], exec
	v_writelane_b32 v52, s0, 13
	v_writelane_b32 v52, s1, 14
	s_and_b64 s[0:1], s[2:3], s[0:1]
	s_mov_b64 exec, s[0:1]
	s_cbranch_execz .LBB137_5
; %bb.2:
	s_load_dword s0, s[10:11], 0xc
	v_mov_b32_e32 v5, 0
	v_mul_lo_u32 v4, v0, s58
	s_mov_b64 s[4:5], 0
	v_mov_b32_e32 v1, s82
	s_waitcnt lgkmcnt(0)
	s_and_b32 s0, s0, 0xffff
	s_mul_i32 s1, s58, s0
	v_mov_b32_e32 v2, v5
	v_mov_b32_e32 v3, v0
.LBB137_3:                              ; =>This Inner Loop Header: Depth=1
	v_lshlrev_b64 v[8:9], 1, v[4:5]
	v_add_co_u32_e32 v8, vcc, s57, v8
	v_addc_co_u32_e32 v9, vcc, v1, v9, vcc
	global_load_ushort v7, v[8:9], off
	v_add_u32_e32 v3, s0, v3
	v_cmp_le_u32_e32 vcc, s56, v3
	s_or_b64 s[4:5], vcc, s[4:5]
	v_add_u32_e32 v4, s1, v4
	s_waitcnt vmcnt(0)
	v_lshlrev_b32_e32 v7, 16, v7
	v_cmp_u_f32_e32 vcc, v7, v7
	v_addc_co_u32_e32 v2, vcc, 0, v2, vcc
	s_andn2_b64 exec, exec, s[4:5]
	s_cbranch_execnz .LBB137_3
; %bb.4:
	s_or_b64 exec, exec, s[4:5]
.LBB137_5:
	s_or_b64 exec, exec, s[2:3]
	v_cmp_eq_u32_e64 s[0:1], 0, v0
	s_mov_b64 s[4:5], exec
	v_writelane_b32 v52, s0, 15
	v_writelane_b32 v52, s1, 16
	s_and_b64 s[0:1], s[4:5], s[0:1]
	s_mov_b64 exec, s[0:1]
	s_cbranch_execz .LBB137_7
; %bb.6:
	v_mov_b32_e32 v4, 0
	v_mov_b32_e32 v5, v4
	ds_write_b64 v4, v[4:5] offset:4096
.LBB137_7:
	s_or_b64 exec, exec, s[4:5]
	v_cmp_ne_u32_e32 vcc, 0, v2
	s_waitcnt lgkmcnt(0)
	s_barrier
	s_and_saveexec_b64 s[4:5], vcc
	s_cbranch_execz .LBB137_12
; %bb.8:
	s_mov_b64 s[14:15], exec
	v_mov_b32_e32 v1, 0
	s_mov_b64 s[8:9], 0
.LBB137_9:                              ; =>This Inner Loop Header: Depth=1
	s_ff1_i32_b64 s0, s[14:15]
	v_readlane_b32 s2, v2, s0
	v_readlane_b32 s1, v1, s0
	s_add_u32 s8, s8, s2
	s_addc_u32 s9, s9, s1
	s_lshl_b64 s[0:1], 1, s0
	s_andn2_b64 s[14:15], s[14:15], s[0:1]
	s_cmp_lg_u64 s[14:15], 0
	s_cbranch_scc1 .LBB137_9
; %bb.10:
	v_mbcnt_lo_u32_b32 v1, exec_lo, 0
	v_mbcnt_hi_u32_b32 v1, exec_hi, v1
	v_cmp_eq_u32_e32 vcc, 0, v1
	s_and_saveexec_b64 s[0:1], vcc
	s_xor_b64 s[0:1], exec, s[0:1]
	s_cbranch_execz .LBB137_12
; %bb.11:
	v_mov_b32_e32 v1, 0
	v_pk_mov_b32 v[2:3], s[8:9], s[8:9] op_sel:[0,1]
	ds_add_u64 v1, v[2:3] offset:4096
.LBB137_12:
	s_or_b64 exec, exec, s[4:5]
	v_mov_b32_e32 v1, 0
	s_waitcnt lgkmcnt(0)
	s_barrier
	ds_read_b64 v[2:3], v1 offset:4096
	s_bitcmp1_b32 s59, 0
	s_cselect_b64 s[0:1], -1, 0
	s_mov_b32 s3, s56
	s_waitcnt lgkmcnt(0)
	v_cmp_gt_i64_e32 vcc, 1, v[2:3]
	s_or_b64 s[0:1], s[0:1], vcc
	s_andn2_b64 vcc, exec, s[0:1]
	s_cbranch_vccnz .LBB137_14
; %bb.13:
	v_not_b32_e32 v1, v2
	v_not_b32_e32 v2, v3
	v_add_co_u32_e32 v1, vcc, s56, v1
	v_addc_co_u32_e32 v2, vcc, 0, v2, vcc
	v_lshrrev_b32_e32 v3, 31, v2
	v_add_co_u32_e32 v1, vcc, v1, v3
	v_addc_co_u32_e32 v2, vcc, 0, v2, vcc
	v_alignbit_b32 v1, v2, v1, 1
	v_readfirstlane_b32 s0, v1
	s_add_i32 s3, s0, 1
.LBB137_14:
	s_mov_b64 s[4:5], exec
	v_readlane_b32 s0, v52, 15
	v_readlane_b32 s1, v52, 16
	s_and_b64 s[0:1], s[4:5], s[0:1]
	s_mov_b64 exec, s[0:1]
	s_cbranch_execz .LBB137_16
; %bb.15:
	v_mov_b32_e32 v2, 0
	v_mov_b32_e32 v3, s56
	ds_write_b32 v2, v2 offset:4112
	ds_write_b64 v2, v[2:3] offset:4104
.LBB137_16:
	s_or_b64 exec, exec, s[4:5]
	s_waitcnt lgkmcnt(0)
	s_barrier
	s_load_dword s0, s[10:11], 0xc
	v_mbcnt_lo_u32_b32 v1, -1, 0
	v_mbcnt_hi_u32_b32 v13, -1, v1
	v_cmp_gt_u32_e32 vcc, 64, v0
	v_cmp_gt_i32_e64 s[4:5], 4, v13
	s_waitcnt lgkmcnt(0)
	s_and_b32 s59, s0, 0xffff
	s_bfe_u32 s8, s0, 0xa0006
	s_add_i32 s0, s59, -1
	s_lshl_b32 s85, s59, 2
	s_and_b64 s[70:71], vcc, s[4:5]
	v_writelane_b32 v52, s0, 17
	s_add_i32 s0, s0, s56
	s_cmpk_gt_u32 s56, 0x600
	s_cselect_b64 s[4:5], -1, 0
	v_mov_b32_e32 v9, 0
	v_writelane_b32 v52, s4, 18
	s_cmp_gt_u32 s59, 63
	v_writelane_b32 v52, s5, 19
	s_cselect_b64 s[4:5], -1, 0
	s_cmp_lt_u32 s6, s12
	v_mov_b32_e32 v7, v9
	v_writelane_b32 v52, s4, 20
	s_cselect_b32 s1, 12, 18
	v_lshlrev_b64 v[2:3], 1, v[6:7]
	v_writelane_b32 v52, s5, 21
	s_add_u32 s4, s10, s1
	v_mov_b32_e32 v7, s82
	v_add_co_u32_e32 v10, vcc, s57, v2
	s_addc_u32 s5, s11, 0
	s_add_i32 s1, s8, -2
	v_addc_co_u32_e32 v11, vcc, v7, v3, vcc
	v_lshlrev_b64 v[2:3], v13, -1
	s_lshr_b32 s2, s1, 1
	v_not_b32_e32 v12, v2
	v_cvt_f32_u32_e32 v2, s85
	s_add_i32 s2, s2, 1
	v_writelane_b32 v52, s4, 22
	s_cmpk_gt_u32 s59, 0x7f
	v_writelane_b32 v52, s5, 23
	s_cselect_b64 s[4:5], -1, 0
	s_and_b32 s9, s8, 0x3fe
	s_and_b32 s10, s2, 7
	v_writelane_b32 v52, s4, 24
	s_cmp_gt_u32 s1, 13
	v_rcp_iflag_f32_e32 v2, v2
	v_writelane_b32 v52, s5, 25
	s_cselect_b64 s[12:13], -1, 0
	v_writelane_b32 v52, s12, 26
	v_writelane_b32 v52, s13, 27
	s_and_b32 s1, s2, -8
	v_writelane_b32 v52, s1, 28
	s_cmp_lg_u32 s10, 0
	v_mul_f32_e32 v2, 0x4f7ffffe, v2
	v_writelane_b32 v52, s10, 29
	s_cselect_b64 s[10:11], -1, 0
	v_cvt_u32_f32_e32 v2, v2
	v_writelane_b32 v52, s10, 30
	v_writelane_b32 v52, s11, 31
	v_writelane_b32 v52, s8, 32
	s_cmp_lg_u32 s9, s8
	v_writelane_b32 v52, s9, 33
	s_cselect_b64 s[8:9], -1, 0
	s_sub_i32 s1, 0, s85
	v_readfirstlane_b32 s2, v2
	s_mul_i32 s1, s1, s2
	s_mul_hi_u32 s1, s2, s1
	s_add_i32 s33, s2, s1
	v_cvt_f32_u32_e32 v2, s59
	s_mul_hi_u32 s1, s56, s33
	s_mul_i32 s1, s1, s85
	s_sub_i32 s1, s56, s1
	s_sub_i32 s2, s1, s85
	v_rcp_iflag_f32_e32 v5, v2
	s_cmp_ge_u32 s1, s85
	s_cselect_b32 s1, s2, s1
	s_sub_i32 s2, s1, s85
	s_cmp_ge_u32 s1, s85
	v_mul_f32_e32 v5, 0x4f7ffffe, v5
	s_cselect_b32 s1, s2, s1
	v_cvt_u32_f32_e32 v5, v5
	v_lshlrev_b32_e32 v16, 2, v0
	v_writelane_b32 v52, s8, 34
	s_sub_i32 s76, s56, s1
	v_writelane_b32 v52, s9, 35
	v_cmp_gt_u32_e64 s[8:9], s76, v16
	v_writelane_b32 v52, s8, 36
	v_writelane_b32 v52, s9, 37
	s_sub_i32 s2, 0, s59
	v_readfirstlane_b32 s8, v5
	s_mul_i32 s2, s2, s8
	s_mul_hi_u32 s2, s8, s2
	s_add_i32 s2, s8, s2
	v_writelane_b32 v52, s2, 38
	s_mul_hi_u32 s2, s0, s2
	s_mul_i32 s2, s2, s59
	s_sub_i32 s2, s0, s2
	s_sub_i32 s8, s2, s59
	v_add_u32_e32 v21, s76, v0
	s_cmp_ge_u32 s2, s59
	v_lshrrev_b32_e32 v1, 4, v0
	v_mul_lo_u32 v8, v21, s58
	s_cselect_b32 s2, s8, s2
	v_and_b32_e32 v19, 60, v1
	v_not_b32_e32 v1, v3
	v_lshlrev_b64 v[2:3], 1, v[8:9]
	s_sub_i32 s8, s2, s59
	v_add_co_u32_e32 v14, vcc, s57, v2
	s_cmp_ge_u32 s2, s59
	v_mul_lo_u32 v2, s58, v16
	s_cselect_b32 s2, s8, s2
	v_add_u32_e32 v22, s58, v2
	v_or_b32_e32 v2, 2, v16
	s_sub_i32 s78, s0, s2
	v_mul_lo_u32 v23, s58, v2
	v_or_b32_e32 v2, 3, v16
	s_add_i32 s0, s59, s56
	v_mul_lo_u32 v24, s58, v2
	v_add_u32_e32 v2, s0, v0
	v_lshlrev_b32_e32 v17, 1, v0
	v_lshlrev_b32_e32 v4, 2, v13
	v_mov_b32_e32 v8, s82
	v_cmp_gt_u32_e64 s[8:9], s78, v0
	s_mul_i32 s83, s58, s59
	v_subrev_u32_e32 v2, s1, v2
	s_mov_b32 s68, 0
	v_cmp_eq_u32_e64 s[4:5], 0, v13
	v_cmp_gt_u32_e64 s[6:7], 2, v0
	v_add_u32_e32 v18, 0xc00, v17
	v_and_b32_e32 v20, 0x100, v4
	v_cmp_gt_u32_e64 s[10:11], s56, v21
	v_addc_co_u32_e32 v15, vcc, v8, v3, vcc
	v_writelane_b32 v52, s8, 39
	s_lshl_b32 s79, s83, 2
	v_lshlrev_b32_e32 v25, 2, v6
	v_mul_lo_u32 v26, s58, v2
	v_lshlrev_b32_e32 v27, 3, v0
	s_lshl_b32 s12, s59, 3
	s_lshl_b32 s13, s59, 1
	v_or_b32_e32 v28, 0xc00, v4
	s_mov_b32 s73, 14
	s_mov_b64 s[86:87], 0
	s_movk_i32 s72, 0x3f80
	v_mov_b32_e32 v29, 0xffff
	v_mov_b32_e32 v30, 0x8000
	v_mov_b32_e32 v31, -1
	v_mov_b32_e32 v32, 0xc00
	v_mov_b32_e32 v33, 0x5040100
	;; [unrolled: 1-line block ×3, first 2 shown]
	s_mov_b32 s0, 0
	s_mov_b32 s2, 0
	;; [unrolled: 1-line block ×3, first 2 shown]
	v_writelane_b32 v52, s9, 40
                                        ; implicit-def: $sgpr88_sgpr89
                                        ; implicit-def: $sgpr92_sgpr93
                                        ; implicit-def: $sgpr90_sgpr91
                                        ; implicit-def: $sgpr94_sgpr95
                                        ; implicit-def: $sgpr60_sgpr61
                                        ; implicit-def: $sgpr62_sgpr63
	s_branch .LBB137_21
.LBB137_17:                             ;   in Loop: Header=BB137_21 Depth=1
	s_xor_b32 s0, s0, 1
	s_add_i32 s3, s73, -2
	s_cmp_eq_u32 s73, 0
	s_mov_b64 s[18:19], 0
	s_cselect_b64 s[26:27], -1, 0
	s_mov_b32 s73, s3
.LBB137_18:                             ;   in Loop: Header=BB137_21 Depth=1
	s_andn2_b64 s[8:9], s[22:23], exec
	s_and_b64 s[18:19], s[18:19], exec
	s_or_b64 s[22:23], s[8:9], s[18:19]
	s_andn2_b64 s[24:25], s[24:25], exec
	s_andn2_b64 s[20:21], s[20:21], exec
	s_orn2_b64 s[18:19], s[26:27], exec
	s_mov_b32 s3, s35
.LBB137_19:                             ;   in Loop: Header=BB137_21 Depth=1
	s_or_b64 exec, exec, s[14:15]
	s_andn2_b64 s[8:9], s[62:63], exec
	s_and_b64 s[14:15], s[22:23], exec
	s_or_b64 s[62:63], s[8:9], s[14:15]
	s_andn2_b64 s[8:9], s[60:61], exec
	s_and_b64 s[14:15], s[24:25], exec
	s_or_b64 s[60:61], s[8:9], s[14:15]
	;; [unrolled: 3-line block ×3, first 2 shown]
	s_orn2_b64 s[18:19], s[18:19], exec
.LBB137_20:                             ;   in Loop: Header=BB137_21 Depth=1
	s_or_b64 exec, exec, s[16:17]
	s_and_b64 s[8:9], exec, s[18:19]
	s_or_b64 s[86:87], s[8:9], s[86:87]
	s_andn2_b64 s[8:9], s[90:91], exec
	s_and_b64 s[14:15], s[62:63], exec
	s_or_b64 s[90:91], s[8:9], s[14:15]
	s_andn2_b64 s[8:9], s[92:93], exec
	s_and_b64 s[14:15], s[60:61], exec
	;; [unrolled: 3-line block ×3, first 2 shown]
	v_mov_b32_e32 v2, s2
	s_or_b64 s[88:89], s[8:9], s[14:15]
	s_andn2_b64 exec, exec, s[86:87]
	s_cbranch_execz .LBB137_255
.LBB137_21:                             ; =>This Loop Header: Depth=1
                                        ;     Child Loop BB137_26 Depth 2
                                        ;     Child Loop BB137_44 Depth 2
	;; [unrolled: 1-line block ×17, first 2 shown]
	ds_read_b64 v[2:3], v9 offset:4104
	s_waitcnt lgkmcnt(0)
	v_readfirstlane_b32 s69, v2
	s_cmp_lg_u32 s69, 0
	s_cbranch_scc1 .LBB137_51
; %bb.22:                               ;   in Loop: Header=BB137_21 Depth=1
	v_readlane_b32 s8, v52, 18
	v_readlane_b32 s9, v52, 19
	s_and_b64 vcc, exec, s[8:9]
	s_cbranch_vccz .LBB137_34
; %bb.23:                               ;   in Loop: Header=BB137_21 Depth=1
	s_movk_i32 s8, 0x601
	v_cmp_gt_u32_e32 vcc, s8, v3
	s_mov_b64 s[18:19], 0
	s_mov_b64 s[14:15], 0
	s_cbranch_vccz .LBB137_35
; %bb.24:                               ;   in Loop: Header=BB137_21 Depth=1
	v_readlane_b32 s8, v52, 22
	v_readlane_b32 s9, v52, 23
	s_nop 4
	global_load_ushort v2, v9, s[8:9]
	global_load_ushort v4, v[10:11], off
	s_mov_b64 s[20:21], 0
	s_waitcnt vmcnt(1)
	v_add_u32_e32 v5, v0, v2
	v_mul_lo_u32 v3, s58, v2
	v_mul_lo_u32 v8, s58, v5
	v_mov_b32_e32 v5, v0
	s_branch .LBB137_26
.LBB137_25:                             ;   in Loop: Header=BB137_26 Depth=2
	s_or_b64 exec, exec, s[16:17]
	v_add_u32_e32 v8, v8, v3
	v_mov_b32_e32 v4, v35
	s_andn2_b64 exec, exec, s[20:21]
	s_cbranch_execz .LBB137_36
.LBB137_26:                             ;   Parent Loop BB137_21 Depth=1
                                        ; =>  This Inner Loop Header: Depth=2
	v_add_u32_e32 v5, v5, v2
	v_cmp_gt_u32_e64 s[14:15], s56, v5
	v_cmp_le_u32_e32 vcc, s56, v5
	s_waitcnt lgkmcnt(0)
	v_mov_b32_e32 v36, 0
	v_mov_b32_e32 v35, 0
	s_and_saveexec_b64 s[16:17], s[14:15]
	s_cbranch_execz .LBB137_28
; %bb.27:                               ;   in Loop: Header=BB137_26 Depth=2
	v_lshlrev_b64 v[38:39], 1, v[8:9]
	v_add_co_u32_e64 v38, s[14:15], s57, v38
	v_addc_co_u32_e64 v39, s[14:15], v7, v39, s[14:15]
	global_load_ushort v35, v[38:39], off
.LBB137_28:                             ;   in Loop: Header=BB137_26 Depth=2
	s_or_b64 exec, exec, s[16:17]
	s_waitcnt vmcnt(0)
	v_cmp_lt_i16_e64 s[14:15], -1, v4
	v_cndmask_b32_e64 v37, v29, v30, s[14:15]
	v_lshlrev_b32_e32 v38, 16, v4
	v_xor_b32_sdwa v37, v37, v4 dst_sel:DWORD dst_unused:UNUSED_PAD src0_sel:DWORD src1_sel:WORD_0
	v_cmp_o_f32_e64 s[14:15], v38, v38
	v_cndmask_b32_e64 v37, v29, v37, s[14:15]
	v_and_b32_e32 v37, s1, v37
	v_cmp_eq_u32_e64 s[14:15], s2, v37
	s_cmp_lg_u64 s[14:15], 0
	s_cselect_b64 s[8:9], -1, 0
	s_and_b64 s[8:9], s[4:5], s[8:9]
	s_and_saveexec_b64 s[22:23], s[8:9]
	s_cbranch_execz .LBB137_32
; %bb.29:                               ;   in Loop: Header=BB137_26 Depth=2
	s_mov_b64 s[26:27], exec
	v_mbcnt_lo_u32_b32 v36, s26, 0
	v_mbcnt_hi_u32_b32 v36, s27, v36
	s_bcnt1_i32_b64 s8, s[14:15]
	v_cmp_eq_u32_e64 s[16:17], 0, v36
                                        ; implicit-def: $vgpr37
	s_and_saveexec_b64 s[24:25], s[16:17]
	s_cbranch_execz .LBB137_31
; %bb.30:                               ;   in Loop: Header=BB137_26 Depth=2
	s_bcnt1_i32_b64 s9, s[26:27]
	s_mul_i32 s9, s8, s9
	v_mov_b32_e32 v37, s9
	ds_add_rtn_u32 v37, v9, v37 offset:4112
.LBB137_31:                             ;   in Loop: Header=BB137_26 Depth=2
	s_or_b64 exec, exec, s[24:25]
	s_waitcnt lgkmcnt(0)
	v_readfirstlane_b32 s9, v37
	v_mov_b32_e32 v37, s9
	v_mad_u32_u24 v36, s8, v36, v37
.LBB137_32:                             ;   in Loop: Header=BB137_26 Depth=2
	s_or_b64 exec, exec, s[22:23]
	ds_bpermute_b32 v36, v20, v36
	s_and_b64 s[8:9], exec, vcc
	s_or_b64 s[20:21], s[8:9], s[20:21]
	s_and_saveexec_b64 s[16:17], s[14:15]
	s_cbranch_execz .LBB137_25
; %bb.33:                               ;   in Loop: Header=BB137_26 Depth=2
	v_and_b32_e32 v38, s14, v12
	v_and_b32_e32 v37, s15, v1
	v_bcnt_u32_b32 v38, v38, 0
	v_bcnt_u32_b32 v37, v37, v38
	v_lshlrev_b32_e32 v37, 1, v37
	s_waitcnt lgkmcnt(0)
	v_lshl_add_u32 v36, v36, 1, v37
	ds_write_b16 v36, v4
	s_branch .LBB137_25
.LBB137_34:                             ;   in Loop: Header=BB137_21 Depth=1
	s_mov_b64 s[14:15], 0
                                        ; implicit-def: $sgpr69
	s_cbranch_execnz .LBB137_39
	s_branch .LBB137_49
.LBB137_35:                             ;   in Loop: Header=BB137_21 Depth=1
	s_mov_b32 s69, 0
	s_and_b64 vcc, exec, s[18:19]
	s_cbranch_vccnz .LBB137_39
	s_branch .LBB137_49
.LBB137_36:                             ;   in Loop: Header=BB137_21 Depth=1
	s_or_b64 exec, exec, s[20:21]
	s_waitcnt lgkmcnt(0)
	s_barrier
	s_mov_b64 s[14:15], exec
	v_readlane_b32 s8, v52, 15
	v_readlane_b32 s9, v52, 16
	s_and_b64 s[8:9], s[14:15], s[8:9]
	s_mov_b64 exec, s[8:9]
	s_cbranch_execz .LBB137_38
; %bb.37:                               ;   in Loop: Header=BB137_21 Depth=1
	ds_read_b32 v2, v9 offset:4112
	s_waitcnt lgkmcnt(0)
	ds_write_b32 v9, v2 offset:4104
.LBB137_38:                             ;   in Loop: Header=BB137_21 Depth=1
	s_or_b64 exec, exec, s[14:15]
	s_waitcnt lgkmcnt(0)
	s_barrier
	s_mov_b64 s[14:15], -1
	s_mov_b32 s69, 0
	s_and_b64 vcc, exec, s[18:19]
	s_cbranch_vccz .LBB137_49
.LBB137_39:                             ;   in Loop: Header=BB137_21 Depth=1
	v_mov_b32_e32 v2, 0
	s_mov_b64 s[14:15], exec
	v_readlane_b32 s8, v52, 13
	v_readlane_b32 s9, v52, 14
	s_and_b64 s[8:9], s[14:15], s[8:9]
	s_mov_b64 exec, s[8:9]
	s_cbranch_execz .LBB137_41
; %bb.40:                               ;   in Loop: Header=BB137_21 Depth=1
	global_load_ushort v2, v[10:11], off
.LBB137_41:                             ;   in Loop: Header=BB137_21 Depth=1
	s_or_b64 exec, exec, s[14:15]
	s_mov_b64 s[16:17], exec
	v_readlane_b32 s8, v52, 13
	v_readlane_b32 s9, v52, 14
	s_and_b64 s[8:9], s[16:17], s[8:9]
	s_mov_b64 exec, s[8:9]
	s_cbranch_execz .LBB137_46
; %bb.42:                               ;   in Loop: Header=BB137_21 Depth=1
	v_readlane_b32 s8, v52, 22
	v_readlane_b32 s9, v52, 23
	s_mov_b64 s[18:19], 0
	v_mov_b32_e32 v4, v17
	v_mov_b32_e32 v36, v0
	s_nop 1
	global_load_ushort v3, v9, s[8:9]
	s_waitcnt vmcnt(0)
	v_add_u32_e32 v8, v0, v3
	v_lshlrev_b32_e32 v5, 1, v3
	v_mul_lo_u32 v35, s58, v3
	v_mul_lo_u32 v8, s58, v8
	s_branch .LBB137_44
.LBB137_43:                             ;   in Loop: Header=BB137_44 Depth=2
	s_or_b64 exec, exec, s[20:21]
	s_and_b64 s[8:9], exec, vcc
	s_or_b64 s[18:19], s[8:9], s[18:19]
	ds_write_b16 v4, v2
	v_add_u32_e32 v4, v4, v5
	v_add_u32_e32 v8, v8, v35
	s_waitcnt vmcnt(0)
	v_mov_b32_e32 v2, v37
	s_andn2_b64 exec, exec, s[18:19]
	s_cbranch_execz .LBB137_46
.LBB137_44:                             ;   Parent Loop BB137_21 Depth=1
                                        ; =>  This Inner Loop Header: Depth=2
	v_add_u32_e32 v36, v36, v3
	v_cmp_gt_u32_e64 s[14:15], s56, v36
	v_cmp_le_u32_e32 vcc, s56, v36
	v_mov_b32_e32 v37, 0
	s_and_saveexec_b64 s[20:21], s[14:15]
	s_cbranch_execz .LBB137_43
; %bb.45:                               ;   in Loop: Header=BB137_44 Depth=2
	v_lshlrev_b64 v[38:39], 1, v[8:9]
	v_mov_b32_e32 v37, s82
	v_add_co_u32_e64 v38, s[14:15], s57, v38
	v_addc_co_u32_e64 v39, s[14:15], v37, v39, s[14:15]
	global_load_ushort v37, v[38:39], off
	s_branch .LBB137_43
.LBB137_46:                             ;   in Loop: Header=BB137_21 Depth=1
	s_or_b64 exec, exec, s[16:17]
	s_waitcnt lgkmcnt(0)
	s_barrier
	s_mov_b64 s[14:15], exec
	v_readlane_b32 s8, v52, 15
	v_readlane_b32 s9, v52, 16
	s_and_b64 s[8:9], s[14:15], s[8:9]
	s_mov_b64 exec, s[8:9]
	s_cbranch_execz .LBB137_48
; %bb.47:                               ;   in Loop: Header=BB137_21 Depth=1
	s_waitcnt vmcnt(0)
	v_mov_b32_e32 v2, s56
	ds_write_b32 v9, v2 offset:4104
.LBB137_48:                             ;   in Loop: Header=BB137_21 Depth=1
	s_or_b64 exec, exec, s[14:15]
	s_mov_b64 s[14:15], -1
	s_waitcnt lgkmcnt(0)
	s_barrier
                                        ; implicit-def: $sgpr69
.LBB137_49:                             ;   in Loop: Header=BB137_21 Depth=1
	s_and_b64 vcc, exec, s[14:15]
	s_cbranch_vccz .LBB137_51
; %bb.50:                               ;   in Loop: Header=BB137_21 Depth=1
	s_waitcnt vmcnt(0)
	ds_read_b32 v2, v9 offset:4104
	s_waitcnt lgkmcnt(0)
	v_readfirstlane_b32 s69, v2
.LBB137_51:                             ;   in Loop: Header=BB137_21 Depth=1
	s_cmp_lt_i32 s69, 1
	s_cbranch_scc0 .LBB137_63
; %bb.52:                               ;   in Loop: Header=BB137_21 Depth=1
	s_waitcnt vmcnt(0)
	v_mov_b32_e32 v2, 0
	s_mov_b32 s48, 0
	v_mov_b32_e32 v3, 0
	v_mov_b32_e32 v4, v2
	;; [unrolled: 1-line block ×3, first 2 shown]
	s_mov_b64 s[44:45], exec
	v_readlane_b32 s8, v52, 36
	v_readlane_b32 s9, v52, 37
	s_and_b64 s[8:9], s[44:45], s[8:9]
	s_mov_b64 exec, s[8:9]
	s_cbranch_execz .LBB137_56
; %bb.53:                               ;   in Loop: Header=BB137_21 Depth=1
	s_and_b32 s49, s73, 0xfe
	s_mov_b64 s[46:47], 0
	s_mov_b32 s50, 0
	s_mov_b32 s51, 0
	;; [unrolled: 1-line block ×4, first 2 shown]
	v_mov_b32_e32 v35, v16
.LBB137_54:                             ;   Parent Loop BB137_21 Depth=1
                                        ; =>  This Inner Loop Header: Depth=2
	v_add_u32_e32 v8, s48, v25
	v_lshlrev_b64 v[2:3], 1, v[8:9]
	v_mov_b32_e32 v38, s82
	v_add_u32_e32 v8, s48, v22
	v_add_co_u32_e64 v2, s[14:15], s57, v2
	v_lshlrev_b64 v[4:5], 1, v[8:9]
	v_addc_co_u32_e64 v3, s[14:15], v38, v3, s[14:15]
	v_add_u32_e32 v8, s48, v23
	global_load_ushort v39, v[2:3], off
	v_add_co_u32_e64 v2, s[14:15], s57, v4
	v_lshlrev_b64 v[36:37], 1, v[8:9]
	v_add_u32_e32 v8, s48, v24
	v_addc_co_u32_e64 v3, s[14:15], v38, v5, s[14:15]
	v_lshlrev_b64 v[4:5], 1, v[8:9]
	global_load_ushort v8, v[2:3], off
	v_add_co_u32_e64 v2, s[14:15], s57, v36
	v_addc_co_u32_e64 v3, s[14:15], v38, v37, s[14:15]
	global_load_ushort v36, v[2:3], off
	v_add_co_u32_e64 v2, s[14:15], s57, v4
	v_addc_co_u32_e64 v3, s[14:15], v38, v5, s[14:15]
	global_load_ushort v2, v[2:3], off
	v_add_u32_e32 v35, s85, v35
	v_cmp_le_u32_e32 vcc, s76, v35
	s_add_i32 s48, s48, s79
	s_waitcnt vmcnt(3)
	v_cmp_lt_i16_e64 s[14:15], -1, v39
	v_lshlrev_b32_e32 v3, 16, v39
	v_cndmask_b32_e64 v4, v29, v30, s[14:15]
	v_xor_b32_sdwa v4, v4, v39 dst_sel:DWORD dst_unused:UNUSED_PAD src0_sel:DWORD src1_sel:WORD_0
	s_waitcnt vmcnt(2)
	v_cmp_lt_i16_e64 s[14:15], -1, v8
	v_cndmask_b32_e64 v37, v29, v30, s[14:15]
	v_cmp_o_f32_e64 s[14:15], v3, v3
	v_lshlrev_b32_e32 v5, 16, v8
	v_cndmask_b32_e64 v4, v29, v4, s[14:15]
	s_waitcnt vmcnt(1)
	v_cmp_lt_i16_e64 s[14:15], -1, v36
	v_xor_b32_sdwa v8, v37, v8 dst_sel:DWORD dst_unused:UNUSED_PAD src0_sel:DWORD src1_sel:WORD_0
	v_cndmask_b32_e64 v37, v29, v30, s[14:15]
	v_cmp_o_f32_e64 s[14:15], v5, v5
	v_lshlrev_b32_e32 v3, 16, v36
	v_cndmask_b32_e64 v8, v29, v8, s[14:15]
	s_waitcnt vmcnt(0)
	v_cmp_lt_i16_e64 s[14:15], -1, v2
	v_xor_b32_sdwa v36, v37, v36 dst_sel:DWORD dst_unused:UNUSED_PAD src0_sel:DWORD src1_sel:WORD_0
	v_cndmask_b32_e64 v37, v29, v30, s[14:15]
	v_and_b32_e32 v38, s1, v4
	v_bfe_u32 v4, v4, s49, 2
	v_cmp_o_f32_e64 s[14:15], v3, v3
	v_cndmask_b32_e64 v3, v29, v36, s[14:15]
	v_cmp_eq_u32_e64 s[14:15], s2, v38
	v_cmp_eq_u32_e64 s[16:17], 0, v4
	v_lshlrev_b32_e32 v5, 16, v2
	v_cmp_eq_u32_e64 s[18:19], 1, v4
	s_and_b64 s[8:9], s[14:15], s[16:17]
	v_and_b32_e32 v36, s1, v8
	v_bfe_u32 v8, v8, s49, 2
	v_cmp_eq_u32_e64 s[20:21], 2, v4
	v_cmp_o_f32_e64 s[24:25], v5, v5
	v_cndmask_b32_e64 v5, 0, 1, s[8:9]
	s_and_b64 s[8:9], s[14:15], s[18:19]
	v_xor_b32_sdwa v2, v37, v2 dst_sel:DWORD dst_unused:UNUSED_PAD src0_sel:DWORD src1_sel:WORD_0
	v_cmp_eq_u32_e64 s[22:23], 3, v4
	v_cmp_eq_u32_e64 s[26:27], 0, v8
	;; [unrolled: 1-line block ×5, first 2 shown]
	v_cndmask_b32_e64 v8, 0, 1, s[8:9]
	s_and_b64 s[8:9], s[14:15], s[20:21]
	v_cndmask_b32_e64 v2, v29, v2, s[24:25]
	v_cmp_eq_u32_e64 s[24:25], s2, v36
	v_cndmask_b32_e64 v36, 0, 1, s[8:9]
	s_and_b64 s[8:9], s[14:15], s[22:23]
	v_and_b32_e32 v4, s1, v3
	v_bfe_u32 v3, v3, s49, 2
	v_cndmask_b32_e64 v37, 0, 1, s[8:9]
	s_and_b64 s[8:9], s[24:25], s[26:27]
	v_cmp_eq_u32_e64 s[16:17], 0, v3
	v_cmp_eq_u32_e64 s[18:19], 1, v3
	;; [unrolled: 1-line block ×4, first 2 shown]
	v_cndmask_b32_e64 v3, 0, 1, s[8:9]
	s_and_b64 s[8:9], s[24:25], s[28:29]
	v_cmp_ne_u32_e64 s[36:37], 0, v5
	v_cndmask_b32_e64 v5, 0, 1, s[8:9]
	s_and_b64 s[8:9], s[24:25], s[30:31]
	v_cmp_eq_u32_e64 s[14:15], s2, v4
	v_cmp_ne_u32_e64 s[26:27], 0, v8
	v_cndmask_b32_e64 v8, 0, 1, s[8:9]
	s_and_b64 s[8:9], s[24:25], s[34:35]
	v_and_b32_e32 v4, s1, v2
	v_bfe_u32 v2, v2, s49, 2
	v_cmp_ne_u32_e64 s[28:29], 0, v36
	v_cndmask_b32_e64 v36, 0, 1, s[8:9]
	s_and_b64 s[8:9], s[14:15], s[16:17]
	v_cmp_eq_u32_e64 s[34:35], 0, v2
	v_cmp_eq_u32_e64 s[38:39], 1, v2
	;; [unrolled: 1-line block ×4, first 2 shown]
	v_cndmask_b32_e64 v2, 0, 1, s[8:9]
	s_and_b64 s[8:9], s[14:15], s[18:19]
	s_bcnt1_i32_b64 s54, s[36:37]
	v_cmp_ne_u32_e64 s[36:37], 0, v3
	v_cndmask_b32_e64 v3, 0, 1, s[8:9]
	s_and_b64 s[8:9], s[14:15], s[20:21]
	v_cmp_eq_u32_e64 s[24:25], s2, v4
	v_cndmask_b32_e64 v4, 0, 1, s[8:9]
	s_and_b64 s[8:9], s[14:15], s[22:23]
	v_cmp_ne_u32_e64 s[16:17], 0, v5
	v_cndmask_b32_e64 v5, 0, 1, s[8:9]
	s_and_b64 s[8:9], s[24:25], s[34:35]
	v_cmp_ne_u32_e64 s[14:15], 0, v2
	;; [unrolled: 3-line block ×3, first 2 shown]
	s_bcnt1_i32_b64 s26, s[26:27]
	s_bcnt1_i32_b64 s27, s[28:29]
	v_cmp_ne_u32_e64 s[18:19], 0, v8
	s_bcnt1_i32_b64 s29, s[16:17]
	v_cmp_ne_u32_e64 s[16:17], 0, v3
	v_cndmask_b32_e64 v3, 0, 1, s[8:9]
	s_and_b64 s[8:9], s[24:25], s[40:41]
	s_bcnt1_i32_b64 s28, s[30:31]
	v_cmp_ne_u32_e64 s[20:21], 0, v36
	s_bcnt1_i32_b64 s30, s[18:19]
	v_cmp_ne_u32_e64 s[18:19], 0, v4
	v_cndmask_b32_e64 v4, 0, 1, s[8:9]
	s_and_b64 s[8:9], s[24:25], s[42:43]
	s_bcnt1_i32_b64 s22, s[36:37]
	s_add_i32 s23, s53, s54
	s_add_i32 s26, s52, s26
	s_add_i32 s27, s51, s27
	s_bcnt1_i32_b64 s31, s[20:21]
	v_cmp_ne_u32_e64 s[20:21], 0, v5
	v_cndmask_b32_e64 v5, 0, 1, s[8:9]
	s_add_i32 s8, s50, s28
	s_bcnt1_i32_b64 s9, s[14:15]
	v_cmp_ne_u32_e64 s[14:15], 0, v2
	s_add_i32 s22, s23, s22
	s_bcnt1_i32_b64 s23, s[16:17]
	v_cmp_ne_u32_e64 s[16:17], 0, v3
	;; [unrolled: 3-line block ×4, first 2 shown]
	s_add_i32 s8, s8, s31
	s_bcnt1_i32_b64 s14, s[14:15]
	s_add_i32 s9, s22, s9
	s_bcnt1_i32_b64 s15, s[16:17]
	;; [unrolled: 2-line block ×4, first 2 shown]
	s_add_i32 s8, s8, s27
	s_add_i32 s53, s9, s14
	;; [unrolled: 1-line block ×5, first 2 shown]
	s_or_b64 s[46:47], vcc, s[46:47]
	v_mov_b32_e32 v2, s53
	v_mov_b32_e32 v3, s52
	;; [unrolled: 1-line block ×4, first 2 shown]
	s_andn2_b64 exec, exec, s[46:47]
	s_cbranch_execnz .LBB137_54
; %bb.55:                               ;   in Loop: Header=BB137_21 Depth=1
	s_or_b64 exec, exec, s[46:47]
.LBB137_56:                             ;   in Loop: Header=BB137_21 Depth=1
	s_or_b64 exec, exec, s[44:45]
	v_mov_b32_e32 v35, 0
	s_and_saveexec_b64 s[14:15], s[10:11]
	s_cbranch_execz .LBB137_58
; %bb.57:                               ;   in Loop: Header=BB137_21 Depth=1
	global_load_ushort v35, v[14:15], off
.LBB137_58:                             ;   in Loop: Header=BB137_21 Depth=1
	s_or_b64 exec, exec, s[14:15]
	s_mov_b64 s[16:17], 0
	s_mov_b64 s[64:65], 0
	s_and_saveexec_b64 s[18:19], s[10:11]
	s_cbranch_execz .LBB137_65
; %bb.59:                               ;   in Loop: Header=BB137_21 Depth=1
	s_and_b32 s8, s73, 0xfe
	s_mov_b64 s[20:21], 0
	v_mov_b32_e32 v8, v26
	v_mov_b32_e32 v36, v21
	s_branch .LBB137_61
.LBB137_60:                             ;   in Loop: Header=BB137_61 Depth=2
	s_or_b64 exec, exec, s[22:23]
	s_and_b64 s[14:15], exec, vcc
	s_waitcnt vmcnt(0)
	v_cmp_lt_i16_e32 vcc, -1, v35
	v_cndmask_b32_e32 v38, v29, v30, vcc
	v_lshlrev_b32_e32 v39, 16, v35
	v_xor_b32_sdwa v35, v38, v35 dst_sel:DWORD dst_unused:UNUSED_PAD src0_sel:DWORD src1_sel:WORD_0
	v_cmp_o_f32_e32 vcc, v39, v39
	v_cndmask_b32_e32 v35, v29, v35, vcc
	v_and_b32_e32 v38, s1, v35
	v_bfe_u32 v35, v35, s8, 2
	s_or_b64 s[20:21], s[14:15], s[20:21]
	v_cmp_eq_u32_e32 vcc, s2, v38
	v_cmp_eq_u32_e64 s[14:15], 0, v35
	s_and_b64 s[14:15], vcc, s[14:15]
	v_cndmask_b32_e64 v38, 0, 1, s[14:15]
	v_cmp_ne_u32_e64 s[14:15], 0, v38
	s_bcnt1_i32_b64 s9, s[14:15]
	v_cmp_eq_u32_e64 s[14:15], 1, v35
	s_and_b64 s[14:15], vcc, s[14:15]
	v_cndmask_b32_e64 v38, 0, 1, s[14:15]
	v_cmp_ne_u32_e64 s[14:15], 0, v38
	v_add_u32_e32 v2, s9, v2
	s_bcnt1_i32_b64 s9, s[14:15]
	v_cmp_eq_u32_e64 s[14:15], 2, v35
	s_and_b64 s[14:15], vcc, s[14:15]
	v_cndmask_b32_e64 v38, 0, 1, s[14:15]
	v_cmp_ne_u32_e64 s[14:15], 0, v38
	v_add_u32_e32 v3, s9, v3
	s_bcnt1_i32_b64 s9, s[14:15]
	v_cmp_eq_u32_e64 s[14:15], 3, v35
	s_and_b64 s[14:15], vcc, s[14:15]
	v_cndmask_b32_e64 v35, 0, 1, s[14:15]
	v_cmp_ne_u32_e32 vcc, 0, v35
	v_add_u32_e32 v4, s9, v4
	s_bcnt1_i32_b64 s9, vcc
	v_add_u32_e32 v5, s9, v5
	v_add_u32_e32 v8, s83, v8
	v_mov_b32_e32 v35, v37
	s_andn2_b64 exec, exec, s[20:21]
	s_cbranch_execz .LBB137_64
.LBB137_61:                             ;   Parent Loop BB137_21 Depth=1
                                        ; =>  This Inner Loop Header: Depth=2
	v_add_u32_e32 v36, s59, v36
	v_cmp_gt_u32_e64 s[14:15], s56, v36
	v_cmp_le_u32_e32 vcc, s56, v36
	v_mov_b32_e32 v37, 0
	s_and_saveexec_b64 s[22:23], s[14:15]
	s_cbranch_execz .LBB137_60
; %bb.62:                               ;   in Loop: Header=BB137_61 Depth=2
	v_lshlrev_b64 v[38:39], 1, v[8:9]
	v_mov_b32_e32 v37, s82
	v_add_co_u32_e64 v38, s[14:15], s57, v38
	v_addc_co_u32_e64 v39, s[14:15], v37, v39, s[14:15]
	global_load_ushort v37, v[38:39], off
	s_branch .LBB137_60
.LBB137_63:                             ;   in Loop: Header=BB137_21 Depth=1
	s_mov_b64 s[64:65], 0
                                        ; implicit-def: $vgpr5
	s_cbranch_execnz .LBB137_66
	s_branch .LBB137_75
.LBB137_64:                             ;   in Loop: Header=BB137_21 Depth=1
	s_or_b64 exec, exec, s[20:21]
	s_mov_b64 s[64:65], exec
.LBB137_65:                             ;   in Loop: Header=BB137_21 Depth=1
	s_or_b64 exec, exec, s[18:19]
	s_and_b64 vcc, exec, s[16:17]
	s_cbranch_vccz .LBB137_75
.LBB137_66:                             ;   in Loop: Header=BB137_21 Depth=1
	s_mul_hi_u32 s8, s69, s33
	s_mul_i32 s8, s8, s85
	s_sub_i32 s8, s69, s8
	s_sub_i32 s9, s8, s85
	s_cmp_ge_u32 s8, s85
	s_cselect_b32 s8, s9, s8
	s_sub_i32 s9, s8, s85
	s_cmp_ge_u32 s8, s85
	s_cselect_b32 s8, s9, s8
	s_sub_i32 s84, s69, s8
	v_cmp_gt_u32_e32 vcc, s84, v16
	s_mov_b32 s74, 0
	s_waitcnt vmcnt(0)
	v_mov_b32_e32 v2, 0
	v_mov_b32_e32 v3, 0
	;; [unrolled: 1-line block ×4, first 2 shown]
	s_and_saveexec_b64 s[66:67], vcc
	s_cbranch_execz .LBB137_70
; %bb.67:                               ;   in Loop: Header=BB137_21 Depth=1
	s_and_b32 s77, s73, 0xfe
	s_mov_b64 s[80:81], 0
	v_mov_b32_e32 v8, v27
	s_mov_b32 s75, 0
	s_mov_b32 s8, 0
	;; [unrolled: 1-line block ×3, first 2 shown]
	v_mov_b32_e32 v35, v16
.LBB137_68:                             ;   Parent Loop BB137_21 Depth=1
                                        ; =>  This Inner Loop Header: Depth=2
	ds_read_b64 v[2:3], v8
	v_add_u32_e32 v35, s85, v35
	v_cmp_le_u32_e32 vcc, s84, v35
	v_add_u32_e32 v8, s12, v8
	s_waitcnt lgkmcnt(0)
	v_cmp_lt_i16_e64 s[14:15], -1, v2
	v_cndmask_b32_e64 v38, v29, v30, s[14:15]
	v_cmp_gt_i16_sdwa s[14:15], v2, v31 src0_sel:WORD_1 src1_sel:DWORD
	v_lshlrev_b32_e32 v4, 16, v2
	v_cndmask_b32_e64 v39, v29, v30, s[14:15]
	v_cmp_lt_i16_e64 s[14:15], -1, v3
	v_and_b32_e32 v5, 0xffff0000, v2
	v_cndmask_b32_e64 v40, v29, v30, s[14:15]
	v_cmp_gt_i16_sdwa s[14:15], v3, v31 src0_sel:WORD_1 src1_sel:DWORD
	v_xor_b32_sdwa v39, v39, v2 dst_sel:DWORD dst_unused:UNUSED_PAD src0_sel:DWORD src1_sel:WORD_1
	v_xor_b32_sdwa v2, v38, v2 dst_sel:DWORD dst_unused:UNUSED_PAD src0_sel:DWORD src1_sel:WORD_0
	v_cmp_o_f32_e64 s[20:21], v4, v4
	v_lshlrev_b32_e32 v36, 16, v3
	v_cndmask_b32_e64 v41, v29, v30, s[14:15]
	v_cmp_o_f32_e64 s[14:15], v5, v5
	v_cndmask_b32_e64 v2, v29, v2, s[20:21]
	v_and_b32_e32 v37, 0xffff0000, v3
	v_xor_b32_sdwa v5, v40, v3 dst_sel:DWORD dst_unused:UNUSED_PAD src0_sel:DWORD src1_sel:WORD_0
	v_cmp_o_f32_e64 s[16:17], v36, v36
	v_cndmask_b32_e64 v4, v29, v39, s[14:15]
	v_and_b32_e32 v36, s1, v2
	v_bfe_u32 v2, v2, s77, 2
	v_xor_b32_sdwa v3, v41, v3 dst_sel:DWORD dst_unused:UNUSED_PAD src0_sel:DWORD src1_sel:WORD_1
	v_cmp_o_f32_e64 s[18:19], v37, v37
	v_cndmask_b32_e64 v5, v29, v5, s[16:17]
	v_and_b32_e32 v37, s1, v4
	v_bfe_u32 v4, v4, s77, 2
	v_cmp_eq_u32_e64 s[14:15], s2, v36
	v_cmp_eq_u32_e64 s[22:23], 0, v2
	v_cndmask_b32_e64 v3, v29, v3, s[18:19]
	v_and_b32_e32 v38, s1, v5
	v_bfe_u32 v5, v5, s77, 2
	v_cmp_eq_u32_e64 s[16:17], s2, v37
	v_cmp_eq_u32_e64 s[24:25], 0, v4
	s_and_b64 s[22:23], s[14:15], s[22:23]
	v_and_b32_e32 v39, s1, v3
	v_bfe_u32 v3, v3, s77, 2
	v_cmp_eq_u32_e64 s[18:19], s2, v38
	v_cmp_eq_u32_e64 s[26:27], 0, v5
	;; [unrolled: 1-line block ×5, first 2 shown]
	v_cndmask_b32_e64 v2, 0, 1, s[22:23]
	s_and_b64 s[22:23], s[16:17], s[24:25]
	v_cmp_eq_u32_e64 s[20:21], s2, v39
	v_cmp_eq_u32_e64 s[28:29], 0, v3
	;; [unrolled: 1-line block ×5, first 2 shown]
	v_cndmask_b32_e64 v3, 0, 1, s[22:23]
	s_and_b64 s[22:23], s[18:19], s[26:27]
	v_cmp_eq_u32_e64 s[34:35], 1, v4
	v_cmp_eq_u32_e64 s[42:43], 2, v4
	;; [unrolled: 1-line block ×3, first 2 shown]
	v_cndmask_b32_e64 v4, 0, 1, s[22:23]
	s_and_b64 s[22:23], s[20:21], s[28:29]
	v_cmp_eq_u32_e64 s[36:37], 1, v5
	v_cmp_eq_u32_e64 s[44:45], 2, v5
	;; [unrolled: 1-line block ×3, first 2 shown]
	v_cndmask_b32_e64 v5, 0, 1, s[22:23]
	s_and_b64 s[22:23], s[14:15], s[30:31]
	v_cndmask_b32_e64 v36, 0, 1, s[22:23]
	s_and_b64 s[22:23], s[16:17], s[34:35]
	;; [unrolled: 2-line block ×5, first 2 shown]
	s_and_b64 s[14:15], s[14:15], s[48:49]
	v_cndmask_b32_e64 v40, 0, 1, s[22:23]
	s_and_b64 s[22:23], s[16:17], s[42:43]
	v_cndmask_b32_e64 v44, 0, 1, s[14:15]
	;; [unrolled: 2-line block ×7, first 2 shown]
	v_cndmask_b32_e64 v47, 0, 1, s[14:15]
	v_cmp_ne_u32_e64 s[14:15], 0, v2
	v_cmp_ne_u32_e64 s[16:17], 0, v3
	;; [unrolled: 1-line block ×11, first 2 shown]
	s_bcnt1_i32_b64 s14, s[14:15]
	s_bcnt1_i32_b64 s15, s[16:17]
	;; [unrolled: 1-line block ×8, first 2 shown]
	v_cmp_ne_u32_e64 s[28:29], 0, v39
	v_cmp_ne_u32_e64 s[36:37], 0, v42
	;; [unrolled: 1-line block ×3, first 2 shown]
	s_bcnt1_i32_b64 s19, s[24:25]
	s_bcnt1_i32_b64 s23, s[34:35]
	;; [unrolled: 1-line block ×3, first 2 shown]
	s_add_i32 s9, s9, s14
	s_add_i32 s8, s8, s18
	;; [unrolled: 1-line block ×4, first 2 shown]
	v_cmp_ne_u32_e64 s[38:39], 0, v43
	v_cmp_ne_u32_e64 s[46:47], 0, v47
	s_bcnt1_i32_b64 s21, s[28:29]
	s_bcnt1_i32_b64 s24, s[36:37]
	;; [unrolled: 1-line block ×3, first 2 shown]
	s_add_i32 s9, s9, s15
	s_add_i32 s8, s8, s19
	s_add_i32 s14, s14, s23
	s_add_i32 s15, s18, s27
	s_bcnt1_i32_b64 s25, s[38:39]
	s_bcnt1_i32_b64 s29, s[46:47]
	s_add_i32 s9, s9, s16
	s_add_i32 s8, s8, s20
	;; [unrolled: 1-line block ×8, first 2 shown]
	s_or_b64 s[80:81], vcc, s[80:81]
	v_mov_b32_e32 v2, s9
	v_mov_b32_e32 v3, s8
	;; [unrolled: 1-line block ×4, first 2 shown]
	s_andn2_b64 exec, exec, s[80:81]
	s_cbranch_execnz .LBB137_68
; %bb.69:                               ;   in Loop: Header=BB137_21 Depth=1
	s_or_b64 exec, exec, s[80:81]
.LBB137_70:                             ;   in Loop: Header=BB137_21 Depth=1
	s_or_b64 exec, exec, s[66:67]
	v_add_u32_e32 v8, s84, v0
	v_cmp_gt_u32_e32 vcc, s69, v8
	s_and_saveexec_b64 s[24:25], vcc
	s_cbranch_execz .LBB137_74
; %bb.71:                               ;   in Loop: Header=BB137_21 Depth=1
	s_and_b32 s8, s73, 0xfe
	v_lshlrev_b32_e32 v35, 1, v8
	s_mov_b64 s[26:27], 0
.LBB137_72:                             ;   Parent Loop BB137_21 Depth=1
                                        ; =>  This Inner Loop Header: Depth=2
	ds_read_u16 v36, v35
	v_add_u32_e32 v8, s59, v8
	v_cmp_le_u32_e32 vcc, s69, v8
	v_add_u32_e32 v35, s13, v35
	s_waitcnt lgkmcnt(0)
	v_cmp_lt_i16_e64 s[14:15], -1, v36
	v_lshlrev_b32_e32 v37, 16, v36
	v_cndmask_b32_e64 v38, v29, v30, s[14:15]
	v_xor_b32_sdwa v36, v38, v36 dst_sel:DWORD dst_unused:UNUSED_PAD src0_sel:DWORD src1_sel:WORD_0
	v_cmp_o_f32_e64 s[14:15], v37, v37
	v_cndmask_b32_e64 v36, v29, v36, s[14:15]
	v_and_b32_e32 v37, s1, v36
	v_bfe_u32 v36, v36, s8, 2
	v_cmp_eq_u32_e64 s[14:15], s2, v37
	v_cmp_eq_u32_e64 s[16:17], 0, v36
	;; [unrolled: 1-line block ×3, first 2 shown]
	s_and_b64 s[16:17], s[14:15], s[16:17]
	v_cmp_eq_u32_e64 s[20:21], 2, v36
	v_cmp_eq_u32_e64 s[22:23], 3, v36
	v_cndmask_b32_e64 v36, 0, 1, s[16:17]
	s_and_b64 s[16:17], s[14:15], s[18:19]
	v_cndmask_b32_e64 v37, 0, 1, s[16:17]
	s_and_b64 s[16:17], s[14:15], s[20:21]
	s_and_b64 s[14:15], s[14:15], s[22:23]
	v_cndmask_b32_e64 v38, 0, 1, s[16:17]
	v_cndmask_b32_e64 v39, 0, 1, s[14:15]
	v_cmp_ne_u32_e64 s[14:15], 0, v36
	v_cmp_ne_u32_e64 s[16:17], 0, v37
	;; [unrolled: 1-line block ×4, first 2 shown]
	s_bcnt1_i32_b64 s9, s[14:15]
	s_bcnt1_i32_b64 s14, s[16:17]
	;; [unrolled: 1-line block ×4, first 2 shown]
	v_add_u32_e32 v2, s9, v2
	v_add_u32_e32 v3, s14, v3
	v_add_u32_e32 v4, s15, v4
	s_or_b64 s[26:27], vcc, s[26:27]
	v_add_u32_e32 v5, s16, v5
	s_andn2_b64 exec, exec, s[26:27]
	s_cbranch_execnz .LBB137_72
; %bb.73:                               ;   in Loop: Header=BB137_21 Depth=1
	s_or_b64 exec, exec, s[26:27]
	s_or_b64 s[64:65], s[64:65], exec
.LBB137_74:                             ;   in Loop: Header=BB137_21 Depth=1
	s_or_b64 exec, exec, s[24:25]
.LBB137_75:                             ;   in Loop: Header=BB137_21 Depth=1
	s_and_saveexec_b64 s[14:15], s[64:65]
	s_or_b64 exec, exec, s[14:15]
	s_lshl_b32 s8, s0, 6
	s_and_saveexec_b64 s[14:15], s[4:5]
	s_cbranch_execz .LBB137_77
; %bb.76:                               ;   in Loop: Header=BB137_21 Depth=1
	v_or_b32_e32 v8, s8, v19
	v_lshlrev_b32_e32 v8, 2, v8
	s_waitcnt vmcnt(0)
	ds_write_b128 v8, v[2:5] offset:3072
.LBB137_77:                             ;   in Loop: Header=BB137_21 Depth=1
	s_or_b64 exec, exec, s[14:15]
	s_waitcnt lgkmcnt(0)
	s_barrier
	s_and_saveexec_b64 s[14:15], s[70:71]
	s_cbranch_execz .LBB137_91
; %bb.78:                               ;   in Loop: Header=BB137_21 Depth=1
	v_readlane_b32 s16, v52, 20
	v_readlane_b32 s17, v52, 21
	v_add_u32_e32 v4, s8, v13
	s_andn2_b64 vcc, exec, s[16:17]
	s_waitcnt vmcnt(0)
	v_mov_b32_e32 v2, 0
	s_cbranch_vccnz .LBB137_90
; %bb.79:                               ;   in Loop: Header=BB137_21 Depth=1
	v_readlane_b32 s16, v52, 24
	v_readlane_b32 s17, v52, 25
	s_mov_b32 s9, 0
	s_and_b64 vcc, exec, s[16:17]
	v_mov_b32_e32 v2, 0
	s_cbranch_vccz .LBB137_83
; %bb.80:                               ;   in Loop: Header=BB137_21 Depth=1
	v_readlane_b32 s16, v52, 26
	v_readlane_b32 s17, v52, 27
	v_lshl_add_u32 v5, v4, 2, v32
	s_andn2_b64 vcc, exec, s[16:17]
	s_cbranch_vccnz .LBB137_84
; %bb.81:                               ;   in Loop: Header=BB137_21 Depth=1
	s_mov_b32 s17, 1
	s_mov_b32 s16, 0
	v_mov_b32_e32 v2, 0
	v_readlane_b32 s9, v52, 28
	v_mov_b32_e32 v3, 0
.LBB137_82:                             ;   Parent Loop BB137_21 Depth=1
                                        ; =>  This Inner Loop Header: Depth=2
	v_lshl_add_u32 v8, s16, 4, v5
	v_lshl_add_u32 v35, s17, 4, v5
	ds_read2_b32 v[36:37], v8 offset1:8
	ds_read2_b32 v[38:39], v35 offset1:8
	ds_read2_b32 v[40:41], v8 offset0:16 offset1:24
	ds_read2_b32 v[42:43], v35 offset0:16 offset1:24
	;; [unrolled: 1-line block ×6, first 2 shown]
	s_waitcnt lgkmcnt(7)
	v_add3_u32 v2, v36, v2, v37
	s_waitcnt lgkmcnt(6)
	v_add3_u32 v3, v38, v3, v39
	;; [unrolled: 2-line block ×3, first 2 shown]
	v_add3_u32 v2, v40, v2, v41
	s_add_i32 s17, s17, 16
	s_add_i32 s16, s16, 16
	s_add_i32 s9, s9, -8
	s_waitcnt lgkmcnt(3)
	v_add3_u32 v2, v44, v2, v45
	s_waitcnt lgkmcnt(2)
	v_add3_u32 v3, v46, v3, v47
	s_cmp_lg_u32 s9, 0
	s_waitcnt lgkmcnt(0)
	v_add3_u32 v3, v50, v3, v51
	v_add3_u32 v2, v48, v2, v49
	s_cbranch_scc1 .LBB137_82
	s_branch .LBB137_85
.LBB137_83:                             ;   in Loop: Header=BB137_21 Depth=1
	s_cbranch_execnz .LBB137_88
	s_branch .LBB137_90
.LBB137_84:                             ;   in Loop: Header=BB137_21 Depth=1
	s_mov_b32 s69, s68
	v_pk_mov_b32 v[2:3], s[68:69], s[68:69] op_sel:[0,1]
	s_mov_b32 s69, 1
	s_mov_b64 s[16:17], s[68:69]
.LBB137_85:                             ;   in Loop: Header=BB137_21 Depth=1
	v_readlane_b32 s18, v52, 30
	v_readlane_b32 s19, v52, 31
	s_andn2_b64 vcc, exec, s[18:19]
	v_readlane_b32 s9, v52, 29
	s_cbranch_vccnz .LBB137_87
.LBB137_86:                             ;   Parent Loop BB137_21 Depth=1
                                        ; =>  This Inner Loop Header: Depth=2
	v_lshl_add_u32 v8, s16, 4, v5
	v_lshl_add_u32 v35, s17, 4, v5
	ds_read_b32 v35, v35
	ds_read_b32 v8, v8
	s_add_i32 s17, s17, 2
	s_add_i32 s16, s16, 2
	s_add_i32 s9, s9, -1
	s_cmp_lg_u32 s9, 0
	s_waitcnt lgkmcnt(1)
	v_add_u32_e32 v3, v35, v3
	s_waitcnt lgkmcnt(0)
	v_add_u32_e32 v2, v8, v2
	s_cbranch_scc1 .LBB137_86
.LBB137_87:                             ;   in Loop: Header=BB137_21 Depth=1
	v_readlane_b32 s16, v52, 34
	v_add_u32_e32 v2, v2, v3
	v_readlane_b32 s9, v52, 33
	v_readlane_b32 s17, v52, 35
	s_and_b64 vcc, exec, s[16:17]
	s_cbranch_vccz .LBB137_90
.LBB137_88:                             ;   in Loop: Header=BB137_21 Depth=1
	s_lshl_b32 s16, s0, 8
	s_lshl_b32 s17, s9, 4
	s_add_i32 s16, s16, s17
	v_add_u32_e32 v3, s16, v28
	v_readlane_b32 s16, v52, 32
	s_sub_i32 s9, s16, s9
.LBB137_89:                             ;   Parent Loop BB137_21 Depth=1
                                        ; =>  This Inner Loop Header: Depth=2
	ds_read_b32 v5, v3
	s_add_i32 s9, s9, -1
	v_add_u32_e32 v3, 16, v3
	s_cmp_eq_u32 s9, 0
	s_waitcnt lgkmcnt(0)
	v_add_u32_e32 v2, v5, v2
	s_cbranch_scc0 .LBB137_89
.LBB137_90:                             ;   in Loop: Header=BB137_21 Depth=1
	v_lshlrev_b32_e32 v3, 2, v4
	ds_write_b32 v3, v2 offset:3072
.LBB137_91:                             ;   in Loop: Header=BB137_21 Depth=1
	s_or_b64 exec, exec, s[14:15]
	s_lshl_b32 s8, s8, 2
	s_waitcnt vmcnt(0)
	v_mov_b32_e32 v2, s8
	s_waitcnt lgkmcnt(0)
	s_barrier
	ds_read_b128 v[2:5], v2 offset:3072
	s_and_b32 s43, s73, 0xfe
	s_lshl_b32 s51, 3, s43
	s_not_b32 s44, s51
	s_mov_b64 s[18:19], -1
	s_waitcnt lgkmcnt(0)
	v_readfirstlane_b32 s28, v2
	s_cmp_eq_u32 s28, 1
	s_cselect_b64 s[8:9], -1, 0
	s_cmp_eq_u32 s3, 1
	s_cselect_b64 s[14:15], -1, 0
	s_and_b64 s[20:21], s[8:9], s[14:15]
	v_readfirstlane_b32 s34, v3
	v_readfirstlane_b32 s42, v4
	;; [unrolled: 1-line block ×3, first 2 shown]
	s_and_b64 vcc, exec, s[20:21]
	s_cbranch_vccz .LBB137_103
; %bb.92:                               ;   in Loop: Header=BB137_21 Depth=1
	ds_read_b32 v2, v9 offset:4104
	s_waitcnt lgkmcnt(0)
	s_barrier
	v_readfirstlane_b32 s8, v2
	s_and_saveexec_b64 s[14:15], s[6:7]
	s_cbranch_execz .LBB137_94
; %bb.93:                               ;   in Loop: Header=BB137_21 Depth=1
	ds_write_b16 v18, v9
.LBB137_94:                             ;   in Loop: Header=BB137_21 Depth=1
	s_or_b64 exec, exec, s[14:15]
	s_and_b32 s2, s2, s44
	s_or_b32 s1, s1, s51
	s_cmp_eq_u32 s8, 0
	s_waitcnt lgkmcnt(0)
	s_barrier
	s_cbranch_scc1 .LBB137_104
; %bb.95:                               ;   in Loop: Header=BB137_21 Depth=1
	v_readlane_b32 s9, v52, 17
	s_add_i32 s9, s8, s9
	v_readlane_b32 s14, v52, 38
	s_mul_hi_u32 s14, s9, s14
	s_mul_i32 s14, s14, s59
	s_sub_i32 s14, s9, s14
	s_sub_i32 s15, s14, s59
	s_cmp_ge_u32 s14, s59
	s_cselect_b32 s14, s15, s14
	s_sub_i32 s15, s14, s59
	s_cmp_ge_u32 s14, s59
	s_cselect_b32 s14, s15, s14
	s_sub_i32 s9, s9, s14
	v_cmp_gt_u32_e32 vcc, s9, v0
	s_mov_b64 s[14:15], 0
                                        ; implicit-def: $vgpr34
	s_and_saveexec_b64 s[16:17], vcc
	s_cbranch_execz .LBB137_106
; %bb.96:                               ;   in Loop: Header=BB137_21 Depth=1
	s_mov_b64 s[22:23], 0
	v_mov_b32_e32 v2, v17
	v_mov_b32_e32 v3, v0
                                        ; implicit-def: $sgpr24_sgpr25
	s_branch .LBB137_98
.LBB137_97:                             ;   in Loop: Header=BB137_98 Depth=2
	s_or_b64 exec, exec, s[14:15]
	s_waitcnt lgkmcnt(0)
	s_barrier
	ds_read_b32 v4, v9 offset:3072
	v_add_u32_e32 v3, s59, v3
	v_cmp_le_u32_e64 s[14:15], s9, v3
	v_add_u32_e32 v2, s13, v2
	s_waitcnt lgkmcnt(0)
	v_and_b32_e32 v5, 0x7fff, v4
	v_cmp_ne_u16_e32 vcc, 0, v5
	s_or_b64 s[14:15], s[14:15], vcc
	s_and_b64 s[14:15], exec, s[14:15]
	s_or_b64 s[22:23], s[14:15], s[22:23]
	s_andn2_b64 s[14:15], s[24:25], exec
	s_and_b64 s[24:25], vcc, exec
	s_or_b64 s[24:25], s[14:15], s[24:25]
	s_barrier
	s_andn2_b64 exec, exec, s[22:23]
	s_cbranch_execz .LBB137_105
.LBB137_98:                             ;   Parent Loop BB137_21 Depth=1
                                        ; =>  This Inner Loop Header: Depth=2
	v_cmp_gt_u32_e32 vcc, s8, v3
	v_mov_b32_e32 v4, 0
	s_and_saveexec_b64 s[14:15], vcc
	s_cbranch_execz .LBB137_100
; %bb.99:                               ;   in Loop: Header=BB137_98 Depth=2
	ds_read_u16 v4, v2
.LBB137_100:                            ;   in Loop: Header=BB137_98 Depth=2
	s_or_b64 exec, exec, s[14:15]
	s_and_saveexec_b64 s[14:15], vcc
	s_cbranch_execz .LBB137_97
; %bb.101:                              ;   in Loop: Header=BB137_98 Depth=2
	s_waitcnt lgkmcnt(0)
	v_cmp_lt_i16_e32 vcc, -1, v4
	v_cndmask_b32_e32 v5, v29, v30, vcc
	v_lshlrev_b32_e32 v8, 16, v4
	v_xor_b32_sdwa v5, v5, v4 dst_sel:DWORD dst_unused:UNUSED_PAD src0_sel:DWORD src1_sel:WORD_0
	v_cmp_o_f32_e32 vcc, v8, v8
	v_cndmask_b32_e32 v5, v29, v5, vcc
	v_and_b32_e32 v5, s1, v5
	v_cmp_eq_u32_e32 vcc, s2, v5
	s_and_b64 exec, exec, vcc
	s_cbranch_execz .LBB137_97
; %bb.102:                              ;   in Loop: Header=BB137_98 Depth=2
	v_perm_b32 v4, v4, s72, v33
	ds_write_b32 v9, v4 offset:3072
	s_branch .LBB137_97
.LBB137_103:                            ;   in Loop: Header=BB137_21 Depth=1
	s_mov_b64 s[14:15], -1
                                        ; implicit-def: $sgpr16_sgpr17
                                        ; implicit-def: $sgpr24_sgpr25
                                        ; implicit-def: $sgpr22_sgpr23
	s_branch .LBB137_117
.LBB137_104:                            ;   in Loop: Header=BB137_21 Depth=1
	s_mov_b64 s[16:17], -1
	s_mov_b64 s[14:15], 0
                                        ; implicit-def: $sgpr22_sgpr23
                                        ; implicit-def: $vgpr34
	s_mov_b64 s[24:25], s[16:17]
	s_cbranch_execnz .LBB137_107
	s_branch .LBB137_117
.LBB137_105:                            ;   in Loop: Header=BB137_21 Depth=1
	s_or_b64 exec, exec, s[22:23]
	v_lshrrev_b32_e32 v34, 16, v4
	s_and_b64 s[14:15], s[24:25], exec
.LBB137_106:                            ;   in Loop: Header=BB137_21 Depth=1
	s_or_b64 exec, exec, s[16:17]
	s_mov_b64 s[22:23], -1
	s_mov_b64 s[16:17], 0
	s_mov_b64 s[24:25], s[16:17]
	s_branch .LBB137_117
.LBB137_107:                            ;   in Loop: Header=BB137_21 Depth=1
	s_mov_b64 s[14:15], 0
                                        ; implicit-def: $vgpr34
	s_mov_b64 s[16:17], exec
	v_readlane_b32 s8, v52, 39
	v_readlane_b32 s9, v52, 40
	s_and_b64 s[8:9], s[16:17], s[8:9]
	s_mov_b64 exec, s[8:9]
	s_cbranch_execz .LBB137_116
; %bb.108:                              ;   in Loop: Header=BB137_21 Depth=1
	s_mov_b64 s[22:23], 0
	v_mov_b32_e32 v8, v6
	v_mov_b32_e32 v2, v0
                                        ; implicit-def: $sgpr24_sgpr25
	s_branch .LBB137_110
.LBB137_109:                            ;   in Loop: Header=BB137_110 Depth=2
	s_or_b64 exec, exec, s[14:15]
	s_waitcnt lgkmcnt(0)
	s_barrier
	s_waitcnt vmcnt(0)
	ds_read_b32 v3, v9 offset:3072
	v_add_u32_e32 v2, s59, v2
	v_cmp_le_u32_e64 s[14:15], s78, v2
	v_add_u32_e32 v8, s83, v8
	s_waitcnt lgkmcnt(0)
	v_and_b32_e32 v4, 0x7fff, v3
	v_cmp_ne_u16_e32 vcc, 0, v4
	s_or_b64 s[8:9], s[14:15], vcc
	s_and_b64 s[8:9], exec, s[8:9]
	s_or_b64 s[22:23], s[8:9], s[22:23]
	s_andn2_b64 s[8:9], s[24:25], exec
	s_and_b64 s[14:15], vcc, exec
	s_or_b64 s[24:25], s[8:9], s[14:15]
	s_barrier
	s_andn2_b64 exec, exec, s[22:23]
	s_cbranch_execz .LBB137_115
.LBB137_110:                            ;   Parent Loop BB137_21 Depth=1
                                        ; =>  This Inner Loop Header: Depth=2
	v_cmp_gt_u32_e32 vcc, s56, v2
	v_mov_b32_e32 v3, 0
	s_and_saveexec_b64 s[26:27], vcc
	s_cbranch_execz .LBB137_112
; %bb.111:                              ;   in Loop: Header=BB137_110 Depth=2
	v_lshlrev_b64 v[4:5], 1, v[8:9]
	v_mov_b32_e32 v3, s82
	v_add_co_u32_e64 v4, s[14:15], s57, v4
	v_addc_co_u32_e64 v5, s[14:15], v3, v5, s[14:15]
	global_load_ushort v3, v[4:5], off
.LBB137_112:                            ;   in Loop: Header=BB137_110 Depth=2
	s_or_b64 exec, exec, s[26:27]
	s_and_saveexec_b64 s[14:15], vcc
	s_cbranch_execz .LBB137_109
; %bb.113:                              ;   in Loop: Header=BB137_110 Depth=2
	s_waitcnt vmcnt(0)
	v_cmp_lt_i16_e32 vcc, -1, v3
	v_cndmask_b32_e32 v4, v29, v30, vcc
	v_lshlrev_b32_e32 v5, 16, v3
	v_xor_b32_sdwa v4, v4, v3 dst_sel:DWORD dst_unused:UNUSED_PAD src0_sel:DWORD src1_sel:WORD_0
	v_cmp_o_f32_e32 vcc, v5, v5
	v_cndmask_b32_e32 v4, v29, v4, vcc
	v_and_b32_e32 v4, s1, v4
	v_cmp_eq_u32_e32 vcc, s2, v4
	s_and_b64 exec, exec, vcc
	s_cbranch_execz .LBB137_109
; %bb.114:                              ;   in Loop: Header=BB137_110 Depth=2
	v_perm_b32 v3, v3, s72, v33
	ds_write_b32 v9, v3 offset:3072
	s_branch .LBB137_109
.LBB137_115:                            ;   in Loop: Header=BB137_21 Depth=1
	s_or_b64 exec, exec, s[22:23]
	v_lshrrev_b32_e32 v34, 16, v3
	s_and_b64 s[14:15], s[24:25], exec
.LBB137_116:                            ;   in Loop: Header=BB137_21 Depth=1
	s_or_b64 exec, exec, s[16:17]
	s_mov_b64 s[24:25], -1
	s_mov_b64 s[16:17], 0
	s_mov_b64 s[22:23], 0
.LBB137_117:                            ;   in Loop: Header=BB137_21 Depth=1
	s_andn2_b64 s[8:9], s[62:63], exec
	s_and_b64 s[16:17], s[16:17], exec
	s_or_b64 s[62:63], s[8:9], s[16:17]
	s_andn2_b64 s[8:9], s[60:61], exec
	s_and_b64 s[16:17], s[24:25], exec
	s_or_b64 s[60:61], s[8:9], s[16:17]
	s_andn2_b64 s[8:9], s[94:95], exec
	s_and_b64 s[16:17], s[22:23], exec
	s_or_b64 s[94:95], s[8:9], s[16:17]
	s_and_saveexec_b64 s[16:17], s[14:15]
	s_cbranch_execz .LBB137_20
; %bb.118:                              ;   in Loop: Header=BB137_21 Depth=1
	s_xor_b64 s[8:9], s[20:21], -1
	s_mov_b64 s[14:15], 0
	s_andn2_b64 vcc, exec, s[8:9]
	s_mov_b32 s35, 1
	s_cbranch_vccnz .LBB137_129
; %bb.119:                              ;   in Loop: Header=BB137_21 Depth=1
	s_cmp_gt_u32 s3, s28
	s_mov_b64 s[14:15], -1
                                        ; implicit-def: $sgpr52
                                        ; implicit-def: $sgpr8
                                        ; implicit-def: $sgpr9
	s_cbranch_scc1 .LBB137_125
; %bb.120:                              ;   in Loop: Header=BB137_21 Depth=1
	ds_read_b32 v2, v9 offset:4104
	s_waitcnt lgkmcnt(0)
	v_cmp_ne_u32_e32 vcc, 0, v2
	s_cbranch_vccnz .LBB137_124
; %bb.121:                              ;   in Loop: Header=BB137_21 Depth=1
	s_mov_b64 s[14:15], exec
	v_readlane_b32 s8, v52, 15
	v_readlane_b32 s9, v52, 16
	s_and_b64 s[8:9], s[14:15], s[8:9]
	s_mov_b64 exec, s[8:9]
	s_cbranch_execz .LBB137_123
; %bb.122:                              ;   in Loop: Header=BB137_21 Depth=1
	v_mov_b32_e32 v2, s28
	ds_write_b32 v9, v2 offset:4108
.LBB137_123:                            ;   in Loop: Header=BB137_21 Depth=1
	s_or_b64 exec, exec, s[14:15]
	s_waitcnt lgkmcnt(0)
	s_barrier
.LBB137_124:                            ;   in Loop: Header=BB137_21 Depth=1
	s_and_b32 s8, s2, s44
	s_or_b32 s9, s1, s51
	s_mov_b64 s[14:15], 0
	s_mov_b32 s52, 8
.LBB137_125:                            ;   in Loop: Header=BB137_21 Depth=1
	s_andn2_b64 vcc, exec, s[14:15]
	s_cbranch_vccnz .LBB137_127
; %bb.126:                              ;   in Loop: Header=BB137_21 Depth=1
	s_sub_i32 s3, s3, s28
	s_mov_b64 s[14:15], -1
	s_mov_b32 s52, 0
	s_mov_b32 s8, s2
	;; [unrolled: 1-line block ×3, first 2 shown]
.LBB137_127:                            ;   in Loop: Header=BB137_21 Depth=1
	s_mov_b32 s1, s9
	s_mov_b32 s2, s8
	;; [unrolled: 1-line block ×3, first 2 shown]
	s_mov_b64 s[18:19], -1
	s_and_b64 vcc, exec, s[14:15]
	s_cbranch_vccnz .LBB137_130
.LBB137_128:                            ;   in Loop: Header=BB137_21 Depth=1
	s_mov_b64 s[30:31], -1
                                        ; implicit-def: $sgpr20_sgpr21
                                        ; implicit-def: $sgpr24_sgpr25
                                        ; implicit-def: $sgpr22_sgpr23
                                        ; implicit-def: $sgpr3
	s_and_saveexec_b64 s[8:9], s[30:31]
	s_xor_b64 s[14:15], exec, s[8:9]
	s_cbranch_execz .LBB137_19
	s_branch .LBB137_253
.LBB137_129:                            ;   in Loop: Header=BB137_21 Depth=1
	s_mov_b32 s52, 1
	s_mov_b64 s[18:19], -1
	s_and_b64 vcc, exec, s[14:15]
	s_cbranch_vccz .LBB137_128
.LBB137_130:                            ;   in Loop: Header=BB137_21 Depth=1
	s_cmp_eq_u32 s34, 1
	s_cselect_b64 s[8:9], -1, 0
	s_cmp_eq_u32 s35, 1
	s_cselect_b64 s[14:15], -1, 0
	s_and_b64 s[28:29], s[8:9], s[14:15]
	s_mov_b64 s[14:15], -1
	s_and_b64 vcc, exec, s[28:29]
	s_cbranch_vccz .LBB137_142
; %bb.131:                              ;   in Loop: Header=BB137_21 Depth=1
	ds_read_b32 v2, v9 offset:4104
	s_waitcnt lgkmcnt(0)
	s_barrier
	v_readfirstlane_b32 s3, v2
	s_and_saveexec_b64 s[14:15], s[6:7]
	s_cbranch_execz .LBB137_133
; %bb.132:                              ;   in Loop: Header=BB137_21 Depth=1
	ds_write_b16 v18, v9
.LBB137_133:                            ;   in Loop: Header=BB137_21 Depth=1
	s_or_b64 exec, exec, s[14:15]
	s_lshl_b32 s8, 1, s43
	s_and_b32 s2, s2, s44
	s_or_b32 s2, s2, s8
	s_or_b32 s1, s1, s51
	s_cmp_eq_u32 s3, 0
	s_waitcnt lgkmcnt(0)
	s_barrier
	s_cbranch_scc1 .LBB137_143
; %bb.134:                              ;   in Loop: Header=BB137_21 Depth=1
	v_readlane_b32 s8, v52, 17
	s_add_i32 s8, s3, s8
	v_readlane_b32 s9, v52, 38
	s_mul_hi_u32 s9, s8, s9
	s_mul_i32 s9, s9, s59
	s_sub_i32 s9, s8, s9
	s_sub_i32 s14, s9, s59
	s_cmp_ge_u32 s9, s59
	s_cselect_b32 s9, s14, s9
	s_sub_i32 s14, s9, s59
	s_cmp_ge_u32 s9, s59
	s_cselect_b32 s9, s14, s9
	s_sub_i32 s8, s8, s9
	v_cmp_gt_u32_e32 vcc, s8, v0
	s_mov_b64 s[14:15], 0
                                        ; implicit-def: $vgpr34
	s_and_saveexec_b64 s[20:21], vcc
	s_cbranch_execz .LBB137_145
; %bb.135:                              ;   in Loop: Header=BB137_21 Depth=1
	s_mov_b64 s[22:23], 0
	v_mov_b32_e32 v2, v17
	v_mov_b32_e32 v3, v0
                                        ; implicit-def: $sgpr24_sgpr25
	s_branch .LBB137_137
.LBB137_136:                            ;   in Loop: Header=BB137_137 Depth=2
	s_or_b64 exec, exec, s[14:15]
	s_waitcnt lgkmcnt(0)
	s_barrier
	ds_read_b32 v4, v9 offset:3072
	v_add_u32_e32 v3, s59, v3
	v_cmp_le_u32_e64 s[14:15], s8, v3
	v_add_u32_e32 v2, s13, v2
	s_waitcnt lgkmcnt(0)
	v_and_b32_e32 v5, 0x7fff, v4
	v_cmp_ne_u16_e32 vcc, 0, v5
	s_or_b64 s[14:15], s[14:15], vcc
	s_and_b64 s[14:15], exec, s[14:15]
	s_or_b64 s[22:23], s[14:15], s[22:23]
	s_andn2_b64 s[14:15], s[24:25], exec
	s_and_b64 s[24:25], vcc, exec
	s_or_b64 s[24:25], s[14:15], s[24:25]
	s_barrier
	s_andn2_b64 exec, exec, s[22:23]
	s_cbranch_execz .LBB137_144
.LBB137_137:                            ;   Parent Loop BB137_21 Depth=1
                                        ; =>  This Inner Loop Header: Depth=2
	v_cmp_gt_u32_e32 vcc, s3, v3
	v_mov_b32_e32 v4, 0
	s_and_saveexec_b64 s[14:15], vcc
	s_cbranch_execz .LBB137_139
; %bb.138:                              ;   in Loop: Header=BB137_137 Depth=2
	ds_read_u16 v4, v2
.LBB137_139:                            ;   in Loop: Header=BB137_137 Depth=2
	s_or_b64 exec, exec, s[14:15]
	s_and_saveexec_b64 s[14:15], vcc
	s_cbranch_execz .LBB137_136
; %bb.140:                              ;   in Loop: Header=BB137_137 Depth=2
	s_waitcnt lgkmcnt(0)
	v_cmp_lt_i16_e32 vcc, -1, v4
	v_cndmask_b32_e32 v5, v29, v30, vcc
	v_lshlrev_b32_e32 v8, 16, v4
	v_xor_b32_sdwa v5, v5, v4 dst_sel:DWORD dst_unused:UNUSED_PAD src0_sel:DWORD src1_sel:WORD_0
	v_cmp_o_f32_e32 vcc, v8, v8
	v_cndmask_b32_e32 v5, v29, v5, vcc
	v_and_b32_e32 v5, s1, v5
	v_cmp_eq_u32_e32 vcc, s2, v5
	s_and_b64 exec, exec, vcc
	s_cbranch_execz .LBB137_136
; %bb.141:                              ;   in Loop: Header=BB137_137 Depth=2
	v_perm_b32 v4, v4, s72, v33
	ds_write_b32 v9, v4 offset:3072
	s_branch .LBB137_136
.LBB137_142:                            ;   in Loop: Header=BB137_21 Depth=1
                                        ; implicit-def: $sgpr22_sgpr23
                                        ; implicit-def: $sgpr24_sgpr25
                                        ; implicit-def: $sgpr20_sgpr21
	s_branch .LBB137_156
.LBB137_143:                            ;   in Loop: Header=BB137_21 Depth=1
	s_mov_b64 s[22:23], -1
	s_mov_b64 s[14:15], 0
                                        ; implicit-def: $sgpr20_sgpr21
                                        ; implicit-def: $vgpr34
	s_mov_b64 s[24:25], s[22:23]
	s_cbranch_execnz .LBB137_146
	s_branch .LBB137_156
.LBB137_144:                            ;   in Loop: Header=BB137_21 Depth=1
	s_or_b64 exec, exec, s[22:23]
	v_lshrrev_b32_e32 v34, 16, v4
	s_and_b64 s[14:15], s[24:25], exec
.LBB137_145:                            ;   in Loop: Header=BB137_21 Depth=1
	s_or_b64 exec, exec, s[20:21]
	s_mov_b64 s[20:21], -1
	s_mov_b64 s[22:23], 0
	s_mov_b64 s[24:25], s[22:23]
	s_branch .LBB137_156
.LBB137_146:                            ;   in Loop: Header=BB137_21 Depth=1
	s_mov_b64 s[14:15], 0
                                        ; implicit-def: $vgpr34
	s_mov_b64 s[20:21], exec
	v_readlane_b32 s8, v52, 39
	v_readlane_b32 s9, v52, 40
	s_and_b64 s[8:9], s[20:21], s[8:9]
	s_mov_b64 exec, s[8:9]
	s_cbranch_execz .LBB137_155
; %bb.147:                              ;   in Loop: Header=BB137_21 Depth=1
	s_mov_b64 s[22:23], 0
	v_mov_b32_e32 v8, v6
	v_mov_b32_e32 v2, v0
                                        ; implicit-def: $sgpr24_sgpr25
	s_branch .LBB137_149
.LBB137_148:                            ;   in Loop: Header=BB137_149 Depth=2
	s_or_b64 exec, exec, s[14:15]
	s_waitcnt lgkmcnt(0)
	s_barrier
	s_waitcnt vmcnt(0)
	ds_read_b32 v3, v9 offset:3072
	v_add_u32_e32 v2, s59, v2
	v_cmp_le_u32_e64 s[14:15], s78, v2
	v_add_u32_e32 v8, s83, v8
	s_waitcnt lgkmcnt(0)
	v_and_b32_e32 v4, 0x7fff, v3
	v_cmp_ne_u16_e32 vcc, 0, v4
	s_or_b64 s[8:9], s[14:15], vcc
	s_and_b64 s[8:9], exec, s[8:9]
	s_or_b64 s[22:23], s[8:9], s[22:23]
	s_andn2_b64 s[8:9], s[24:25], exec
	s_and_b64 s[14:15], vcc, exec
	s_or_b64 s[24:25], s[8:9], s[14:15]
	s_barrier
	s_andn2_b64 exec, exec, s[22:23]
	s_cbranch_execz .LBB137_154
.LBB137_149:                            ;   Parent Loop BB137_21 Depth=1
                                        ; =>  This Inner Loop Header: Depth=2
	v_cmp_gt_u32_e32 vcc, s56, v2
	v_mov_b32_e32 v3, 0
	s_and_saveexec_b64 s[26:27], vcc
	s_cbranch_execz .LBB137_151
; %bb.150:                              ;   in Loop: Header=BB137_149 Depth=2
	v_lshlrev_b64 v[4:5], 1, v[8:9]
	v_mov_b32_e32 v3, s82
	v_add_co_u32_e64 v4, s[14:15], s57, v4
	v_addc_co_u32_e64 v5, s[14:15], v3, v5, s[14:15]
	global_load_ushort v3, v[4:5], off
.LBB137_151:                            ;   in Loop: Header=BB137_149 Depth=2
	s_or_b64 exec, exec, s[26:27]
	s_and_saveexec_b64 s[14:15], vcc
	s_cbranch_execz .LBB137_148
; %bb.152:                              ;   in Loop: Header=BB137_149 Depth=2
	s_waitcnt vmcnt(0)
	v_cmp_lt_i16_e32 vcc, -1, v3
	v_cndmask_b32_e32 v4, v29, v30, vcc
	v_lshlrev_b32_e32 v5, 16, v3
	v_xor_b32_sdwa v4, v4, v3 dst_sel:DWORD dst_unused:UNUSED_PAD src0_sel:DWORD src1_sel:WORD_0
	v_cmp_o_f32_e32 vcc, v5, v5
	v_cndmask_b32_e32 v4, v29, v4, vcc
	v_and_b32_e32 v4, s1, v4
	v_cmp_eq_u32_e32 vcc, s2, v4
	s_and_b64 exec, exec, vcc
	s_cbranch_execz .LBB137_148
; %bb.153:                              ;   in Loop: Header=BB137_149 Depth=2
	v_perm_b32 v3, v3, s72, v33
	ds_write_b32 v9, v3 offset:3072
	s_branch .LBB137_148
.LBB137_154:                            ;   in Loop: Header=BB137_21 Depth=1
	s_or_b64 exec, exec, s[22:23]
	v_lshrrev_b32_e32 v34, 16, v3
	s_and_b64 s[14:15], s[24:25], exec
.LBB137_155:                            ;   in Loop: Header=BB137_21 Depth=1
	s_or_b64 exec, exec, s[20:21]
	s_mov_b64 s[24:25], -1
	s_mov_b64 s[22:23], 0
	s_mov_b64 s[20:21], 0
.LBB137_156:                            ;   in Loop: Header=BB137_21 Depth=1
	s_mov_b64 s[30:31], 0
                                        ; implicit-def: $sgpr52
	s_and_saveexec_b64 s[26:27], s[14:15]
	s_cbranch_execz .LBB137_252
; %bb.157:                              ;   in Loop: Header=BB137_21 Depth=1
	s_xor_b64 s[8:9], s[28:29], -1
	s_mov_b64 s[14:15], 0
	s_andn2_b64 vcc, exec, s[8:9]
	s_mov_b32 s45, 1
	s_cbranch_vccnz .LBB137_168
; %bb.158:                              ;   in Loop: Header=BB137_21 Depth=1
	s_cmp_gt_u32 s35, s34
	s_mov_b64 s[14:15], -1
                                        ; implicit-def: $sgpr52
                                        ; implicit-def: $sgpr3
                                        ; implicit-def: $sgpr8
	s_cbranch_scc1 .LBB137_164
; %bb.159:                              ;   in Loop: Header=BB137_21 Depth=1
	ds_read_b32 v2, v9 offset:4104
	s_waitcnt lgkmcnt(0)
	v_cmp_ne_u32_e32 vcc, 0, v2
	s_cbranch_vccnz .LBB137_163
; %bb.160:                              ;   in Loop: Header=BB137_21 Depth=1
	s_mov_b64 s[14:15], exec
	v_readlane_b32 s8, v52, 15
	v_readlane_b32 s9, v52, 16
	s_and_b64 s[8:9], s[14:15], s[8:9]
	s_mov_b64 exec, s[8:9]
	s_cbranch_execz .LBB137_162
; %bb.161:                              ;   in Loop: Header=BB137_21 Depth=1
	v_mov_b32_e32 v2, s34
	ds_write_b32 v9, v2 offset:4108
.LBB137_162:                            ;   in Loop: Header=BB137_21 Depth=1
	s_or_b64 exec, exec, s[14:15]
	s_waitcnt lgkmcnt(0)
	s_barrier
.LBB137_163:                            ;   in Loop: Header=BB137_21 Depth=1
	s_lshl_b32 s3, 1, s43
	s_and_b32 s8, s2, s44
	s_or_b32 s3, s8, s3
	s_or_b32 s8, s1, s51
	s_mov_b64 s[14:15], 0
	s_mov_b32 s52, 8
.LBB137_164:                            ;   in Loop: Header=BB137_21 Depth=1
	s_andn2_b64 vcc, exec, s[14:15]
	s_cbranch_vccnz .LBB137_166
; %bb.165:                              ;   in Loop: Header=BB137_21 Depth=1
	s_sub_i32 s35, s35, s34
	s_mov_b64 s[14:15], -1
	s_mov_b32 s52, 0
	s_mov_b32 s3, s2
	;; [unrolled: 1-line block ×3, first 2 shown]
.LBB137_166:                            ;   in Loop: Header=BB137_21 Depth=1
	s_mov_b32 s1, s8
	s_mov_b32 s2, s3
	;; [unrolled: 1-line block ×3, first 2 shown]
	s_andn2_b64 vcc, exec, s[14:15]
	s_mov_b64 s[40:41], -1
	s_cbranch_vccz .LBB137_169
.LBB137_167:                            ;   in Loop: Header=BB137_21 Depth=1
                                        ; implicit-def: $sgpr30_sgpr31
                                        ; implicit-def: $sgpr34_sgpr35
                                        ; implicit-def: $sgpr28_sgpr29
	s_branch .LBB137_251
.LBB137_168:                            ;   in Loop: Header=BB137_21 Depth=1
	s_mov_b32 s52, 1
	s_andn2_b64 vcc, exec, s[14:15]
	s_mov_b64 s[40:41], -1
	s_cbranch_vccnz .LBB137_167
.LBB137_169:                            ;   in Loop: Header=BB137_21 Depth=1
	s_cmp_eq_u32 s42, 1
	s_cselect_b64 s[8:9], -1, 0
	s_cmp_eq_u32 s45, 1
	s_cselect_b64 s[14:15], -1, 0
	s_and_b64 s[38:39], s[8:9], s[14:15]
	s_mov_b64 s[14:15], -1
	s_and_b64 vcc, exec, s[38:39]
	s_cbranch_vccz .LBB137_181
; %bb.170:                              ;   in Loop: Header=BB137_21 Depth=1
	ds_read_b32 v2, v9 offset:4104
	s_waitcnt lgkmcnt(0)
	s_barrier
	v_readfirstlane_b32 s3, v2
	s_and_saveexec_b64 s[14:15], s[6:7]
	s_cbranch_execz .LBB137_172
; %bb.171:                              ;   in Loop: Header=BB137_21 Depth=1
	ds_write_b16 v18, v9
.LBB137_172:                            ;   in Loop: Header=BB137_21 Depth=1
	s_or_b64 exec, exec, s[14:15]
	s_lshl_b32 s8, 2, s43
	s_and_b32 s2, s2, s44
	s_or_b32 s2, s2, s8
	s_or_b32 s1, s1, s51
	s_cmp_eq_u32 s3, 0
	s_waitcnt lgkmcnt(0)
	s_barrier
	s_cbranch_scc1 .LBB137_182
; %bb.173:                              ;   in Loop: Header=BB137_21 Depth=1
	v_readlane_b32 s8, v52, 17
	s_add_i32 s8, s3, s8
	v_readlane_b32 s9, v52, 38
	s_mul_hi_u32 s9, s8, s9
	s_mul_i32 s9, s9, s59
	s_sub_i32 s9, s8, s9
	s_sub_i32 s14, s9, s59
	s_cmp_ge_u32 s9, s59
	s_cselect_b32 s9, s14, s9
	s_sub_i32 s14, s9, s59
	s_cmp_ge_u32 s9, s59
	s_cselect_b32 s9, s14, s9
	s_sub_i32 s8, s8, s9
	v_cmp_gt_u32_e32 vcc, s8, v0
	s_mov_b64 s[14:15], 0
                                        ; implicit-def: $vgpr34
	s_and_saveexec_b64 s[28:29], vcc
	s_cbranch_execz .LBB137_184
; %bb.174:                              ;   in Loop: Header=BB137_21 Depth=1
	v_mov_b32_e32 v2, v17
	v_mov_b32_e32 v3, v0
                                        ; implicit-def: $sgpr34_sgpr35
	s_branch .LBB137_176
.LBB137_175:                            ;   in Loop: Header=BB137_176 Depth=2
	s_or_b64 exec, exec, s[14:15]
	s_waitcnt lgkmcnt(0)
	s_barrier
	ds_read_b32 v4, v9 offset:3072
	v_add_u32_e32 v3, s59, v3
	v_cmp_le_u32_e64 s[14:15], s8, v3
	v_add_u32_e32 v2, s13, v2
	s_waitcnt lgkmcnt(0)
	v_and_b32_e32 v5, 0x7fff, v4
	v_cmp_ne_u16_e32 vcc, 0, v5
	s_or_b64 s[14:15], s[14:15], vcc
	s_and_b64 s[14:15], exec, s[14:15]
	s_or_b64 s[30:31], s[14:15], s[30:31]
	s_andn2_b64 s[14:15], s[34:35], exec
	s_and_b64 s[34:35], vcc, exec
	s_or_b64 s[34:35], s[14:15], s[34:35]
	s_barrier
	s_andn2_b64 exec, exec, s[30:31]
	s_cbranch_execz .LBB137_183
.LBB137_176:                            ;   Parent Loop BB137_21 Depth=1
                                        ; =>  This Inner Loop Header: Depth=2
	v_cmp_gt_u32_e32 vcc, s3, v3
	v_mov_b32_e32 v4, 0
	s_and_saveexec_b64 s[14:15], vcc
	s_cbranch_execz .LBB137_178
; %bb.177:                              ;   in Loop: Header=BB137_176 Depth=2
	ds_read_u16 v4, v2
.LBB137_178:                            ;   in Loop: Header=BB137_176 Depth=2
	s_or_b64 exec, exec, s[14:15]
	s_and_saveexec_b64 s[14:15], vcc
	s_cbranch_execz .LBB137_175
; %bb.179:                              ;   in Loop: Header=BB137_176 Depth=2
	s_waitcnt lgkmcnt(0)
	v_cmp_lt_i16_e32 vcc, -1, v4
	v_cndmask_b32_e32 v5, v29, v30, vcc
	v_lshlrev_b32_e32 v8, 16, v4
	v_xor_b32_sdwa v5, v5, v4 dst_sel:DWORD dst_unused:UNUSED_PAD src0_sel:DWORD src1_sel:WORD_0
	v_cmp_o_f32_e32 vcc, v8, v8
	v_cndmask_b32_e32 v5, v29, v5, vcc
	v_and_b32_e32 v5, s1, v5
	v_cmp_eq_u32_e32 vcc, s2, v5
	s_and_b64 exec, exec, vcc
	s_cbranch_execz .LBB137_175
; %bb.180:                              ;   in Loop: Header=BB137_176 Depth=2
	v_perm_b32 v4, v4, s72, v33
	ds_write_b32 v9, v4 offset:3072
	s_branch .LBB137_175
.LBB137_181:                            ;   in Loop: Header=BB137_21 Depth=1
                                        ; implicit-def: $sgpr28_sgpr29
                                        ; implicit-def: $sgpr34_sgpr35
                                        ; implicit-def: $sgpr30_sgpr31
	s_branch .LBB137_195
.LBB137_182:                            ;   in Loop: Header=BB137_21 Depth=1
	s_mov_b64 s[28:29], -1
	s_mov_b64 s[14:15], 0
                                        ; implicit-def: $sgpr30_sgpr31
                                        ; implicit-def: $vgpr34
	s_mov_b64 s[34:35], s[28:29]
	s_cbranch_execnz .LBB137_185
	s_branch .LBB137_195
.LBB137_183:                            ;   in Loop: Header=BB137_21 Depth=1
	s_or_b64 exec, exec, s[30:31]
	v_lshrrev_b32_e32 v34, 16, v4
	s_and_b64 s[14:15], s[34:35], exec
.LBB137_184:                            ;   in Loop: Header=BB137_21 Depth=1
	s_or_b64 exec, exec, s[28:29]
	s_mov_b64 s[30:31], -1
	s_mov_b64 s[28:29], 0
	s_mov_b64 s[34:35], s[28:29]
	s_branch .LBB137_195
.LBB137_185:                            ;   in Loop: Header=BB137_21 Depth=1
	s_mov_b64 s[14:15], 0
                                        ; implicit-def: $vgpr34
	s_mov_b64 s[28:29], exec
	v_readlane_b32 s8, v52, 39
	v_readlane_b32 s9, v52, 40
	s_and_b64 s[8:9], s[28:29], s[8:9]
	s_mov_b64 exec, s[8:9]
	s_cbranch_execz .LBB137_194
; %bb.186:                              ;   in Loop: Header=BB137_21 Depth=1
	s_mov_b64 s[30:31], 0
	v_mov_b32_e32 v8, v6
	v_mov_b32_e32 v2, v0
                                        ; implicit-def: $sgpr34_sgpr35
	s_branch .LBB137_188
.LBB137_187:                            ;   in Loop: Header=BB137_188 Depth=2
	s_or_b64 exec, exec, s[14:15]
	s_waitcnt lgkmcnt(0)
	s_barrier
	s_waitcnt vmcnt(0)
	ds_read_b32 v3, v9 offset:3072
	v_add_u32_e32 v2, s59, v2
	v_cmp_le_u32_e64 s[14:15], s78, v2
	v_add_u32_e32 v8, s83, v8
	s_waitcnt lgkmcnt(0)
	v_and_b32_e32 v4, 0x7fff, v3
	v_cmp_ne_u16_e32 vcc, 0, v4
	s_or_b64 s[8:9], s[14:15], vcc
	s_and_b64 s[8:9], exec, s[8:9]
	s_or_b64 s[30:31], s[8:9], s[30:31]
	s_andn2_b64 s[8:9], s[34:35], exec
	s_and_b64 s[14:15], vcc, exec
	s_or_b64 s[34:35], s[8:9], s[14:15]
	s_barrier
	s_andn2_b64 exec, exec, s[30:31]
	s_cbranch_execz .LBB137_193
.LBB137_188:                            ;   Parent Loop BB137_21 Depth=1
                                        ; =>  This Inner Loop Header: Depth=2
	v_cmp_gt_u32_e32 vcc, s56, v2
	v_mov_b32_e32 v3, 0
	s_and_saveexec_b64 s[36:37], vcc
	s_cbranch_execz .LBB137_190
; %bb.189:                              ;   in Loop: Header=BB137_188 Depth=2
	v_lshlrev_b64 v[4:5], 1, v[8:9]
	v_mov_b32_e32 v3, s82
	v_add_co_u32_e64 v4, s[14:15], s57, v4
	v_addc_co_u32_e64 v5, s[14:15], v3, v5, s[14:15]
	global_load_ushort v3, v[4:5], off
.LBB137_190:                            ;   in Loop: Header=BB137_188 Depth=2
	s_or_b64 exec, exec, s[36:37]
	s_and_saveexec_b64 s[14:15], vcc
	s_cbranch_execz .LBB137_187
; %bb.191:                              ;   in Loop: Header=BB137_188 Depth=2
	s_waitcnt vmcnt(0)
	v_cmp_lt_i16_e32 vcc, -1, v3
	v_cndmask_b32_e32 v4, v29, v30, vcc
	v_lshlrev_b32_e32 v5, 16, v3
	v_xor_b32_sdwa v4, v4, v3 dst_sel:DWORD dst_unused:UNUSED_PAD src0_sel:DWORD src1_sel:WORD_0
	v_cmp_o_f32_e32 vcc, v5, v5
	v_cndmask_b32_e32 v4, v29, v4, vcc
	v_and_b32_e32 v4, s1, v4
	v_cmp_eq_u32_e32 vcc, s2, v4
	s_and_b64 exec, exec, vcc
	s_cbranch_execz .LBB137_187
; %bb.192:                              ;   in Loop: Header=BB137_188 Depth=2
	v_perm_b32 v3, v3, s72, v33
	ds_write_b32 v9, v3 offset:3072
	s_branch .LBB137_187
.LBB137_193:                            ;   in Loop: Header=BB137_21 Depth=1
	s_or_b64 exec, exec, s[30:31]
	v_lshrrev_b32_e32 v34, 16, v3
	s_and_b64 s[14:15], s[34:35], exec
.LBB137_194:                            ;   in Loop: Header=BB137_21 Depth=1
	s_or_b64 exec, exec, s[28:29]
	s_mov_b64 s[34:35], -1
	s_mov_b64 s[28:29], 0
	s_mov_b64 s[30:31], 0
.LBB137_195:                            ;   in Loop: Header=BB137_21 Depth=1
	s_mov_b64 s[40:41], 0
                                        ; implicit-def: $sgpr52
	s_and_saveexec_b64 s[36:37], s[14:15]
	s_cbranch_execz .LBB137_250
; %bb.196:                              ;   in Loop: Header=BB137_21 Depth=1
	s_xor_b64 s[8:9], s[38:39], -1
	s_mov_b64 s[14:15], 0
	s_andn2_b64 vcc, exec, s[8:9]
	s_mov_b32 s3, 1
	s_cbranch_vccnz .LBB137_207
; %bb.197:                              ;   in Loop: Header=BB137_21 Depth=1
	s_cmp_gt_u32 s45, s42
	s_mov_b64 s[14:15], -1
                                        ; implicit-def: $sgpr52
                                        ; implicit-def: $sgpr3
                                        ; implicit-def: $sgpr8
	s_cbranch_scc1 .LBB137_203
; %bb.198:                              ;   in Loop: Header=BB137_21 Depth=1
	ds_read_b32 v2, v9 offset:4104
	s_waitcnt lgkmcnt(0)
	v_cmp_ne_u32_e32 vcc, 0, v2
	s_cbranch_vccnz .LBB137_202
; %bb.199:                              ;   in Loop: Header=BB137_21 Depth=1
	s_mov_b64 s[14:15], exec
	v_readlane_b32 s8, v52, 15
	v_readlane_b32 s9, v52, 16
	s_and_b64 s[8:9], s[14:15], s[8:9]
	s_mov_b64 exec, s[8:9]
	s_cbranch_execz .LBB137_201
; %bb.200:                              ;   in Loop: Header=BB137_21 Depth=1
	v_mov_b32_e32 v2, s42
	ds_write_b32 v9, v2 offset:4108
.LBB137_201:                            ;   in Loop: Header=BB137_21 Depth=1
	s_or_b64 exec, exec, s[14:15]
	s_waitcnt lgkmcnt(0)
	s_barrier
.LBB137_202:                            ;   in Loop: Header=BB137_21 Depth=1
	s_lshl_b32 s3, 2, s43
	s_and_b32 s8, s2, s44
	s_or_b32 s3, s8, s3
	s_or_b32 s8, s1, s51
	s_mov_b64 s[14:15], 0
	s_mov_b32 s52, 8
.LBB137_203:                            ;   in Loop: Header=BB137_21 Depth=1
	s_andn2_b64 vcc, exec, s[14:15]
	s_cbranch_vccnz .LBB137_205
; %bb.204:                              ;   in Loop: Header=BB137_21 Depth=1
	s_sub_i32 s45, s45, s42
	s_mov_b64 s[14:15], -1
	s_mov_b32 s52, 0
	s_mov_b32 s3, s2
	;; [unrolled: 1-line block ×3, first 2 shown]
.LBB137_205:                            ;   in Loop: Header=BB137_21 Depth=1
	s_mov_b32 s1, s8
	s_mov_b32 s2, s3
	;; [unrolled: 1-line block ×3, first 2 shown]
	s_andn2_b64 vcc, exec, s[14:15]
	s_mov_b64 s[48:49], -1
	s_cbranch_vccz .LBB137_208
.LBB137_206:                            ;   in Loop: Header=BB137_21 Depth=1
                                        ; implicit-def: $sgpr14_sgpr15
                                        ; implicit-def: $sgpr42_sgpr43
                                        ; implicit-def: $sgpr40_sgpr41
	s_branch .LBB137_249
.LBB137_207:                            ;   in Loop: Header=BB137_21 Depth=1
	s_mov_b32 s52, 1
	s_andn2_b64 vcc, exec, s[14:15]
	s_mov_b64 s[48:49], -1
	s_cbranch_vccnz .LBB137_206
.LBB137_208:                            ;   in Loop: Header=BB137_21 Depth=1
	s_cmp_eq_u32 s50, 1
	s_cselect_b64 s[8:9], -1, 0
	s_cmp_eq_u32 s3, 1
	s_cselect_b64 s[14:15], -1, 0
	s_and_b64 s[38:39], s[8:9], s[14:15]
	s_mov_b64 s[44:45], -1
	s_and_b64 vcc, exec, s[38:39]
	s_cbranch_vccz .LBB137_220
; %bb.209:                              ;   in Loop: Header=BB137_21 Depth=1
	ds_read_b32 v2, v9 offset:4104
	s_waitcnt lgkmcnt(0)
	s_barrier
	v_readfirstlane_b32 s8, v2
	s_and_saveexec_b64 s[14:15], s[6:7]
	s_cbranch_execz .LBB137_211
; %bb.210:                              ;   in Loop: Header=BB137_21 Depth=1
	ds_write_b16 v18, v9
.LBB137_211:                            ;   in Loop: Header=BB137_21 Depth=1
	s_or_b64 exec, exec, s[14:15]
	s_or_b32 s2, s2, s51
	s_or_b32 s1, s1, s51
	s_cmp_eq_u32 s8, 0
	s_waitcnt lgkmcnt(0)
	s_barrier
	s_cbranch_scc1 .LBB137_221
; %bb.212:                              ;   in Loop: Header=BB137_21 Depth=1
	v_readlane_b32 s9, v52, 17
	s_add_i32 s9, s8, s9
	v_readlane_b32 s14, v52, 38
	s_mul_hi_u32 s14, s9, s14
	s_mul_i32 s14, s14, s59
	s_sub_i32 s14, s9, s14
	s_sub_i32 s15, s14, s59
	s_cmp_ge_u32 s14, s59
	s_cselect_b32 s14, s15, s14
	s_sub_i32 s15, s14, s59
	s_cmp_ge_u32 s14, s59
	s_cselect_b32 s14, s15, s14
	s_sub_i32 s9, s9, s14
	v_cmp_gt_u32_e32 vcc, s9, v0
	s_mov_b64 s[44:45], 0
                                        ; implicit-def: $vgpr34
	s_and_saveexec_b64 s[40:41], vcc
	s_cbranch_execz .LBB137_223
; %bb.213:                              ;   in Loop: Header=BB137_21 Depth=1
	s_mov_b64 s[42:43], 0
	v_mov_b32_e32 v2, v17
	v_mov_b32_e32 v3, v0
                                        ; implicit-def: $sgpr44_sgpr45
	s_branch .LBB137_215
.LBB137_214:                            ;   in Loop: Header=BB137_215 Depth=2
	s_or_b64 exec, exec, s[14:15]
	s_waitcnt lgkmcnt(0)
	s_barrier
	ds_read_b32 v4, v9 offset:3072
	v_add_u32_e32 v3, s59, v3
	v_cmp_le_u32_e64 s[14:15], s9, v3
	v_add_u32_e32 v2, s13, v2
	s_waitcnt lgkmcnt(0)
	v_and_b32_e32 v5, 0x7fff, v4
	v_cmp_ne_u16_e32 vcc, 0, v5
	s_or_b64 s[14:15], s[14:15], vcc
	s_and_b64 s[14:15], exec, s[14:15]
	s_or_b64 s[42:43], s[14:15], s[42:43]
	s_andn2_b64 s[14:15], s[44:45], exec
	s_and_b64 s[44:45], vcc, exec
	s_or_b64 s[44:45], s[14:15], s[44:45]
	s_barrier
	s_andn2_b64 exec, exec, s[42:43]
	s_cbranch_execz .LBB137_222
.LBB137_215:                            ;   Parent Loop BB137_21 Depth=1
                                        ; =>  This Inner Loop Header: Depth=2
	v_cmp_gt_u32_e32 vcc, s8, v3
	v_mov_b32_e32 v4, 0
	s_and_saveexec_b64 s[14:15], vcc
	s_cbranch_execz .LBB137_217
; %bb.216:                              ;   in Loop: Header=BB137_215 Depth=2
	ds_read_u16 v4, v2
.LBB137_217:                            ;   in Loop: Header=BB137_215 Depth=2
	s_or_b64 exec, exec, s[14:15]
	s_and_saveexec_b64 s[14:15], vcc
	s_cbranch_execz .LBB137_214
; %bb.218:                              ;   in Loop: Header=BB137_215 Depth=2
	s_waitcnt lgkmcnt(0)
	v_cmp_lt_i16_e32 vcc, -1, v4
	v_cndmask_b32_e32 v5, v29, v30, vcc
	v_lshlrev_b32_e32 v8, 16, v4
	v_xor_b32_sdwa v5, v5, v4 dst_sel:DWORD dst_unused:UNUSED_PAD src0_sel:DWORD src1_sel:WORD_0
	v_cmp_o_f32_e32 vcc, v8, v8
	v_cndmask_b32_e32 v5, v29, v5, vcc
	v_and_b32_e32 v5, s1, v5
	v_cmp_eq_u32_e32 vcc, s2, v5
	s_and_b64 exec, exec, vcc
	s_cbranch_execz .LBB137_214
; %bb.219:                              ;   in Loop: Header=BB137_215 Depth=2
	v_perm_b32 v4, v4, s72, v33
	ds_write_b32 v9, v4 offset:3072
	s_branch .LBB137_214
.LBB137_220:                            ;   in Loop: Header=BB137_21 Depth=1
                                        ; implicit-def: $sgpr14_sgpr15
                                        ; implicit-def: $sgpr42_sgpr43
                                        ; implicit-def: $sgpr40_sgpr41
	s_branch .LBB137_234
.LBB137_221:                            ;   in Loop: Header=BB137_21 Depth=1
	s_mov_b64 s[14:15], -1
	s_mov_b64 s[44:45], 0
                                        ; implicit-def: $sgpr40_sgpr41
                                        ; implicit-def: $vgpr34
	s_mov_b64 s[42:43], s[14:15]
	s_cbranch_execnz .LBB137_224
	s_branch .LBB137_234
.LBB137_222:                            ;   in Loop: Header=BB137_21 Depth=1
	s_or_b64 exec, exec, s[42:43]
	v_lshrrev_b32_e32 v34, 16, v4
	s_and_b64 s[44:45], s[44:45], exec
.LBB137_223:                            ;   in Loop: Header=BB137_21 Depth=1
	s_or_b64 exec, exec, s[40:41]
	s_mov_b64 s[40:41], -1
	s_mov_b64 s[14:15], 0
	s_mov_b64 s[42:43], s[14:15]
	s_branch .LBB137_234
.LBB137_224:                            ;   in Loop: Header=BB137_21 Depth=1
	s_mov_b64 s[44:45], 0
                                        ; implicit-def: $vgpr34
	s_mov_b64 s[40:41], exec
	v_readlane_b32 s8, v52, 39
	v_readlane_b32 s9, v52, 40
	s_and_b64 s[8:9], s[40:41], s[8:9]
	s_mov_b64 exec, s[8:9]
	s_cbranch_execz .LBB137_233
; %bb.225:                              ;   in Loop: Header=BB137_21 Depth=1
	s_mov_b64 s[42:43], 0
	v_mov_b32_e32 v8, v6
	v_mov_b32_e32 v2, v0
                                        ; implicit-def: $sgpr44_sgpr45
	s_branch .LBB137_227
.LBB137_226:                            ;   in Loop: Header=BB137_227 Depth=2
	s_or_b64 exec, exec, s[14:15]
	s_waitcnt lgkmcnt(0)
	s_barrier
	s_waitcnt vmcnt(0)
	ds_read_b32 v3, v9 offset:3072
	v_add_u32_e32 v2, s59, v2
	v_cmp_le_u32_e64 s[14:15], s78, v2
	v_add_u32_e32 v8, s83, v8
	s_waitcnt lgkmcnt(0)
	v_and_b32_e32 v4, 0x7fff, v3
	v_cmp_ne_u16_e32 vcc, 0, v4
	s_or_b64 s[8:9], s[14:15], vcc
	s_and_b64 s[8:9], exec, s[8:9]
	s_or_b64 s[42:43], s[8:9], s[42:43]
	s_andn2_b64 s[8:9], s[44:45], exec
	s_and_b64 s[14:15], vcc, exec
	s_or_b64 s[44:45], s[8:9], s[14:15]
	s_barrier
	s_andn2_b64 exec, exec, s[42:43]
	s_cbranch_execz .LBB137_232
.LBB137_227:                            ;   Parent Loop BB137_21 Depth=1
                                        ; =>  This Inner Loop Header: Depth=2
	v_cmp_gt_u32_e32 vcc, s56, v2
	v_mov_b32_e32 v3, 0
	s_and_saveexec_b64 s[46:47], vcc
	s_cbranch_execz .LBB137_229
; %bb.228:                              ;   in Loop: Header=BB137_227 Depth=2
	v_lshlrev_b64 v[4:5], 1, v[8:9]
	v_mov_b32_e32 v3, s82
	v_add_co_u32_e64 v4, s[14:15], s57, v4
	v_addc_co_u32_e64 v5, s[14:15], v3, v5, s[14:15]
	global_load_ushort v3, v[4:5], off
.LBB137_229:                            ;   in Loop: Header=BB137_227 Depth=2
	s_or_b64 exec, exec, s[46:47]
	s_and_saveexec_b64 s[14:15], vcc
	s_cbranch_execz .LBB137_226
; %bb.230:                              ;   in Loop: Header=BB137_227 Depth=2
	s_waitcnt vmcnt(0)
	v_cmp_lt_i16_e32 vcc, -1, v3
	v_cndmask_b32_e32 v4, v29, v30, vcc
	v_lshlrev_b32_e32 v5, 16, v3
	v_xor_b32_sdwa v4, v4, v3 dst_sel:DWORD dst_unused:UNUSED_PAD src0_sel:DWORD src1_sel:WORD_0
	v_cmp_o_f32_e32 vcc, v5, v5
	v_cndmask_b32_e32 v4, v29, v4, vcc
	v_and_b32_e32 v4, s1, v4
	v_cmp_eq_u32_e32 vcc, s2, v4
	s_and_b64 exec, exec, vcc
	s_cbranch_execz .LBB137_226
; %bb.231:                              ;   in Loop: Header=BB137_227 Depth=2
	v_perm_b32 v3, v3, s72, v33
	ds_write_b32 v9, v3 offset:3072
	s_branch .LBB137_226
.LBB137_232:                            ;   in Loop: Header=BB137_21 Depth=1
	s_or_b64 exec, exec, s[42:43]
	v_lshrrev_b32_e32 v34, 16, v3
	s_and_b64 s[44:45], s[44:45], exec
.LBB137_233:                            ;   in Loop: Header=BB137_21 Depth=1
	s_or_b64 exec, exec, s[40:41]
	s_mov_b64 s[42:43], -1
	s_mov_b64 s[14:15], 0
	s_mov_b64 s[40:41], 0
.LBB137_234:                            ;   in Loop: Header=BB137_21 Depth=1
	s_mov_b64 s[48:49], 0
                                        ; implicit-def: $sgpr52
	s_and_saveexec_b64 s[46:47], s[44:45]
	s_cbranch_execz .LBB137_248
; %bb.235:                              ;   in Loop: Header=BB137_21 Depth=1
	s_xor_b64 s[8:9], s[38:39], -1
	s_andn2_b64 vcc, exec, s[8:9]
	s_mov_b32 s52, 1
	s_cbranch_vccnz .LBB137_242
; %bb.236:                              ;   in Loop: Header=BB137_21 Depth=1
	s_cmp_gt_u32 s3, s50
	s_cbranch_scc1 .LBB137_243
; %bb.237:                              ;   in Loop: Header=BB137_21 Depth=1
	ds_read_b32 v2, v9 offset:4104
	s_waitcnt lgkmcnt(0)
	v_cmp_ne_u32_e32 vcc, 0, v2
	s_cbranch_vccnz .LBB137_241
; %bb.238:                              ;   in Loop: Header=BB137_21 Depth=1
	s_mov_b64 s[38:39], exec
	v_readlane_b32 s8, v52, 15
	v_readlane_b32 s9, v52, 16
	s_and_b64 s[8:9], s[38:39], s[8:9]
	s_mov_b64 exec, s[8:9]
	s_cbranch_execz .LBB137_240
; %bb.239:                              ;   in Loop: Header=BB137_21 Depth=1
	v_mov_b32_e32 v2, s50
	ds_write_b32 v9, v2 offset:4108
.LBB137_240:                            ;   in Loop: Header=BB137_21 Depth=1
	s_or_b64 exec, exec, s[38:39]
	s_waitcnt lgkmcnt(0)
	s_barrier
.LBB137_241:                            ;   in Loop: Header=BB137_21 Depth=1
	s_or_b32 s8, s2, s51
	s_or_b32 s9, s1, s51
	s_mov_b64 s[38:39], 0
	s_mov_b32 s52, 8
	s_branch .LBB137_244
.LBB137_242:                            ;   in Loop: Header=BB137_21 Depth=1
	s_mov_b32 s3, 1
	s_branch .LBB137_247
.LBB137_243:                            ;   in Loop: Header=BB137_21 Depth=1
	s_mov_b64 s[38:39], -1
                                        ; implicit-def: $sgpr52
                                        ; implicit-def: $sgpr8
                                        ; implicit-def: $sgpr9
.LBB137_244:                            ;   in Loop: Header=BB137_21 Depth=1
	s_andn2_b64 vcc, exec, s[38:39]
	s_cbranch_vccnz .LBB137_246
; %bb.245:                              ;   in Loop: Header=BB137_21 Depth=1
	s_sub_i32 s3, s3, s50
	s_mov_b32 s52, 8
	s_mov_b32 s8, s2
	;; [unrolled: 1-line block ×3, first 2 shown]
.LBB137_246:                            ;   in Loop: Header=BB137_21 Depth=1
	s_mov_b32 s2, s8
	s_mov_b32 s1, s9
.LBB137_247:                            ;   in Loop: Header=BB137_21 Depth=1
	s_mov_b64 s[48:49], exec
.LBB137_248:                            ;   in Loop: Header=BB137_21 Depth=1
	s_or_b64 exec, exec, s[46:47]
.LBB137_249:                            ;   in Loop: Header=BB137_21 Depth=1
	s_andn2_b64 s[8:9], s[28:29], exec
	s_and_b64 s[14:15], s[14:15], exec
	s_or_b64 s[28:29], s[8:9], s[14:15]
	s_andn2_b64 s[8:9], s[34:35], exec
	s_and_b64 s[14:15], s[42:43], exec
	s_or_b64 s[34:35], s[8:9], s[14:15]
	;; [unrolled: 3-line block ×3, first 2 shown]
	s_and_b64 s[40:41], s[48:49], exec
	s_mov_b32 s45, s3
.LBB137_250:                            ;   in Loop: Header=BB137_21 Depth=1
	s_or_b64 exec, exec, s[36:37]
.LBB137_251:                            ;   in Loop: Header=BB137_21 Depth=1
	s_andn2_b64 s[8:9], s[22:23], exec
	s_and_b64 s[14:15], s[28:29], exec
	s_or_b64 s[22:23], s[8:9], s[14:15]
	s_andn2_b64 s[8:9], s[24:25], exec
	s_and_b64 s[14:15], s[34:35], exec
	s_or_b64 s[24:25], s[8:9], s[14:15]
	;; [unrolled: 3-line block ×3, first 2 shown]
	s_and_b64 s[30:31], s[40:41], exec
	s_mov_b32 s35, s45
.LBB137_252:                            ;   in Loop: Header=BB137_21 Depth=1
	s_or_b64 exec, exec, s[26:27]
                                        ; implicit-def: $sgpr3
	s_and_saveexec_b64 s[8:9], s[30:31]
	s_xor_b64 s[14:15], exec, s[8:9]
	s_cbranch_execz .LBB137_19
.LBB137_253:                            ;   in Loop: Header=BB137_21 Depth=1
	s_and_b32 s3, s52, -9
	s_cmp_eq_u32 s3, 0
	s_cbranch_scc1 .LBB137_17
; %bb.254:                              ;   in Loop: Header=BB137_21 Depth=1
	s_mov_b64 s[18:19], -1
                                        ; implicit-def: $sgpr1
                                        ; implicit-def: $sgpr35
                                        ; implicit-def: $sgpr73
                                        ; implicit-def: $sgpr0
	s_mov_b64 s[26:27], -1
	s_branch .LBB137_18
.LBB137_255:
	s_or_b64 exec, exec, s[86:87]
	s_xor_b64 s[8:9], s[92:93], -1
	s_xor_b64 s[0:1], s[88:89], -1
	;; [unrolled: 1-line block ×3, first 2 shown]
	s_mov_b64 s[4:5], 0
	s_and_saveexec_b64 s[2:3], s[0:1]
	s_xor_b64 s[2:3], exec, s[2:3]
	s_cbranch_execnz .LBB137_260
; %bb.256:
	s_andn2_saveexec_b64 s[0:1], s[2:3]
	s_cbranch_execnz .LBB137_273
.LBB137_257:
	s_or_b64 exec, exec, s[0:1]
	s_and_saveexec_b64 s[0:1], s[4:5]
.LBB137_258:
	; divergent unreachable
.LBB137_259:
	s_endpgm
.LBB137_260:
	s_and_saveexec_b64 s[0:1], s[8:9]
	s_xor_b64 s[4:5], exec, s[0:1]
	s_cbranch_execz .LBB137_271
; %bb.261:
	s_and_saveexec_b64 s[0:1], s[6:7]
	s_xor_b64 s[6:7], exec, s[0:1]
; %bb.262:
	v_and_b32_e32 v1, 0x8000, v2
	v_mov_b32_e32 v3, 0x8000
	v_mov_b32_e32 v4, 0xffff
	v_cmp_eq_u32_e32 vcc, 0, v1
	v_cndmask_b32_e32 v1, v3, v4, vcc
	v_xor_b32_e32 v34, v1, v2
; %bb.263:
	s_or_b64 exec, exec, s[6:7]
	v_readlane_b32 s8, v52, 8
	v_readlane_b32 s9, v52, 9
	s_mul_i32 s0, s9, s8
	v_readlane_b32 s7, v52, 12
	s_sub_i32 s0, s7, s0
	s_add_i32 s1, s9, 1
	s_sub_i32 s6, s0, s8
	s_cmp_ge_u32 s0, s8
	s_cselect_b32 s1, s1, s9
	s_cselect_b32 s0, s6, s0
	s_add_i32 s6, s1, 1
	s_cmp_ge_u32 s0, s8
	s_cselect_b32 s0, s6, s1
	s_mul_i32 s1, s0, s8
	s_sub_i32 s1, s7, s1
	v_readlane_b32 s6, v52, 4
	v_readlane_b32 s7, v52, 5
	s_mul_i32 s1, s1, s7
	s_mul_i32 s0, s0, s6
	s_add_i32 s0, s0, s1
	s_mov_b32 s1, 0
	s_lshl_b64 s[0:1], s[0:1], 1
	v_readlane_b32 s6, v52, 6
	v_readlane_b32 s7, v52, 7
	s_add_u32 s0, s6, s0
	s_addc_u32 s1, s7, s1
	v_mov_b32_e32 v7, 0
	global_store_short v7, v34, s[0:1]
	s_mov_b64 s[6:7], exec
	v_readlane_b32 s0, v52, 13
	v_readlane_b32 s1, v52, 14
	s_and_b64 s[0:1], s[6:7], s[0:1]
	s_mov_b64 exec, s[0:1]
	s_cbranch_execz .LBB137_270
; %bb.264:
	v_lshlrev_b32_e32 v1, 16, v34
	v_cmp_u_f32_e32 vcc, v1, v1
	s_mov_b64 s[8:9], 0
	v_mov_b32_e32 v3, s82
	s_xor_b64 s[12:13], vcc, -1
                                        ; implicit-def: $sgpr10_sgpr11
                                        ; implicit-def: $sgpr16_sgpr17
                                        ; implicit-def: $sgpr14_sgpr15
	s_branch .LBB137_266
.LBB137_265:                            ;   in Loop: Header=BB137_266 Depth=1
	s_or_b64 exec, exec, s[0:1]
	s_and_b64 s[0:1], exec, s[16:17]
	s_or_b64 s[8:9], s[0:1], s[8:9]
	s_andn2_b64 s[0:1], s[10:11], exec
	s_and_b64 s[10:11], s[14:15], exec
	s_or_b64 s[10:11], s[0:1], s[10:11]
	s_andn2_b64 exec, exec, s[8:9]
	s_cbranch_execz .LBB137_268
.LBB137_266:                            ; =>This Inner Loop Header: Depth=1
	v_lshlrev_b64 v[4:5], 1, v[6:7]
	v_add_co_u32_e32 v4, vcc, s57, v4
	v_addc_co_u32_e32 v5, vcc, v3, v5, vcc
	global_load_ushort v4, v[4:5], off
	v_mov_b32_e32 v2, v0
	s_or_b64 s[14:15], s[14:15], exec
	s_or_b64 s[16:17], s[16:17], exec
	s_waitcnt vmcnt(0)
	v_lshlrev_b32_e32 v0, 16, v4
	v_cmp_o_f32_e64 s[0:1], v0, v0
	v_cmp_neq_f32_e32 vcc, v0, v1
	s_or_b64 s[0:1], s[12:13], s[0:1]
	s_and_b64 s[18:19], vcc, s[0:1]
                                        ; implicit-def: $vgpr0
	s_and_saveexec_b64 s[0:1], s[18:19]
	s_cbranch_execz .LBB137_265
; %bb.267:                              ;   in Loop: Header=BB137_266 Depth=1
	v_add_u32_e32 v0, s59, v2
	v_cmp_le_u32_e32 vcc, s56, v0
	s_andn2_b64 s[16:17], s[16:17], exec
	s_and_b64 s[18:19], vcc, exec
	v_add_u32_e32 v6, s83, v6
	s_andn2_b64 s[14:15], s[14:15], exec
	s_or_b64 s[16:17], s[16:17], s[18:19]
	s_branch .LBB137_265
.LBB137_268:
	s_or_b64 exec, exec, s[8:9]
	s_and_saveexec_b64 s[0:1], s[10:11]
	s_xor_b64 s[0:1], exec, s[0:1]
	s_cbranch_execz .LBB137_270
; %bb.269:
	v_readlane_b32 s10, v52, 10
	v_readlane_b32 s11, v52, 11
	s_mul_i32 s0, s11, s10
	v_readlane_b32 s9, v52, 12
	s_sub_i32 s0, s9, s0
	s_add_i32 s1, s11, 1
	s_sub_i32 s8, s0, s10
	s_cmp_ge_u32 s0, s10
	s_cselect_b32 s1, s1, s11
	s_cselect_b32 s0, s8, s0
	s_add_i32 s8, s1, 1
	s_cmp_ge_u32 s0, s10
	s_cselect_b32 s0, s8, s1
	s_mul_i32 s1, s0, s10
	s_sub_i32 s1, s9, s1
	v_readlane_b32 s8, v52, 0
	v_readlane_b32 s9, v52, 1
	s_mul_i32 s1, s1, s9
	s_mul_i32 s0, s0, s8
	s_add_i32 s0, s0, s1
	s_mov_b32 s1, 0
	s_lshl_b64 s[0:1], s[0:1], 3
	v_readlane_b32 s8, v52, 2
	v_readlane_b32 s9, v52, 3
	s_add_u32 s0, s8, s0
	s_addc_u32 s1, s9, s1
	v_mov_b32_e32 v3, 0
	global_store_dwordx2 v3, v[2:3], s[0:1]
.LBB137_270:
	s_or_b64 exec, exec, s[6:7]
.LBB137_271:
	s_or_saveexec_b64 s[0:1], s[4:5]
	s_mov_b64 s[4:5], 0
	s_xor_b64 exec, exec, s[0:1]
	s_cbranch_execnz .LBB137_274
.LBB137_272:
	s_or_b64 exec, exec, s[0:1]
	s_and_b64 s[4:5], s[4:5], exec
	s_andn2_saveexec_b64 s[0:1], s[2:3]
	s_cbranch_execz .LBB137_257
.LBB137_273:
	s_or_b64 s[4:5], s[4:5], exec
	s_trap 2
	s_or_b64 exec, exec, s[0:1]
	s_and_saveexec_b64 s[0:1], s[4:5]
	s_cbranch_execnz .LBB137_258
	s_branch .LBB137_259
.LBB137_274:
	s_mov_b64 s[4:5], exec
	s_trap 2
	s_branch .LBB137_272
	.section	.rodata,"a",@progbits
	.p2align	6, 0x0
	.amdhsa_kernel _ZN2at6native12_GLOBAL__N_112gatherMedianIN3c108BFloat16EjLi2EEEvNS_4cuda6detail10TensorInfoIT_T0_EENS7_IlS9_EENS7_IKS8_S9_EES9_S9_S9_b
		.amdhsa_group_segment_fixed_size 4120
		.amdhsa_private_segment_fixed_size 0
		.amdhsa_kernarg_size 920
		.amdhsa_user_sgpr_count 6
		.amdhsa_user_sgpr_private_segment_buffer 1
		.amdhsa_user_sgpr_dispatch_ptr 0
		.amdhsa_user_sgpr_queue_ptr 0
		.amdhsa_user_sgpr_kernarg_segment_ptr 1
		.amdhsa_user_sgpr_dispatch_id 0
		.amdhsa_user_sgpr_flat_scratch_init 0
		.amdhsa_user_sgpr_kernarg_preload_length 0
		.amdhsa_user_sgpr_kernarg_preload_offset 0
		.amdhsa_user_sgpr_private_segment_size 0
		.amdhsa_uses_dynamic_stack 0
		.amdhsa_system_sgpr_private_segment_wavefront_offset 0
		.amdhsa_system_sgpr_workgroup_id_x 1
		.amdhsa_system_sgpr_workgroup_id_y 1
		.amdhsa_system_sgpr_workgroup_id_z 1
		.amdhsa_system_sgpr_workgroup_info 0
		.amdhsa_system_vgpr_workitem_id 0
		.amdhsa_next_free_vgpr 53
		.amdhsa_next_free_sgpr 96
		.amdhsa_accum_offset 56
		.amdhsa_reserve_vcc 1
		.amdhsa_reserve_flat_scratch 0
		.amdhsa_float_round_mode_32 0
		.amdhsa_float_round_mode_16_64 0
		.amdhsa_float_denorm_mode_32 3
		.amdhsa_float_denorm_mode_16_64 3
		.amdhsa_dx10_clamp 1
		.amdhsa_ieee_mode 1
		.amdhsa_fp16_overflow 0
		.amdhsa_tg_split 0
		.amdhsa_exception_fp_ieee_invalid_op 0
		.amdhsa_exception_fp_denorm_src 0
		.amdhsa_exception_fp_ieee_div_zero 0
		.amdhsa_exception_fp_ieee_overflow 0
		.amdhsa_exception_fp_ieee_underflow 0
		.amdhsa_exception_fp_ieee_inexact 0
		.amdhsa_exception_int_div_zero 0
	.end_amdhsa_kernel
	.section	.text._ZN2at6native12_GLOBAL__N_112gatherMedianIN3c108BFloat16EjLi2EEEvNS_4cuda6detail10TensorInfoIT_T0_EENS7_IlS9_EENS7_IKS8_S9_EES9_S9_S9_b,"axG",@progbits,_ZN2at6native12_GLOBAL__N_112gatherMedianIN3c108BFloat16EjLi2EEEvNS_4cuda6detail10TensorInfoIT_T0_EENS7_IlS9_EENS7_IKS8_S9_EES9_S9_S9_b,comdat
.Lfunc_end137:
	.size	_ZN2at6native12_GLOBAL__N_112gatherMedianIN3c108BFloat16EjLi2EEEvNS_4cuda6detail10TensorInfoIT_T0_EENS7_IlS9_EENS7_IKS8_S9_EES9_S9_S9_b, .Lfunc_end137-_ZN2at6native12_GLOBAL__N_112gatherMedianIN3c108BFloat16EjLi2EEEvNS_4cuda6detail10TensorInfoIT_T0_EENS7_IlS9_EENS7_IKS8_S9_EES9_S9_S9_b
                                        ; -- End function
	.section	.AMDGPU.csdata,"",@progbits
; Kernel info:
; codeLenInByte = 11096
; NumSgprs: 100
; NumVgprs: 53
; NumAgprs: 0
; TotalNumVgprs: 53
; ScratchSize: 0
; MemoryBound: 0
; FloatMode: 240
; IeeeMode: 1
; LDSByteSize: 4120 bytes/workgroup (compile time only)
; SGPRBlocks: 12
; VGPRBlocks: 6
; NumSGPRsForWavesPerEU: 100
; NumVGPRsForWavesPerEU: 53
; AccumOffset: 56
; Occupancy: 8
; WaveLimiterHint : 1
; COMPUTE_PGM_RSRC2:SCRATCH_EN: 0
; COMPUTE_PGM_RSRC2:USER_SGPR: 6
; COMPUTE_PGM_RSRC2:TRAP_HANDLER: 0
; COMPUTE_PGM_RSRC2:TGID_X_EN: 1
; COMPUTE_PGM_RSRC2:TGID_Y_EN: 1
; COMPUTE_PGM_RSRC2:TGID_Z_EN: 1
; COMPUTE_PGM_RSRC2:TIDIG_COMP_CNT: 0
; COMPUTE_PGM_RSRC3_GFX90A:ACCUM_OFFSET: 13
; COMPUTE_PGM_RSRC3_GFX90A:TG_SPLIT: 0
	.section	.text._ZN2at6native12_GLOBAL__N_112gatherMedianIN3c108BFloat16EjLi3EEEvNS_4cuda6detail10TensorInfoIT_T0_EENS7_IlS9_EENS7_IKS8_S9_EES9_S9_S9_b,"axG",@progbits,_ZN2at6native12_GLOBAL__N_112gatherMedianIN3c108BFloat16EjLi3EEEvNS_4cuda6detail10TensorInfoIT_T0_EENS7_IlS9_EENS7_IKS8_S9_EES9_S9_S9_b,comdat
	.globl	_ZN2at6native12_GLOBAL__N_112gatherMedianIN3c108BFloat16EjLi3EEEvNS_4cuda6detail10TensorInfoIT_T0_EENS7_IlS9_EENS7_IKS8_S9_EES9_S9_S9_b ; -- Begin function _ZN2at6native12_GLOBAL__N_112gatherMedianIN3c108BFloat16EjLi3EEEvNS_4cuda6detail10TensorInfoIT_T0_EENS7_IlS9_EENS7_IKS8_S9_EES9_S9_S9_b
	.p2align	8
	.type	_ZN2at6native12_GLOBAL__N_112gatherMedianIN3c108BFloat16EjLi3EEEvNS_4cuda6detail10TensorInfoIT_T0_EENS7_IlS9_EENS7_IKS8_S9_EES9_S9_S9_b,@function
_ZN2at6native12_GLOBAL__N_112gatherMedianIN3c108BFloat16EjLi3EEEvNS_4cuda6detail10TensorInfoIT_T0_EENS7_IlS9_EENS7_IKS8_S9_EES9_S9_S9_b: ; @_ZN2at6native12_GLOBAL__N_112gatherMedianIN3c108BFloat16EjLi3EEEvNS_4cuda6detail10TensorInfoIT_T0_EENS7_IlS9_EENS7_IKS8_S9_EES9_S9_S9_b
; %bb.0:
	s_load_dwordx2 s[12:13], s[4:5], 0x298
	s_load_dwordx4 s[56:59], s[4:5], 0x288
	s_add_u32 s10, s4, 0x298
	s_addc_u32 s11, s5, 0
	s_waitcnt lgkmcnt(0)
	s_mul_i32 s0, s13, s8
	s_add_i32 s0, s0, s7
	s_mul_i32 s0, s0, s12
	s_add_i32 s16, s0, s6
	s_cmp_ge_u32 s16, s57
	s_cbranch_scc1 .LBB138_259
; %bb.1:
	s_load_dwordx2 s[24:25], s[4:5], 0xc
	s_load_dwordx2 s[0:1], s[4:5], 0x0
	;; [unrolled: 1-line block ×4, first 2 shown]
	s_load_dwordx4 s[20:23], s[4:5], 0x144
                                        ; implicit-def: $vgpr52 : SGPR spill to VGPR lane
	s_load_dwordx2 s[18:19], s[4:5], 0xd8
	s_load_dwordx4 s[28:31], s[4:5], 0x6c
	s_waitcnt lgkmcnt(0)
	v_cvt_f32_u32_e32 v1, s25
	v_writelane_b32 v52, s0, 0
	v_writelane_b32 v52, s1, 1
	;; [unrolled: 1-line block ×3, first 2 shown]
	v_rcp_iflag_f32_e32 v1, v1
	v_cvt_f32_u32_e32 v2, s24
	v_writelane_b32 v52, s21, 3
	v_writelane_b32 v52, s22, 4
	v_mul_f32_e32 v1, 0x4f7ffffe, v1
	v_cvt_u32_f32_e32 v1, v1
	s_load_dwordx4 s[0:3], s[4:5], 0x21c
	v_writelane_b32 v52, s23, 5
	s_load_dwordx2 s[20:21], s[4:5], 0xe4
	v_rcp_iflag_f32_e32 v2, v2
                                        ; kill: killed $sgpr4 killed $sgpr5
	s_sub_i32 s4, 0, s25
	v_readfirstlane_b32 s5, v1
	s_mul_i32 s4, s4, s5
	s_mul_hi_u32 s4, s5, s4
	s_add_i32 s5, s5, s4
	v_mul_f32_e32 v1, 0x4f7ffffe, v2
	s_waitcnt lgkmcnt(0)
	v_cvt_f32_u32_e32 v2, s21
	s_mul_hi_u32 s4, s16, s5
	s_mul_i32 s5, s4, s25
	v_writelane_b32 v52, s18, 6
	s_sub_i32 s5, s16, s5
	v_writelane_b32 v52, s19, 7
	s_add_i32 s7, s4, 1
	s_sub_i32 s13, s5, s25
	v_cvt_u32_f32_e32 v1, v1
	v_rcp_iflag_f32_e32 v2, v2
	v_writelane_b32 v52, s28, 8
	s_cmp_ge_u32 s5, s25
	v_writelane_b32 v52, s29, 9
	s_cselect_b32 s4, s7, s4
	v_writelane_b32 v52, s30, 10
	s_cselect_b32 s5, s13, s5
	s_add_i32 s7, s4, 1
	v_writelane_b32 v52, s31, 11
	s_cmp_ge_u32 s5, s25
	v_readfirstlane_b32 s5, v1
	v_mul_f32_e32 v1, 0x4f7ffffe, v2
	s_cselect_b32 s7, s7, s4
	v_writelane_b32 v52, s24, 12
	s_sub_i32 s4, 0, s24
	v_cvt_u32_f32_e32 v1, v1
	s_mul_i32 s4, s4, s5
	s_mul_hi_u32 s4, s5, s4
	v_writelane_b32 v52, s25, 13
	s_add_i32 s5, s5, s4
	v_writelane_b32 v52, s7, 14
	s_mul_hi_u32 s4, s7, s5
	v_readfirstlane_b32 s5, v1
	v_cvt_f32_u32_e32 v1, s20
	v_writelane_b32 v52, s4, 15
	s_sub_i32 s4, 0, s21
	s_mul_i32 s4, s4, s5
	s_mul_hi_u32 s4, s5, s4
	s_add_i32 s5, s5, s4
	v_rcp_iflag_f32_e32 v1, v1
	s_mul_hi_u32 s4, s16, s5
	v_cvt_f32_u32_e32 v2, s15
	s_mul_i32 s5, s4, s21
	s_sub_i32 s5, s16, s5
	s_add_i32 s7, s4, 1
	s_sub_i32 s13, s5, s21
	v_mul_f32_e32 v1, 0x4f7ffffe, v1
	s_cmp_ge_u32 s5, s21
	v_cvt_u32_f32_e32 v1, v1
	v_rcp_iflag_f32_e32 v2, v2
	s_cselect_b32 s4, s7, s4
	s_cselect_b32 s5, s13, s5
	s_add_i32 s7, s4, 1
	s_cmp_ge_u32 s5, s21
	s_cselect_b32 s7, s7, s4
	v_writelane_b32 v52, s20, 16
	s_sub_i32 s4, 0, s20
	v_readfirstlane_b32 s5, v1
	v_mul_f32_e32 v1, 0x4f7ffffe, v2
	s_mul_i32 s4, s4, s5
	v_cvt_u32_f32_e32 v1, v1
	s_mul_hi_u32 s4, s5, s4
	v_writelane_b32 v52, s21, 17
	s_add_i32 s5, s5, s4
	v_writelane_b32 v52, s7, 18
	s_mul_hi_u32 s4, s7, s5
	v_writelane_b32 v52, s4, 19
	s_sub_i32 s4, 0, s15
	v_readfirstlane_b32 s5, v1
	s_mul_i32 s4, s4, s5
	s_mul_hi_u32 s4, s5, s4
	v_cvt_f32_u32_e32 v1, s14
	s_add_i32 s5, s5, s4
	s_mul_hi_u32 s4, s16, s5
	s_mul_i32 s5, s4, s15
	s_sub_i32 s5, s16, s5
	v_rcp_iflag_f32_e32 v1, v1
	s_add_i32 s7, s4, 1
	s_sub_i32 s13, s5, s15
	s_cmp_ge_u32 s5, s15
	s_cselect_b32 s4, s7, s4
	s_cselect_b32 s5, s13, s5
	s_add_i32 s7, s4, 1
	v_mul_f32_e32 v1, 0x4f7ffffe, v1
	s_cmp_ge_u32 s5, s15
	v_cvt_u32_f32_e32 v1, v1
	s_cselect_b32 s4, s7, s4
	s_mul_i32 s5, s4, s15
	s_sub_i32 s5, s16, s5
	s_mul_i32 s5, s5, s2
	s_sub_i32 s2, 0, s14
	v_readfirstlane_b32 s7, v1
	s_mul_i32 s2, s2, s7
	s_mul_hi_u32 s2, s7, s2
	s_add_i32 s7, s7, s2
	s_mul_hi_u32 s2, s4, s7
	s_mul_i32 s7, s2, s14
	s_sub_i32 s7, s4, s7
	s_add_i32 s13, s2, 1
	s_sub_i32 s15, s7, s14
	s_cmp_ge_u32 s7, s14
	s_cselect_b32 s2, s13, s2
	s_cselect_b32 s7, s15, s7
	s_add_i32 s13, s2, 1
	s_cmp_ge_u32 s7, s14
	s_cselect_b32 s2, s13, s2
	s_mul_i32 s7, s2, s14
	s_sub_i32 s4, s4, s7
	s_mul_i32 s1, s4, s1
	s_add_i32 s1, s1, s5
	s_mul_i32 s2, s2, s0
	s_mov_b32 s3, 0
	s_add_i32 s2, s1, s2
	s_lshl_b64 s[0:1], s[2:3], 1
	s_add_u32 s57, s8, s0
	s_addc_u32 s90, s9, s1
	v_mov_b32_e32 v2, 0
	v_mul_lo_u32 v6, v0, s58
	v_writelane_b32 v52, s16, 20
	v_cmp_gt_u32_e64 s[0:1], s56, v0
	s_mov_b64 s[2:3], exec
	v_writelane_b32 v52, s0, 21
	v_writelane_b32 v52, s1, 22
	s_and_b64 s[0:1], s[2:3], s[0:1]
	s_mov_b64 exec, s[0:1]
	s_cbranch_execz .LBB138_5
; %bb.2:
	s_load_dword s0, s[10:11], 0xc
	v_mov_b32_e32 v5, 0
	v_mul_lo_u32 v4, v0, s58
	s_mov_b64 s[4:5], 0
	v_mov_b32_e32 v1, s90
	s_waitcnt lgkmcnt(0)
	s_and_b32 s0, s0, 0xffff
	s_mul_i32 s1, s58, s0
	v_mov_b32_e32 v2, v5
	v_mov_b32_e32 v3, v0
.LBB138_3:                              ; =>This Inner Loop Header: Depth=1
	v_lshlrev_b64 v[8:9], 1, v[4:5]
	v_add_co_u32_e32 v8, vcc, s57, v8
	v_addc_co_u32_e32 v9, vcc, v1, v9, vcc
	global_load_ushort v7, v[8:9], off
	v_add_u32_e32 v3, s0, v3
	v_cmp_le_u32_e32 vcc, s56, v3
	s_or_b64 s[4:5], vcc, s[4:5]
	v_add_u32_e32 v4, s1, v4
	s_waitcnt vmcnt(0)
	v_lshlrev_b32_e32 v7, 16, v7
	v_cmp_u_f32_e32 vcc, v7, v7
	v_addc_co_u32_e32 v2, vcc, 0, v2, vcc
	s_andn2_b64 exec, exec, s[4:5]
	s_cbranch_execnz .LBB138_3
; %bb.4:
	s_or_b64 exec, exec, s[4:5]
.LBB138_5:
	s_or_b64 exec, exec, s[2:3]
	v_cmp_eq_u32_e64 s[0:1], 0, v0
	s_mov_b64 s[4:5], exec
	v_writelane_b32 v52, s0, 23
	v_writelane_b32 v52, s1, 24
	s_and_b64 s[0:1], s[4:5], s[0:1]
	s_mov_b64 exec, s[0:1]
	s_cbranch_execz .LBB138_7
; %bb.6:
	v_mov_b32_e32 v4, 0
	v_mov_b32_e32 v5, v4
	ds_write_b64 v4, v[4:5] offset:4096
.LBB138_7:
	s_or_b64 exec, exec, s[4:5]
	v_cmp_ne_u32_e32 vcc, 0, v2
	s_waitcnt lgkmcnt(0)
	s_barrier
	s_and_saveexec_b64 s[4:5], vcc
	s_cbranch_execz .LBB138_12
; %bb.8:
	s_mov_b64 s[14:15], exec
	v_mov_b32_e32 v1, 0
	s_mov_b64 s[8:9], 0
.LBB138_9:                              ; =>This Inner Loop Header: Depth=1
	s_ff1_i32_b64 s0, s[14:15]
	v_readlane_b32 s2, v2, s0
	v_readlane_b32 s1, v1, s0
	s_add_u32 s8, s8, s2
	s_addc_u32 s9, s9, s1
	s_lshl_b64 s[0:1], 1, s0
	s_andn2_b64 s[14:15], s[14:15], s[0:1]
	s_cmp_lg_u64 s[14:15], 0
	s_cbranch_scc1 .LBB138_9
; %bb.10:
	v_mbcnt_lo_u32_b32 v1, exec_lo, 0
	v_mbcnt_hi_u32_b32 v1, exec_hi, v1
	v_cmp_eq_u32_e32 vcc, 0, v1
	s_and_saveexec_b64 s[0:1], vcc
	s_xor_b64 s[0:1], exec, s[0:1]
	s_cbranch_execz .LBB138_12
; %bb.11:
	v_mov_b32_e32 v1, 0
	v_pk_mov_b32 v[2:3], s[8:9], s[8:9] op_sel:[0,1]
	ds_add_u64 v1, v[2:3] offset:4096
.LBB138_12:
	s_or_b64 exec, exec, s[4:5]
	v_mov_b32_e32 v1, 0
	s_waitcnt lgkmcnt(0)
	s_barrier
	ds_read_b64 v[2:3], v1 offset:4096
	s_bitcmp1_b32 s59, 0
	s_cselect_b64 s[0:1], -1, 0
	s_mov_b32 s3, s56
	s_waitcnt lgkmcnt(0)
	v_cmp_gt_i64_e32 vcc, 1, v[2:3]
	s_or_b64 s[0:1], s[0:1], vcc
	s_andn2_b64 vcc, exec, s[0:1]
	s_cbranch_vccnz .LBB138_14
; %bb.13:
	v_not_b32_e32 v1, v2
	v_not_b32_e32 v2, v3
	v_add_co_u32_e32 v1, vcc, s56, v1
	v_addc_co_u32_e32 v2, vcc, 0, v2, vcc
	v_lshrrev_b32_e32 v3, 31, v2
	v_add_co_u32_e32 v1, vcc, v1, v3
	v_addc_co_u32_e32 v2, vcc, 0, v2, vcc
	v_alignbit_b32 v1, v2, v1, 1
	v_readfirstlane_b32 s0, v1
	s_add_i32 s3, s0, 1
.LBB138_14:
	s_mov_b64 s[4:5], exec
	v_readlane_b32 s0, v52, 23
	v_readlane_b32 s1, v52, 24
	s_and_b64 s[0:1], s[4:5], s[0:1]
	s_mov_b64 exec, s[0:1]
	s_cbranch_execz .LBB138_16
; %bb.15:
	v_mov_b32_e32 v2, 0
	v_mov_b32_e32 v3, s56
	ds_write_b32 v2, v2 offset:4112
	ds_write_b64 v2, v[2:3] offset:4104
.LBB138_16:
	s_or_b64 exec, exec, s[4:5]
	s_waitcnt lgkmcnt(0)
	s_barrier
	s_load_dword s0, s[10:11], 0xc
	v_mbcnt_lo_u32_b32 v1, -1, 0
	v_mbcnt_hi_u32_b32 v13, -1, v1
	v_cmp_gt_u32_e32 vcc, 64, v0
	v_cmp_gt_i32_e64 s[4:5], 4, v13
	s_waitcnt lgkmcnt(0)
	s_and_b32 s59, s0, 0xffff
	s_bfe_u32 s8, s0, 0xa0006
	s_add_i32 s0, s59, -1
	s_lshl_b32 s93, s59, 2
	s_and_b64 s[78:79], vcc, s[4:5]
	v_writelane_b32 v52, s0, 25
	s_add_i32 s0, s0, s56
	s_cmpk_gt_u32 s56, 0x600
	s_cselect_b64 s[4:5], -1, 0
	v_mov_b32_e32 v9, 0
	v_writelane_b32 v52, s4, 26
	s_cmp_gt_u32 s59, 63
	v_writelane_b32 v52, s5, 27
	s_cselect_b64 s[4:5], -1, 0
	s_cmp_lt_u32 s6, s12
	v_mov_b32_e32 v7, v9
	v_writelane_b32 v52, s4, 28
	s_cselect_b32 s1, 12, 18
	v_lshlrev_b64 v[2:3], 1, v[6:7]
	v_writelane_b32 v52, s5, 29
	s_add_u32 s4, s10, s1
	v_mov_b32_e32 v7, s90
	v_add_co_u32_e32 v10, vcc, s57, v2
	s_addc_u32 s5, s11, 0
	s_add_i32 s1, s8, -2
	v_addc_co_u32_e32 v11, vcc, v7, v3, vcc
	v_lshlrev_b64 v[2:3], v13, -1
	s_lshr_b32 s2, s1, 1
	v_not_b32_e32 v12, v2
	v_cvt_f32_u32_e32 v2, s93
	s_add_i32 s2, s2, 1
	v_writelane_b32 v52, s4, 30
	s_cmpk_gt_u32 s59, 0x7f
	v_writelane_b32 v52, s5, 31
	s_cselect_b64 s[4:5], -1, 0
	s_and_b32 s9, s8, 0x3fe
	s_and_b32 s10, s2, 7
	v_writelane_b32 v52, s4, 32
	s_cmp_gt_u32 s1, 13
	v_rcp_iflag_f32_e32 v2, v2
	v_writelane_b32 v52, s5, 33
	s_cselect_b64 s[12:13], -1, 0
	v_writelane_b32 v52, s12, 34
	v_writelane_b32 v52, s13, 35
	s_and_b32 s1, s2, -8
	v_writelane_b32 v52, s1, 36
	s_cmp_lg_u32 s10, 0
	v_mul_f32_e32 v2, 0x4f7ffffe, v2
	v_writelane_b32 v52, s10, 37
	s_cselect_b64 s[10:11], -1, 0
	v_cvt_u32_f32_e32 v2, v2
	v_writelane_b32 v52, s10, 38
	v_writelane_b32 v52, s11, 39
	;; [unrolled: 1-line block ×3, first 2 shown]
	s_cmp_lg_u32 s9, s8
	v_writelane_b32 v52, s9, 41
	s_cselect_b64 s[8:9], -1, 0
	s_sub_i32 s1, 0, s93
	v_readfirstlane_b32 s2, v2
	s_mul_i32 s1, s1, s2
	s_mul_hi_u32 s1, s2, s1
	s_add_i32 s84, s2, s1
	v_cvt_f32_u32_e32 v2, s59
	s_mul_hi_u32 s1, s56, s84
	s_mul_i32 s1, s1, s93
	s_sub_i32 s1, s56, s1
	s_sub_i32 s2, s1, s93
	v_rcp_iflag_f32_e32 v5, v2
	s_cmp_ge_u32 s1, s93
	s_cselect_b32 s1, s2, s1
	s_sub_i32 s2, s1, s93
	s_cmp_ge_u32 s1, s93
	v_mul_f32_e32 v5, 0x4f7ffffe, v5
	s_cselect_b32 s1, s2, s1
	v_cvt_u32_f32_e32 v5, v5
	v_lshlrev_b32_e32 v16, 2, v0
	v_writelane_b32 v52, s8, 42
	s_sub_i32 s85, s56, s1
	v_writelane_b32 v52, s9, 43
	v_cmp_gt_u32_e64 s[8:9], s85, v16
	v_writelane_b32 v52, s8, 44
	v_writelane_b32 v52, s9, 45
	s_sub_i32 s2, 0, s59
	v_readfirstlane_b32 s8, v5
	s_mul_i32 s2, s2, s8
	s_mul_hi_u32 s2, s8, s2
	s_add_i32 s2, s8, s2
	v_writelane_b32 v52, s2, 46
	s_mul_hi_u32 s2, s0, s2
	s_mul_i32 s2, s2, s59
	s_sub_i32 s2, s0, s2
	s_sub_i32 s8, s2, s59
	v_add_u32_e32 v21, s85, v0
	s_cmp_ge_u32 s2, s59
	v_lshrrev_b32_e32 v1, 4, v0
	v_mul_lo_u32 v8, v21, s58
	s_cselect_b32 s2, s8, s2
	v_and_b32_e32 v19, 60, v1
	v_not_b32_e32 v1, v3
	v_lshlrev_b64 v[2:3], 1, v[8:9]
	s_sub_i32 s8, s2, s59
	v_add_co_u32_e32 v14, vcc, s57, v2
	s_cmp_ge_u32 s2, s59
	v_mul_lo_u32 v2, s58, v16
	s_cselect_b32 s2, s8, s2
	v_add_u32_e32 v22, s58, v2
	v_or_b32_e32 v2, 2, v16
	s_sub_i32 s87, s0, s2
	v_mul_lo_u32 v23, s58, v2
	v_or_b32_e32 v2, 3, v16
	s_add_i32 s0, s59, s56
	v_mul_lo_u32 v24, s58, v2
	v_add_u32_e32 v2, s0, v0
	v_lshlrev_b32_e32 v17, 1, v0
	v_lshlrev_b32_e32 v4, 2, v13
	v_mov_b32_e32 v8, s90
	v_cmp_gt_u32_e64 s[8:9], s87, v0
	s_mul_i32 s91, s58, s59
	v_subrev_u32_e32 v2, s1, v2
	s_mov_b32 s76, 0
	v_cmp_eq_u32_e64 s[4:5], 0, v13
	v_cmp_gt_u32_e64 s[6:7], 2, v0
	v_add_u32_e32 v18, 0xc00, v17
	v_and_b32_e32 v20, 0x100, v4
	v_cmp_gt_u32_e64 s[10:11], s56, v21
	v_addc_co_u32_e32 v15, vcc, v8, v3, vcc
	v_writelane_b32 v52, s8, 47
	s_lshl_b32 s33, s91, 2
	v_lshlrev_b32_e32 v25, 2, v6
	v_mul_lo_u32 v26, s58, v2
	v_lshlrev_b32_e32 v27, 3, v0
	s_lshl_b32 s12, s59, 3
	s_lshl_b32 s13, s59, 1
	v_or_b32_e32 v28, 0xc00, v4
	s_mov_b32 s81, 14
	s_mov_b64 s[94:95], 0
	s_movk_i32 s80, 0x3f80
	v_mov_b32_e32 v29, 0xffff
	v_mov_b32_e32 v30, 0x8000
	v_mov_b32_e32 v31, -1
	v_mov_b32_e32 v32, 0xc00
	v_mov_b32_e32 v33, 0x5040100
	;; [unrolled: 1-line block ×3, first 2 shown]
	s_mov_b32 s0, 0
	s_mov_b32 s2, 0
	;; [unrolled: 1-line block ×3, first 2 shown]
	v_writelane_b32 v52, s9, 48
                                        ; implicit-def: $sgpr68_sgpr69
                                        ; implicit-def: $sgpr62_sgpr63
                                        ; implicit-def: $sgpr60_sgpr61
                                        ; implicit-def: $sgpr72_sgpr73
                                        ; implicit-def: $sgpr64_sgpr65
                                        ; implicit-def: $sgpr66_sgpr67
	s_branch .LBB138_21
.LBB138_17:                             ;   in Loop: Header=BB138_21 Depth=1
	s_xor_b32 s0, s0, 1
	s_add_i32 s3, s81, -2
	s_cmp_eq_u32 s81, 0
	s_mov_b64 s[18:19], 0
	s_cselect_b64 s[26:27], -1, 0
	s_mov_b32 s81, s3
.LBB138_18:                             ;   in Loop: Header=BB138_21 Depth=1
	s_andn2_b64 s[8:9], s[22:23], exec
	s_and_b64 s[18:19], s[18:19], exec
	s_or_b64 s[22:23], s[8:9], s[18:19]
	s_andn2_b64 s[24:25], s[24:25], exec
	s_andn2_b64 s[20:21], s[20:21], exec
	s_orn2_b64 s[18:19], s[26:27], exec
	s_mov_b32 s3, s35
.LBB138_19:                             ;   in Loop: Header=BB138_21 Depth=1
	s_or_b64 exec, exec, s[14:15]
	s_andn2_b64 s[8:9], s[66:67], exec
	s_and_b64 s[14:15], s[22:23], exec
	s_or_b64 s[66:67], s[8:9], s[14:15]
	s_andn2_b64 s[8:9], s[64:65], exec
	s_and_b64 s[14:15], s[24:25], exec
	s_or_b64 s[64:65], s[8:9], s[14:15]
	s_andn2_b64 s[8:9], s[72:73], exec
	s_and_b64 s[14:15], s[20:21], exec
	s_or_b64 s[72:73], s[8:9], s[14:15]
	s_orn2_b64 s[18:19], s[18:19], exec
.LBB138_20:                             ;   in Loop: Header=BB138_21 Depth=1
	s_or_b64 exec, exec, s[16:17]
	s_and_b64 s[8:9], exec, s[18:19]
	s_or_b64 s[94:95], s[8:9], s[94:95]
	s_andn2_b64 s[8:9], s[60:61], exec
	s_and_b64 s[14:15], s[66:67], exec
	s_or_b64 s[60:61], s[8:9], s[14:15]
	s_andn2_b64 s[8:9], s[62:63], exec
	s_and_b64 s[14:15], s[64:65], exec
	;; [unrolled: 3-line block ×3, first 2 shown]
	v_mov_b32_e32 v2, s2
	s_or_b64 s[68:69], s[8:9], s[14:15]
	s_andn2_b64 exec, exec, s[94:95]
	s_cbranch_execz .LBB138_255
.LBB138_21:                             ; =>This Loop Header: Depth=1
                                        ;     Child Loop BB138_26 Depth 2
                                        ;     Child Loop BB138_44 Depth 2
	;; [unrolled: 1-line block ×17, first 2 shown]
	ds_read_b64 v[2:3], v9 offset:4104
	s_waitcnt lgkmcnt(0)
	v_readfirstlane_b32 s77, v2
	s_cmp_lg_u32 s77, 0
	s_cbranch_scc1 .LBB138_51
; %bb.22:                               ;   in Loop: Header=BB138_21 Depth=1
	v_readlane_b32 s8, v52, 26
	v_readlane_b32 s9, v52, 27
	s_and_b64 vcc, exec, s[8:9]
	s_cbranch_vccz .LBB138_34
; %bb.23:                               ;   in Loop: Header=BB138_21 Depth=1
	s_movk_i32 s8, 0x601
	v_cmp_gt_u32_e32 vcc, s8, v3
	s_mov_b64 s[18:19], 0
	s_mov_b64 s[14:15], 0
	s_cbranch_vccz .LBB138_35
; %bb.24:                               ;   in Loop: Header=BB138_21 Depth=1
	v_readlane_b32 s8, v52, 30
	v_readlane_b32 s9, v52, 31
	s_nop 4
	global_load_ushort v2, v9, s[8:9]
	global_load_ushort v4, v[10:11], off
	s_mov_b64 s[20:21], 0
	s_waitcnt vmcnt(1)
	v_add_u32_e32 v5, v0, v2
	v_mul_lo_u32 v3, s58, v2
	v_mul_lo_u32 v8, s58, v5
	v_mov_b32_e32 v5, v0
	s_branch .LBB138_26
.LBB138_25:                             ;   in Loop: Header=BB138_26 Depth=2
	s_or_b64 exec, exec, s[16:17]
	v_add_u32_e32 v8, v8, v3
	v_mov_b32_e32 v4, v35
	s_andn2_b64 exec, exec, s[20:21]
	s_cbranch_execz .LBB138_36
.LBB138_26:                             ;   Parent Loop BB138_21 Depth=1
                                        ; =>  This Inner Loop Header: Depth=2
	v_add_u32_e32 v5, v5, v2
	v_cmp_gt_u32_e64 s[14:15], s56, v5
	v_cmp_le_u32_e32 vcc, s56, v5
	s_waitcnt lgkmcnt(0)
	v_mov_b32_e32 v36, 0
	v_mov_b32_e32 v35, 0
	s_and_saveexec_b64 s[16:17], s[14:15]
	s_cbranch_execz .LBB138_28
; %bb.27:                               ;   in Loop: Header=BB138_26 Depth=2
	v_lshlrev_b64 v[38:39], 1, v[8:9]
	v_add_co_u32_e64 v38, s[14:15], s57, v38
	v_addc_co_u32_e64 v39, s[14:15], v7, v39, s[14:15]
	global_load_ushort v35, v[38:39], off
.LBB138_28:                             ;   in Loop: Header=BB138_26 Depth=2
	s_or_b64 exec, exec, s[16:17]
	s_waitcnt vmcnt(0)
	v_cmp_lt_i16_e64 s[14:15], -1, v4
	v_cndmask_b32_e64 v37, v29, v30, s[14:15]
	v_lshlrev_b32_e32 v38, 16, v4
	v_xor_b32_sdwa v37, v37, v4 dst_sel:DWORD dst_unused:UNUSED_PAD src0_sel:DWORD src1_sel:WORD_0
	v_cmp_o_f32_e64 s[14:15], v38, v38
	v_cndmask_b32_e64 v37, v29, v37, s[14:15]
	v_and_b32_e32 v37, s1, v37
	v_cmp_eq_u32_e64 s[14:15], s2, v37
	s_cmp_lg_u64 s[14:15], 0
	s_cselect_b64 s[8:9], -1, 0
	s_and_b64 s[8:9], s[4:5], s[8:9]
	s_and_saveexec_b64 s[22:23], s[8:9]
	s_cbranch_execz .LBB138_32
; %bb.29:                               ;   in Loop: Header=BB138_26 Depth=2
	s_mov_b64 s[26:27], exec
	v_mbcnt_lo_u32_b32 v36, s26, 0
	v_mbcnt_hi_u32_b32 v36, s27, v36
	s_bcnt1_i32_b64 s8, s[14:15]
	v_cmp_eq_u32_e64 s[16:17], 0, v36
                                        ; implicit-def: $vgpr37
	s_and_saveexec_b64 s[24:25], s[16:17]
	s_cbranch_execz .LBB138_31
; %bb.30:                               ;   in Loop: Header=BB138_26 Depth=2
	s_bcnt1_i32_b64 s9, s[26:27]
	s_mul_i32 s9, s8, s9
	v_mov_b32_e32 v37, s9
	ds_add_rtn_u32 v37, v9, v37 offset:4112
.LBB138_31:                             ;   in Loop: Header=BB138_26 Depth=2
	s_or_b64 exec, exec, s[24:25]
	s_waitcnt lgkmcnt(0)
	v_readfirstlane_b32 s9, v37
	v_mov_b32_e32 v37, s9
	v_mad_u32_u24 v36, s8, v36, v37
.LBB138_32:                             ;   in Loop: Header=BB138_26 Depth=2
	s_or_b64 exec, exec, s[22:23]
	ds_bpermute_b32 v36, v20, v36
	s_and_b64 s[8:9], exec, vcc
	s_or_b64 s[20:21], s[8:9], s[20:21]
	s_and_saveexec_b64 s[16:17], s[14:15]
	s_cbranch_execz .LBB138_25
; %bb.33:                               ;   in Loop: Header=BB138_26 Depth=2
	v_and_b32_e32 v38, s14, v12
	v_and_b32_e32 v37, s15, v1
	v_bcnt_u32_b32 v38, v38, 0
	v_bcnt_u32_b32 v37, v37, v38
	v_lshlrev_b32_e32 v37, 1, v37
	s_waitcnt lgkmcnt(0)
	v_lshl_add_u32 v36, v36, 1, v37
	ds_write_b16 v36, v4
	s_branch .LBB138_25
.LBB138_34:                             ;   in Loop: Header=BB138_21 Depth=1
	s_mov_b64 s[14:15], 0
                                        ; implicit-def: $sgpr77
	s_cbranch_execnz .LBB138_39
	s_branch .LBB138_49
.LBB138_35:                             ;   in Loop: Header=BB138_21 Depth=1
	s_mov_b32 s77, 0
	s_and_b64 vcc, exec, s[18:19]
	s_cbranch_vccnz .LBB138_39
	s_branch .LBB138_49
.LBB138_36:                             ;   in Loop: Header=BB138_21 Depth=1
	s_or_b64 exec, exec, s[20:21]
	s_waitcnt lgkmcnt(0)
	s_barrier
	s_mov_b64 s[14:15], exec
	v_readlane_b32 s8, v52, 23
	v_readlane_b32 s9, v52, 24
	s_and_b64 s[8:9], s[14:15], s[8:9]
	s_mov_b64 exec, s[8:9]
	s_cbranch_execz .LBB138_38
; %bb.37:                               ;   in Loop: Header=BB138_21 Depth=1
	ds_read_b32 v2, v9 offset:4112
	s_waitcnt lgkmcnt(0)
	ds_write_b32 v9, v2 offset:4104
.LBB138_38:                             ;   in Loop: Header=BB138_21 Depth=1
	s_or_b64 exec, exec, s[14:15]
	s_waitcnt lgkmcnt(0)
	s_barrier
	s_mov_b64 s[14:15], -1
	s_mov_b32 s77, 0
	s_and_b64 vcc, exec, s[18:19]
	s_cbranch_vccz .LBB138_49
.LBB138_39:                             ;   in Loop: Header=BB138_21 Depth=1
	v_mov_b32_e32 v2, 0
	s_mov_b64 s[14:15], exec
	v_readlane_b32 s8, v52, 21
	v_readlane_b32 s9, v52, 22
	s_and_b64 s[8:9], s[14:15], s[8:9]
	s_mov_b64 exec, s[8:9]
	s_cbranch_execz .LBB138_41
; %bb.40:                               ;   in Loop: Header=BB138_21 Depth=1
	global_load_ushort v2, v[10:11], off
.LBB138_41:                             ;   in Loop: Header=BB138_21 Depth=1
	s_or_b64 exec, exec, s[14:15]
	s_mov_b64 s[16:17], exec
	v_readlane_b32 s8, v52, 21
	v_readlane_b32 s9, v52, 22
	s_and_b64 s[8:9], s[16:17], s[8:9]
	s_mov_b64 exec, s[8:9]
	s_cbranch_execz .LBB138_46
; %bb.42:                               ;   in Loop: Header=BB138_21 Depth=1
	v_readlane_b32 s8, v52, 30
	v_readlane_b32 s9, v52, 31
	s_mov_b64 s[18:19], 0
	v_mov_b32_e32 v4, v17
	v_mov_b32_e32 v36, v0
	s_nop 1
	global_load_ushort v3, v9, s[8:9]
	s_waitcnt vmcnt(0)
	v_add_u32_e32 v8, v0, v3
	v_lshlrev_b32_e32 v5, 1, v3
	v_mul_lo_u32 v35, s58, v3
	v_mul_lo_u32 v8, s58, v8
	s_branch .LBB138_44
.LBB138_43:                             ;   in Loop: Header=BB138_44 Depth=2
	s_or_b64 exec, exec, s[20:21]
	s_and_b64 s[8:9], exec, vcc
	s_or_b64 s[18:19], s[8:9], s[18:19]
	ds_write_b16 v4, v2
	v_add_u32_e32 v4, v4, v5
	v_add_u32_e32 v8, v8, v35
	s_waitcnt vmcnt(0)
	v_mov_b32_e32 v2, v37
	s_andn2_b64 exec, exec, s[18:19]
	s_cbranch_execz .LBB138_46
.LBB138_44:                             ;   Parent Loop BB138_21 Depth=1
                                        ; =>  This Inner Loop Header: Depth=2
	v_add_u32_e32 v36, v36, v3
	v_cmp_gt_u32_e64 s[14:15], s56, v36
	v_cmp_le_u32_e32 vcc, s56, v36
	v_mov_b32_e32 v37, 0
	s_and_saveexec_b64 s[20:21], s[14:15]
	s_cbranch_execz .LBB138_43
; %bb.45:                               ;   in Loop: Header=BB138_44 Depth=2
	v_lshlrev_b64 v[38:39], 1, v[8:9]
	v_mov_b32_e32 v37, s90
	v_add_co_u32_e64 v38, s[14:15], s57, v38
	v_addc_co_u32_e64 v39, s[14:15], v37, v39, s[14:15]
	global_load_ushort v37, v[38:39], off
	s_branch .LBB138_43
.LBB138_46:                             ;   in Loop: Header=BB138_21 Depth=1
	s_or_b64 exec, exec, s[16:17]
	s_waitcnt lgkmcnt(0)
	s_barrier
	s_mov_b64 s[14:15], exec
	v_readlane_b32 s8, v52, 23
	v_readlane_b32 s9, v52, 24
	s_and_b64 s[8:9], s[14:15], s[8:9]
	s_mov_b64 exec, s[8:9]
	s_cbranch_execz .LBB138_48
; %bb.47:                               ;   in Loop: Header=BB138_21 Depth=1
	s_waitcnt vmcnt(0)
	v_mov_b32_e32 v2, s56
	ds_write_b32 v9, v2 offset:4104
.LBB138_48:                             ;   in Loop: Header=BB138_21 Depth=1
	s_or_b64 exec, exec, s[14:15]
	s_mov_b64 s[14:15], -1
	s_waitcnt lgkmcnt(0)
	s_barrier
                                        ; implicit-def: $sgpr77
.LBB138_49:                             ;   in Loop: Header=BB138_21 Depth=1
	s_and_b64 vcc, exec, s[14:15]
	s_cbranch_vccz .LBB138_51
; %bb.50:                               ;   in Loop: Header=BB138_21 Depth=1
	s_waitcnt vmcnt(0)
	ds_read_b32 v2, v9 offset:4104
	s_waitcnt lgkmcnt(0)
	v_readfirstlane_b32 s77, v2
.LBB138_51:                             ;   in Loop: Header=BB138_21 Depth=1
	s_cmp_lt_i32 s77, 1
	s_cbranch_scc0 .LBB138_63
; %bb.52:                               ;   in Loop: Header=BB138_21 Depth=1
	s_waitcnt vmcnt(0)
	v_mov_b32_e32 v2, 0
	s_mov_b32 s48, 0
	v_mov_b32_e32 v3, 0
	v_mov_b32_e32 v4, v2
	;; [unrolled: 1-line block ×3, first 2 shown]
	s_mov_b64 s[44:45], exec
	v_readlane_b32 s8, v52, 44
	v_readlane_b32 s9, v52, 45
	s_and_b64 s[8:9], s[44:45], s[8:9]
	s_mov_b64 exec, s[8:9]
	s_cbranch_execz .LBB138_56
; %bb.53:                               ;   in Loop: Header=BB138_21 Depth=1
	s_and_b32 s49, s81, 0xfe
	s_mov_b64 s[46:47], 0
	s_mov_b32 s50, 0
	s_mov_b32 s51, 0
	;; [unrolled: 1-line block ×4, first 2 shown]
	v_mov_b32_e32 v35, v16
.LBB138_54:                             ;   Parent Loop BB138_21 Depth=1
                                        ; =>  This Inner Loop Header: Depth=2
	v_add_u32_e32 v8, s48, v25
	v_lshlrev_b64 v[2:3], 1, v[8:9]
	v_mov_b32_e32 v38, s90
	v_add_u32_e32 v8, s48, v22
	v_add_co_u32_e64 v2, s[14:15], s57, v2
	v_lshlrev_b64 v[4:5], 1, v[8:9]
	v_addc_co_u32_e64 v3, s[14:15], v38, v3, s[14:15]
	v_add_u32_e32 v8, s48, v23
	global_load_ushort v39, v[2:3], off
	v_add_co_u32_e64 v2, s[14:15], s57, v4
	v_lshlrev_b64 v[36:37], 1, v[8:9]
	v_add_u32_e32 v8, s48, v24
	v_addc_co_u32_e64 v3, s[14:15], v38, v5, s[14:15]
	v_lshlrev_b64 v[4:5], 1, v[8:9]
	global_load_ushort v8, v[2:3], off
	v_add_co_u32_e64 v2, s[14:15], s57, v36
	v_addc_co_u32_e64 v3, s[14:15], v38, v37, s[14:15]
	global_load_ushort v36, v[2:3], off
	v_add_co_u32_e64 v2, s[14:15], s57, v4
	v_addc_co_u32_e64 v3, s[14:15], v38, v5, s[14:15]
	global_load_ushort v2, v[2:3], off
	v_add_u32_e32 v35, s93, v35
	v_cmp_le_u32_e32 vcc, s85, v35
	s_add_i32 s48, s48, s33
	s_waitcnt vmcnt(3)
	v_cmp_lt_i16_e64 s[14:15], -1, v39
	v_lshlrev_b32_e32 v3, 16, v39
	v_cndmask_b32_e64 v4, v29, v30, s[14:15]
	v_xor_b32_sdwa v4, v4, v39 dst_sel:DWORD dst_unused:UNUSED_PAD src0_sel:DWORD src1_sel:WORD_0
	s_waitcnt vmcnt(2)
	v_cmp_lt_i16_e64 s[14:15], -1, v8
	v_cndmask_b32_e64 v37, v29, v30, s[14:15]
	v_cmp_o_f32_e64 s[14:15], v3, v3
	v_lshlrev_b32_e32 v5, 16, v8
	v_cndmask_b32_e64 v4, v29, v4, s[14:15]
	s_waitcnt vmcnt(1)
	v_cmp_lt_i16_e64 s[14:15], -1, v36
	v_xor_b32_sdwa v8, v37, v8 dst_sel:DWORD dst_unused:UNUSED_PAD src0_sel:DWORD src1_sel:WORD_0
	v_cndmask_b32_e64 v37, v29, v30, s[14:15]
	v_cmp_o_f32_e64 s[14:15], v5, v5
	v_lshlrev_b32_e32 v3, 16, v36
	v_cndmask_b32_e64 v8, v29, v8, s[14:15]
	s_waitcnt vmcnt(0)
	v_cmp_lt_i16_e64 s[14:15], -1, v2
	v_xor_b32_sdwa v36, v37, v36 dst_sel:DWORD dst_unused:UNUSED_PAD src0_sel:DWORD src1_sel:WORD_0
	v_cndmask_b32_e64 v37, v29, v30, s[14:15]
	v_and_b32_e32 v38, s1, v4
	v_bfe_u32 v4, v4, s49, 2
	v_cmp_o_f32_e64 s[14:15], v3, v3
	v_cndmask_b32_e64 v3, v29, v36, s[14:15]
	v_cmp_eq_u32_e64 s[14:15], s2, v38
	v_cmp_eq_u32_e64 s[16:17], 0, v4
	v_lshlrev_b32_e32 v5, 16, v2
	v_cmp_eq_u32_e64 s[18:19], 1, v4
	s_and_b64 s[8:9], s[14:15], s[16:17]
	v_and_b32_e32 v36, s1, v8
	v_bfe_u32 v8, v8, s49, 2
	v_cmp_eq_u32_e64 s[20:21], 2, v4
	v_cmp_o_f32_e64 s[24:25], v5, v5
	v_cndmask_b32_e64 v5, 0, 1, s[8:9]
	s_and_b64 s[8:9], s[14:15], s[18:19]
	v_xor_b32_sdwa v2, v37, v2 dst_sel:DWORD dst_unused:UNUSED_PAD src0_sel:DWORD src1_sel:WORD_0
	v_cmp_eq_u32_e64 s[22:23], 3, v4
	v_cmp_eq_u32_e64 s[26:27], 0, v8
	;; [unrolled: 1-line block ×5, first 2 shown]
	v_cndmask_b32_e64 v8, 0, 1, s[8:9]
	s_and_b64 s[8:9], s[14:15], s[20:21]
	v_cndmask_b32_e64 v2, v29, v2, s[24:25]
	v_cmp_eq_u32_e64 s[24:25], s2, v36
	v_cndmask_b32_e64 v36, 0, 1, s[8:9]
	s_and_b64 s[8:9], s[14:15], s[22:23]
	v_and_b32_e32 v4, s1, v3
	v_bfe_u32 v3, v3, s49, 2
	v_cndmask_b32_e64 v37, 0, 1, s[8:9]
	s_and_b64 s[8:9], s[24:25], s[26:27]
	v_cmp_eq_u32_e64 s[16:17], 0, v3
	v_cmp_eq_u32_e64 s[18:19], 1, v3
	;; [unrolled: 1-line block ×4, first 2 shown]
	v_cndmask_b32_e64 v3, 0, 1, s[8:9]
	s_and_b64 s[8:9], s[24:25], s[28:29]
	v_cmp_ne_u32_e64 s[36:37], 0, v5
	v_cndmask_b32_e64 v5, 0, 1, s[8:9]
	s_and_b64 s[8:9], s[24:25], s[30:31]
	v_cmp_eq_u32_e64 s[14:15], s2, v4
	v_cmp_ne_u32_e64 s[26:27], 0, v8
	v_cndmask_b32_e64 v8, 0, 1, s[8:9]
	s_and_b64 s[8:9], s[24:25], s[34:35]
	v_and_b32_e32 v4, s1, v2
	v_bfe_u32 v2, v2, s49, 2
	v_cmp_ne_u32_e64 s[28:29], 0, v36
	v_cndmask_b32_e64 v36, 0, 1, s[8:9]
	s_and_b64 s[8:9], s[14:15], s[16:17]
	v_cmp_eq_u32_e64 s[34:35], 0, v2
	v_cmp_eq_u32_e64 s[38:39], 1, v2
	;; [unrolled: 1-line block ×4, first 2 shown]
	v_cndmask_b32_e64 v2, 0, 1, s[8:9]
	s_and_b64 s[8:9], s[14:15], s[18:19]
	s_bcnt1_i32_b64 s54, s[36:37]
	v_cmp_ne_u32_e64 s[36:37], 0, v3
	v_cndmask_b32_e64 v3, 0, 1, s[8:9]
	s_and_b64 s[8:9], s[14:15], s[20:21]
	v_cmp_eq_u32_e64 s[24:25], s2, v4
	v_cndmask_b32_e64 v4, 0, 1, s[8:9]
	s_and_b64 s[8:9], s[14:15], s[22:23]
	v_cmp_ne_u32_e64 s[16:17], 0, v5
	v_cndmask_b32_e64 v5, 0, 1, s[8:9]
	s_and_b64 s[8:9], s[24:25], s[34:35]
	v_cmp_ne_u32_e64 s[14:15], 0, v2
	;; [unrolled: 3-line block ×3, first 2 shown]
	s_bcnt1_i32_b64 s26, s[26:27]
	s_bcnt1_i32_b64 s27, s[28:29]
	v_cmp_ne_u32_e64 s[18:19], 0, v8
	s_bcnt1_i32_b64 s29, s[16:17]
	v_cmp_ne_u32_e64 s[16:17], 0, v3
	v_cndmask_b32_e64 v3, 0, 1, s[8:9]
	s_and_b64 s[8:9], s[24:25], s[40:41]
	s_bcnt1_i32_b64 s28, s[30:31]
	v_cmp_ne_u32_e64 s[20:21], 0, v36
	s_bcnt1_i32_b64 s30, s[18:19]
	v_cmp_ne_u32_e64 s[18:19], 0, v4
	v_cndmask_b32_e64 v4, 0, 1, s[8:9]
	s_and_b64 s[8:9], s[24:25], s[42:43]
	s_bcnt1_i32_b64 s22, s[36:37]
	s_add_i32 s23, s53, s54
	s_add_i32 s26, s52, s26
	;; [unrolled: 1-line block ×3, first 2 shown]
	s_bcnt1_i32_b64 s31, s[20:21]
	v_cmp_ne_u32_e64 s[20:21], 0, v5
	v_cndmask_b32_e64 v5, 0, 1, s[8:9]
	s_add_i32 s8, s50, s28
	s_bcnt1_i32_b64 s9, s[14:15]
	v_cmp_ne_u32_e64 s[14:15], 0, v2
	s_add_i32 s22, s23, s22
	s_bcnt1_i32_b64 s23, s[16:17]
	v_cmp_ne_u32_e64 s[16:17], 0, v3
	;; [unrolled: 3-line block ×4, first 2 shown]
	s_add_i32 s8, s8, s31
	s_bcnt1_i32_b64 s14, s[14:15]
	s_add_i32 s9, s22, s9
	s_bcnt1_i32_b64 s15, s[16:17]
	;; [unrolled: 2-line block ×4, first 2 shown]
	s_add_i32 s8, s8, s27
	s_add_i32 s53, s9, s14
	s_add_i32 s52, s16, s15
	s_add_i32 s51, s18, s17
	s_add_i32 s50, s8, s19
	s_or_b64 s[46:47], vcc, s[46:47]
	v_mov_b32_e32 v2, s53
	v_mov_b32_e32 v3, s52
	;; [unrolled: 1-line block ×4, first 2 shown]
	s_andn2_b64 exec, exec, s[46:47]
	s_cbranch_execnz .LBB138_54
; %bb.55:                               ;   in Loop: Header=BB138_21 Depth=1
	s_or_b64 exec, exec, s[46:47]
.LBB138_56:                             ;   in Loop: Header=BB138_21 Depth=1
	s_or_b64 exec, exec, s[44:45]
	v_mov_b32_e32 v35, 0
	s_and_saveexec_b64 s[14:15], s[10:11]
	s_cbranch_execz .LBB138_58
; %bb.57:                               ;   in Loop: Header=BB138_21 Depth=1
	global_load_ushort v35, v[14:15], off
.LBB138_58:                             ;   in Loop: Header=BB138_21 Depth=1
	s_or_b64 exec, exec, s[14:15]
	s_mov_b64 s[16:17], 0
	s_mov_b64 s[70:71], 0
	s_and_saveexec_b64 s[18:19], s[10:11]
	s_cbranch_execz .LBB138_65
; %bb.59:                               ;   in Loop: Header=BB138_21 Depth=1
	s_and_b32 s8, s81, 0xfe
	s_mov_b64 s[20:21], 0
	v_mov_b32_e32 v8, v26
	v_mov_b32_e32 v36, v21
	s_branch .LBB138_61
.LBB138_60:                             ;   in Loop: Header=BB138_61 Depth=2
	s_or_b64 exec, exec, s[22:23]
	s_and_b64 s[14:15], exec, vcc
	s_waitcnt vmcnt(0)
	v_cmp_lt_i16_e32 vcc, -1, v35
	v_cndmask_b32_e32 v38, v29, v30, vcc
	v_lshlrev_b32_e32 v39, 16, v35
	v_xor_b32_sdwa v35, v38, v35 dst_sel:DWORD dst_unused:UNUSED_PAD src0_sel:DWORD src1_sel:WORD_0
	v_cmp_o_f32_e32 vcc, v39, v39
	v_cndmask_b32_e32 v35, v29, v35, vcc
	v_and_b32_e32 v38, s1, v35
	v_bfe_u32 v35, v35, s8, 2
	s_or_b64 s[20:21], s[14:15], s[20:21]
	v_cmp_eq_u32_e32 vcc, s2, v38
	v_cmp_eq_u32_e64 s[14:15], 0, v35
	s_and_b64 s[14:15], vcc, s[14:15]
	v_cndmask_b32_e64 v38, 0, 1, s[14:15]
	v_cmp_ne_u32_e64 s[14:15], 0, v38
	s_bcnt1_i32_b64 s9, s[14:15]
	v_cmp_eq_u32_e64 s[14:15], 1, v35
	s_and_b64 s[14:15], vcc, s[14:15]
	v_cndmask_b32_e64 v38, 0, 1, s[14:15]
	v_cmp_ne_u32_e64 s[14:15], 0, v38
	v_add_u32_e32 v2, s9, v2
	s_bcnt1_i32_b64 s9, s[14:15]
	v_cmp_eq_u32_e64 s[14:15], 2, v35
	s_and_b64 s[14:15], vcc, s[14:15]
	v_cndmask_b32_e64 v38, 0, 1, s[14:15]
	v_cmp_ne_u32_e64 s[14:15], 0, v38
	v_add_u32_e32 v3, s9, v3
	s_bcnt1_i32_b64 s9, s[14:15]
	v_cmp_eq_u32_e64 s[14:15], 3, v35
	s_and_b64 s[14:15], vcc, s[14:15]
	v_cndmask_b32_e64 v35, 0, 1, s[14:15]
	v_cmp_ne_u32_e32 vcc, 0, v35
	v_add_u32_e32 v4, s9, v4
	s_bcnt1_i32_b64 s9, vcc
	v_add_u32_e32 v5, s9, v5
	v_add_u32_e32 v8, s91, v8
	v_mov_b32_e32 v35, v37
	s_andn2_b64 exec, exec, s[20:21]
	s_cbranch_execz .LBB138_64
.LBB138_61:                             ;   Parent Loop BB138_21 Depth=1
                                        ; =>  This Inner Loop Header: Depth=2
	v_add_u32_e32 v36, s59, v36
	v_cmp_gt_u32_e64 s[14:15], s56, v36
	v_cmp_le_u32_e32 vcc, s56, v36
	v_mov_b32_e32 v37, 0
	s_and_saveexec_b64 s[22:23], s[14:15]
	s_cbranch_execz .LBB138_60
; %bb.62:                               ;   in Loop: Header=BB138_61 Depth=2
	v_lshlrev_b64 v[38:39], 1, v[8:9]
	v_mov_b32_e32 v37, s90
	v_add_co_u32_e64 v38, s[14:15], s57, v38
	v_addc_co_u32_e64 v39, s[14:15], v37, v39, s[14:15]
	global_load_ushort v37, v[38:39], off
	s_branch .LBB138_60
.LBB138_63:                             ;   in Loop: Header=BB138_21 Depth=1
	s_mov_b64 s[70:71], 0
                                        ; implicit-def: $vgpr5
	s_cbranch_execnz .LBB138_66
	s_branch .LBB138_75
.LBB138_64:                             ;   in Loop: Header=BB138_21 Depth=1
	s_or_b64 exec, exec, s[20:21]
	s_mov_b64 s[70:71], exec
.LBB138_65:                             ;   in Loop: Header=BB138_21 Depth=1
	s_or_b64 exec, exec, s[18:19]
	s_and_b64 vcc, exec, s[16:17]
	s_cbranch_vccz .LBB138_75
.LBB138_66:                             ;   in Loop: Header=BB138_21 Depth=1
	s_mul_hi_u32 s8, s77, s84
	s_mul_i32 s8, s8, s93
	s_sub_i32 s8, s77, s8
	s_sub_i32 s9, s8, s93
	s_cmp_ge_u32 s8, s93
	s_cselect_b32 s8, s9, s8
	s_sub_i32 s9, s8, s93
	s_cmp_ge_u32 s8, s93
	s_cselect_b32 s8, s9, s8
	s_sub_i32 s92, s77, s8
	v_cmp_gt_u32_e32 vcc, s92, v16
	s_mov_b32 s82, 0
	s_waitcnt vmcnt(0)
	v_mov_b32_e32 v2, 0
	v_mov_b32_e32 v3, 0
	;; [unrolled: 1-line block ×4, first 2 shown]
	s_and_saveexec_b64 s[74:75], vcc
	s_cbranch_execz .LBB138_70
; %bb.67:                               ;   in Loop: Header=BB138_21 Depth=1
	s_and_b32 s86, s81, 0xfe
	s_mov_b64 s[88:89], 0
	v_mov_b32_e32 v8, v27
	s_mov_b32 s83, 0
	s_mov_b32 s8, 0
	;; [unrolled: 1-line block ×3, first 2 shown]
	v_mov_b32_e32 v35, v16
.LBB138_68:                             ;   Parent Loop BB138_21 Depth=1
                                        ; =>  This Inner Loop Header: Depth=2
	ds_read_b64 v[2:3], v8
	v_add_u32_e32 v35, s93, v35
	v_cmp_le_u32_e32 vcc, s92, v35
	v_add_u32_e32 v8, s12, v8
	s_waitcnt lgkmcnt(0)
	v_cmp_lt_i16_e64 s[14:15], -1, v2
	v_cndmask_b32_e64 v38, v29, v30, s[14:15]
	v_cmp_gt_i16_sdwa s[14:15], v2, v31 src0_sel:WORD_1 src1_sel:DWORD
	v_lshlrev_b32_e32 v4, 16, v2
	v_cndmask_b32_e64 v39, v29, v30, s[14:15]
	v_cmp_lt_i16_e64 s[14:15], -1, v3
	v_and_b32_e32 v5, 0xffff0000, v2
	v_cndmask_b32_e64 v40, v29, v30, s[14:15]
	v_cmp_gt_i16_sdwa s[14:15], v3, v31 src0_sel:WORD_1 src1_sel:DWORD
	v_xor_b32_sdwa v39, v39, v2 dst_sel:DWORD dst_unused:UNUSED_PAD src0_sel:DWORD src1_sel:WORD_1
	v_xor_b32_sdwa v2, v38, v2 dst_sel:DWORD dst_unused:UNUSED_PAD src0_sel:DWORD src1_sel:WORD_0
	v_cmp_o_f32_e64 s[20:21], v4, v4
	v_lshlrev_b32_e32 v36, 16, v3
	v_cndmask_b32_e64 v41, v29, v30, s[14:15]
	v_cmp_o_f32_e64 s[14:15], v5, v5
	v_cndmask_b32_e64 v2, v29, v2, s[20:21]
	v_and_b32_e32 v37, 0xffff0000, v3
	v_xor_b32_sdwa v5, v40, v3 dst_sel:DWORD dst_unused:UNUSED_PAD src0_sel:DWORD src1_sel:WORD_0
	v_cmp_o_f32_e64 s[16:17], v36, v36
	v_cndmask_b32_e64 v4, v29, v39, s[14:15]
	v_and_b32_e32 v36, s1, v2
	v_bfe_u32 v2, v2, s86, 2
	v_xor_b32_sdwa v3, v41, v3 dst_sel:DWORD dst_unused:UNUSED_PAD src0_sel:DWORD src1_sel:WORD_1
	v_cmp_o_f32_e64 s[18:19], v37, v37
	v_cndmask_b32_e64 v5, v29, v5, s[16:17]
	v_and_b32_e32 v37, s1, v4
	v_bfe_u32 v4, v4, s86, 2
	v_cmp_eq_u32_e64 s[14:15], s2, v36
	v_cmp_eq_u32_e64 s[22:23], 0, v2
	v_cndmask_b32_e64 v3, v29, v3, s[18:19]
	v_and_b32_e32 v38, s1, v5
	v_bfe_u32 v5, v5, s86, 2
	v_cmp_eq_u32_e64 s[16:17], s2, v37
	v_cmp_eq_u32_e64 s[24:25], 0, v4
	s_and_b64 s[22:23], s[14:15], s[22:23]
	v_and_b32_e32 v39, s1, v3
	v_bfe_u32 v3, v3, s86, 2
	v_cmp_eq_u32_e64 s[18:19], s2, v38
	v_cmp_eq_u32_e64 s[26:27], 0, v5
	;; [unrolled: 1-line block ×5, first 2 shown]
	v_cndmask_b32_e64 v2, 0, 1, s[22:23]
	s_and_b64 s[22:23], s[16:17], s[24:25]
	v_cmp_eq_u32_e64 s[20:21], s2, v39
	v_cmp_eq_u32_e64 s[28:29], 0, v3
	;; [unrolled: 1-line block ×5, first 2 shown]
	v_cndmask_b32_e64 v3, 0, 1, s[22:23]
	s_and_b64 s[22:23], s[18:19], s[26:27]
	v_cmp_eq_u32_e64 s[34:35], 1, v4
	v_cmp_eq_u32_e64 s[42:43], 2, v4
	;; [unrolled: 1-line block ×3, first 2 shown]
	v_cndmask_b32_e64 v4, 0, 1, s[22:23]
	s_and_b64 s[22:23], s[20:21], s[28:29]
	v_cmp_eq_u32_e64 s[36:37], 1, v5
	v_cmp_eq_u32_e64 s[44:45], 2, v5
	;; [unrolled: 1-line block ×3, first 2 shown]
	v_cndmask_b32_e64 v5, 0, 1, s[22:23]
	s_and_b64 s[22:23], s[14:15], s[30:31]
	v_cndmask_b32_e64 v36, 0, 1, s[22:23]
	s_and_b64 s[22:23], s[16:17], s[34:35]
	;; [unrolled: 2-line block ×5, first 2 shown]
	s_and_b64 s[14:15], s[14:15], s[48:49]
	v_cndmask_b32_e64 v40, 0, 1, s[22:23]
	s_and_b64 s[22:23], s[16:17], s[42:43]
	v_cndmask_b32_e64 v44, 0, 1, s[14:15]
	;; [unrolled: 2-line block ×7, first 2 shown]
	v_cndmask_b32_e64 v47, 0, 1, s[14:15]
	v_cmp_ne_u32_e64 s[14:15], 0, v2
	v_cmp_ne_u32_e64 s[16:17], 0, v3
	;; [unrolled: 1-line block ×11, first 2 shown]
	s_bcnt1_i32_b64 s14, s[14:15]
	s_bcnt1_i32_b64 s15, s[16:17]
	;; [unrolled: 1-line block ×8, first 2 shown]
	v_cmp_ne_u32_e64 s[28:29], 0, v39
	v_cmp_ne_u32_e64 s[36:37], 0, v42
	;; [unrolled: 1-line block ×3, first 2 shown]
	s_bcnt1_i32_b64 s19, s[24:25]
	s_bcnt1_i32_b64 s23, s[34:35]
	;; [unrolled: 1-line block ×3, first 2 shown]
	s_add_i32 s9, s9, s14
	s_add_i32 s8, s8, s18
	;; [unrolled: 1-line block ×4, first 2 shown]
	v_cmp_ne_u32_e64 s[38:39], 0, v43
	v_cmp_ne_u32_e64 s[46:47], 0, v47
	s_bcnt1_i32_b64 s21, s[28:29]
	s_bcnt1_i32_b64 s24, s[36:37]
	;; [unrolled: 1-line block ×3, first 2 shown]
	s_add_i32 s9, s9, s15
	s_add_i32 s8, s8, s19
	;; [unrolled: 1-line block ×4, first 2 shown]
	s_bcnt1_i32_b64 s25, s[38:39]
	s_bcnt1_i32_b64 s29, s[46:47]
	s_add_i32 s9, s9, s16
	s_add_i32 s8, s8, s20
	;; [unrolled: 1-line block ×8, first 2 shown]
	s_or_b64 s[88:89], vcc, s[88:89]
	v_mov_b32_e32 v2, s9
	v_mov_b32_e32 v3, s8
	;; [unrolled: 1-line block ×4, first 2 shown]
	s_andn2_b64 exec, exec, s[88:89]
	s_cbranch_execnz .LBB138_68
; %bb.69:                               ;   in Loop: Header=BB138_21 Depth=1
	s_or_b64 exec, exec, s[88:89]
.LBB138_70:                             ;   in Loop: Header=BB138_21 Depth=1
	s_or_b64 exec, exec, s[74:75]
	v_add_u32_e32 v8, s92, v0
	v_cmp_gt_u32_e32 vcc, s77, v8
	s_and_saveexec_b64 s[24:25], vcc
	s_cbranch_execz .LBB138_74
; %bb.71:                               ;   in Loop: Header=BB138_21 Depth=1
	s_and_b32 s8, s81, 0xfe
	v_lshlrev_b32_e32 v35, 1, v8
	s_mov_b64 s[26:27], 0
.LBB138_72:                             ;   Parent Loop BB138_21 Depth=1
                                        ; =>  This Inner Loop Header: Depth=2
	ds_read_u16 v36, v35
	v_add_u32_e32 v8, s59, v8
	v_cmp_le_u32_e32 vcc, s77, v8
	v_add_u32_e32 v35, s13, v35
	s_waitcnt lgkmcnt(0)
	v_cmp_lt_i16_e64 s[14:15], -1, v36
	v_lshlrev_b32_e32 v37, 16, v36
	v_cndmask_b32_e64 v38, v29, v30, s[14:15]
	v_xor_b32_sdwa v36, v38, v36 dst_sel:DWORD dst_unused:UNUSED_PAD src0_sel:DWORD src1_sel:WORD_0
	v_cmp_o_f32_e64 s[14:15], v37, v37
	v_cndmask_b32_e64 v36, v29, v36, s[14:15]
	v_and_b32_e32 v37, s1, v36
	v_bfe_u32 v36, v36, s8, 2
	v_cmp_eq_u32_e64 s[14:15], s2, v37
	v_cmp_eq_u32_e64 s[16:17], 0, v36
	;; [unrolled: 1-line block ×3, first 2 shown]
	s_and_b64 s[16:17], s[14:15], s[16:17]
	v_cmp_eq_u32_e64 s[20:21], 2, v36
	v_cmp_eq_u32_e64 s[22:23], 3, v36
	v_cndmask_b32_e64 v36, 0, 1, s[16:17]
	s_and_b64 s[16:17], s[14:15], s[18:19]
	v_cndmask_b32_e64 v37, 0, 1, s[16:17]
	s_and_b64 s[16:17], s[14:15], s[20:21]
	s_and_b64 s[14:15], s[14:15], s[22:23]
	v_cndmask_b32_e64 v38, 0, 1, s[16:17]
	v_cndmask_b32_e64 v39, 0, 1, s[14:15]
	v_cmp_ne_u32_e64 s[14:15], 0, v36
	v_cmp_ne_u32_e64 s[16:17], 0, v37
	;; [unrolled: 1-line block ×4, first 2 shown]
	s_bcnt1_i32_b64 s9, s[14:15]
	s_bcnt1_i32_b64 s14, s[16:17]
	;; [unrolled: 1-line block ×4, first 2 shown]
	v_add_u32_e32 v2, s9, v2
	v_add_u32_e32 v3, s14, v3
	;; [unrolled: 1-line block ×3, first 2 shown]
	s_or_b64 s[26:27], vcc, s[26:27]
	v_add_u32_e32 v5, s16, v5
	s_andn2_b64 exec, exec, s[26:27]
	s_cbranch_execnz .LBB138_72
; %bb.73:                               ;   in Loop: Header=BB138_21 Depth=1
	s_or_b64 exec, exec, s[26:27]
	s_or_b64 s[70:71], s[70:71], exec
.LBB138_74:                             ;   in Loop: Header=BB138_21 Depth=1
	s_or_b64 exec, exec, s[24:25]
.LBB138_75:                             ;   in Loop: Header=BB138_21 Depth=1
	s_and_saveexec_b64 s[14:15], s[70:71]
	s_or_b64 exec, exec, s[14:15]
	s_lshl_b32 s8, s0, 6
	s_and_saveexec_b64 s[14:15], s[4:5]
	s_cbranch_execz .LBB138_77
; %bb.76:                               ;   in Loop: Header=BB138_21 Depth=1
	v_or_b32_e32 v8, s8, v19
	v_lshlrev_b32_e32 v8, 2, v8
	s_waitcnt vmcnt(0)
	ds_write_b128 v8, v[2:5] offset:3072
.LBB138_77:                             ;   in Loop: Header=BB138_21 Depth=1
	s_or_b64 exec, exec, s[14:15]
	s_waitcnt lgkmcnt(0)
	s_barrier
	s_and_saveexec_b64 s[14:15], s[78:79]
	s_cbranch_execz .LBB138_91
; %bb.78:                               ;   in Loop: Header=BB138_21 Depth=1
	v_readlane_b32 s16, v52, 28
	v_readlane_b32 s17, v52, 29
	v_add_u32_e32 v4, s8, v13
	s_andn2_b64 vcc, exec, s[16:17]
	s_waitcnt vmcnt(0)
	v_mov_b32_e32 v2, 0
	s_cbranch_vccnz .LBB138_90
; %bb.79:                               ;   in Loop: Header=BB138_21 Depth=1
	v_readlane_b32 s16, v52, 32
	v_readlane_b32 s17, v52, 33
	s_mov_b32 s9, 0
	s_and_b64 vcc, exec, s[16:17]
	v_mov_b32_e32 v2, 0
	s_cbranch_vccz .LBB138_83
; %bb.80:                               ;   in Loop: Header=BB138_21 Depth=1
	v_readlane_b32 s16, v52, 34
	v_readlane_b32 s17, v52, 35
	v_lshl_add_u32 v5, v4, 2, v32
	s_andn2_b64 vcc, exec, s[16:17]
	s_cbranch_vccnz .LBB138_84
; %bb.81:                               ;   in Loop: Header=BB138_21 Depth=1
	s_mov_b32 s17, 1
	s_mov_b32 s16, 0
	v_mov_b32_e32 v2, 0
	v_readlane_b32 s9, v52, 36
	v_mov_b32_e32 v3, 0
.LBB138_82:                             ;   Parent Loop BB138_21 Depth=1
                                        ; =>  This Inner Loop Header: Depth=2
	v_lshl_add_u32 v8, s16, 4, v5
	v_lshl_add_u32 v35, s17, 4, v5
	ds_read2_b32 v[36:37], v8 offset1:8
	ds_read2_b32 v[38:39], v35 offset1:8
	ds_read2_b32 v[40:41], v8 offset0:16 offset1:24
	ds_read2_b32 v[42:43], v35 offset0:16 offset1:24
	;; [unrolled: 1-line block ×6, first 2 shown]
	s_waitcnt lgkmcnt(7)
	v_add3_u32 v2, v36, v2, v37
	s_waitcnt lgkmcnt(6)
	v_add3_u32 v3, v38, v3, v39
	s_waitcnt lgkmcnt(4)
	v_add3_u32 v3, v42, v3, v43
	v_add3_u32 v2, v40, v2, v41
	s_add_i32 s17, s17, 16
	s_add_i32 s16, s16, 16
	s_add_i32 s9, s9, -8
	s_waitcnt lgkmcnt(3)
	v_add3_u32 v2, v44, v2, v45
	s_waitcnt lgkmcnt(2)
	v_add3_u32 v3, v46, v3, v47
	s_cmp_lg_u32 s9, 0
	s_waitcnt lgkmcnt(0)
	v_add3_u32 v3, v50, v3, v51
	v_add3_u32 v2, v48, v2, v49
	s_cbranch_scc1 .LBB138_82
	s_branch .LBB138_85
.LBB138_83:                             ;   in Loop: Header=BB138_21 Depth=1
	s_cbranch_execnz .LBB138_88
	s_branch .LBB138_90
.LBB138_84:                             ;   in Loop: Header=BB138_21 Depth=1
	s_mov_b32 s77, s76
	v_pk_mov_b32 v[2:3], s[76:77], s[76:77] op_sel:[0,1]
	s_mov_b32 s77, 1
	s_mov_b64 s[16:17], s[76:77]
.LBB138_85:                             ;   in Loop: Header=BB138_21 Depth=1
	v_readlane_b32 s18, v52, 38
	v_readlane_b32 s19, v52, 39
	s_andn2_b64 vcc, exec, s[18:19]
	v_readlane_b32 s9, v52, 37
	s_cbranch_vccnz .LBB138_87
.LBB138_86:                             ;   Parent Loop BB138_21 Depth=1
                                        ; =>  This Inner Loop Header: Depth=2
	v_lshl_add_u32 v8, s16, 4, v5
	v_lshl_add_u32 v35, s17, 4, v5
	ds_read_b32 v35, v35
	ds_read_b32 v8, v8
	s_add_i32 s17, s17, 2
	s_add_i32 s16, s16, 2
	s_add_i32 s9, s9, -1
	s_cmp_lg_u32 s9, 0
	s_waitcnt lgkmcnt(1)
	v_add_u32_e32 v3, v35, v3
	s_waitcnt lgkmcnt(0)
	v_add_u32_e32 v2, v8, v2
	s_cbranch_scc1 .LBB138_86
.LBB138_87:                             ;   in Loop: Header=BB138_21 Depth=1
	v_readlane_b32 s16, v52, 42
	v_add_u32_e32 v2, v2, v3
	v_readlane_b32 s9, v52, 41
	v_readlane_b32 s17, v52, 43
	s_and_b64 vcc, exec, s[16:17]
	s_cbranch_vccz .LBB138_90
.LBB138_88:                             ;   in Loop: Header=BB138_21 Depth=1
	s_lshl_b32 s16, s0, 8
	s_lshl_b32 s17, s9, 4
	s_add_i32 s16, s16, s17
	v_add_u32_e32 v3, s16, v28
	v_readlane_b32 s16, v52, 40
	s_sub_i32 s9, s16, s9
.LBB138_89:                             ;   Parent Loop BB138_21 Depth=1
                                        ; =>  This Inner Loop Header: Depth=2
	ds_read_b32 v5, v3
	s_add_i32 s9, s9, -1
	v_add_u32_e32 v3, 16, v3
	s_cmp_eq_u32 s9, 0
	s_waitcnt lgkmcnt(0)
	v_add_u32_e32 v2, v5, v2
	s_cbranch_scc0 .LBB138_89
.LBB138_90:                             ;   in Loop: Header=BB138_21 Depth=1
	v_lshlrev_b32_e32 v3, 2, v4
	ds_write_b32 v3, v2 offset:3072
.LBB138_91:                             ;   in Loop: Header=BB138_21 Depth=1
	s_or_b64 exec, exec, s[14:15]
	s_lshl_b32 s8, s8, 2
	s_waitcnt vmcnt(0)
	v_mov_b32_e32 v2, s8
	s_waitcnt lgkmcnt(0)
	s_barrier
	ds_read_b128 v[2:5], v2 offset:3072
	s_and_b32 s43, s81, 0xfe
	s_lshl_b32 s51, 3, s43
	s_not_b32 s44, s51
	s_mov_b64 s[18:19], -1
	s_waitcnt lgkmcnt(0)
	v_readfirstlane_b32 s28, v2
	s_cmp_eq_u32 s28, 1
	s_cselect_b64 s[8:9], -1, 0
	s_cmp_eq_u32 s3, 1
	s_cselect_b64 s[14:15], -1, 0
	s_and_b64 s[20:21], s[8:9], s[14:15]
	v_readfirstlane_b32 s34, v3
	v_readfirstlane_b32 s42, v4
	;; [unrolled: 1-line block ×3, first 2 shown]
	s_and_b64 vcc, exec, s[20:21]
	s_cbranch_vccz .LBB138_103
; %bb.92:                               ;   in Loop: Header=BB138_21 Depth=1
	ds_read_b32 v2, v9 offset:4104
	s_waitcnt lgkmcnt(0)
	s_barrier
	v_readfirstlane_b32 s8, v2
	s_and_saveexec_b64 s[14:15], s[6:7]
	s_cbranch_execz .LBB138_94
; %bb.93:                               ;   in Loop: Header=BB138_21 Depth=1
	ds_write_b16 v18, v9
.LBB138_94:                             ;   in Loop: Header=BB138_21 Depth=1
	s_or_b64 exec, exec, s[14:15]
	s_and_b32 s2, s2, s44
	s_or_b32 s1, s1, s51
	s_cmp_eq_u32 s8, 0
	s_waitcnt lgkmcnt(0)
	s_barrier
	s_cbranch_scc1 .LBB138_104
; %bb.95:                               ;   in Loop: Header=BB138_21 Depth=1
	v_readlane_b32 s9, v52, 25
	s_add_i32 s9, s8, s9
	v_readlane_b32 s14, v52, 46
	s_mul_hi_u32 s14, s9, s14
	s_mul_i32 s14, s14, s59
	s_sub_i32 s14, s9, s14
	s_sub_i32 s15, s14, s59
	s_cmp_ge_u32 s14, s59
	s_cselect_b32 s14, s15, s14
	s_sub_i32 s15, s14, s59
	s_cmp_ge_u32 s14, s59
	s_cselect_b32 s14, s15, s14
	s_sub_i32 s9, s9, s14
	v_cmp_gt_u32_e32 vcc, s9, v0
	s_mov_b64 s[14:15], 0
                                        ; implicit-def: $vgpr34
	s_and_saveexec_b64 s[16:17], vcc
	s_cbranch_execz .LBB138_106
; %bb.96:                               ;   in Loop: Header=BB138_21 Depth=1
	s_mov_b64 s[22:23], 0
	v_mov_b32_e32 v2, v17
	v_mov_b32_e32 v3, v0
                                        ; implicit-def: $sgpr24_sgpr25
	s_branch .LBB138_98
.LBB138_97:                             ;   in Loop: Header=BB138_98 Depth=2
	s_or_b64 exec, exec, s[14:15]
	s_waitcnt lgkmcnt(0)
	s_barrier
	ds_read_b32 v4, v9 offset:3072
	v_add_u32_e32 v3, s59, v3
	v_cmp_le_u32_e64 s[14:15], s9, v3
	v_add_u32_e32 v2, s13, v2
	s_waitcnt lgkmcnt(0)
	v_and_b32_e32 v5, 0x7fff, v4
	v_cmp_ne_u16_e32 vcc, 0, v5
	s_or_b64 s[14:15], s[14:15], vcc
	s_and_b64 s[14:15], exec, s[14:15]
	s_or_b64 s[22:23], s[14:15], s[22:23]
	s_andn2_b64 s[14:15], s[24:25], exec
	s_and_b64 s[24:25], vcc, exec
	s_or_b64 s[24:25], s[14:15], s[24:25]
	s_barrier
	s_andn2_b64 exec, exec, s[22:23]
	s_cbranch_execz .LBB138_105
.LBB138_98:                             ;   Parent Loop BB138_21 Depth=1
                                        ; =>  This Inner Loop Header: Depth=2
	v_cmp_gt_u32_e32 vcc, s8, v3
	v_mov_b32_e32 v4, 0
	s_and_saveexec_b64 s[14:15], vcc
	s_cbranch_execz .LBB138_100
; %bb.99:                               ;   in Loop: Header=BB138_98 Depth=2
	ds_read_u16 v4, v2
.LBB138_100:                            ;   in Loop: Header=BB138_98 Depth=2
	s_or_b64 exec, exec, s[14:15]
	s_and_saveexec_b64 s[14:15], vcc
	s_cbranch_execz .LBB138_97
; %bb.101:                              ;   in Loop: Header=BB138_98 Depth=2
	s_waitcnt lgkmcnt(0)
	v_cmp_lt_i16_e32 vcc, -1, v4
	v_cndmask_b32_e32 v5, v29, v30, vcc
	v_lshlrev_b32_e32 v8, 16, v4
	v_xor_b32_sdwa v5, v5, v4 dst_sel:DWORD dst_unused:UNUSED_PAD src0_sel:DWORD src1_sel:WORD_0
	v_cmp_o_f32_e32 vcc, v8, v8
	v_cndmask_b32_e32 v5, v29, v5, vcc
	v_and_b32_e32 v5, s1, v5
	v_cmp_eq_u32_e32 vcc, s2, v5
	s_and_b64 exec, exec, vcc
	s_cbranch_execz .LBB138_97
; %bb.102:                              ;   in Loop: Header=BB138_98 Depth=2
	v_perm_b32 v4, v4, s80, v33
	ds_write_b32 v9, v4 offset:3072
	s_branch .LBB138_97
.LBB138_103:                            ;   in Loop: Header=BB138_21 Depth=1
	s_mov_b64 s[14:15], -1
                                        ; implicit-def: $sgpr16_sgpr17
                                        ; implicit-def: $sgpr24_sgpr25
                                        ; implicit-def: $sgpr22_sgpr23
	s_branch .LBB138_117
.LBB138_104:                            ;   in Loop: Header=BB138_21 Depth=1
	s_mov_b64 s[16:17], -1
	s_mov_b64 s[14:15], 0
                                        ; implicit-def: $sgpr22_sgpr23
                                        ; implicit-def: $vgpr34
	s_mov_b64 s[24:25], s[16:17]
	s_cbranch_execnz .LBB138_107
	s_branch .LBB138_117
.LBB138_105:                            ;   in Loop: Header=BB138_21 Depth=1
	s_or_b64 exec, exec, s[22:23]
	v_lshrrev_b32_e32 v34, 16, v4
	s_and_b64 s[14:15], s[24:25], exec
.LBB138_106:                            ;   in Loop: Header=BB138_21 Depth=1
	s_or_b64 exec, exec, s[16:17]
	s_mov_b64 s[22:23], -1
	s_mov_b64 s[16:17], 0
	s_mov_b64 s[24:25], s[16:17]
	s_branch .LBB138_117
.LBB138_107:                            ;   in Loop: Header=BB138_21 Depth=1
	s_mov_b64 s[14:15], 0
                                        ; implicit-def: $vgpr34
	s_mov_b64 s[16:17], exec
	v_readlane_b32 s8, v52, 47
	v_readlane_b32 s9, v52, 48
	s_and_b64 s[8:9], s[16:17], s[8:9]
	s_mov_b64 exec, s[8:9]
	s_cbranch_execz .LBB138_116
; %bb.108:                              ;   in Loop: Header=BB138_21 Depth=1
	s_mov_b64 s[22:23], 0
	v_mov_b32_e32 v8, v6
	v_mov_b32_e32 v2, v0
                                        ; implicit-def: $sgpr24_sgpr25
	s_branch .LBB138_110
.LBB138_109:                            ;   in Loop: Header=BB138_110 Depth=2
	s_or_b64 exec, exec, s[14:15]
	s_waitcnt lgkmcnt(0)
	s_barrier
	s_waitcnt vmcnt(0)
	ds_read_b32 v3, v9 offset:3072
	v_add_u32_e32 v2, s59, v2
	v_cmp_le_u32_e64 s[14:15], s87, v2
	v_add_u32_e32 v8, s91, v8
	s_waitcnt lgkmcnt(0)
	v_and_b32_e32 v4, 0x7fff, v3
	v_cmp_ne_u16_e32 vcc, 0, v4
	s_or_b64 s[8:9], s[14:15], vcc
	s_and_b64 s[8:9], exec, s[8:9]
	s_or_b64 s[22:23], s[8:9], s[22:23]
	s_andn2_b64 s[8:9], s[24:25], exec
	s_and_b64 s[14:15], vcc, exec
	s_or_b64 s[24:25], s[8:9], s[14:15]
	s_barrier
	s_andn2_b64 exec, exec, s[22:23]
	s_cbranch_execz .LBB138_115
.LBB138_110:                            ;   Parent Loop BB138_21 Depth=1
                                        ; =>  This Inner Loop Header: Depth=2
	v_cmp_gt_u32_e32 vcc, s56, v2
	v_mov_b32_e32 v3, 0
	s_and_saveexec_b64 s[26:27], vcc
	s_cbranch_execz .LBB138_112
; %bb.111:                              ;   in Loop: Header=BB138_110 Depth=2
	v_lshlrev_b64 v[4:5], 1, v[8:9]
	v_mov_b32_e32 v3, s90
	v_add_co_u32_e64 v4, s[14:15], s57, v4
	v_addc_co_u32_e64 v5, s[14:15], v3, v5, s[14:15]
	global_load_ushort v3, v[4:5], off
.LBB138_112:                            ;   in Loop: Header=BB138_110 Depth=2
	s_or_b64 exec, exec, s[26:27]
	s_and_saveexec_b64 s[14:15], vcc
	s_cbranch_execz .LBB138_109
; %bb.113:                              ;   in Loop: Header=BB138_110 Depth=2
	s_waitcnt vmcnt(0)
	v_cmp_lt_i16_e32 vcc, -1, v3
	v_cndmask_b32_e32 v4, v29, v30, vcc
	v_lshlrev_b32_e32 v5, 16, v3
	v_xor_b32_sdwa v4, v4, v3 dst_sel:DWORD dst_unused:UNUSED_PAD src0_sel:DWORD src1_sel:WORD_0
	v_cmp_o_f32_e32 vcc, v5, v5
	v_cndmask_b32_e32 v4, v29, v4, vcc
	v_and_b32_e32 v4, s1, v4
	v_cmp_eq_u32_e32 vcc, s2, v4
	s_and_b64 exec, exec, vcc
	s_cbranch_execz .LBB138_109
; %bb.114:                              ;   in Loop: Header=BB138_110 Depth=2
	v_perm_b32 v3, v3, s80, v33
	ds_write_b32 v9, v3 offset:3072
	s_branch .LBB138_109
.LBB138_115:                            ;   in Loop: Header=BB138_21 Depth=1
	s_or_b64 exec, exec, s[22:23]
	v_lshrrev_b32_e32 v34, 16, v3
	s_and_b64 s[14:15], s[24:25], exec
.LBB138_116:                            ;   in Loop: Header=BB138_21 Depth=1
	s_or_b64 exec, exec, s[16:17]
	s_mov_b64 s[24:25], -1
	s_mov_b64 s[16:17], 0
	s_mov_b64 s[22:23], 0
.LBB138_117:                            ;   in Loop: Header=BB138_21 Depth=1
	s_andn2_b64 s[8:9], s[66:67], exec
	s_and_b64 s[16:17], s[16:17], exec
	s_or_b64 s[66:67], s[8:9], s[16:17]
	s_andn2_b64 s[8:9], s[64:65], exec
	s_and_b64 s[16:17], s[24:25], exec
	s_or_b64 s[64:65], s[8:9], s[16:17]
	;; [unrolled: 3-line block ×3, first 2 shown]
	s_and_saveexec_b64 s[16:17], s[14:15]
	s_cbranch_execz .LBB138_20
; %bb.118:                              ;   in Loop: Header=BB138_21 Depth=1
	s_xor_b64 s[8:9], s[20:21], -1
	s_mov_b64 s[14:15], 0
	s_andn2_b64 vcc, exec, s[8:9]
	s_mov_b32 s35, 1
	s_cbranch_vccnz .LBB138_129
; %bb.119:                              ;   in Loop: Header=BB138_21 Depth=1
	s_cmp_gt_u32 s3, s28
	s_mov_b64 s[14:15], -1
                                        ; implicit-def: $sgpr52
                                        ; implicit-def: $sgpr8
                                        ; implicit-def: $sgpr9
	s_cbranch_scc1 .LBB138_125
; %bb.120:                              ;   in Loop: Header=BB138_21 Depth=1
	ds_read_b32 v2, v9 offset:4104
	s_waitcnt lgkmcnt(0)
	v_cmp_ne_u32_e32 vcc, 0, v2
	s_cbranch_vccnz .LBB138_124
; %bb.121:                              ;   in Loop: Header=BB138_21 Depth=1
	s_mov_b64 s[14:15], exec
	v_readlane_b32 s8, v52, 23
	v_readlane_b32 s9, v52, 24
	s_and_b64 s[8:9], s[14:15], s[8:9]
	s_mov_b64 exec, s[8:9]
	s_cbranch_execz .LBB138_123
; %bb.122:                              ;   in Loop: Header=BB138_21 Depth=1
	v_mov_b32_e32 v2, s28
	ds_write_b32 v9, v2 offset:4108
.LBB138_123:                            ;   in Loop: Header=BB138_21 Depth=1
	s_or_b64 exec, exec, s[14:15]
	s_waitcnt lgkmcnt(0)
	s_barrier
.LBB138_124:                            ;   in Loop: Header=BB138_21 Depth=1
	s_and_b32 s8, s2, s44
	s_or_b32 s9, s1, s51
	s_mov_b64 s[14:15], 0
	s_mov_b32 s52, 8
.LBB138_125:                            ;   in Loop: Header=BB138_21 Depth=1
	s_andn2_b64 vcc, exec, s[14:15]
	s_cbranch_vccnz .LBB138_127
; %bb.126:                              ;   in Loop: Header=BB138_21 Depth=1
	s_sub_i32 s3, s3, s28
	s_mov_b64 s[14:15], -1
	s_mov_b32 s52, 0
	s_mov_b32 s8, s2
	;; [unrolled: 1-line block ×3, first 2 shown]
.LBB138_127:                            ;   in Loop: Header=BB138_21 Depth=1
	s_mov_b32 s1, s9
	s_mov_b32 s2, s8
	;; [unrolled: 1-line block ×3, first 2 shown]
	s_mov_b64 s[18:19], -1
	s_and_b64 vcc, exec, s[14:15]
	s_cbranch_vccnz .LBB138_130
.LBB138_128:                            ;   in Loop: Header=BB138_21 Depth=1
	s_mov_b64 s[30:31], -1
                                        ; implicit-def: $sgpr20_sgpr21
                                        ; implicit-def: $sgpr24_sgpr25
                                        ; implicit-def: $sgpr22_sgpr23
                                        ; implicit-def: $sgpr3
	s_and_saveexec_b64 s[8:9], s[30:31]
	s_xor_b64 s[14:15], exec, s[8:9]
	s_cbranch_execz .LBB138_19
	s_branch .LBB138_253
.LBB138_129:                            ;   in Loop: Header=BB138_21 Depth=1
	s_mov_b32 s52, 1
	s_mov_b64 s[18:19], -1
	s_and_b64 vcc, exec, s[14:15]
	s_cbranch_vccz .LBB138_128
.LBB138_130:                            ;   in Loop: Header=BB138_21 Depth=1
	s_cmp_eq_u32 s34, 1
	s_cselect_b64 s[8:9], -1, 0
	s_cmp_eq_u32 s35, 1
	s_cselect_b64 s[14:15], -1, 0
	s_and_b64 s[28:29], s[8:9], s[14:15]
	s_mov_b64 s[14:15], -1
	s_and_b64 vcc, exec, s[28:29]
	s_cbranch_vccz .LBB138_142
; %bb.131:                              ;   in Loop: Header=BB138_21 Depth=1
	ds_read_b32 v2, v9 offset:4104
	s_waitcnt lgkmcnt(0)
	s_barrier
	v_readfirstlane_b32 s3, v2
	s_and_saveexec_b64 s[14:15], s[6:7]
	s_cbranch_execz .LBB138_133
; %bb.132:                              ;   in Loop: Header=BB138_21 Depth=1
	ds_write_b16 v18, v9
.LBB138_133:                            ;   in Loop: Header=BB138_21 Depth=1
	s_or_b64 exec, exec, s[14:15]
	s_lshl_b32 s8, 1, s43
	s_and_b32 s2, s2, s44
	s_or_b32 s2, s2, s8
	s_or_b32 s1, s1, s51
	s_cmp_eq_u32 s3, 0
	s_waitcnt lgkmcnt(0)
	s_barrier
	s_cbranch_scc1 .LBB138_143
; %bb.134:                              ;   in Loop: Header=BB138_21 Depth=1
	v_readlane_b32 s8, v52, 25
	s_add_i32 s8, s3, s8
	v_readlane_b32 s9, v52, 46
	s_mul_hi_u32 s9, s8, s9
	s_mul_i32 s9, s9, s59
	s_sub_i32 s9, s8, s9
	s_sub_i32 s14, s9, s59
	s_cmp_ge_u32 s9, s59
	s_cselect_b32 s9, s14, s9
	s_sub_i32 s14, s9, s59
	s_cmp_ge_u32 s9, s59
	s_cselect_b32 s9, s14, s9
	s_sub_i32 s8, s8, s9
	v_cmp_gt_u32_e32 vcc, s8, v0
	s_mov_b64 s[14:15], 0
                                        ; implicit-def: $vgpr34
	s_and_saveexec_b64 s[20:21], vcc
	s_cbranch_execz .LBB138_145
; %bb.135:                              ;   in Loop: Header=BB138_21 Depth=1
	s_mov_b64 s[22:23], 0
	v_mov_b32_e32 v2, v17
	v_mov_b32_e32 v3, v0
                                        ; implicit-def: $sgpr24_sgpr25
	s_branch .LBB138_137
.LBB138_136:                            ;   in Loop: Header=BB138_137 Depth=2
	s_or_b64 exec, exec, s[14:15]
	s_waitcnt lgkmcnt(0)
	s_barrier
	ds_read_b32 v4, v9 offset:3072
	v_add_u32_e32 v3, s59, v3
	v_cmp_le_u32_e64 s[14:15], s8, v3
	v_add_u32_e32 v2, s13, v2
	s_waitcnt lgkmcnt(0)
	v_and_b32_e32 v5, 0x7fff, v4
	v_cmp_ne_u16_e32 vcc, 0, v5
	s_or_b64 s[14:15], s[14:15], vcc
	s_and_b64 s[14:15], exec, s[14:15]
	s_or_b64 s[22:23], s[14:15], s[22:23]
	s_andn2_b64 s[14:15], s[24:25], exec
	s_and_b64 s[24:25], vcc, exec
	s_or_b64 s[24:25], s[14:15], s[24:25]
	s_barrier
	s_andn2_b64 exec, exec, s[22:23]
	s_cbranch_execz .LBB138_144
.LBB138_137:                            ;   Parent Loop BB138_21 Depth=1
                                        ; =>  This Inner Loop Header: Depth=2
	v_cmp_gt_u32_e32 vcc, s3, v3
	v_mov_b32_e32 v4, 0
	s_and_saveexec_b64 s[14:15], vcc
	s_cbranch_execz .LBB138_139
; %bb.138:                              ;   in Loop: Header=BB138_137 Depth=2
	ds_read_u16 v4, v2
.LBB138_139:                            ;   in Loop: Header=BB138_137 Depth=2
	s_or_b64 exec, exec, s[14:15]
	s_and_saveexec_b64 s[14:15], vcc
	s_cbranch_execz .LBB138_136
; %bb.140:                              ;   in Loop: Header=BB138_137 Depth=2
	s_waitcnt lgkmcnt(0)
	v_cmp_lt_i16_e32 vcc, -1, v4
	v_cndmask_b32_e32 v5, v29, v30, vcc
	v_lshlrev_b32_e32 v8, 16, v4
	v_xor_b32_sdwa v5, v5, v4 dst_sel:DWORD dst_unused:UNUSED_PAD src0_sel:DWORD src1_sel:WORD_0
	v_cmp_o_f32_e32 vcc, v8, v8
	v_cndmask_b32_e32 v5, v29, v5, vcc
	v_and_b32_e32 v5, s1, v5
	v_cmp_eq_u32_e32 vcc, s2, v5
	s_and_b64 exec, exec, vcc
	s_cbranch_execz .LBB138_136
; %bb.141:                              ;   in Loop: Header=BB138_137 Depth=2
	v_perm_b32 v4, v4, s80, v33
	ds_write_b32 v9, v4 offset:3072
	s_branch .LBB138_136
.LBB138_142:                            ;   in Loop: Header=BB138_21 Depth=1
                                        ; implicit-def: $sgpr22_sgpr23
                                        ; implicit-def: $sgpr24_sgpr25
                                        ; implicit-def: $sgpr20_sgpr21
	s_branch .LBB138_156
.LBB138_143:                            ;   in Loop: Header=BB138_21 Depth=1
	s_mov_b64 s[22:23], -1
	s_mov_b64 s[14:15], 0
                                        ; implicit-def: $sgpr20_sgpr21
                                        ; implicit-def: $vgpr34
	s_mov_b64 s[24:25], s[22:23]
	s_cbranch_execnz .LBB138_146
	s_branch .LBB138_156
.LBB138_144:                            ;   in Loop: Header=BB138_21 Depth=1
	s_or_b64 exec, exec, s[22:23]
	v_lshrrev_b32_e32 v34, 16, v4
	s_and_b64 s[14:15], s[24:25], exec
.LBB138_145:                            ;   in Loop: Header=BB138_21 Depth=1
	s_or_b64 exec, exec, s[20:21]
	s_mov_b64 s[20:21], -1
	s_mov_b64 s[22:23], 0
	s_mov_b64 s[24:25], s[22:23]
	s_branch .LBB138_156
.LBB138_146:                            ;   in Loop: Header=BB138_21 Depth=1
	s_mov_b64 s[14:15], 0
                                        ; implicit-def: $vgpr34
	s_mov_b64 s[20:21], exec
	v_readlane_b32 s8, v52, 47
	v_readlane_b32 s9, v52, 48
	s_and_b64 s[8:9], s[20:21], s[8:9]
	s_mov_b64 exec, s[8:9]
	s_cbranch_execz .LBB138_155
; %bb.147:                              ;   in Loop: Header=BB138_21 Depth=1
	s_mov_b64 s[22:23], 0
	v_mov_b32_e32 v8, v6
	v_mov_b32_e32 v2, v0
                                        ; implicit-def: $sgpr24_sgpr25
	s_branch .LBB138_149
.LBB138_148:                            ;   in Loop: Header=BB138_149 Depth=2
	s_or_b64 exec, exec, s[14:15]
	s_waitcnt lgkmcnt(0)
	s_barrier
	s_waitcnt vmcnt(0)
	ds_read_b32 v3, v9 offset:3072
	v_add_u32_e32 v2, s59, v2
	v_cmp_le_u32_e64 s[14:15], s87, v2
	v_add_u32_e32 v8, s91, v8
	s_waitcnt lgkmcnt(0)
	v_and_b32_e32 v4, 0x7fff, v3
	v_cmp_ne_u16_e32 vcc, 0, v4
	s_or_b64 s[8:9], s[14:15], vcc
	s_and_b64 s[8:9], exec, s[8:9]
	s_or_b64 s[22:23], s[8:9], s[22:23]
	s_andn2_b64 s[8:9], s[24:25], exec
	s_and_b64 s[14:15], vcc, exec
	s_or_b64 s[24:25], s[8:9], s[14:15]
	s_barrier
	s_andn2_b64 exec, exec, s[22:23]
	s_cbranch_execz .LBB138_154
.LBB138_149:                            ;   Parent Loop BB138_21 Depth=1
                                        ; =>  This Inner Loop Header: Depth=2
	v_cmp_gt_u32_e32 vcc, s56, v2
	v_mov_b32_e32 v3, 0
	s_and_saveexec_b64 s[26:27], vcc
	s_cbranch_execz .LBB138_151
; %bb.150:                              ;   in Loop: Header=BB138_149 Depth=2
	v_lshlrev_b64 v[4:5], 1, v[8:9]
	v_mov_b32_e32 v3, s90
	v_add_co_u32_e64 v4, s[14:15], s57, v4
	v_addc_co_u32_e64 v5, s[14:15], v3, v5, s[14:15]
	global_load_ushort v3, v[4:5], off
.LBB138_151:                            ;   in Loop: Header=BB138_149 Depth=2
	s_or_b64 exec, exec, s[26:27]
	s_and_saveexec_b64 s[14:15], vcc
	s_cbranch_execz .LBB138_148
; %bb.152:                              ;   in Loop: Header=BB138_149 Depth=2
	s_waitcnt vmcnt(0)
	v_cmp_lt_i16_e32 vcc, -1, v3
	v_cndmask_b32_e32 v4, v29, v30, vcc
	v_lshlrev_b32_e32 v5, 16, v3
	v_xor_b32_sdwa v4, v4, v3 dst_sel:DWORD dst_unused:UNUSED_PAD src0_sel:DWORD src1_sel:WORD_0
	v_cmp_o_f32_e32 vcc, v5, v5
	v_cndmask_b32_e32 v4, v29, v4, vcc
	v_and_b32_e32 v4, s1, v4
	v_cmp_eq_u32_e32 vcc, s2, v4
	s_and_b64 exec, exec, vcc
	s_cbranch_execz .LBB138_148
; %bb.153:                              ;   in Loop: Header=BB138_149 Depth=2
	v_perm_b32 v3, v3, s80, v33
	ds_write_b32 v9, v3 offset:3072
	s_branch .LBB138_148
.LBB138_154:                            ;   in Loop: Header=BB138_21 Depth=1
	s_or_b64 exec, exec, s[22:23]
	v_lshrrev_b32_e32 v34, 16, v3
	s_and_b64 s[14:15], s[24:25], exec
.LBB138_155:                            ;   in Loop: Header=BB138_21 Depth=1
	s_or_b64 exec, exec, s[20:21]
	s_mov_b64 s[24:25], -1
	s_mov_b64 s[22:23], 0
	s_mov_b64 s[20:21], 0
.LBB138_156:                            ;   in Loop: Header=BB138_21 Depth=1
	s_mov_b64 s[30:31], 0
                                        ; implicit-def: $sgpr52
	s_and_saveexec_b64 s[26:27], s[14:15]
	s_cbranch_execz .LBB138_252
; %bb.157:                              ;   in Loop: Header=BB138_21 Depth=1
	s_xor_b64 s[8:9], s[28:29], -1
	s_mov_b64 s[14:15], 0
	s_andn2_b64 vcc, exec, s[8:9]
	s_mov_b32 s45, 1
	s_cbranch_vccnz .LBB138_168
; %bb.158:                              ;   in Loop: Header=BB138_21 Depth=1
	s_cmp_gt_u32 s35, s34
	s_mov_b64 s[14:15], -1
                                        ; implicit-def: $sgpr52
                                        ; implicit-def: $sgpr3
                                        ; implicit-def: $sgpr8
	s_cbranch_scc1 .LBB138_164
; %bb.159:                              ;   in Loop: Header=BB138_21 Depth=1
	ds_read_b32 v2, v9 offset:4104
	s_waitcnt lgkmcnt(0)
	v_cmp_ne_u32_e32 vcc, 0, v2
	s_cbranch_vccnz .LBB138_163
; %bb.160:                              ;   in Loop: Header=BB138_21 Depth=1
	s_mov_b64 s[14:15], exec
	v_readlane_b32 s8, v52, 23
	v_readlane_b32 s9, v52, 24
	s_and_b64 s[8:9], s[14:15], s[8:9]
	s_mov_b64 exec, s[8:9]
	s_cbranch_execz .LBB138_162
; %bb.161:                              ;   in Loop: Header=BB138_21 Depth=1
	v_mov_b32_e32 v2, s34
	ds_write_b32 v9, v2 offset:4108
.LBB138_162:                            ;   in Loop: Header=BB138_21 Depth=1
	s_or_b64 exec, exec, s[14:15]
	s_waitcnt lgkmcnt(0)
	s_barrier
.LBB138_163:                            ;   in Loop: Header=BB138_21 Depth=1
	s_lshl_b32 s3, 1, s43
	s_and_b32 s8, s2, s44
	s_or_b32 s3, s8, s3
	s_or_b32 s8, s1, s51
	s_mov_b64 s[14:15], 0
	s_mov_b32 s52, 8
.LBB138_164:                            ;   in Loop: Header=BB138_21 Depth=1
	s_andn2_b64 vcc, exec, s[14:15]
	s_cbranch_vccnz .LBB138_166
; %bb.165:                              ;   in Loop: Header=BB138_21 Depth=1
	s_sub_i32 s35, s35, s34
	s_mov_b64 s[14:15], -1
	s_mov_b32 s52, 0
	s_mov_b32 s3, s2
	;; [unrolled: 1-line block ×3, first 2 shown]
.LBB138_166:                            ;   in Loop: Header=BB138_21 Depth=1
	s_mov_b32 s1, s8
	s_mov_b32 s2, s3
	s_mov_b32 s45, s35
	s_andn2_b64 vcc, exec, s[14:15]
	s_mov_b64 s[40:41], -1
	s_cbranch_vccz .LBB138_169
.LBB138_167:                            ;   in Loop: Header=BB138_21 Depth=1
                                        ; implicit-def: $sgpr30_sgpr31
                                        ; implicit-def: $sgpr34_sgpr35
                                        ; implicit-def: $sgpr28_sgpr29
	s_branch .LBB138_251
.LBB138_168:                            ;   in Loop: Header=BB138_21 Depth=1
	s_mov_b32 s52, 1
	s_andn2_b64 vcc, exec, s[14:15]
	s_mov_b64 s[40:41], -1
	s_cbranch_vccnz .LBB138_167
.LBB138_169:                            ;   in Loop: Header=BB138_21 Depth=1
	s_cmp_eq_u32 s42, 1
	s_cselect_b64 s[8:9], -1, 0
	s_cmp_eq_u32 s45, 1
	s_cselect_b64 s[14:15], -1, 0
	s_and_b64 s[38:39], s[8:9], s[14:15]
	s_mov_b64 s[14:15], -1
	s_and_b64 vcc, exec, s[38:39]
	s_cbranch_vccz .LBB138_181
; %bb.170:                              ;   in Loop: Header=BB138_21 Depth=1
	ds_read_b32 v2, v9 offset:4104
	s_waitcnt lgkmcnt(0)
	s_barrier
	v_readfirstlane_b32 s3, v2
	s_and_saveexec_b64 s[14:15], s[6:7]
	s_cbranch_execz .LBB138_172
; %bb.171:                              ;   in Loop: Header=BB138_21 Depth=1
	ds_write_b16 v18, v9
.LBB138_172:                            ;   in Loop: Header=BB138_21 Depth=1
	s_or_b64 exec, exec, s[14:15]
	s_lshl_b32 s8, 2, s43
	s_and_b32 s2, s2, s44
	s_or_b32 s2, s2, s8
	s_or_b32 s1, s1, s51
	s_cmp_eq_u32 s3, 0
	s_waitcnt lgkmcnt(0)
	s_barrier
	s_cbranch_scc1 .LBB138_182
; %bb.173:                              ;   in Loop: Header=BB138_21 Depth=1
	v_readlane_b32 s8, v52, 25
	s_add_i32 s8, s3, s8
	v_readlane_b32 s9, v52, 46
	s_mul_hi_u32 s9, s8, s9
	s_mul_i32 s9, s9, s59
	s_sub_i32 s9, s8, s9
	s_sub_i32 s14, s9, s59
	s_cmp_ge_u32 s9, s59
	s_cselect_b32 s9, s14, s9
	s_sub_i32 s14, s9, s59
	s_cmp_ge_u32 s9, s59
	s_cselect_b32 s9, s14, s9
	s_sub_i32 s8, s8, s9
	v_cmp_gt_u32_e32 vcc, s8, v0
	s_mov_b64 s[14:15], 0
                                        ; implicit-def: $vgpr34
	s_and_saveexec_b64 s[28:29], vcc
	s_cbranch_execz .LBB138_184
; %bb.174:                              ;   in Loop: Header=BB138_21 Depth=1
	v_mov_b32_e32 v2, v17
	v_mov_b32_e32 v3, v0
                                        ; implicit-def: $sgpr34_sgpr35
	s_branch .LBB138_176
.LBB138_175:                            ;   in Loop: Header=BB138_176 Depth=2
	s_or_b64 exec, exec, s[14:15]
	s_waitcnt lgkmcnt(0)
	s_barrier
	ds_read_b32 v4, v9 offset:3072
	v_add_u32_e32 v3, s59, v3
	v_cmp_le_u32_e64 s[14:15], s8, v3
	v_add_u32_e32 v2, s13, v2
	s_waitcnt lgkmcnt(0)
	v_and_b32_e32 v5, 0x7fff, v4
	v_cmp_ne_u16_e32 vcc, 0, v5
	s_or_b64 s[14:15], s[14:15], vcc
	s_and_b64 s[14:15], exec, s[14:15]
	s_or_b64 s[30:31], s[14:15], s[30:31]
	s_andn2_b64 s[14:15], s[34:35], exec
	s_and_b64 s[34:35], vcc, exec
	s_or_b64 s[34:35], s[14:15], s[34:35]
	s_barrier
	s_andn2_b64 exec, exec, s[30:31]
	s_cbranch_execz .LBB138_183
.LBB138_176:                            ;   Parent Loop BB138_21 Depth=1
                                        ; =>  This Inner Loop Header: Depth=2
	v_cmp_gt_u32_e32 vcc, s3, v3
	v_mov_b32_e32 v4, 0
	s_and_saveexec_b64 s[14:15], vcc
	s_cbranch_execz .LBB138_178
; %bb.177:                              ;   in Loop: Header=BB138_176 Depth=2
	ds_read_u16 v4, v2
.LBB138_178:                            ;   in Loop: Header=BB138_176 Depth=2
	s_or_b64 exec, exec, s[14:15]
	s_and_saveexec_b64 s[14:15], vcc
	s_cbranch_execz .LBB138_175
; %bb.179:                              ;   in Loop: Header=BB138_176 Depth=2
	s_waitcnt lgkmcnt(0)
	v_cmp_lt_i16_e32 vcc, -1, v4
	v_cndmask_b32_e32 v5, v29, v30, vcc
	v_lshlrev_b32_e32 v8, 16, v4
	v_xor_b32_sdwa v5, v5, v4 dst_sel:DWORD dst_unused:UNUSED_PAD src0_sel:DWORD src1_sel:WORD_0
	v_cmp_o_f32_e32 vcc, v8, v8
	v_cndmask_b32_e32 v5, v29, v5, vcc
	v_and_b32_e32 v5, s1, v5
	v_cmp_eq_u32_e32 vcc, s2, v5
	s_and_b64 exec, exec, vcc
	s_cbranch_execz .LBB138_175
; %bb.180:                              ;   in Loop: Header=BB138_176 Depth=2
	v_perm_b32 v4, v4, s80, v33
	ds_write_b32 v9, v4 offset:3072
	s_branch .LBB138_175
.LBB138_181:                            ;   in Loop: Header=BB138_21 Depth=1
                                        ; implicit-def: $sgpr28_sgpr29
                                        ; implicit-def: $sgpr34_sgpr35
                                        ; implicit-def: $sgpr30_sgpr31
	s_branch .LBB138_195
.LBB138_182:                            ;   in Loop: Header=BB138_21 Depth=1
	s_mov_b64 s[28:29], -1
	s_mov_b64 s[14:15], 0
                                        ; implicit-def: $sgpr30_sgpr31
                                        ; implicit-def: $vgpr34
	s_mov_b64 s[34:35], s[28:29]
	s_cbranch_execnz .LBB138_185
	s_branch .LBB138_195
.LBB138_183:                            ;   in Loop: Header=BB138_21 Depth=1
	s_or_b64 exec, exec, s[30:31]
	v_lshrrev_b32_e32 v34, 16, v4
	s_and_b64 s[14:15], s[34:35], exec
.LBB138_184:                            ;   in Loop: Header=BB138_21 Depth=1
	s_or_b64 exec, exec, s[28:29]
	s_mov_b64 s[30:31], -1
	s_mov_b64 s[28:29], 0
	s_mov_b64 s[34:35], s[28:29]
	s_branch .LBB138_195
.LBB138_185:                            ;   in Loop: Header=BB138_21 Depth=1
	s_mov_b64 s[14:15], 0
                                        ; implicit-def: $vgpr34
	s_mov_b64 s[28:29], exec
	v_readlane_b32 s8, v52, 47
	v_readlane_b32 s9, v52, 48
	s_and_b64 s[8:9], s[28:29], s[8:9]
	s_mov_b64 exec, s[8:9]
	s_cbranch_execz .LBB138_194
; %bb.186:                              ;   in Loop: Header=BB138_21 Depth=1
	s_mov_b64 s[30:31], 0
	v_mov_b32_e32 v8, v6
	v_mov_b32_e32 v2, v0
                                        ; implicit-def: $sgpr34_sgpr35
	s_branch .LBB138_188
.LBB138_187:                            ;   in Loop: Header=BB138_188 Depth=2
	s_or_b64 exec, exec, s[14:15]
	s_waitcnt lgkmcnt(0)
	s_barrier
	s_waitcnt vmcnt(0)
	ds_read_b32 v3, v9 offset:3072
	v_add_u32_e32 v2, s59, v2
	v_cmp_le_u32_e64 s[14:15], s87, v2
	v_add_u32_e32 v8, s91, v8
	s_waitcnt lgkmcnt(0)
	v_and_b32_e32 v4, 0x7fff, v3
	v_cmp_ne_u16_e32 vcc, 0, v4
	s_or_b64 s[8:9], s[14:15], vcc
	s_and_b64 s[8:9], exec, s[8:9]
	s_or_b64 s[30:31], s[8:9], s[30:31]
	s_andn2_b64 s[8:9], s[34:35], exec
	s_and_b64 s[14:15], vcc, exec
	s_or_b64 s[34:35], s[8:9], s[14:15]
	s_barrier
	s_andn2_b64 exec, exec, s[30:31]
	s_cbranch_execz .LBB138_193
.LBB138_188:                            ;   Parent Loop BB138_21 Depth=1
                                        ; =>  This Inner Loop Header: Depth=2
	v_cmp_gt_u32_e32 vcc, s56, v2
	v_mov_b32_e32 v3, 0
	s_and_saveexec_b64 s[36:37], vcc
	s_cbranch_execz .LBB138_190
; %bb.189:                              ;   in Loop: Header=BB138_188 Depth=2
	v_lshlrev_b64 v[4:5], 1, v[8:9]
	v_mov_b32_e32 v3, s90
	v_add_co_u32_e64 v4, s[14:15], s57, v4
	v_addc_co_u32_e64 v5, s[14:15], v3, v5, s[14:15]
	global_load_ushort v3, v[4:5], off
.LBB138_190:                            ;   in Loop: Header=BB138_188 Depth=2
	s_or_b64 exec, exec, s[36:37]
	s_and_saveexec_b64 s[14:15], vcc
	s_cbranch_execz .LBB138_187
; %bb.191:                              ;   in Loop: Header=BB138_188 Depth=2
	s_waitcnt vmcnt(0)
	v_cmp_lt_i16_e32 vcc, -1, v3
	v_cndmask_b32_e32 v4, v29, v30, vcc
	v_lshlrev_b32_e32 v5, 16, v3
	v_xor_b32_sdwa v4, v4, v3 dst_sel:DWORD dst_unused:UNUSED_PAD src0_sel:DWORD src1_sel:WORD_0
	v_cmp_o_f32_e32 vcc, v5, v5
	v_cndmask_b32_e32 v4, v29, v4, vcc
	v_and_b32_e32 v4, s1, v4
	v_cmp_eq_u32_e32 vcc, s2, v4
	s_and_b64 exec, exec, vcc
	s_cbranch_execz .LBB138_187
; %bb.192:                              ;   in Loop: Header=BB138_188 Depth=2
	v_perm_b32 v3, v3, s80, v33
	ds_write_b32 v9, v3 offset:3072
	s_branch .LBB138_187
.LBB138_193:                            ;   in Loop: Header=BB138_21 Depth=1
	s_or_b64 exec, exec, s[30:31]
	v_lshrrev_b32_e32 v34, 16, v3
	s_and_b64 s[14:15], s[34:35], exec
.LBB138_194:                            ;   in Loop: Header=BB138_21 Depth=1
	s_or_b64 exec, exec, s[28:29]
	s_mov_b64 s[34:35], -1
	s_mov_b64 s[28:29], 0
	s_mov_b64 s[30:31], 0
.LBB138_195:                            ;   in Loop: Header=BB138_21 Depth=1
	s_mov_b64 s[40:41], 0
                                        ; implicit-def: $sgpr52
	s_and_saveexec_b64 s[36:37], s[14:15]
	s_cbranch_execz .LBB138_250
; %bb.196:                              ;   in Loop: Header=BB138_21 Depth=1
	s_xor_b64 s[8:9], s[38:39], -1
	s_mov_b64 s[14:15], 0
	s_andn2_b64 vcc, exec, s[8:9]
	s_mov_b32 s3, 1
	s_cbranch_vccnz .LBB138_207
; %bb.197:                              ;   in Loop: Header=BB138_21 Depth=1
	s_cmp_gt_u32 s45, s42
	s_mov_b64 s[14:15], -1
                                        ; implicit-def: $sgpr52
                                        ; implicit-def: $sgpr3
                                        ; implicit-def: $sgpr8
	s_cbranch_scc1 .LBB138_203
; %bb.198:                              ;   in Loop: Header=BB138_21 Depth=1
	ds_read_b32 v2, v9 offset:4104
	s_waitcnt lgkmcnt(0)
	v_cmp_ne_u32_e32 vcc, 0, v2
	s_cbranch_vccnz .LBB138_202
; %bb.199:                              ;   in Loop: Header=BB138_21 Depth=1
	s_mov_b64 s[14:15], exec
	v_readlane_b32 s8, v52, 23
	v_readlane_b32 s9, v52, 24
	s_and_b64 s[8:9], s[14:15], s[8:9]
	s_mov_b64 exec, s[8:9]
	s_cbranch_execz .LBB138_201
; %bb.200:                              ;   in Loop: Header=BB138_21 Depth=1
	v_mov_b32_e32 v2, s42
	ds_write_b32 v9, v2 offset:4108
.LBB138_201:                            ;   in Loop: Header=BB138_21 Depth=1
	s_or_b64 exec, exec, s[14:15]
	s_waitcnt lgkmcnt(0)
	s_barrier
.LBB138_202:                            ;   in Loop: Header=BB138_21 Depth=1
	s_lshl_b32 s3, 2, s43
	s_and_b32 s8, s2, s44
	s_or_b32 s3, s8, s3
	s_or_b32 s8, s1, s51
	s_mov_b64 s[14:15], 0
	s_mov_b32 s52, 8
.LBB138_203:                            ;   in Loop: Header=BB138_21 Depth=1
	s_andn2_b64 vcc, exec, s[14:15]
	s_cbranch_vccnz .LBB138_205
; %bb.204:                              ;   in Loop: Header=BB138_21 Depth=1
	s_sub_i32 s45, s45, s42
	s_mov_b64 s[14:15], -1
	s_mov_b32 s52, 0
	s_mov_b32 s3, s2
	;; [unrolled: 1-line block ×3, first 2 shown]
.LBB138_205:                            ;   in Loop: Header=BB138_21 Depth=1
	s_mov_b32 s1, s8
	s_mov_b32 s2, s3
	;; [unrolled: 1-line block ×3, first 2 shown]
	s_andn2_b64 vcc, exec, s[14:15]
	s_mov_b64 s[48:49], -1
	s_cbranch_vccz .LBB138_208
.LBB138_206:                            ;   in Loop: Header=BB138_21 Depth=1
                                        ; implicit-def: $sgpr14_sgpr15
                                        ; implicit-def: $sgpr42_sgpr43
                                        ; implicit-def: $sgpr40_sgpr41
	s_branch .LBB138_249
.LBB138_207:                            ;   in Loop: Header=BB138_21 Depth=1
	s_mov_b32 s52, 1
	s_andn2_b64 vcc, exec, s[14:15]
	s_mov_b64 s[48:49], -1
	s_cbranch_vccnz .LBB138_206
.LBB138_208:                            ;   in Loop: Header=BB138_21 Depth=1
	s_cmp_eq_u32 s50, 1
	s_cselect_b64 s[8:9], -1, 0
	s_cmp_eq_u32 s3, 1
	s_cselect_b64 s[14:15], -1, 0
	s_and_b64 s[38:39], s[8:9], s[14:15]
	s_mov_b64 s[44:45], -1
	s_and_b64 vcc, exec, s[38:39]
	s_cbranch_vccz .LBB138_220
; %bb.209:                              ;   in Loop: Header=BB138_21 Depth=1
	ds_read_b32 v2, v9 offset:4104
	s_waitcnt lgkmcnt(0)
	s_barrier
	v_readfirstlane_b32 s8, v2
	s_and_saveexec_b64 s[14:15], s[6:7]
	s_cbranch_execz .LBB138_211
; %bb.210:                              ;   in Loop: Header=BB138_21 Depth=1
	ds_write_b16 v18, v9
.LBB138_211:                            ;   in Loop: Header=BB138_21 Depth=1
	s_or_b64 exec, exec, s[14:15]
	s_or_b32 s2, s2, s51
	s_or_b32 s1, s1, s51
	s_cmp_eq_u32 s8, 0
	s_waitcnt lgkmcnt(0)
	s_barrier
	s_cbranch_scc1 .LBB138_221
; %bb.212:                              ;   in Loop: Header=BB138_21 Depth=1
	v_readlane_b32 s9, v52, 25
	s_add_i32 s9, s8, s9
	v_readlane_b32 s14, v52, 46
	s_mul_hi_u32 s14, s9, s14
	s_mul_i32 s14, s14, s59
	s_sub_i32 s14, s9, s14
	s_sub_i32 s15, s14, s59
	s_cmp_ge_u32 s14, s59
	s_cselect_b32 s14, s15, s14
	s_sub_i32 s15, s14, s59
	s_cmp_ge_u32 s14, s59
	s_cselect_b32 s14, s15, s14
	s_sub_i32 s9, s9, s14
	v_cmp_gt_u32_e32 vcc, s9, v0
	s_mov_b64 s[44:45], 0
                                        ; implicit-def: $vgpr34
	s_and_saveexec_b64 s[40:41], vcc
	s_cbranch_execz .LBB138_223
; %bb.213:                              ;   in Loop: Header=BB138_21 Depth=1
	s_mov_b64 s[42:43], 0
	v_mov_b32_e32 v2, v17
	v_mov_b32_e32 v3, v0
                                        ; implicit-def: $sgpr44_sgpr45
	s_branch .LBB138_215
.LBB138_214:                            ;   in Loop: Header=BB138_215 Depth=2
	s_or_b64 exec, exec, s[14:15]
	s_waitcnt lgkmcnt(0)
	s_barrier
	ds_read_b32 v4, v9 offset:3072
	v_add_u32_e32 v3, s59, v3
	v_cmp_le_u32_e64 s[14:15], s9, v3
	v_add_u32_e32 v2, s13, v2
	s_waitcnt lgkmcnt(0)
	v_and_b32_e32 v5, 0x7fff, v4
	v_cmp_ne_u16_e32 vcc, 0, v5
	s_or_b64 s[14:15], s[14:15], vcc
	s_and_b64 s[14:15], exec, s[14:15]
	s_or_b64 s[42:43], s[14:15], s[42:43]
	s_andn2_b64 s[14:15], s[44:45], exec
	s_and_b64 s[44:45], vcc, exec
	s_or_b64 s[44:45], s[14:15], s[44:45]
	s_barrier
	s_andn2_b64 exec, exec, s[42:43]
	s_cbranch_execz .LBB138_222
.LBB138_215:                            ;   Parent Loop BB138_21 Depth=1
                                        ; =>  This Inner Loop Header: Depth=2
	v_cmp_gt_u32_e32 vcc, s8, v3
	v_mov_b32_e32 v4, 0
	s_and_saveexec_b64 s[14:15], vcc
	s_cbranch_execz .LBB138_217
; %bb.216:                              ;   in Loop: Header=BB138_215 Depth=2
	ds_read_u16 v4, v2
.LBB138_217:                            ;   in Loop: Header=BB138_215 Depth=2
	s_or_b64 exec, exec, s[14:15]
	s_and_saveexec_b64 s[14:15], vcc
	s_cbranch_execz .LBB138_214
; %bb.218:                              ;   in Loop: Header=BB138_215 Depth=2
	s_waitcnt lgkmcnt(0)
	v_cmp_lt_i16_e32 vcc, -1, v4
	v_cndmask_b32_e32 v5, v29, v30, vcc
	v_lshlrev_b32_e32 v8, 16, v4
	v_xor_b32_sdwa v5, v5, v4 dst_sel:DWORD dst_unused:UNUSED_PAD src0_sel:DWORD src1_sel:WORD_0
	v_cmp_o_f32_e32 vcc, v8, v8
	v_cndmask_b32_e32 v5, v29, v5, vcc
	v_and_b32_e32 v5, s1, v5
	v_cmp_eq_u32_e32 vcc, s2, v5
	s_and_b64 exec, exec, vcc
	s_cbranch_execz .LBB138_214
; %bb.219:                              ;   in Loop: Header=BB138_215 Depth=2
	v_perm_b32 v4, v4, s80, v33
	ds_write_b32 v9, v4 offset:3072
	s_branch .LBB138_214
.LBB138_220:                            ;   in Loop: Header=BB138_21 Depth=1
                                        ; implicit-def: $sgpr14_sgpr15
                                        ; implicit-def: $sgpr42_sgpr43
                                        ; implicit-def: $sgpr40_sgpr41
	s_branch .LBB138_234
.LBB138_221:                            ;   in Loop: Header=BB138_21 Depth=1
	s_mov_b64 s[14:15], -1
	s_mov_b64 s[44:45], 0
                                        ; implicit-def: $sgpr40_sgpr41
                                        ; implicit-def: $vgpr34
	s_mov_b64 s[42:43], s[14:15]
	s_cbranch_execnz .LBB138_224
	s_branch .LBB138_234
.LBB138_222:                            ;   in Loop: Header=BB138_21 Depth=1
	s_or_b64 exec, exec, s[42:43]
	v_lshrrev_b32_e32 v34, 16, v4
	s_and_b64 s[44:45], s[44:45], exec
.LBB138_223:                            ;   in Loop: Header=BB138_21 Depth=1
	s_or_b64 exec, exec, s[40:41]
	s_mov_b64 s[40:41], -1
	s_mov_b64 s[14:15], 0
	s_mov_b64 s[42:43], s[14:15]
	s_branch .LBB138_234
.LBB138_224:                            ;   in Loop: Header=BB138_21 Depth=1
	s_mov_b64 s[44:45], 0
                                        ; implicit-def: $vgpr34
	s_mov_b64 s[40:41], exec
	v_readlane_b32 s8, v52, 47
	v_readlane_b32 s9, v52, 48
	s_and_b64 s[8:9], s[40:41], s[8:9]
	s_mov_b64 exec, s[8:9]
	s_cbranch_execz .LBB138_233
; %bb.225:                              ;   in Loop: Header=BB138_21 Depth=1
	s_mov_b64 s[42:43], 0
	v_mov_b32_e32 v8, v6
	v_mov_b32_e32 v2, v0
                                        ; implicit-def: $sgpr44_sgpr45
	s_branch .LBB138_227
.LBB138_226:                            ;   in Loop: Header=BB138_227 Depth=2
	s_or_b64 exec, exec, s[14:15]
	s_waitcnt lgkmcnt(0)
	s_barrier
	s_waitcnt vmcnt(0)
	ds_read_b32 v3, v9 offset:3072
	v_add_u32_e32 v2, s59, v2
	v_cmp_le_u32_e64 s[14:15], s87, v2
	v_add_u32_e32 v8, s91, v8
	s_waitcnt lgkmcnt(0)
	v_and_b32_e32 v4, 0x7fff, v3
	v_cmp_ne_u16_e32 vcc, 0, v4
	s_or_b64 s[8:9], s[14:15], vcc
	s_and_b64 s[8:9], exec, s[8:9]
	s_or_b64 s[42:43], s[8:9], s[42:43]
	s_andn2_b64 s[8:9], s[44:45], exec
	s_and_b64 s[14:15], vcc, exec
	s_or_b64 s[44:45], s[8:9], s[14:15]
	s_barrier
	s_andn2_b64 exec, exec, s[42:43]
	s_cbranch_execz .LBB138_232
.LBB138_227:                            ;   Parent Loop BB138_21 Depth=1
                                        ; =>  This Inner Loop Header: Depth=2
	v_cmp_gt_u32_e32 vcc, s56, v2
	v_mov_b32_e32 v3, 0
	s_and_saveexec_b64 s[46:47], vcc
	s_cbranch_execz .LBB138_229
; %bb.228:                              ;   in Loop: Header=BB138_227 Depth=2
	v_lshlrev_b64 v[4:5], 1, v[8:9]
	v_mov_b32_e32 v3, s90
	v_add_co_u32_e64 v4, s[14:15], s57, v4
	v_addc_co_u32_e64 v5, s[14:15], v3, v5, s[14:15]
	global_load_ushort v3, v[4:5], off
.LBB138_229:                            ;   in Loop: Header=BB138_227 Depth=2
	s_or_b64 exec, exec, s[46:47]
	s_and_saveexec_b64 s[14:15], vcc
	s_cbranch_execz .LBB138_226
; %bb.230:                              ;   in Loop: Header=BB138_227 Depth=2
	s_waitcnt vmcnt(0)
	v_cmp_lt_i16_e32 vcc, -1, v3
	v_cndmask_b32_e32 v4, v29, v30, vcc
	v_lshlrev_b32_e32 v5, 16, v3
	v_xor_b32_sdwa v4, v4, v3 dst_sel:DWORD dst_unused:UNUSED_PAD src0_sel:DWORD src1_sel:WORD_0
	v_cmp_o_f32_e32 vcc, v5, v5
	v_cndmask_b32_e32 v4, v29, v4, vcc
	v_and_b32_e32 v4, s1, v4
	v_cmp_eq_u32_e32 vcc, s2, v4
	s_and_b64 exec, exec, vcc
	s_cbranch_execz .LBB138_226
; %bb.231:                              ;   in Loop: Header=BB138_227 Depth=2
	v_perm_b32 v3, v3, s80, v33
	ds_write_b32 v9, v3 offset:3072
	s_branch .LBB138_226
.LBB138_232:                            ;   in Loop: Header=BB138_21 Depth=1
	s_or_b64 exec, exec, s[42:43]
	v_lshrrev_b32_e32 v34, 16, v3
	s_and_b64 s[44:45], s[44:45], exec
.LBB138_233:                            ;   in Loop: Header=BB138_21 Depth=1
	s_or_b64 exec, exec, s[40:41]
	s_mov_b64 s[42:43], -1
	s_mov_b64 s[14:15], 0
	s_mov_b64 s[40:41], 0
.LBB138_234:                            ;   in Loop: Header=BB138_21 Depth=1
	s_mov_b64 s[48:49], 0
                                        ; implicit-def: $sgpr52
	s_and_saveexec_b64 s[46:47], s[44:45]
	s_cbranch_execz .LBB138_248
; %bb.235:                              ;   in Loop: Header=BB138_21 Depth=1
	s_xor_b64 s[8:9], s[38:39], -1
	s_andn2_b64 vcc, exec, s[8:9]
	s_mov_b32 s52, 1
	s_cbranch_vccnz .LBB138_242
; %bb.236:                              ;   in Loop: Header=BB138_21 Depth=1
	s_cmp_gt_u32 s3, s50
	s_cbranch_scc1 .LBB138_243
; %bb.237:                              ;   in Loop: Header=BB138_21 Depth=1
	ds_read_b32 v2, v9 offset:4104
	s_waitcnt lgkmcnt(0)
	v_cmp_ne_u32_e32 vcc, 0, v2
	s_cbranch_vccnz .LBB138_241
; %bb.238:                              ;   in Loop: Header=BB138_21 Depth=1
	s_mov_b64 s[38:39], exec
	v_readlane_b32 s8, v52, 23
	v_readlane_b32 s9, v52, 24
	s_and_b64 s[8:9], s[38:39], s[8:9]
	s_mov_b64 exec, s[8:9]
	s_cbranch_execz .LBB138_240
; %bb.239:                              ;   in Loop: Header=BB138_21 Depth=1
	v_mov_b32_e32 v2, s50
	ds_write_b32 v9, v2 offset:4108
.LBB138_240:                            ;   in Loop: Header=BB138_21 Depth=1
	s_or_b64 exec, exec, s[38:39]
	s_waitcnt lgkmcnt(0)
	s_barrier
.LBB138_241:                            ;   in Loop: Header=BB138_21 Depth=1
	s_or_b32 s8, s2, s51
	s_or_b32 s9, s1, s51
	s_mov_b64 s[38:39], 0
	s_mov_b32 s52, 8
	s_branch .LBB138_244
.LBB138_242:                            ;   in Loop: Header=BB138_21 Depth=1
	s_mov_b32 s3, 1
	s_branch .LBB138_247
.LBB138_243:                            ;   in Loop: Header=BB138_21 Depth=1
	s_mov_b64 s[38:39], -1
                                        ; implicit-def: $sgpr52
                                        ; implicit-def: $sgpr8
                                        ; implicit-def: $sgpr9
.LBB138_244:                            ;   in Loop: Header=BB138_21 Depth=1
	s_andn2_b64 vcc, exec, s[38:39]
	s_cbranch_vccnz .LBB138_246
; %bb.245:                              ;   in Loop: Header=BB138_21 Depth=1
	s_sub_i32 s3, s3, s50
	s_mov_b32 s52, 8
	s_mov_b32 s8, s2
	;; [unrolled: 1-line block ×3, first 2 shown]
.LBB138_246:                            ;   in Loop: Header=BB138_21 Depth=1
	s_mov_b32 s2, s8
	s_mov_b32 s1, s9
.LBB138_247:                            ;   in Loop: Header=BB138_21 Depth=1
	s_mov_b64 s[48:49], exec
.LBB138_248:                            ;   in Loop: Header=BB138_21 Depth=1
	s_or_b64 exec, exec, s[46:47]
.LBB138_249:                            ;   in Loop: Header=BB138_21 Depth=1
	s_andn2_b64 s[8:9], s[28:29], exec
	s_and_b64 s[14:15], s[14:15], exec
	s_or_b64 s[28:29], s[8:9], s[14:15]
	s_andn2_b64 s[8:9], s[34:35], exec
	s_and_b64 s[14:15], s[42:43], exec
	s_or_b64 s[34:35], s[8:9], s[14:15]
	;; [unrolled: 3-line block ×3, first 2 shown]
	s_and_b64 s[40:41], s[48:49], exec
	s_mov_b32 s45, s3
.LBB138_250:                            ;   in Loop: Header=BB138_21 Depth=1
	s_or_b64 exec, exec, s[36:37]
.LBB138_251:                            ;   in Loop: Header=BB138_21 Depth=1
	s_andn2_b64 s[8:9], s[22:23], exec
	s_and_b64 s[14:15], s[28:29], exec
	s_or_b64 s[22:23], s[8:9], s[14:15]
	s_andn2_b64 s[8:9], s[24:25], exec
	s_and_b64 s[14:15], s[34:35], exec
	s_or_b64 s[24:25], s[8:9], s[14:15]
	;; [unrolled: 3-line block ×3, first 2 shown]
	s_and_b64 s[30:31], s[40:41], exec
	s_mov_b32 s35, s45
.LBB138_252:                            ;   in Loop: Header=BB138_21 Depth=1
	s_or_b64 exec, exec, s[26:27]
                                        ; implicit-def: $sgpr3
	s_and_saveexec_b64 s[8:9], s[30:31]
	s_xor_b64 s[14:15], exec, s[8:9]
	s_cbranch_execz .LBB138_19
.LBB138_253:                            ;   in Loop: Header=BB138_21 Depth=1
	s_and_b32 s3, s52, -9
	s_cmp_eq_u32 s3, 0
	s_cbranch_scc1 .LBB138_17
; %bb.254:                              ;   in Loop: Header=BB138_21 Depth=1
	s_mov_b64 s[18:19], -1
                                        ; implicit-def: $sgpr1
                                        ; implicit-def: $sgpr35
                                        ; implicit-def: $sgpr81
                                        ; implicit-def: $sgpr0
	s_mov_b64 s[26:27], -1
	s_branch .LBB138_18
.LBB138_255:
	s_or_b64 exec, exec, s[94:95]
	s_xor_b64 s[8:9], s[62:63], -1
	s_xor_b64 s[0:1], s[68:69], -1
	;; [unrolled: 1-line block ×3, first 2 shown]
	s_mov_b64 s[4:5], 0
	s_and_saveexec_b64 s[2:3], s[0:1]
	s_xor_b64 s[2:3], exec, s[2:3]
	s_cbranch_execnz .LBB138_260
; %bb.256:
	s_andn2_saveexec_b64 s[0:1], s[2:3]
	s_cbranch_execnz .LBB138_273
.LBB138_257:
	s_or_b64 exec, exec, s[0:1]
	s_and_saveexec_b64 s[0:1], s[4:5]
.LBB138_258:
	; divergent unreachable
.LBB138_259:
	s_endpgm
.LBB138_260:
	s_and_saveexec_b64 s[0:1], s[8:9]
	s_xor_b64 s[4:5], exec, s[0:1]
	s_cbranch_execz .LBB138_271
; %bb.261:
	s_and_saveexec_b64 s[0:1], s[6:7]
	s_xor_b64 s[6:7], exec, s[0:1]
; %bb.262:
	v_and_b32_e32 v1, 0x8000, v2
	v_mov_b32_e32 v3, 0x8000
	v_mov_b32_e32 v4, 0xffff
	v_cmp_eq_u32_e32 vcc, 0, v1
	v_cndmask_b32_e32 v1, v3, v4, vcc
	v_xor_b32_e32 v34, v1, v2
; %bb.263:
	s_or_b64 exec, exec, s[6:7]
	v_readlane_b32 s8, v52, 12
	v_readlane_b32 s9, v52, 13
	;; [unrolled: 1-line block ×3, first 2 shown]
	s_mul_i32 s0, s10, s9
	v_readlane_b32 s1, v52, 20
	v_readlane_b32 s9, v52, 15
	s_sub_i32 s0, s1, s0
	s_mul_i32 s1, s9, s8
	s_sub_i32 s1, s10, s1
	s_add_i32 s6, s9, 1
	s_sub_i32 s7, s1, s8
	s_cmp_ge_u32 s1, s8
	s_cselect_b32 s6, s6, s9
	s_cselect_b32 s1, s7, s1
	s_add_i32 s7, s6, 1
	s_cmp_ge_u32 s1, s8
	s_cselect_b32 s1, s7, s6
	v_readlane_b32 s12, v52, 8
	s_mul_i32 s6, s1, s8
	v_readlane_b32 s13, v52, 9
	v_readlane_b32 s14, v52, 10
	s_sub_i32 s6, s10, s6
	s_mul_i32 s0, s0, s14
	s_mul_i32 s6, s6, s13
	s_add_i32 s0, s6, s0
	s_mul_i32 s1, s1, s12
	s_add_i32 s0, s0, s1
	s_mov_b32 s1, 0
	s_lshl_b64 s[0:1], s[0:1], 1
	v_readlane_b32 s6, v52, 0
	v_readlane_b32 s7, v52, 1
	s_add_u32 s0, s6, s0
	s_addc_u32 s1, s7, s1
	v_mov_b32_e32 v7, 0
	v_readlane_b32 s15, v52, 11
	global_store_short v7, v34, s[0:1]
	s_mov_b64 s[6:7], exec
	v_readlane_b32 s0, v52, 21
	v_readlane_b32 s1, v52, 22
	s_and_b64 s[0:1], s[6:7], s[0:1]
	s_mov_b64 exec, s[0:1]
	s_cbranch_execz .LBB138_270
; %bb.264:
	v_lshlrev_b32_e32 v1, 16, v34
	v_cmp_u_f32_e32 vcc, v1, v1
	s_mov_b64 s[8:9], 0
	v_mov_b32_e32 v3, s90
	s_xor_b64 s[12:13], vcc, -1
                                        ; implicit-def: $sgpr10_sgpr11
                                        ; implicit-def: $sgpr16_sgpr17
                                        ; implicit-def: $sgpr14_sgpr15
	s_branch .LBB138_266
.LBB138_265:                            ;   in Loop: Header=BB138_266 Depth=1
	s_or_b64 exec, exec, s[0:1]
	s_and_b64 s[0:1], exec, s[16:17]
	s_or_b64 s[8:9], s[0:1], s[8:9]
	s_andn2_b64 s[0:1], s[10:11], exec
	s_and_b64 s[10:11], s[14:15], exec
	s_or_b64 s[10:11], s[0:1], s[10:11]
	s_andn2_b64 exec, exec, s[8:9]
	s_cbranch_execz .LBB138_268
.LBB138_266:                            ; =>This Inner Loop Header: Depth=1
	v_lshlrev_b64 v[4:5], 1, v[6:7]
	v_add_co_u32_e32 v4, vcc, s57, v4
	v_addc_co_u32_e32 v5, vcc, v3, v5, vcc
	global_load_ushort v4, v[4:5], off
	v_mov_b32_e32 v2, v0
	s_or_b64 s[14:15], s[14:15], exec
	s_or_b64 s[16:17], s[16:17], exec
	s_waitcnt vmcnt(0)
	v_lshlrev_b32_e32 v0, 16, v4
	v_cmp_o_f32_e64 s[0:1], v0, v0
	v_cmp_neq_f32_e32 vcc, v0, v1
	s_or_b64 s[0:1], s[12:13], s[0:1]
	s_and_b64 s[18:19], vcc, s[0:1]
                                        ; implicit-def: $vgpr0
	s_and_saveexec_b64 s[0:1], s[18:19]
	s_cbranch_execz .LBB138_265
; %bb.267:                              ;   in Loop: Header=BB138_266 Depth=1
	v_add_u32_e32 v0, s59, v2
	v_cmp_le_u32_e32 vcc, s56, v0
	s_andn2_b64 s[16:17], s[16:17], exec
	s_and_b64 s[18:19], vcc, exec
	v_add_u32_e32 v6, s91, v6
	s_andn2_b64 s[14:15], s[14:15], exec
	s_or_b64 s[16:17], s[16:17], s[18:19]
	s_branch .LBB138_265
.LBB138_268:
	s_or_b64 exec, exec, s[8:9]
	s_and_saveexec_b64 s[0:1], s[10:11]
	s_xor_b64 s[0:1], exec, s[0:1]
	s_cbranch_execz .LBB138_270
; %bb.269:
	v_readlane_b32 s8, v52, 2
	v_readlane_b32 s16, v52, 16
	;; [unrolled: 1-line block ×6, first 2 shown]
	s_mov_b32 s14, s10
	s_mul_i32 s0, s15, s17
	v_readlane_b32 s1, v52, 20
	s_mov_b64 s[12:13], s[8:9]
	v_readlane_b32 s10, v52, 19
	s_sub_i32 s0, s1, s0
	s_mul_i32 s1, s10, s16
	s_sub_i32 s1, s15, s1
	s_add_i32 s8, s10, 1
	s_sub_i32 s9, s1, s16
	s_cmp_ge_u32 s1, s16
	s_cselect_b32 s8, s8, s10
	s_cselect_b32 s1, s9, s1
	s_add_i32 s9, s8, 1
	s_cmp_ge_u32 s1, s16
	s_cselect_b32 s1, s9, s8
	s_mul_i32 s8, s1, s16
	s_sub_i32 s8, s15, s8
	s_mul_i32 s0, s0, s14
	s_mul_i32 s8, s8, s13
	s_add_i32 s0, s8, s0
	s_mul_i32 s1, s1, s12
	s_add_i32 s0, s0, s1
	s_mov_b32 s1, 0
	s_lshl_b64 s[0:1], s[0:1], 3
	v_readlane_b32 s8, v52, 6
	v_readlane_b32 s9, v52, 7
	s_add_u32 s0, s8, s0
	s_addc_u32 s1, s9, s1
	v_mov_b32_e32 v3, 0
	v_readlane_b32 s11, v52, 5
	global_store_dwordx2 v3, v[2:3], s[0:1]
.LBB138_270:
	s_or_b64 exec, exec, s[6:7]
.LBB138_271:
	s_or_saveexec_b64 s[0:1], s[4:5]
	s_mov_b64 s[4:5], 0
	s_xor_b64 exec, exec, s[0:1]
	s_cbranch_execnz .LBB138_274
.LBB138_272:
	s_or_b64 exec, exec, s[0:1]
	s_and_b64 s[4:5], s[4:5], exec
	s_andn2_saveexec_b64 s[0:1], s[2:3]
	s_cbranch_execz .LBB138_257
.LBB138_273:
	s_or_b64 s[4:5], s[4:5], exec
	s_trap 2
	s_or_b64 exec, exec, s[0:1]
	s_and_saveexec_b64 s[0:1], s[4:5]
	s_cbranch_execnz .LBB138_258
	s_branch .LBB138_259
.LBB138_274:
	s_mov_b64 s[4:5], exec
	s_trap 2
	s_branch .LBB138_272
	.section	.rodata,"a",@progbits
	.p2align	6, 0x0
	.amdhsa_kernel _ZN2at6native12_GLOBAL__N_112gatherMedianIN3c108BFloat16EjLi3EEEvNS_4cuda6detail10TensorInfoIT_T0_EENS7_IlS9_EENS7_IKS8_S9_EES9_S9_S9_b
		.amdhsa_group_segment_fixed_size 4120
		.amdhsa_private_segment_fixed_size 0
		.amdhsa_kernarg_size 920
		.amdhsa_user_sgpr_count 6
		.amdhsa_user_sgpr_private_segment_buffer 1
		.amdhsa_user_sgpr_dispatch_ptr 0
		.amdhsa_user_sgpr_queue_ptr 0
		.amdhsa_user_sgpr_kernarg_segment_ptr 1
		.amdhsa_user_sgpr_dispatch_id 0
		.amdhsa_user_sgpr_flat_scratch_init 0
		.amdhsa_user_sgpr_kernarg_preload_length 0
		.amdhsa_user_sgpr_kernarg_preload_offset 0
		.amdhsa_user_sgpr_private_segment_size 0
		.amdhsa_uses_dynamic_stack 0
		.amdhsa_system_sgpr_private_segment_wavefront_offset 0
		.amdhsa_system_sgpr_workgroup_id_x 1
		.amdhsa_system_sgpr_workgroup_id_y 1
		.amdhsa_system_sgpr_workgroup_id_z 1
		.amdhsa_system_sgpr_workgroup_info 0
		.amdhsa_system_vgpr_workitem_id 0
		.amdhsa_next_free_vgpr 53
		.amdhsa_next_free_sgpr 96
		.amdhsa_accum_offset 56
		.amdhsa_reserve_vcc 1
		.amdhsa_reserve_flat_scratch 0
		.amdhsa_float_round_mode_32 0
		.amdhsa_float_round_mode_16_64 0
		.amdhsa_float_denorm_mode_32 3
		.amdhsa_float_denorm_mode_16_64 3
		.amdhsa_dx10_clamp 1
		.amdhsa_ieee_mode 1
		.amdhsa_fp16_overflow 0
		.amdhsa_tg_split 0
		.amdhsa_exception_fp_ieee_invalid_op 0
		.amdhsa_exception_fp_denorm_src 0
		.amdhsa_exception_fp_ieee_div_zero 0
		.amdhsa_exception_fp_ieee_overflow 0
		.amdhsa_exception_fp_ieee_underflow 0
		.amdhsa_exception_fp_ieee_inexact 0
		.amdhsa_exception_int_div_zero 0
	.end_amdhsa_kernel
	.section	.text._ZN2at6native12_GLOBAL__N_112gatherMedianIN3c108BFloat16EjLi3EEEvNS_4cuda6detail10TensorInfoIT_T0_EENS7_IlS9_EENS7_IKS8_S9_EES9_S9_S9_b,"axG",@progbits,_ZN2at6native12_GLOBAL__N_112gatherMedianIN3c108BFloat16EjLi3EEEvNS_4cuda6detail10TensorInfoIT_T0_EENS7_IlS9_EENS7_IKS8_S9_EES9_S9_S9_b,comdat
.Lfunc_end138:
	.size	_ZN2at6native12_GLOBAL__N_112gatherMedianIN3c108BFloat16EjLi3EEEvNS_4cuda6detail10TensorInfoIT_T0_EENS7_IlS9_EENS7_IKS8_S9_EES9_S9_S9_b, .Lfunc_end138-_ZN2at6native12_GLOBAL__N_112gatherMedianIN3c108BFloat16EjLi3EEEvNS_4cuda6detail10TensorInfoIT_T0_EENS7_IlS9_EENS7_IKS8_S9_EES9_S9_S9_b
                                        ; -- End function
	.section	.AMDGPU.csdata,"",@progbits
; Kernel info:
; codeLenInByte = 11520
; NumSgprs: 100
; NumVgprs: 53
; NumAgprs: 0
; TotalNumVgprs: 53
; ScratchSize: 0
; MemoryBound: 0
; FloatMode: 240
; IeeeMode: 1
; LDSByteSize: 4120 bytes/workgroup (compile time only)
; SGPRBlocks: 12
; VGPRBlocks: 6
; NumSGPRsForWavesPerEU: 100
; NumVGPRsForWavesPerEU: 53
; AccumOffset: 56
; Occupancy: 8
; WaveLimiterHint : 1
; COMPUTE_PGM_RSRC2:SCRATCH_EN: 0
; COMPUTE_PGM_RSRC2:USER_SGPR: 6
; COMPUTE_PGM_RSRC2:TRAP_HANDLER: 0
; COMPUTE_PGM_RSRC2:TGID_X_EN: 1
; COMPUTE_PGM_RSRC2:TGID_Y_EN: 1
; COMPUTE_PGM_RSRC2:TGID_Z_EN: 1
; COMPUTE_PGM_RSRC2:TIDIG_COMP_CNT: 0
; COMPUTE_PGM_RSRC3_GFX90A:ACCUM_OFFSET: 13
; COMPUTE_PGM_RSRC3_GFX90A:TG_SPLIT: 0
	.section	.text._ZN2at6native12_GLOBAL__N_112gatherMedianIN3c108BFloat16EjLin1EEEvNS_4cuda6detail10TensorInfoIT_T0_EENS7_IlS9_EENS7_IKS8_S9_EES9_S9_S9_b,"axG",@progbits,_ZN2at6native12_GLOBAL__N_112gatherMedianIN3c108BFloat16EjLin1EEEvNS_4cuda6detail10TensorInfoIT_T0_EENS7_IlS9_EENS7_IKS8_S9_EES9_S9_S9_b,comdat
	.globl	_ZN2at6native12_GLOBAL__N_112gatherMedianIN3c108BFloat16EjLin1EEEvNS_4cuda6detail10TensorInfoIT_T0_EENS7_IlS9_EENS7_IKS8_S9_EES9_S9_S9_b ; -- Begin function _ZN2at6native12_GLOBAL__N_112gatherMedianIN3c108BFloat16EjLin1EEEvNS_4cuda6detail10TensorInfoIT_T0_EENS7_IlS9_EENS7_IKS8_S9_EES9_S9_S9_b
	.p2align	8
	.type	_ZN2at6native12_GLOBAL__N_112gatherMedianIN3c108BFloat16EjLin1EEEvNS_4cuda6detail10TensorInfoIT_T0_EENS7_IlS9_EENS7_IKS8_S9_EES9_S9_S9_b,@function
_ZN2at6native12_GLOBAL__N_112gatherMedianIN3c108BFloat16EjLin1EEEvNS_4cuda6detail10TensorInfoIT_T0_EENS7_IlS9_EENS7_IKS8_S9_EES9_S9_S9_b: ; @_ZN2at6native12_GLOBAL__N_112gatherMedianIN3c108BFloat16EjLin1EEEvNS_4cuda6detail10TensorInfoIT_T0_EENS7_IlS9_EENS7_IKS8_S9_EES9_S9_S9_b
; %bb.0:
	s_load_dwordx2 s[12:13], s[4:5], 0x298
	s_load_dwordx4 s[56:59], s[4:5], 0x288
	s_add_u32 s10, s4, 0x298
	s_addc_u32 s11, s5, 0
	s_waitcnt lgkmcnt(0)
	s_mul_i32 s0, s13, s8
	s_add_i32 s0, s0, s7
	s_mul_i32 s0, s0, s12
	s_add_i32 s7, s0, s6
	s_cmp_ge_u32 s7, s57
	s_cbranch_scc1 .LBB139_268
; %bb.1:
	s_load_dword s0, s[4:5], 0xd0
	s_mov_b32 s61, 0
	s_mov_b32 s33, s7
	s_waitcnt lgkmcnt(0)
	s_cmp_lt_i32 s0, 2
	s_cbranch_scc1 .LBB139_4
; %bb.2:
	s_add_i32 s60, s0, -1
	s_add_i32 s2, s0, 1
	s_lshl_b64 s[0:1], s[60:61], 2
	s_add_u32 s0, s0, s4
	s_addc_u32 s1, s1, s5
	s_add_u32 s0, s0, 8
	s_addc_u32 s1, s1, 0
	s_mov_b32 s33, s7
.LBB139_3:                              ; =>This Inner Loop Header: Depth=1
	s_load_dword s3, s[0:1], 0x0
	s_load_dword s9, s[0:1], 0x64
	s_mov_b32 s8, s33
	s_waitcnt lgkmcnt(0)
	v_cvt_f32_u32_e32 v1, s3
	s_sub_i32 s13, 0, s3
	v_rcp_iflag_f32_e32 v1, v1
	v_mul_f32_e32 v1, 0x4f7ffffe, v1
	v_cvt_u32_f32_e32 v1, v1
	v_readfirstlane_b32 s14, v1
	s_mul_i32 s13, s13, s14
	s_mul_hi_u32 s13, s14, s13
	s_add_i32 s14, s14, s13
	s_mul_hi_u32 s13, s33, s14
	s_mul_i32 s14, s13, s3
	s_sub_i32 s14, s33, s14
	s_add_i32 s15, s13, 1
	s_sub_i32 s16, s14, s3
	s_cmp_ge_u32 s14, s3
	s_cselect_b32 s13, s15, s13
	s_cselect_b32 s14, s16, s14
	s_add_i32 s15, s13, 1
	s_cmp_ge_u32 s14, s3
	s_cselect_b32 s33, s15, s13
	s_mul_i32 s3, s33, s3
	s_sub_i32 s3, s8, s3
	s_mul_i32 s3, s9, s3
	s_add_i32 s2, s2, -1
	s_add_i32 s61, s3, s61
	s_add_u32 s0, s0, -4
	s_addc_u32 s1, s1, -1
	s_cmp_gt_u32 s2, 2
	s_cbranch_scc1 .LBB139_3
.LBB139_4:
	s_load_dword s2, s[4:5], 0x1a8
	s_add_u32 s0, s4, 0xd8
	s_addc_u32 s1, s5, 0
	s_mov_b32 s63, 0
	s_mov_b32 s57, s7
	s_waitcnt lgkmcnt(0)
	s_cmp_lt_i32 s2, 2
	s_cbranch_scc1 .LBB139_7
; %bb.5:
	s_add_i32 s62, s2, -1
	s_add_i32 s8, s2, 1
	s_lshl_b64 s[2:3], s[62:63], 2
	s_add_u32 s2, s2, s0
	s_addc_u32 s3, s3, s1
	s_add_u32 s2, s2, 8
	s_addc_u32 s3, s3, 0
	s_mov_b32 s57, s7
.LBB139_6:                              ; =>This Inner Loop Header: Depth=1
	s_load_dword s9, s[2:3], 0x0
	s_load_dword s14, s[2:3], 0x64
	s_mov_b32 s13, s57
	s_waitcnt lgkmcnt(0)
	v_cvt_f32_u32_e32 v1, s9
	s_sub_i32 s15, 0, s9
	v_rcp_iflag_f32_e32 v1, v1
	v_mul_f32_e32 v1, 0x4f7ffffe, v1
	v_cvt_u32_f32_e32 v1, v1
	v_readfirstlane_b32 s16, v1
	s_mul_i32 s15, s15, s16
	s_mul_hi_u32 s15, s16, s15
	s_add_i32 s16, s16, s15
	s_mul_hi_u32 s15, s57, s16
	s_mul_i32 s16, s15, s9
	s_sub_i32 s16, s57, s16
	s_add_i32 s17, s15, 1
	s_sub_i32 s18, s16, s9
	s_cmp_ge_u32 s16, s9
	s_cselect_b32 s15, s17, s15
	s_cselect_b32 s16, s18, s16
	s_add_i32 s17, s15, 1
	s_cmp_ge_u32 s16, s9
	s_cselect_b32 s57, s17, s15
	s_mul_i32 s9, s57, s9
	s_sub_i32 s9, s13, s9
	s_mul_i32 s9, s14, s9
	s_add_i32 s8, s8, -1
	s_add_i32 s63, s9, s63
	s_add_u32 s2, s2, -4
	s_addc_u32 s3, s3, -1
	s_cmp_gt_u32 s8, 2
	s_cbranch_scc1 .LBB139_6
.LBB139_7:
	s_load_dword s2, s[4:5], 0x6c
                                        ; implicit-def: $vgpr52 : SGPR spill to VGPR lane
	s_add_u32 s8, s4, 0x1b0
	s_addc_u32 s9, s5, 0
	s_mov_b32 s3, 0
	s_waitcnt lgkmcnt(0)
	v_writelane_b32 v52, s2, 0
	s_load_dword s2, s[4:5], 0x280
	s_waitcnt lgkmcnt(0)
	s_cmp_lt_i32 s2, 2
	s_cbranch_scc1 .LBB139_10
; %bb.8:
	s_add_i32 s13, s2, 1
	s_add_i32 s2, s2, -1
	s_lshl_b64 s[14:15], s[2:3], 2
	s_add_u32 s2, s14, s8
	s_addc_u32 s9, s15, s9
	s_add_u32 s8, s2, 8
	s_addc_u32 s9, s9, 0
.LBB139_9:                              ; =>This Inner Loop Header: Depth=1
	s_load_dword s2, s[8:9], 0x0
	s_load_dword s15, s[8:9], 0x64
	s_mov_b32 s14, s7
	s_waitcnt lgkmcnt(0)
	v_cvt_f32_u32_e32 v1, s2
	s_sub_i32 s7, 0, s2
	v_rcp_iflag_f32_e32 v1, v1
	v_mul_f32_e32 v1, 0x4f7ffffe, v1
	v_cvt_u32_f32_e32 v1, v1
	v_readfirstlane_b32 s16, v1
	s_mul_i32 s7, s7, s16
	s_mul_hi_u32 s7, s16, s7
	s_add_i32 s16, s16, s7
	s_mul_hi_u32 s7, s14, s16
	s_mul_i32 s16, s7, s2
	s_sub_i32 s16, s14, s16
	s_add_i32 s17, s7, 1
	s_sub_i32 s18, s16, s2
	s_cmp_ge_u32 s16, s2
	s_cselect_b32 s7, s17, s7
	s_cselect_b32 s16, s18, s16
	s_add_i32 s17, s7, 1
	s_cmp_ge_u32 s16, s2
	s_cselect_b32 s7, s17, s7
	s_mul_i32 s2, s7, s2
	s_sub_i32 s2, s14, s2
	s_mul_i32 s2, s15, s2
	s_add_i32 s13, s13, -1
	s_add_i32 s3, s2, s3
	s_add_u32 s8, s8, -4
	s_addc_u32 s9, s9, -1
	s_cmp_gt_u32 s13, 2
	s_cbranch_scc1 .LBB139_9
.LBB139_10:
	s_load_dword s0, s[0:1], 0x6c
                                        ; kill: killed $sgpr4 killed $sgpr5
	v_mov_b32_e32 v2, 0
	v_mul_lo_u32 v6, v0, s58
	s_waitcnt lgkmcnt(0)
	v_writelane_b32 v52, s0, 1
	s_load_dword s2, s[4:5], 0x21c
	s_load_dwordx2 s[0:1], s[4:5], 0x0
	s_waitcnt lgkmcnt(0)
	s_mul_i32 s2, s2, s7
	v_writelane_b32 v52, s0, 2
	v_writelane_b32 v52, s1, 3
	s_load_dwordx2 s[0:1], s[4:5], 0xd8
	s_waitcnt lgkmcnt(0)
	v_writelane_b32 v52, s0, 4
	v_writelane_b32 v52, s1, 5
	s_load_dwordx2 s[0:1], s[4:5], 0x1b0
	s_mov_b32 s5, 0
	s_add_i32 s4, s2, s3
	s_lshl_b64 s[2:3], s[4:5], 1
	s_waitcnt lgkmcnt(0)
	s_add_u32 s60, s0, s2
	s_addc_u32 s62, s1, s3
	v_cmp_gt_u32_e64 s[0:1], s56, v0
	s_mov_b64 s[2:3], exec
	v_writelane_b32 v52, s0, 6
	v_writelane_b32 v52, s1, 7
	s_and_b64 s[0:1], s[2:3], s[0:1]
	s_mov_b64 exec, s[0:1]
	s_cbranch_execz .LBB139_14
; %bb.11:
	s_load_dword s0, s[10:11], 0xc
	v_mov_b32_e32 v5, 0
	v_mul_lo_u32 v4, v0, s58
	s_mov_b64 s[4:5], 0
	v_mov_b32_e32 v1, s62
	s_waitcnt lgkmcnt(0)
	s_and_b32 s0, s0, 0xffff
	s_mul_i32 s1, s58, s0
	v_mov_b32_e32 v2, v5
	v_mov_b32_e32 v3, v0
.LBB139_12:                             ; =>This Inner Loop Header: Depth=1
	v_lshlrev_b64 v[8:9], 1, v[4:5]
	v_add_co_u32_e32 v8, vcc, s60, v8
	v_addc_co_u32_e32 v9, vcc, v1, v9, vcc
	global_load_ushort v7, v[8:9], off
	v_add_u32_e32 v3, s0, v3
	v_cmp_le_u32_e32 vcc, s56, v3
	s_or_b64 s[4:5], vcc, s[4:5]
	v_add_u32_e32 v4, s1, v4
	s_waitcnt vmcnt(0)
	v_lshlrev_b32_e32 v7, 16, v7
	v_cmp_u_f32_e32 vcc, v7, v7
	v_addc_co_u32_e32 v2, vcc, 0, v2, vcc
	s_andn2_b64 exec, exec, s[4:5]
	s_cbranch_execnz .LBB139_12
; %bb.13:
	s_or_b64 exec, exec, s[4:5]
.LBB139_14:
	s_or_b64 exec, exec, s[2:3]
	v_cmp_eq_u32_e64 s[0:1], 0, v0
	s_mov_b64 s[4:5], exec
	v_writelane_b32 v52, s0, 8
	v_writelane_b32 v52, s1, 9
	s_and_b64 s[0:1], s[4:5], s[0:1]
	s_mov_b64 exec, s[0:1]
	s_cbranch_execz .LBB139_16
; %bb.15:
	v_mov_b32_e32 v4, 0
	v_mov_b32_e32 v5, v4
	ds_write_b64 v4, v[4:5] offset:4096
.LBB139_16:
	s_or_b64 exec, exec, s[4:5]
	v_cmp_ne_u32_e32 vcc, 0, v2
	s_waitcnt lgkmcnt(0)
	s_barrier
	s_and_saveexec_b64 s[4:5], vcc
	s_cbranch_execz .LBB139_21
; %bb.17:
	s_mov_b64 s[14:15], exec
	v_mov_b32_e32 v1, 0
	s_mov_b64 s[8:9], 0
.LBB139_18:                             ; =>This Inner Loop Header: Depth=1
	s_ff1_i32_b64 s0, s[14:15]
	v_readlane_b32 s2, v2, s0
	v_readlane_b32 s1, v1, s0
	s_add_u32 s8, s8, s2
	s_addc_u32 s9, s9, s1
	s_lshl_b64 s[0:1], 1, s0
	s_andn2_b64 s[14:15], s[14:15], s[0:1]
	s_cmp_lg_u64 s[14:15], 0
	s_cbranch_scc1 .LBB139_18
; %bb.19:
	v_mbcnt_lo_u32_b32 v1, exec_lo, 0
	v_mbcnt_hi_u32_b32 v1, exec_hi, v1
	v_cmp_eq_u32_e32 vcc, 0, v1
	s_and_saveexec_b64 s[0:1], vcc
	s_xor_b64 s[0:1], exec, s[0:1]
	s_cbranch_execz .LBB139_21
; %bb.20:
	v_mov_b32_e32 v1, 0
	v_pk_mov_b32 v[2:3], s[8:9], s[8:9] op_sel:[0,1]
	ds_add_u64 v1, v[2:3] offset:4096
.LBB139_21:
	s_or_b64 exec, exec, s[4:5]
	v_mov_b32_e32 v1, 0
	s_waitcnt lgkmcnt(0)
	s_barrier
	ds_read_b64 v[2:3], v1 offset:4096
	s_bitcmp1_b32 s59, 0
	s_cselect_b64 s[0:1], -1, 0
	s_mov_b32 s75, s56
	s_waitcnt lgkmcnt(0)
	v_cmp_gt_i64_e32 vcc, 1, v[2:3]
	s_or_b64 s[0:1], s[0:1], vcc
	s_andn2_b64 vcc, exec, s[0:1]
	s_cbranch_vccnz .LBB139_23
; %bb.22:
	v_not_b32_e32 v1, v2
	v_not_b32_e32 v2, v3
	v_add_co_u32_e32 v1, vcc, s56, v1
	v_addc_co_u32_e32 v2, vcc, 0, v2, vcc
	v_lshrrev_b32_e32 v3, 31, v2
	v_add_co_u32_e32 v1, vcc, v1, v3
	v_addc_co_u32_e32 v2, vcc, 0, v2, vcc
	v_alignbit_b32 v1, v2, v1, 1
	v_readfirstlane_b32 s0, v1
	s_add_i32 s75, s0, 1
.LBB139_23:
	s_mov_b64 s[4:5], exec
	v_readlane_b32 s0, v52, 8
	v_readlane_b32 s1, v52, 9
	s_and_b64 s[0:1], s[4:5], s[0:1]
	s_mov_b64 exec, s[0:1]
	s_cbranch_execz .LBB139_25
; %bb.24:
	v_mov_b32_e32 v2, 0
	v_mov_b32_e32 v3, s56
	ds_write_b32 v2, v2 offset:4112
	ds_write_b64 v2, v[2:3] offset:4104
.LBB139_25:
	s_or_b64 exec, exec, s[4:5]
	s_waitcnt lgkmcnt(0)
	s_barrier
	s_load_dword s0, s[10:11], 0xc
	v_mbcnt_lo_u32_b32 v1, -1, 0
	v_mbcnt_hi_u32_b32 v13, -1, v1
	v_cmp_gt_u32_e32 vcc, 64, v0
	v_cmp_gt_i32_e64 s[4:5], 4, v13
	s_waitcnt lgkmcnt(0)
	s_and_b32 s59, s0, 0xffff
	s_bfe_u32 s3, s0, 0xa0006
	s_and_b64 s[0:1], vcc, s[4:5]
	v_writelane_b32 v52, s0, 10
	v_writelane_b32 v52, s1, 11
	s_add_i32 s0, s59, -1
	s_lshl_b32 s77, s59, 2
	v_writelane_b32 v52, s0, 12
	s_add_i32 s0, s0, s56
	s_cmpk_gt_u32 s56, 0x600
	s_cselect_b64 s[4:5], -1, 0
	v_writelane_b32 v52, s4, 13
	s_cmp_gt_u32 s59, 63
	v_writelane_b32 v52, s5, 14
	s_cselect_b64 s[4:5], -1, 0
	s_cmp_lt_u32 s6, s12
	v_writelane_b32 v52, s4, 15
	s_cselect_b32 s1, 12, 18
	v_writelane_b32 v52, s5, 16
	s_add_u32 s4, s10, s1
	s_addc_u32 s5, s11, 0
	s_add_i32 s1, s3, -2
	s_lshr_b32 s2, s1, 1
	v_mov_b32_e32 v9, 0
	s_add_i32 s2, s2, 1
	v_writelane_b32 v52, s4, 17
	s_cmpk_gt_u32 s59, 0x7f
	v_mov_b32_e32 v7, v9
	v_writelane_b32 v52, s5, 18
	s_cselect_b64 s[4:5], -1, 0
	v_lshlrev_b64 v[2:3], 1, v[6:7]
	v_writelane_b32 v52, s4, 19
	v_mov_b32_e32 v7, s62
	v_add_co_u32_e32 v10, vcc, s60, v2
	v_writelane_b32 v52, s5, 20
	v_cmp_gt_u32_e64 s[6:7], 2, v0
	v_addc_co_u32_e32 v11, vcc, v7, v3, vcc
	v_lshlrev_b64 v[2:3], v13, -1
	v_writelane_b32 v52, s6, 21
	v_not_b32_e32 v12, v2
	v_cvt_f32_u32_e32 v2, s77
	v_writelane_b32 v52, s7, 22
	s_and_b32 s6, s3, 0x3fe
	s_and_b32 s7, s2, 7
	s_cmp_gt_u32 s1, 13
	s_cselect_b64 s[8:9], -1, 0
	v_writelane_b32 v52, s8, 23
	v_rcp_iflag_f32_e32 v2, v2
	v_writelane_b32 v52, s9, 24
	s_and_b32 s1, s2, -8
	v_writelane_b32 v52, s1, 25
	s_cmp_lg_u32 s7, 0
	v_writelane_b32 v52, s7, 26
	s_cselect_b64 s[8:9], -1, 0
	v_writelane_b32 v52, s8, 27
	v_mul_f32_e32 v2, 0x4f7ffffe, v2
	v_writelane_b32 v52, s9, 28
	v_cvt_u32_f32_e32 v2, v2
	v_writelane_b32 v52, s3, 29
	s_cmp_lg_u32 s6, s3
	v_writelane_b32 v52, s6, 30
	s_cselect_b64 s[2:3], -1, 0
	v_writelane_b32 v52, s2, 31
	v_writelane_b32 v52, s3, 32
	s_sub_i32 s1, 0, s77
	v_readfirstlane_b32 s2, v2
	s_mul_i32 s1, s1, s2
	s_mul_hi_u32 s1, s2, s1
	s_add_i32 s71, s2, s1
	v_cvt_f32_u32_e32 v2, s59
	s_mul_hi_u32 s1, s56, s71
	s_mul_i32 s1, s1, s77
	s_sub_i32 s1, s56, s1
	s_sub_i32 s2, s1, s77
	v_rcp_iflag_f32_e32 v5, v2
	s_cmp_ge_u32 s1, s77
	s_cselect_b32 s1, s2, s1
	s_sub_i32 s2, s1, s77
	s_cmp_ge_u32 s1, s77
	v_mul_f32_e32 v5, 0x4f7ffffe, v5
	s_cselect_b32 s1, s2, s1
	v_cvt_u32_f32_e32 v5, v5
	v_lshlrev_b32_e32 v16, 2, v0
	s_sub_i32 s12, s56, s1
	v_cmp_gt_u32_e64 s[2:3], s12, v16
	v_writelane_b32 v52, s2, 33
	v_writelane_b32 v52, s3, 34
	s_sub_i32 s2, 0, s59
	v_readfirstlane_b32 s3, v5
	s_mul_i32 s2, s2, s3
	s_mul_hi_u32 s2, s3, s2
	s_add_i32 s2, s3, s2
	v_writelane_b32 v52, s2, 35
	s_mul_hi_u32 s2, s0, s2
	s_mul_i32 s2, s2, s59
	s_sub_i32 s2, s0, s2
	s_sub_i32 s3, s2, s59
	v_add_u32_e32 v21, s12, v0
	s_cmp_ge_u32 s2, s59
	v_lshrrev_b32_e32 v1, 4, v0
	v_mul_lo_u32 v8, v21, s58
	s_cselect_b32 s2, s3, s2
	v_and_b32_e32 v19, 60, v1
	v_not_b32_e32 v1, v3
	v_lshlrev_b64 v[2:3], 1, v[8:9]
	s_sub_i32 s3, s2, s59
	v_add_co_u32_e32 v14, vcc, s60, v2
	s_cmp_ge_u32 s2, s59
	v_mul_lo_u32 v2, s58, v16
	s_cselect_b32 s2, s3, s2
	v_add_u32_e32 v22, s58, v2
	v_or_b32_e32 v2, 2, v16
	s_sub_i32 s72, s0, s2
	v_mul_lo_u32 v23, s58, v2
	v_or_b32_e32 v2, 3, v16
	s_add_i32 s0, s59, s56
	v_cmp_gt_u32_e64 s[2:3], s72, v0
	v_mul_lo_u32 v24, s58, v2
	v_add_u32_e32 v2, s0, v0
	v_lshlrev_b32_e32 v17, 1, v0
	v_lshlrev_b32_e32 v4, 2, v13
	v_mov_b32_e32 v8, s62
	v_writelane_b32 v52, s2, 36
	s_mul_i32 s76, s58, s59
	v_subrev_u32_e32 v2, s1, v2
	s_mov_b32 s54, 0
	v_cmp_eq_u32_e64 s[4:5], 0, v13
	v_add_u32_e32 v18, 0xc00, v17
	v_and_b32_e32 v20, 0x100, v4
	v_cmp_gt_u32_e64 s[10:11], s56, v21
	v_addc_co_u32_e32 v15, vcc, v8, v3, vcc
	v_writelane_b32 v52, s3, 37
	s_lshl_b32 s73, s76, 2
	v_lshlrev_b32_e32 v25, 2, v6
	v_mul_lo_u32 v26, s58, v2
	v_lshlrev_b32_e32 v27, 3, v0
	s_lshl_b32 s0, s59, 3
	s_lshl_b32 s1, s59, 1
	v_or_b32_e32 v28, 0xc00, v4
	s_mov_b32 s3, 14
	s_mov_b64 s[86:87], 0
	s_movk_i32 s2, 0x3f80
	v_mov_b32_e32 v29, 0xffff
	v_mov_b32_e32 v30, 0x8000
	v_mov_b32_e32 v31, -1
	v_mov_b32_e32 v32, 0xc00
	v_mov_b32_e32 v33, 0x5040100
	;; [unrolled: 1-line block ×3, first 2 shown]
	s_mov_b32 s78, 0
	s_mov_b32 s74, 0
	;; [unrolled: 1-line block ×3, first 2 shown]
                                        ; implicit-def: $sgpr88_sgpr89
                                        ; implicit-def: $sgpr92_sgpr93
                                        ; implicit-def: $sgpr90_sgpr91
                                        ; implicit-def: $sgpr94_sgpr95
                                        ; implicit-def: $sgpr64_sgpr65
                                        ; implicit-def: $sgpr66_sgpr67
	s_branch .LBB139_30
.LBB139_26:                             ;   in Loop: Header=BB139_30 Depth=1
	s_xor_b32 s78, s78, 1
	s_add_i32 s6, s3, -2
	s_cmp_eq_u32 s3, 0
	s_mov_b64 s[18:19], 0
	s_cselect_b64 s[26:27], -1, 0
	s_mov_b32 s3, s6
.LBB139_27:                             ;   in Loop: Header=BB139_30 Depth=1
	s_andn2_b64 s[6:7], s[22:23], exec
	s_and_b64 s[8:9], s[18:19], exec
	s_or_b64 s[22:23], s[6:7], s[8:9]
	s_andn2_b64 s[24:25], s[24:25], exec
	s_andn2_b64 s[20:21], s[20:21], exec
	s_orn2_b64 s[18:19], s[26:27], exec
	s_mov_b32 s75, s35
.LBB139_28:                             ;   in Loop: Header=BB139_30 Depth=1
	s_or_b64 exec, exec, s[14:15]
	s_andn2_b64 s[6:7], s[66:67], exec
	s_and_b64 s[8:9], s[22:23], exec
	s_or_b64 s[66:67], s[6:7], s[8:9]
	s_andn2_b64 s[6:7], s[64:65], exec
	s_and_b64 s[8:9], s[24:25], exec
	s_or_b64 s[64:65], s[6:7], s[8:9]
	;; [unrolled: 3-line block ×3, first 2 shown]
	s_orn2_b64 s[18:19], s[18:19], exec
.LBB139_29:                             ;   in Loop: Header=BB139_30 Depth=1
	s_or_b64 exec, exec, s[16:17]
	s_and_b64 s[6:7], exec, s[18:19]
	s_or_b64 s[86:87], s[6:7], s[86:87]
	s_andn2_b64 s[6:7], s[90:91], exec
	s_and_b64 s[8:9], s[66:67], exec
	s_or_b64 s[90:91], s[6:7], s[8:9]
	s_andn2_b64 s[6:7], s[92:93], exec
	s_and_b64 s[8:9], s[64:65], exec
	;; [unrolled: 3-line block ×3, first 2 shown]
	v_mov_b32_e32 v2, s74
	s_or_b64 s[88:89], s[6:7], s[8:9]
	s_andn2_b64 exec, exec, s[86:87]
	s_cbranch_execz .LBB139_264
.LBB139_30:                             ; =>This Loop Header: Depth=1
                                        ;     Child Loop BB139_35 Depth 2
                                        ;     Child Loop BB139_53 Depth 2
	;; [unrolled: 1-line block ×17, first 2 shown]
	ds_read_b64 v[2:3], v9 offset:4104
	s_waitcnt lgkmcnt(0)
	v_readfirstlane_b32 s69, v2
	s_cmp_lg_u32 s69, 0
	s_cbranch_scc1 .LBB139_60
; %bb.31:                               ;   in Loop: Header=BB139_30 Depth=1
	v_readlane_b32 s6, v52, 13
	v_readlane_b32 s7, v52, 14
	s_and_b64 vcc, exec, s[6:7]
	s_cbranch_vccz .LBB139_43
; %bb.32:                               ;   in Loop: Header=BB139_30 Depth=1
	s_movk_i32 s6, 0x601
	v_cmp_gt_u32_e32 vcc, s6, v3
	s_mov_b64 s[18:19], 0
	s_mov_b64 s[14:15], 0
	s_cbranch_vccz .LBB139_44
; %bb.33:                               ;   in Loop: Header=BB139_30 Depth=1
	v_readlane_b32 s6, v52, 17
	v_readlane_b32 s7, v52, 18
	s_nop 4
	global_load_ushort v2, v9, s[6:7]
	global_load_ushort v4, v[10:11], off
	s_mov_b64 s[20:21], 0
	s_waitcnt vmcnt(1)
	v_add_u32_e32 v5, v0, v2
	v_mul_lo_u32 v3, s58, v2
	v_mul_lo_u32 v8, s58, v5
	v_mov_b32_e32 v5, v0
	s_branch .LBB139_35
.LBB139_34:                             ;   in Loop: Header=BB139_35 Depth=2
	s_or_b64 exec, exec, s[16:17]
	v_add_u32_e32 v8, v8, v3
	v_mov_b32_e32 v4, v35
	s_andn2_b64 exec, exec, s[20:21]
	s_cbranch_execz .LBB139_45
.LBB139_35:                             ;   Parent Loop BB139_30 Depth=1
                                        ; =>  This Inner Loop Header: Depth=2
	v_add_u32_e32 v5, v5, v2
	v_cmp_gt_u32_e64 s[14:15], s56, v5
	v_cmp_le_u32_e32 vcc, s56, v5
	s_waitcnt lgkmcnt(0)
	v_mov_b32_e32 v36, 0
	v_mov_b32_e32 v35, 0
	s_and_saveexec_b64 s[16:17], s[14:15]
	s_cbranch_execz .LBB139_37
; %bb.36:                               ;   in Loop: Header=BB139_35 Depth=2
	v_lshlrev_b64 v[38:39], 1, v[8:9]
	v_add_co_u32_e64 v38, s[14:15], s60, v38
	v_addc_co_u32_e64 v39, s[14:15], v7, v39, s[14:15]
	global_load_ushort v35, v[38:39], off
.LBB139_37:                             ;   in Loop: Header=BB139_35 Depth=2
	s_or_b64 exec, exec, s[16:17]
	s_waitcnt vmcnt(0)
	v_cmp_lt_i16_e64 s[14:15], -1, v4
	v_cndmask_b32_e64 v37, v29, v30, s[14:15]
	v_lshlrev_b32_e32 v38, 16, v4
	v_xor_b32_sdwa v37, v37, v4 dst_sel:DWORD dst_unused:UNUSED_PAD src0_sel:DWORD src1_sel:WORD_0
	v_cmp_o_f32_e64 s[14:15], v38, v38
	v_cndmask_b32_e64 v37, v29, v37, s[14:15]
	v_and_b32_e32 v37, s13, v37
	v_cmp_eq_u32_e64 s[14:15], s74, v37
	s_cmp_lg_u64 s[14:15], 0
	s_cselect_b64 s[6:7], -1, 0
	s_and_b64 s[6:7], s[4:5], s[6:7]
	s_and_saveexec_b64 s[22:23], s[6:7]
	s_cbranch_execz .LBB139_41
; %bb.38:                               ;   in Loop: Header=BB139_35 Depth=2
	s_mov_b64 s[26:27], exec
	v_mbcnt_lo_u32_b32 v36, s26, 0
	v_mbcnt_hi_u32_b32 v36, s27, v36
	s_bcnt1_i32_b64 s6, s[14:15]
	v_cmp_eq_u32_e64 s[16:17], 0, v36
                                        ; implicit-def: $vgpr37
	s_and_saveexec_b64 s[24:25], s[16:17]
	s_cbranch_execz .LBB139_40
; %bb.39:                               ;   in Loop: Header=BB139_35 Depth=2
	s_bcnt1_i32_b64 s7, s[26:27]
	s_mul_i32 s7, s6, s7
	v_mov_b32_e32 v37, s7
	ds_add_rtn_u32 v37, v9, v37 offset:4112
.LBB139_40:                             ;   in Loop: Header=BB139_35 Depth=2
	s_or_b64 exec, exec, s[24:25]
	s_waitcnt lgkmcnt(0)
	v_readfirstlane_b32 s7, v37
	v_mov_b32_e32 v37, s7
	v_mad_u32_u24 v36, s6, v36, v37
.LBB139_41:                             ;   in Loop: Header=BB139_35 Depth=2
	s_or_b64 exec, exec, s[22:23]
	ds_bpermute_b32 v36, v20, v36
	s_and_b64 s[6:7], exec, vcc
	s_or_b64 s[20:21], s[6:7], s[20:21]
	s_and_saveexec_b64 s[16:17], s[14:15]
	s_cbranch_execz .LBB139_34
; %bb.42:                               ;   in Loop: Header=BB139_35 Depth=2
	v_and_b32_e32 v38, s14, v12
	v_and_b32_e32 v37, s15, v1
	v_bcnt_u32_b32 v38, v38, 0
	v_bcnt_u32_b32 v37, v37, v38
	v_lshlrev_b32_e32 v37, 1, v37
	s_waitcnt lgkmcnt(0)
	v_lshl_add_u32 v36, v36, 1, v37
	ds_write_b16 v36, v4
	s_branch .LBB139_34
.LBB139_43:                             ;   in Loop: Header=BB139_30 Depth=1
	s_mov_b64 s[14:15], 0
                                        ; implicit-def: $sgpr69
	s_cbranch_execnz .LBB139_48
	s_branch .LBB139_58
.LBB139_44:                             ;   in Loop: Header=BB139_30 Depth=1
	s_mov_b32 s69, 0
	s_and_b64 vcc, exec, s[18:19]
	s_cbranch_vccnz .LBB139_48
	s_branch .LBB139_58
.LBB139_45:                             ;   in Loop: Header=BB139_30 Depth=1
	s_or_b64 exec, exec, s[20:21]
	s_waitcnt lgkmcnt(0)
	s_barrier
	s_mov_b64 s[14:15], exec
	v_readlane_b32 s6, v52, 8
	v_readlane_b32 s7, v52, 9
	s_and_b64 s[6:7], s[14:15], s[6:7]
	s_mov_b64 exec, s[6:7]
	s_cbranch_execz .LBB139_47
; %bb.46:                               ;   in Loop: Header=BB139_30 Depth=1
	ds_read_b32 v2, v9 offset:4112
	s_waitcnt lgkmcnt(0)
	ds_write_b32 v9, v2 offset:4104
.LBB139_47:                             ;   in Loop: Header=BB139_30 Depth=1
	s_or_b64 exec, exec, s[14:15]
	s_waitcnt lgkmcnt(0)
	s_barrier
	s_mov_b64 s[14:15], -1
	s_mov_b32 s69, 0
	s_and_b64 vcc, exec, s[18:19]
	s_cbranch_vccz .LBB139_58
.LBB139_48:                             ;   in Loop: Header=BB139_30 Depth=1
	v_mov_b32_e32 v2, 0
	s_mov_b64 s[14:15], exec
	v_readlane_b32 s6, v52, 6
	v_readlane_b32 s7, v52, 7
	s_and_b64 s[6:7], s[14:15], s[6:7]
	s_mov_b64 exec, s[6:7]
	s_cbranch_execz .LBB139_50
; %bb.49:                               ;   in Loop: Header=BB139_30 Depth=1
	global_load_ushort v2, v[10:11], off
.LBB139_50:                             ;   in Loop: Header=BB139_30 Depth=1
	s_or_b64 exec, exec, s[14:15]
	s_mov_b64 s[16:17], exec
	v_readlane_b32 s6, v52, 6
	v_readlane_b32 s7, v52, 7
	s_and_b64 s[6:7], s[16:17], s[6:7]
	s_mov_b64 exec, s[6:7]
	s_cbranch_execz .LBB139_55
; %bb.51:                               ;   in Loop: Header=BB139_30 Depth=1
	v_readlane_b32 s6, v52, 17
	v_readlane_b32 s7, v52, 18
	s_mov_b64 s[18:19], 0
	v_mov_b32_e32 v4, v17
	v_mov_b32_e32 v36, v0
	s_nop 1
	global_load_ushort v3, v9, s[6:7]
	s_waitcnt vmcnt(0)
	v_add_u32_e32 v8, v0, v3
	v_lshlrev_b32_e32 v5, 1, v3
	v_mul_lo_u32 v35, s58, v3
	v_mul_lo_u32 v8, s58, v8
	s_branch .LBB139_53
.LBB139_52:                             ;   in Loop: Header=BB139_53 Depth=2
	s_or_b64 exec, exec, s[20:21]
	s_and_b64 s[6:7], exec, vcc
	s_or_b64 s[18:19], s[6:7], s[18:19]
	ds_write_b16 v4, v2
	v_add_u32_e32 v4, v4, v5
	v_add_u32_e32 v8, v8, v35
	s_waitcnt vmcnt(0)
	v_mov_b32_e32 v2, v37
	s_andn2_b64 exec, exec, s[18:19]
	s_cbranch_execz .LBB139_55
.LBB139_53:                             ;   Parent Loop BB139_30 Depth=1
                                        ; =>  This Inner Loop Header: Depth=2
	v_add_u32_e32 v36, v36, v3
	v_cmp_gt_u32_e64 s[14:15], s56, v36
	v_cmp_le_u32_e32 vcc, s56, v36
	v_mov_b32_e32 v37, 0
	s_and_saveexec_b64 s[20:21], s[14:15]
	s_cbranch_execz .LBB139_52
; %bb.54:                               ;   in Loop: Header=BB139_53 Depth=2
	v_lshlrev_b64 v[38:39], 1, v[8:9]
	v_mov_b32_e32 v37, s62
	v_add_co_u32_e64 v38, s[14:15], s60, v38
	v_addc_co_u32_e64 v39, s[14:15], v37, v39, s[14:15]
	global_load_ushort v37, v[38:39], off
	s_branch .LBB139_52
.LBB139_55:                             ;   in Loop: Header=BB139_30 Depth=1
	s_or_b64 exec, exec, s[16:17]
	s_waitcnt lgkmcnt(0)
	s_barrier
	s_mov_b64 s[14:15], exec
	v_readlane_b32 s6, v52, 8
	v_readlane_b32 s7, v52, 9
	s_and_b64 s[6:7], s[14:15], s[6:7]
	s_mov_b64 exec, s[6:7]
	s_cbranch_execz .LBB139_57
; %bb.56:                               ;   in Loop: Header=BB139_30 Depth=1
	s_waitcnt vmcnt(0)
	v_mov_b32_e32 v2, s56
	ds_write_b32 v9, v2 offset:4104
.LBB139_57:                             ;   in Loop: Header=BB139_30 Depth=1
	s_or_b64 exec, exec, s[14:15]
	s_mov_b64 s[14:15], -1
	s_waitcnt lgkmcnt(0)
	s_barrier
                                        ; implicit-def: $sgpr69
.LBB139_58:                             ;   in Loop: Header=BB139_30 Depth=1
	s_and_b64 vcc, exec, s[14:15]
	s_cbranch_vccz .LBB139_60
; %bb.59:                               ;   in Loop: Header=BB139_30 Depth=1
	s_waitcnt vmcnt(0)
	ds_read_b32 v2, v9 offset:4104
	s_waitcnt lgkmcnt(0)
	v_readfirstlane_b32 s69, v2
.LBB139_60:                             ;   in Loop: Header=BB139_30 Depth=1
	s_cmp_lt_i32 s69, 1
	s_cbranch_scc0 .LBB139_72
; %bb.61:                               ;   in Loop: Header=BB139_30 Depth=1
	s_waitcnt vmcnt(0)
	v_mov_b32_e32 v2, 0
	s_mov_b32 s48, 0
	v_mov_b32_e32 v3, 0
	v_mov_b32_e32 v4, v2
	;; [unrolled: 1-line block ×3, first 2 shown]
	s_mov_b64 s[44:45], exec
	v_readlane_b32 s6, v52, 33
	v_readlane_b32 s7, v52, 34
	s_and_b64 s[6:7], s[44:45], s[6:7]
	s_mov_b64 exec, s[6:7]
	s_cbranch_execz .LBB139_65
; %bb.62:                               ;   in Loop: Header=BB139_30 Depth=1
	s_and_b32 s49, s3, 0xfe
	s_mov_b64 s[46:47], 0
	s_mov_b32 s50, 0
	s_mov_b32 s51, 0
	;; [unrolled: 1-line block ×4, first 2 shown]
	v_mov_b32_e32 v35, v16
.LBB139_63:                             ;   Parent Loop BB139_30 Depth=1
                                        ; =>  This Inner Loop Header: Depth=2
	v_add_u32_e32 v8, s48, v25
	v_lshlrev_b64 v[2:3], 1, v[8:9]
	v_mov_b32_e32 v38, s62
	v_add_u32_e32 v8, s48, v22
	v_add_co_u32_e64 v2, s[14:15], s60, v2
	v_lshlrev_b64 v[4:5], 1, v[8:9]
	v_addc_co_u32_e64 v3, s[14:15], v38, v3, s[14:15]
	v_add_u32_e32 v8, s48, v23
	global_load_ushort v39, v[2:3], off
	v_add_co_u32_e64 v2, s[14:15], s60, v4
	v_lshlrev_b64 v[36:37], 1, v[8:9]
	v_add_u32_e32 v8, s48, v24
	v_addc_co_u32_e64 v3, s[14:15], v38, v5, s[14:15]
	v_lshlrev_b64 v[4:5], 1, v[8:9]
	global_load_ushort v8, v[2:3], off
	v_add_co_u32_e64 v2, s[14:15], s60, v36
	v_addc_co_u32_e64 v3, s[14:15], v38, v37, s[14:15]
	global_load_ushort v36, v[2:3], off
	v_add_co_u32_e64 v2, s[14:15], s60, v4
	v_addc_co_u32_e64 v3, s[14:15], v38, v5, s[14:15]
	global_load_ushort v2, v[2:3], off
	v_add_u32_e32 v35, s77, v35
	v_cmp_le_u32_e32 vcc, s12, v35
	s_add_i32 s48, s48, s73
	s_waitcnt vmcnt(3)
	v_cmp_lt_i16_e64 s[14:15], -1, v39
	v_lshlrev_b32_e32 v3, 16, v39
	v_cndmask_b32_e64 v4, v29, v30, s[14:15]
	v_xor_b32_sdwa v4, v4, v39 dst_sel:DWORD dst_unused:UNUSED_PAD src0_sel:DWORD src1_sel:WORD_0
	s_waitcnt vmcnt(2)
	v_cmp_lt_i16_e64 s[14:15], -1, v8
	v_cndmask_b32_e64 v37, v29, v30, s[14:15]
	v_cmp_o_f32_e64 s[14:15], v3, v3
	v_lshlrev_b32_e32 v5, 16, v8
	v_cndmask_b32_e64 v4, v29, v4, s[14:15]
	s_waitcnt vmcnt(1)
	v_cmp_lt_i16_e64 s[14:15], -1, v36
	v_xor_b32_sdwa v8, v37, v8 dst_sel:DWORD dst_unused:UNUSED_PAD src0_sel:DWORD src1_sel:WORD_0
	v_cndmask_b32_e64 v37, v29, v30, s[14:15]
	v_cmp_o_f32_e64 s[14:15], v5, v5
	v_lshlrev_b32_e32 v3, 16, v36
	v_cndmask_b32_e64 v8, v29, v8, s[14:15]
	s_waitcnt vmcnt(0)
	v_cmp_lt_i16_e64 s[14:15], -1, v2
	v_xor_b32_sdwa v36, v37, v36 dst_sel:DWORD dst_unused:UNUSED_PAD src0_sel:DWORD src1_sel:WORD_0
	v_cndmask_b32_e64 v37, v29, v30, s[14:15]
	v_and_b32_e32 v38, s13, v4
	v_bfe_u32 v4, v4, s49, 2
	v_cmp_o_f32_e64 s[14:15], v3, v3
	v_cndmask_b32_e64 v3, v29, v36, s[14:15]
	v_cmp_eq_u32_e64 s[14:15], s74, v38
	v_cmp_eq_u32_e64 s[16:17], 0, v4
	v_lshlrev_b32_e32 v5, 16, v2
	v_cmp_eq_u32_e64 s[18:19], 1, v4
	s_and_b64 s[6:7], s[14:15], s[16:17]
	v_and_b32_e32 v36, s13, v8
	v_bfe_u32 v8, v8, s49, 2
	v_cmp_eq_u32_e64 s[20:21], 2, v4
	v_cmp_o_f32_e64 s[24:25], v5, v5
	v_cndmask_b32_e64 v5, 0, 1, s[6:7]
	s_and_b64 s[6:7], s[14:15], s[18:19]
	v_xor_b32_sdwa v2, v37, v2 dst_sel:DWORD dst_unused:UNUSED_PAD src0_sel:DWORD src1_sel:WORD_0
	v_cmp_eq_u32_e64 s[22:23], 3, v4
	v_cmp_eq_u32_e64 s[26:27], 0, v8
	;; [unrolled: 1-line block ×5, first 2 shown]
	v_cndmask_b32_e64 v8, 0, 1, s[6:7]
	s_and_b64 s[6:7], s[14:15], s[20:21]
	v_cndmask_b32_e64 v2, v29, v2, s[24:25]
	v_cmp_eq_u32_e64 s[24:25], s74, v36
	v_cndmask_b32_e64 v36, 0, 1, s[6:7]
	s_and_b64 s[6:7], s[14:15], s[22:23]
	v_and_b32_e32 v4, s13, v3
	v_bfe_u32 v3, v3, s49, 2
	v_cndmask_b32_e64 v37, 0, 1, s[6:7]
	s_and_b64 s[6:7], s[24:25], s[26:27]
	v_cmp_eq_u32_e64 s[16:17], 0, v3
	v_cmp_eq_u32_e64 s[18:19], 1, v3
	;; [unrolled: 1-line block ×4, first 2 shown]
	v_cndmask_b32_e64 v3, 0, 1, s[6:7]
	s_and_b64 s[6:7], s[24:25], s[28:29]
	v_cmp_ne_u32_e64 s[36:37], 0, v5
	v_cndmask_b32_e64 v5, 0, 1, s[6:7]
	s_and_b64 s[6:7], s[24:25], s[30:31]
	v_cmp_eq_u32_e64 s[14:15], s74, v4
	v_cmp_ne_u32_e64 s[26:27], 0, v8
	v_cndmask_b32_e64 v8, 0, 1, s[6:7]
	s_and_b64 s[6:7], s[24:25], s[34:35]
	v_and_b32_e32 v4, s13, v2
	v_bfe_u32 v2, v2, s49, 2
	v_cmp_ne_u32_e64 s[28:29], 0, v36
	v_cndmask_b32_e64 v36, 0, 1, s[6:7]
	s_and_b64 s[6:7], s[14:15], s[16:17]
	v_cmp_eq_u32_e64 s[34:35], 0, v2
	v_cmp_eq_u32_e64 s[38:39], 1, v2
	;; [unrolled: 1-line block ×4, first 2 shown]
	v_cndmask_b32_e64 v2, 0, 1, s[6:7]
	s_and_b64 s[6:7], s[14:15], s[18:19]
	s_bcnt1_i32_b64 s8, s[36:37]
	v_cmp_ne_u32_e64 s[36:37], 0, v3
	v_cndmask_b32_e64 v3, 0, 1, s[6:7]
	s_and_b64 s[6:7], s[14:15], s[20:21]
	v_cmp_eq_u32_e64 s[24:25], s74, v4
	v_cndmask_b32_e64 v4, 0, 1, s[6:7]
	s_and_b64 s[6:7], s[14:15], s[22:23]
	v_cmp_ne_u32_e64 s[16:17], 0, v5
	v_cndmask_b32_e64 v5, 0, 1, s[6:7]
	s_and_b64 s[6:7], s[24:25], s[34:35]
	v_cmp_ne_u32_e64 s[14:15], 0, v2
	;; [unrolled: 3-line block ×3, first 2 shown]
	v_cmp_ne_u32_e64 s[18:19], 0, v8
	s_bcnt1_i32_b64 s23, s[16:17]
	v_cmp_ne_u32_e64 s[16:17], 0, v3
	v_cndmask_b32_e64 v3, 0, 1, s[6:7]
	s_and_b64 s[6:7], s[24:25], s[40:41]
	s_bcnt1_i32_b64 s9, s[26:27]
	s_bcnt1_i32_b64 s26, s[28:29]
	;; [unrolled: 1-line block ×3, first 2 shown]
	v_cmp_ne_u32_e64 s[20:21], 0, v36
	s_bcnt1_i32_b64 s28, s[18:19]
	v_cmp_ne_u32_e64 s[18:19], 0, v4
	v_cndmask_b32_e64 v4, 0, 1, s[6:7]
	s_and_b64 s[6:7], s[24:25], s[42:43]
	s_bcnt1_i32_b64 s22, s[36:37]
	s_add_i32 s8, s53, s8
	s_add_i32 s9, s52, s9
	;; [unrolled: 1-line block ×3, first 2 shown]
	s_bcnt1_i32_b64 s29, s[20:21]
	v_cmp_ne_u32_e64 s[20:21], 0, v5
	v_cndmask_b32_e64 v5, 0, 1, s[6:7]
	s_add_i32 s6, s50, s27
	s_bcnt1_i32_b64 s7, s[14:15]
	v_cmp_ne_u32_e64 s[14:15], 0, v2
	s_add_i32 s8, s8, s22
	s_bcnt1_i32_b64 s22, s[16:17]
	v_cmp_ne_u32_e64 s[16:17], 0, v3
	;; [unrolled: 3-line block ×4, first 2 shown]
	s_add_i32 s6, s6, s29
	s_bcnt1_i32_b64 s14, s[14:15]
	s_add_i32 s7, s8, s7
	s_bcnt1_i32_b64 s8, s[16:17]
	;; [unrolled: 2-line block ×4, first 2 shown]
	s_add_i32 s6, s6, s25
	s_add_i32 s53, s7, s14
	;; [unrolled: 1-line block ×5, first 2 shown]
	s_or_b64 s[46:47], vcc, s[46:47]
	v_mov_b32_e32 v2, s53
	v_mov_b32_e32 v3, s52
	;; [unrolled: 1-line block ×4, first 2 shown]
	s_andn2_b64 exec, exec, s[46:47]
	s_cbranch_execnz .LBB139_63
; %bb.64:                               ;   in Loop: Header=BB139_30 Depth=1
	s_or_b64 exec, exec, s[46:47]
.LBB139_65:                             ;   in Loop: Header=BB139_30 Depth=1
	s_or_b64 exec, exec, s[44:45]
	v_mov_b32_e32 v35, 0
	s_and_saveexec_b64 s[14:15], s[10:11]
	s_cbranch_execz .LBB139_67
; %bb.66:                               ;   in Loop: Header=BB139_30 Depth=1
	global_load_ushort v35, v[14:15], off
.LBB139_67:                             ;   in Loop: Header=BB139_30 Depth=1
	s_or_b64 exec, exec, s[14:15]
	s_mov_b64 s[16:17], 0
	s_mov_b64 s[80:81], 0
	s_and_saveexec_b64 s[18:19], s[10:11]
	s_cbranch_execz .LBB139_74
; %bb.68:                               ;   in Loop: Header=BB139_30 Depth=1
	s_and_b32 s6, s3, 0xfe
	s_mov_b64 s[20:21], 0
	v_mov_b32_e32 v8, v26
	v_mov_b32_e32 v36, v21
	s_branch .LBB139_70
.LBB139_69:                             ;   in Loop: Header=BB139_70 Depth=2
	s_or_b64 exec, exec, s[22:23]
	s_and_b64 s[8:9], exec, vcc
	s_waitcnt vmcnt(0)
	v_cmp_lt_i16_e32 vcc, -1, v35
	v_cndmask_b32_e32 v38, v29, v30, vcc
	v_lshlrev_b32_e32 v39, 16, v35
	v_xor_b32_sdwa v35, v38, v35 dst_sel:DWORD dst_unused:UNUSED_PAD src0_sel:DWORD src1_sel:WORD_0
	v_cmp_o_f32_e32 vcc, v39, v39
	v_cndmask_b32_e32 v35, v29, v35, vcc
	v_and_b32_e32 v38, s13, v35
	v_bfe_u32 v35, v35, s6, 2
	s_or_b64 s[20:21], s[8:9], s[20:21]
	v_cmp_eq_u32_e32 vcc, s74, v38
	v_cmp_eq_u32_e64 s[14:15], 0, v35
	s_and_b64 s[8:9], vcc, s[14:15]
	v_cndmask_b32_e64 v38, 0, 1, s[8:9]
	v_cmp_ne_u32_e64 s[14:15], 0, v38
	s_bcnt1_i32_b64 s7, s[14:15]
	v_cmp_eq_u32_e64 s[14:15], 1, v35
	s_and_b64 s[8:9], vcc, s[14:15]
	v_cndmask_b32_e64 v38, 0, 1, s[8:9]
	v_cmp_ne_u32_e64 s[14:15], 0, v38
	v_add_u32_e32 v2, s7, v2
	s_bcnt1_i32_b64 s7, s[14:15]
	v_cmp_eq_u32_e64 s[14:15], 2, v35
	s_and_b64 s[8:9], vcc, s[14:15]
	v_cndmask_b32_e64 v38, 0, 1, s[8:9]
	v_cmp_ne_u32_e64 s[14:15], 0, v38
	v_add_u32_e32 v3, s7, v3
	s_bcnt1_i32_b64 s7, s[14:15]
	v_cmp_eq_u32_e64 s[14:15], 3, v35
	s_and_b64 s[8:9], vcc, s[14:15]
	v_cndmask_b32_e64 v35, 0, 1, s[8:9]
	v_cmp_ne_u32_e32 vcc, 0, v35
	v_add_u32_e32 v4, s7, v4
	s_bcnt1_i32_b64 s7, vcc
	v_add_u32_e32 v5, s7, v5
	v_add_u32_e32 v8, s76, v8
	v_mov_b32_e32 v35, v37
	s_andn2_b64 exec, exec, s[20:21]
	s_cbranch_execz .LBB139_73
.LBB139_70:                             ;   Parent Loop BB139_30 Depth=1
                                        ; =>  This Inner Loop Header: Depth=2
	v_add_u32_e32 v36, s59, v36
	v_cmp_gt_u32_e64 s[14:15], s56, v36
	v_cmp_le_u32_e32 vcc, s56, v36
	v_mov_b32_e32 v37, 0
	s_and_saveexec_b64 s[22:23], s[14:15]
	s_cbranch_execz .LBB139_69
; %bb.71:                               ;   in Loop: Header=BB139_70 Depth=2
	v_lshlrev_b64 v[38:39], 1, v[8:9]
	v_mov_b32_e32 v37, s62
	v_add_co_u32_e64 v38, s[14:15], s60, v38
	v_addc_co_u32_e64 v39, s[14:15], v37, v39, s[14:15]
	global_load_ushort v37, v[38:39], off
	s_branch .LBB139_69
.LBB139_72:                             ;   in Loop: Header=BB139_30 Depth=1
	s_mov_b64 s[80:81], 0
                                        ; implicit-def: $vgpr5
	s_cbranch_execnz .LBB139_75
	s_branch .LBB139_84
.LBB139_73:                             ;   in Loop: Header=BB139_30 Depth=1
	s_or_b64 exec, exec, s[20:21]
	s_mov_b64 s[80:81], exec
.LBB139_74:                             ;   in Loop: Header=BB139_30 Depth=1
	s_or_b64 exec, exec, s[18:19]
	s_and_b64 vcc, exec, s[16:17]
	s_cbranch_vccz .LBB139_84
.LBB139_75:                             ;   in Loop: Header=BB139_30 Depth=1
	s_mul_hi_u32 s6, s69, s71
	s_mul_i32 s6, s6, s77
	s_sub_i32 s6, s69, s6
	s_sub_i32 s7, s6, s77
	s_cmp_ge_u32 s6, s77
	s_cselect_b32 s6, s7, s6
	s_sub_i32 s7, s6, s77
	s_cmp_ge_u32 s6, s77
	s_cselect_b32 s6, s7, s6
	s_sub_i32 s8, s69, s6
	v_cmp_gt_u32_e32 vcc, s8, v16
	s_mov_b32 s79, 0
	s_waitcnt vmcnt(0)
	v_mov_b32_e32 v2, 0
	v_mov_b32_e32 v3, 0
	;; [unrolled: 1-line block ×4, first 2 shown]
	s_and_saveexec_b64 s[82:83], vcc
	s_cbranch_execz .LBB139_79
; %bb.76:                               ;   in Loop: Header=BB139_30 Depth=1
	s_mov_b32 s70, s54
	s_and_b32 s9, s3, 0xfe
	s_mov_b64 s[84:85], 0
	v_mov_b32_e32 v8, v27
	s_mov_b32 s68, 0
	s_mov_b32 s6, 0
	;; [unrolled: 1-line block ×3, first 2 shown]
	v_mov_b32_e32 v35, v16
.LBB139_77:                             ;   Parent Loop BB139_30 Depth=1
                                        ; =>  This Inner Loop Header: Depth=2
	ds_read_b64 v[2:3], v8
	v_add_u32_e32 v35, s77, v35
	v_cmp_le_u32_e32 vcc, s8, v35
	v_add_u32_e32 v8, s0, v8
	s_waitcnt lgkmcnt(0)
	v_cmp_lt_i16_e64 s[14:15], -1, v2
	v_cndmask_b32_e64 v38, v29, v30, s[14:15]
	v_cmp_gt_i16_sdwa s[14:15], v2, v31 src0_sel:WORD_1 src1_sel:DWORD
	v_lshlrev_b32_e32 v4, 16, v2
	v_cndmask_b32_e64 v39, v29, v30, s[14:15]
	v_cmp_lt_i16_e64 s[14:15], -1, v3
	v_and_b32_e32 v5, 0xffff0000, v2
	v_cndmask_b32_e64 v40, v29, v30, s[14:15]
	v_cmp_gt_i16_sdwa s[14:15], v3, v31 src0_sel:WORD_1 src1_sel:DWORD
	v_xor_b32_sdwa v39, v39, v2 dst_sel:DWORD dst_unused:UNUSED_PAD src0_sel:DWORD src1_sel:WORD_1
	v_xor_b32_sdwa v2, v38, v2 dst_sel:DWORD dst_unused:UNUSED_PAD src0_sel:DWORD src1_sel:WORD_0
	v_cmp_o_f32_e64 s[20:21], v4, v4
	v_lshlrev_b32_e32 v36, 16, v3
	v_cndmask_b32_e64 v41, v29, v30, s[14:15]
	v_cmp_o_f32_e64 s[14:15], v5, v5
	v_cndmask_b32_e64 v2, v29, v2, s[20:21]
	v_and_b32_e32 v37, 0xffff0000, v3
	v_xor_b32_sdwa v5, v40, v3 dst_sel:DWORD dst_unused:UNUSED_PAD src0_sel:DWORD src1_sel:WORD_0
	v_cmp_o_f32_e64 s[16:17], v36, v36
	v_cndmask_b32_e64 v4, v29, v39, s[14:15]
	v_and_b32_e32 v36, s13, v2
	v_bfe_u32 v2, v2, s9, 2
	v_xor_b32_sdwa v3, v41, v3 dst_sel:DWORD dst_unused:UNUSED_PAD src0_sel:DWORD src1_sel:WORD_1
	v_cmp_o_f32_e64 s[18:19], v37, v37
	v_cndmask_b32_e64 v5, v29, v5, s[16:17]
	v_and_b32_e32 v37, s13, v4
	v_bfe_u32 v4, v4, s9, 2
	v_cmp_eq_u32_e64 s[14:15], s74, v36
	v_cmp_eq_u32_e64 s[22:23], 0, v2
	v_cndmask_b32_e64 v3, v29, v3, s[18:19]
	v_and_b32_e32 v38, s13, v5
	v_bfe_u32 v5, v5, s9, 2
	v_cmp_eq_u32_e64 s[16:17], s74, v37
	v_cmp_eq_u32_e64 s[24:25], 0, v4
	s_and_b64 s[22:23], s[14:15], s[22:23]
	v_and_b32_e32 v39, s13, v3
	v_bfe_u32 v3, v3, s9, 2
	v_cmp_eq_u32_e64 s[18:19], s74, v38
	v_cmp_eq_u32_e64 s[26:27], 0, v5
	;; [unrolled: 1-line block ×5, first 2 shown]
	v_cndmask_b32_e64 v2, 0, 1, s[22:23]
	s_and_b64 s[22:23], s[16:17], s[24:25]
	v_cmp_eq_u32_e64 s[20:21], s74, v39
	v_cmp_eq_u32_e64 s[28:29], 0, v3
	v_cmp_eq_u32_e64 s[38:39], 1, v3
	v_cmp_eq_u32_e64 s[46:47], 2, v3
	v_cmp_eq_u32_e64 s[54:55], 3, v3
	v_cndmask_b32_e64 v3, 0, 1, s[22:23]
	s_and_b64 s[22:23], s[18:19], s[26:27]
	v_cmp_eq_u32_e64 s[34:35], 1, v4
	v_cmp_eq_u32_e64 s[42:43], 2, v4
	;; [unrolled: 1-line block ×3, first 2 shown]
	v_cndmask_b32_e64 v4, 0, 1, s[22:23]
	s_and_b64 s[22:23], s[20:21], s[28:29]
	v_cmp_eq_u32_e64 s[36:37], 1, v5
	v_cmp_eq_u32_e64 s[44:45], 2, v5
	;; [unrolled: 1-line block ×3, first 2 shown]
	v_cndmask_b32_e64 v5, 0, 1, s[22:23]
	s_and_b64 s[22:23], s[14:15], s[30:31]
	v_cndmask_b32_e64 v36, 0, 1, s[22:23]
	s_and_b64 s[22:23], s[16:17], s[34:35]
	;; [unrolled: 2-line block ×5, first 2 shown]
	s_and_b64 s[14:15], s[14:15], s[48:49]
	v_cndmask_b32_e64 v40, 0, 1, s[22:23]
	s_and_b64 s[22:23], s[16:17], s[42:43]
	v_cndmask_b32_e64 v44, 0, 1, s[14:15]
	;; [unrolled: 2-line block ×7, first 2 shown]
	v_cndmask_b32_e64 v47, 0, 1, s[14:15]
	v_cmp_ne_u32_e64 s[14:15], 0, v2
	v_cmp_ne_u32_e64 s[16:17], 0, v3
	;; [unrolled: 1-line block ×11, first 2 shown]
	s_bcnt1_i32_b64 s14, s[14:15]
	s_bcnt1_i32_b64 s15, s[16:17]
	;; [unrolled: 1-line block ×8, first 2 shown]
	v_cmp_ne_u32_e64 s[28:29], 0, v39
	v_cmp_ne_u32_e64 s[36:37], 0, v42
	;; [unrolled: 1-line block ×3, first 2 shown]
	s_bcnt1_i32_b64 s19, s[24:25]
	s_bcnt1_i32_b64 s23, s[34:35]
	;; [unrolled: 1-line block ×3, first 2 shown]
	s_add_i32 s7, s7, s14
	s_add_i32 s6, s6, s18
	;; [unrolled: 1-line block ×4, first 2 shown]
	v_cmp_ne_u32_e64 s[38:39], 0, v43
	v_cmp_ne_u32_e64 s[46:47], 0, v47
	s_bcnt1_i32_b64 s21, s[28:29]
	s_bcnt1_i32_b64 s24, s[36:37]
	;; [unrolled: 1-line block ×3, first 2 shown]
	s_add_i32 s7, s7, s15
	s_add_i32 s6, s6, s19
	;; [unrolled: 1-line block ×4, first 2 shown]
	s_bcnt1_i32_b64 s25, s[38:39]
	s_bcnt1_i32_b64 s29, s[46:47]
	s_add_i32 s7, s7, s16
	s_add_i32 s6, s6, s20
	s_add_i32 s14, s14, s24
	s_add_i32 s15, s15, s28
	s_add_i32 s7, s7, s17
	s_add_i32 s6, s6, s21
	s_add_i32 s68, s14, s25
	s_add_i32 s79, s15, s29
	s_or_b64 s[84:85], vcc, s[84:85]
	v_mov_b32_e32 v2, s7
	v_mov_b32_e32 v3, s6
	;; [unrolled: 1-line block ×4, first 2 shown]
	s_andn2_b64 exec, exec, s[84:85]
	s_cbranch_execnz .LBB139_77
; %bb.78:                               ;   in Loop: Header=BB139_30 Depth=1
	s_or_b64 exec, exec, s[84:85]
	s_mov_b32 s54, s70
.LBB139_79:                             ;   in Loop: Header=BB139_30 Depth=1
	s_or_b64 exec, exec, s[82:83]
	v_add_u32_e32 v8, s8, v0
	v_cmp_gt_u32_e32 vcc, s69, v8
	s_and_saveexec_b64 s[24:25], vcc
	s_cbranch_execz .LBB139_83
; %bb.80:                               ;   in Loop: Header=BB139_30 Depth=1
	s_and_b32 s6, s3, 0xfe
	v_lshlrev_b32_e32 v35, 1, v8
	s_mov_b64 s[26:27], 0
.LBB139_81:                             ;   Parent Loop BB139_30 Depth=1
                                        ; =>  This Inner Loop Header: Depth=2
	ds_read_u16 v36, v35
	v_add_u32_e32 v8, s59, v8
	v_cmp_le_u32_e32 vcc, s69, v8
	v_add_u32_e32 v35, s1, v35
	s_waitcnt lgkmcnt(0)
	v_cmp_lt_i16_e64 s[14:15], -1, v36
	v_lshlrev_b32_e32 v37, 16, v36
	v_cndmask_b32_e64 v38, v29, v30, s[14:15]
	v_xor_b32_sdwa v36, v38, v36 dst_sel:DWORD dst_unused:UNUSED_PAD src0_sel:DWORD src1_sel:WORD_0
	v_cmp_o_f32_e64 s[14:15], v37, v37
	v_cndmask_b32_e64 v36, v29, v36, s[14:15]
	v_and_b32_e32 v37, s13, v36
	v_bfe_u32 v36, v36, s6, 2
	v_cmp_eq_u32_e64 s[14:15], s74, v37
	v_cmp_eq_u32_e64 s[16:17], 0, v36
	;; [unrolled: 1-line block ×3, first 2 shown]
	s_and_b64 s[8:9], s[14:15], s[16:17]
	v_cmp_eq_u32_e64 s[20:21], 2, v36
	v_cmp_eq_u32_e64 s[22:23], 3, v36
	v_cndmask_b32_e64 v36, 0, 1, s[8:9]
	s_and_b64 s[8:9], s[14:15], s[18:19]
	v_cndmask_b32_e64 v37, 0, 1, s[8:9]
	s_and_b64 s[8:9], s[14:15], s[20:21]
	;; [unrolled: 2-line block ×3, first 2 shown]
	v_cndmask_b32_e64 v39, 0, 1, s[8:9]
	v_cmp_ne_u32_e64 s[14:15], 0, v36
	v_cmp_ne_u32_e64 s[16:17], 0, v37
	v_cmp_ne_u32_e64 s[18:19], 0, v38
	v_cmp_ne_u32_e64 s[20:21], 0, v39
	s_bcnt1_i32_b64 s7, s[14:15]
	s_bcnt1_i32_b64 s8, s[16:17]
	;; [unrolled: 1-line block ×4, first 2 shown]
	v_add_u32_e32 v2, s7, v2
	v_add_u32_e32 v3, s8, v3
	;; [unrolled: 1-line block ×3, first 2 shown]
	s_or_b64 s[26:27], vcc, s[26:27]
	v_add_u32_e32 v5, s14, v5
	s_andn2_b64 exec, exec, s[26:27]
	s_cbranch_execnz .LBB139_81
; %bb.82:                               ;   in Loop: Header=BB139_30 Depth=1
	s_or_b64 exec, exec, s[26:27]
	s_or_b64 s[80:81], s[80:81], exec
.LBB139_83:                             ;   in Loop: Header=BB139_30 Depth=1
	s_or_b64 exec, exec, s[24:25]
.LBB139_84:                             ;   in Loop: Header=BB139_30 Depth=1
	s_and_saveexec_b64 s[14:15], s[80:81]
	s_or_b64 exec, exec, s[14:15]
	s_lshl_b32 s6, s78, 6
	s_and_saveexec_b64 s[14:15], s[4:5]
	s_cbranch_execz .LBB139_86
; %bb.85:                               ;   in Loop: Header=BB139_30 Depth=1
	v_or_b32_e32 v8, s6, v19
	v_lshlrev_b32_e32 v8, 2, v8
	s_waitcnt vmcnt(0)
	ds_write_b128 v8, v[2:5] offset:3072
.LBB139_86:                             ;   in Loop: Header=BB139_30 Depth=1
	s_or_b64 exec, exec, s[14:15]
	s_waitcnt lgkmcnt(0)
	s_barrier
	s_mov_b64 s[14:15], exec
	v_readlane_b32 s8, v52, 10
	v_readlane_b32 s9, v52, 11
	s_and_b64 s[8:9], s[14:15], s[8:9]
	s_mov_b64 exec, s[8:9]
	s_cbranch_execz .LBB139_100
; %bb.87:                               ;   in Loop: Header=BB139_30 Depth=1
	v_readlane_b32 s8, v52, 15
	v_readlane_b32 s9, v52, 16
	v_add_u32_e32 v4, s6, v13
	s_andn2_b64 vcc, exec, s[8:9]
	s_waitcnt vmcnt(0)
	v_mov_b32_e32 v2, 0
	s_cbranch_vccnz .LBB139_99
; %bb.88:                               ;   in Loop: Header=BB139_30 Depth=1
	v_readlane_b32 s8, v52, 19
	v_readlane_b32 s9, v52, 20
	s_mov_b32 s7, 0
	s_and_b64 vcc, exec, s[8:9]
	v_mov_b32_e32 v2, 0
	s_cbranch_vccz .LBB139_92
; %bb.89:                               ;   in Loop: Header=BB139_30 Depth=1
	v_readlane_b32 s8, v52, 23
	v_readlane_b32 s9, v52, 24
	v_lshl_add_u32 v5, v4, 2, v32
	s_andn2_b64 vcc, exec, s[8:9]
	s_cbranch_vccnz .LBB139_93
; %bb.90:                               ;   in Loop: Header=BB139_30 Depth=1
	s_mov_b32 s17, 1
	s_mov_b32 s16, 0
	v_mov_b32_e32 v2, 0
	v_readlane_b32 s7, v52, 25
	v_mov_b32_e32 v3, 0
.LBB139_91:                             ;   Parent Loop BB139_30 Depth=1
                                        ; =>  This Inner Loop Header: Depth=2
	v_lshl_add_u32 v8, s16, 4, v5
	v_lshl_add_u32 v35, s17, 4, v5
	ds_read2_b32 v[36:37], v8 offset1:8
	ds_read2_b32 v[38:39], v35 offset1:8
	ds_read2_b32 v[40:41], v8 offset0:16 offset1:24
	ds_read2_b32 v[42:43], v35 offset0:16 offset1:24
	ds_read2_b32 v[44:45], v8 offset0:32 offset1:40
	ds_read2_b32 v[46:47], v35 offset0:32 offset1:40
	ds_read2_b32 v[48:49], v8 offset0:48 offset1:56
	ds_read2_b32 v[50:51], v35 offset0:48 offset1:56
	s_waitcnt lgkmcnt(7)
	v_add3_u32 v2, v36, v2, v37
	s_waitcnt lgkmcnt(6)
	v_add3_u32 v3, v38, v3, v39
	;; [unrolled: 2-line block ×3, first 2 shown]
	v_add3_u32 v2, v40, v2, v41
	s_add_i32 s17, s17, 16
	s_add_i32 s16, s16, 16
	s_add_i32 s7, s7, -8
	s_waitcnt lgkmcnt(3)
	v_add3_u32 v2, v44, v2, v45
	s_waitcnt lgkmcnt(2)
	v_add3_u32 v3, v46, v3, v47
	s_cmp_lg_u32 s7, 0
	s_waitcnt lgkmcnt(0)
	v_add3_u32 v3, v50, v3, v51
	v_add3_u32 v2, v48, v2, v49
	s_cbranch_scc1 .LBB139_91
	s_branch .LBB139_94
.LBB139_92:                             ;   in Loop: Header=BB139_30 Depth=1
	s_cbranch_execnz .LBB139_97
	s_branch .LBB139_99
.LBB139_93:                             ;   in Loop: Header=BB139_30 Depth=1
	s_mov_b32 s55, s54
	v_pk_mov_b32 v[2:3], s[54:55], s[54:55] op_sel:[0,1]
	s_mov_b32 s55, 1
	s_mov_b64 s[16:17], s[54:55]
.LBB139_94:                             ;   in Loop: Header=BB139_30 Depth=1
	v_readlane_b32 s8, v52, 27
	v_readlane_b32 s9, v52, 28
	s_andn2_b64 vcc, exec, s[8:9]
	v_readlane_b32 s7, v52, 26
	s_cbranch_vccnz .LBB139_96
.LBB139_95:                             ;   Parent Loop BB139_30 Depth=1
                                        ; =>  This Inner Loop Header: Depth=2
	v_lshl_add_u32 v8, s16, 4, v5
	v_lshl_add_u32 v35, s17, 4, v5
	ds_read_b32 v35, v35
	ds_read_b32 v8, v8
	s_add_i32 s17, s17, 2
	s_add_i32 s16, s16, 2
	s_add_i32 s7, s7, -1
	s_cmp_lg_u32 s7, 0
	s_waitcnt lgkmcnt(1)
	v_add_u32_e32 v3, v35, v3
	s_waitcnt lgkmcnt(0)
	v_add_u32_e32 v2, v8, v2
	s_cbranch_scc1 .LBB139_95
.LBB139_96:                             ;   in Loop: Header=BB139_30 Depth=1
	v_readlane_b32 s16, v52, 31
	v_add_u32_e32 v2, v2, v3
	v_readlane_b32 s7, v52, 30
	v_readlane_b32 s17, v52, 32
	s_and_b64 vcc, exec, s[16:17]
	s_cbranch_vccz .LBB139_99
.LBB139_97:                             ;   in Loop: Header=BB139_30 Depth=1
	s_lshl_b32 s8, s78, 8
	s_lshl_b32 s9, s7, 4
	s_add_i32 s8, s8, s9
	v_add_u32_e32 v3, s8, v28
	v_readlane_b32 s8, v52, 29
	s_sub_i32 s7, s8, s7
.LBB139_98:                             ;   Parent Loop BB139_30 Depth=1
                                        ; =>  This Inner Loop Header: Depth=2
	ds_read_b32 v5, v3
	s_add_i32 s7, s7, -1
	v_add_u32_e32 v3, 16, v3
	s_cmp_eq_u32 s7, 0
	s_waitcnt lgkmcnt(0)
	v_add_u32_e32 v2, v5, v2
	s_cbranch_scc0 .LBB139_98
.LBB139_99:                             ;   in Loop: Header=BB139_30 Depth=1
	v_lshlrev_b32_e32 v3, 2, v4
	ds_write_b32 v3, v2 offset:3072
.LBB139_100:                            ;   in Loop: Header=BB139_30 Depth=1
	s_or_b64 exec, exec, s[14:15]
	s_lshl_b32 s6, s6, 2
	s_waitcnt vmcnt(0)
	v_mov_b32_e32 v2, s6
	s_waitcnt lgkmcnt(0)
	s_barrier
	ds_read_b128 v[2:5], v2 offset:3072
	s_and_b32 s43, s3, 0xfe
	s_lshl_b32 s51, 3, s43
	s_not_b32 s44, s51
	s_mov_b64 s[18:19], -1
	s_waitcnt lgkmcnt(0)
	v_readfirstlane_b32 s28, v2
	s_cmp_eq_u32 s28, 1
	s_cselect_b64 s[6:7], -1, 0
	s_cmp_eq_u32 s75, 1
	s_cselect_b64 s[8:9], -1, 0
	s_and_b64 s[20:21], s[6:7], s[8:9]
	v_readfirstlane_b32 s34, v3
	v_readfirstlane_b32 s42, v4
	;; [unrolled: 1-line block ×3, first 2 shown]
	s_and_b64 vcc, exec, s[20:21]
	s_cbranch_vccz .LBB139_112
; %bb.101:                              ;   in Loop: Header=BB139_30 Depth=1
	ds_read_b32 v2, v9 offset:4104
	s_waitcnt lgkmcnt(0)
	s_barrier
	v_readfirstlane_b32 s6, v2
	s_mov_b64 s[14:15], exec
	v_readlane_b32 s8, v52, 21
	v_readlane_b32 s9, v52, 22
	s_and_b64 s[8:9], s[14:15], s[8:9]
	s_mov_b64 exec, s[8:9]
	s_cbranch_execz .LBB139_103
; %bb.102:                              ;   in Loop: Header=BB139_30 Depth=1
	ds_write_b16 v18, v9
.LBB139_103:                            ;   in Loop: Header=BB139_30 Depth=1
	s_or_b64 exec, exec, s[14:15]
	s_and_b32 s74, s74, s44
	s_or_b32 s13, s13, s51
	s_cmp_eq_u32 s6, 0
	s_waitcnt lgkmcnt(0)
	s_barrier
	s_cbranch_scc1 .LBB139_113
; %bb.104:                              ;   in Loop: Header=BB139_30 Depth=1
	v_readlane_b32 s7, v52, 12
	s_add_i32 s7, s6, s7
	v_readlane_b32 s8, v52, 35
	s_mul_hi_u32 s8, s7, s8
	s_mul_i32 s8, s8, s59
	s_sub_i32 s8, s7, s8
	s_sub_i32 s9, s8, s59
	s_cmp_ge_u32 s8, s59
	s_cselect_b32 s8, s9, s8
	s_sub_i32 s9, s8, s59
	s_cmp_ge_u32 s8, s59
	s_cselect_b32 s8, s9, s8
	s_sub_i32 s7, s7, s8
	v_cmp_gt_u32_e32 vcc, s7, v0
	s_mov_b64 s[14:15], 0
                                        ; implicit-def: $vgpr34
	s_and_saveexec_b64 s[16:17], vcc
	s_cbranch_execz .LBB139_115
; %bb.105:                              ;   in Loop: Header=BB139_30 Depth=1
	s_mov_b64 s[22:23], 0
	v_mov_b32_e32 v2, v17
	v_mov_b32_e32 v3, v0
                                        ; implicit-def: $sgpr24_sgpr25
	s_branch .LBB139_107
.LBB139_106:                            ;   in Loop: Header=BB139_107 Depth=2
	s_or_b64 exec, exec, s[14:15]
	s_waitcnt lgkmcnt(0)
	s_barrier
	ds_read_b32 v4, v9 offset:3072
	v_add_u32_e32 v3, s59, v3
	v_cmp_le_u32_e64 s[14:15], s7, v3
	v_add_u32_e32 v2, s1, v2
	s_waitcnt lgkmcnt(0)
	v_and_b32_e32 v5, 0x7fff, v4
	v_cmp_ne_u16_e32 vcc, 0, v5
	s_or_b64 s[8:9], s[14:15], vcc
	s_and_b64 s[8:9], exec, s[8:9]
	s_or_b64 s[22:23], s[8:9], s[22:23]
	s_andn2_b64 s[8:9], s[24:25], exec
	s_and_b64 s[14:15], vcc, exec
	s_or_b64 s[24:25], s[8:9], s[14:15]
	s_barrier
	s_andn2_b64 exec, exec, s[22:23]
	s_cbranch_execz .LBB139_114
.LBB139_107:                            ;   Parent Loop BB139_30 Depth=1
                                        ; =>  This Inner Loop Header: Depth=2
	v_cmp_gt_u32_e32 vcc, s6, v3
	v_mov_b32_e32 v4, 0
	s_and_saveexec_b64 s[14:15], vcc
	s_cbranch_execz .LBB139_109
; %bb.108:                              ;   in Loop: Header=BB139_107 Depth=2
	ds_read_u16 v4, v2
.LBB139_109:                            ;   in Loop: Header=BB139_107 Depth=2
	s_or_b64 exec, exec, s[14:15]
	s_and_saveexec_b64 s[14:15], vcc
	s_cbranch_execz .LBB139_106
; %bb.110:                              ;   in Loop: Header=BB139_107 Depth=2
	s_waitcnt lgkmcnt(0)
	v_cmp_lt_i16_e32 vcc, -1, v4
	v_cndmask_b32_e32 v5, v29, v30, vcc
	v_lshlrev_b32_e32 v8, 16, v4
	v_xor_b32_sdwa v5, v5, v4 dst_sel:DWORD dst_unused:UNUSED_PAD src0_sel:DWORD src1_sel:WORD_0
	v_cmp_o_f32_e32 vcc, v8, v8
	v_cndmask_b32_e32 v5, v29, v5, vcc
	v_and_b32_e32 v5, s13, v5
	v_cmp_eq_u32_e32 vcc, s74, v5
	s_and_b64 exec, exec, vcc
	s_cbranch_execz .LBB139_106
; %bb.111:                              ;   in Loop: Header=BB139_107 Depth=2
	v_perm_b32 v4, v4, s2, v33
	ds_write_b32 v9, v4 offset:3072
	s_branch .LBB139_106
.LBB139_112:                            ;   in Loop: Header=BB139_30 Depth=1
	s_mov_b64 s[14:15], -1
                                        ; implicit-def: $sgpr16_sgpr17
                                        ; implicit-def: $sgpr24_sgpr25
                                        ; implicit-def: $sgpr22_sgpr23
	s_branch .LBB139_126
.LBB139_113:                            ;   in Loop: Header=BB139_30 Depth=1
	s_mov_b64 s[16:17], -1
	s_mov_b64 s[14:15], 0
                                        ; implicit-def: $sgpr22_sgpr23
                                        ; implicit-def: $vgpr34
	s_mov_b64 s[24:25], s[16:17]
	s_cbranch_execnz .LBB139_116
	s_branch .LBB139_126
.LBB139_114:                            ;   in Loop: Header=BB139_30 Depth=1
	s_or_b64 exec, exec, s[22:23]
	v_lshrrev_b32_e32 v34, 16, v4
	s_and_b64 s[14:15], s[24:25], exec
.LBB139_115:                            ;   in Loop: Header=BB139_30 Depth=1
	s_or_b64 exec, exec, s[16:17]
	s_mov_b64 s[22:23], -1
	s_mov_b64 s[16:17], 0
	s_mov_b64 s[24:25], s[16:17]
	s_branch .LBB139_126
.LBB139_116:                            ;   in Loop: Header=BB139_30 Depth=1
	s_mov_b64 s[14:15], 0
                                        ; implicit-def: $vgpr34
	s_mov_b64 s[16:17], exec
	v_readlane_b32 s6, v52, 36
	v_readlane_b32 s7, v52, 37
	s_and_b64 s[6:7], s[16:17], s[6:7]
	s_mov_b64 exec, s[6:7]
	s_cbranch_execz .LBB139_125
; %bb.117:                              ;   in Loop: Header=BB139_30 Depth=1
	s_mov_b64 s[22:23], 0
	v_mov_b32_e32 v8, v6
	v_mov_b32_e32 v2, v0
                                        ; implicit-def: $sgpr24_sgpr25
	s_branch .LBB139_119
.LBB139_118:                            ;   in Loop: Header=BB139_119 Depth=2
	s_or_b64 exec, exec, s[14:15]
	s_waitcnt lgkmcnt(0)
	s_barrier
	s_waitcnt vmcnt(0)
	ds_read_b32 v3, v9 offset:3072
	v_add_u32_e32 v2, s59, v2
	v_cmp_le_u32_e64 s[14:15], s72, v2
	v_add_u32_e32 v8, s76, v8
	s_waitcnt lgkmcnt(0)
	v_and_b32_e32 v4, 0x7fff, v3
	v_cmp_ne_u16_e32 vcc, 0, v4
	s_or_b64 s[6:7], s[14:15], vcc
	s_and_b64 s[6:7], exec, s[6:7]
	s_or_b64 s[22:23], s[6:7], s[22:23]
	s_andn2_b64 s[6:7], s[24:25], exec
	s_and_b64 s[8:9], vcc, exec
	s_or_b64 s[24:25], s[6:7], s[8:9]
	s_barrier
	s_andn2_b64 exec, exec, s[22:23]
	s_cbranch_execz .LBB139_124
.LBB139_119:                            ;   Parent Loop BB139_30 Depth=1
                                        ; =>  This Inner Loop Header: Depth=2
	v_cmp_gt_u32_e32 vcc, s56, v2
	v_mov_b32_e32 v3, 0
	s_and_saveexec_b64 s[26:27], vcc
	s_cbranch_execz .LBB139_121
; %bb.120:                              ;   in Loop: Header=BB139_119 Depth=2
	v_lshlrev_b64 v[4:5], 1, v[8:9]
	v_mov_b32_e32 v3, s62
	v_add_co_u32_e64 v4, s[14:15], s60, v4
	v_addc_co_u32_e64 v5, s[14:15], v3, v5, s[14:15]
	global_load_ushort v3, v[4:5], off
.LBB139_121:                            ;   in Loop: Header=BB139_119 Depth=2
	s_or_b64 exec, exec, s[26:27]
	s_and_saveexec_b64 s[14:15], vcc
	s_cbranch_execz .LBB139_118
; %bb.122:                              ;   in Loop: Header=BB139_119 Depth=2
	s_waitcnt vmcnt(0)
	v_cmp_lt_i16_e32 vcc, -1, v3
	v_cndmask_b32_e32 v4, v29, v30, vcc
	v_lshlrev_b32_e32 v5, 16, v3
	v_xor_b32_sdwa v4, v4, v3 dst_sel:DWORD dst_unused:UNUSED_PAD src0_sel:DWORD src1_sel:WORD_0
	v_cmp_o_f32_e32 vcc, v5, v5
	v_cndmask_b32_e32 v4, v29, v4, vcc
	v_and_b32_e32 v4, s13, v4
	v_cmp_eq_u32_e32 vcc, s74, v4
	s_and_b64 exec, exec, vcc
	s_cbranch_execz .LBB139_118
; %bb.123:                              ;   in Loop: Header=BB139_119 Depth=2
	v_perm_b32 v3, v3, s2, v33
	ds_write_b32 v9, v3 offset:3072
	s_branch .LBB139_118
.LBB139_124:                            ;   in Loop: Header=BB139_30 Depth=1
	s_or_b64 exec, exec, s[22:23]
	v_lshrrev_b32_e32 v34, 16, v3
	s_and_b64 s[14:15], s[24:25], exec
.LBB139_125:                            ;   in Loop: Header=BB139_30 Depth=1
	s_or_b64 exec, exec, s[16:17]
	s_mov_b64 s[24:25], -1
	s_mov_b64 s[16:17], 0
	s_mov_b64 s[22:23], 0
.LBB139_126:                            ;   in Loop: Header=BB139_30 Depth=1
	s_andn2_b64 s[6:7], s[66:67], exec
	s_and_b64 s[8:9], s[16:17], exec
	s_or_b64 s[66:67], s[6:7], s[8:9]
	s_andn2_b64 s[6:7], s[64:65], exec
	s_and_b64 s[8:9], s[24:25], exec
	s_or_b64 s[64:65], s[6:7], s[8:9]
	;; [unrolled: 3-line block ×3, first 2 shown]
	s_and_saveexec_b64 s[16:17], s[14:15]
	s_cbranch_execz .LBB139_29
; %bb.127:                              ;   in Loop: Header=BB139_30 Depth=1
	s_xor_b64 s[6:7], s[20:21], -1
	s_mov_b64 s[14:15], 0
	s_andn2_b64 vcc, exec, s[6:7]
	s_mov_b32 s35, 1
	s_cbranch_vccnz .LBB139_138
; %bb.128:                              ;   in Loop: Header=BB139_30 Depth=1
	s_cmp_gt_u32 s75, s28
	s_mov_b64 s[14:15], -1
                                        ; implicit-def: $sgpr53
                                        ; implicit-def: $sgpr6
                                        ; implicit-def: $sgpr7
	s_cbranch_scc1 .LBB139_134
; %bb.129:                              ;   in Loop: Header=BB139_30 Depth=1
	ds_read_b32 v2, v9 offset:4104
	s_waitcnt lgkmcnt(0)
	v_cmp_ne_u32_e32 vcc, 0, v2
	s_cbranch_vccnz .LBB139_133
; %bb.130:                              ;   in Loop: Header=BB139_30 Depth=1
	s_mov_b64 s[14:15], exec
	v_readlane_b32 s6, v52, 8
	v_readlane_b32 s7, v52, 9
	s_and_b64 s[6:7], s[14:15], s[6:7]
	s_mov_b64 exec, s[6:7]
	s_cbranch_execz .LBB139_132
; %bb.131:                              ;   in Loop: Header=BB139_30 Depth=1
	v_mov_b32_e32 v2, s28
	ds_write_b32 v9, v2 offset:4108
.LBB139_132:                            ;   in Loop: Header=BB139_30 Depth=1
	s_or_b64 exec, exec, s[14:15]
	s_waitcnt lgkmcnt(0)
	s_barrier
.LBB139_133:                            ;   in Loop: Header=BB139_30 Depth=1
	s_and_b32 s6, s74, s44
	s_or_b32 s7, s13, s51
	s_mov_b64 s[14:15], 0
	s_mov_b32 s53, 8
.LBB139_134:                            ;   in Loop: Header=BB139_30 Depth=1
	s_andn2_b64 vcc, exec, s[14:15]
	s_cbranch_vccnz .LBB139_136
; %bb.135:                              ;   in Loop: Header=BB139_30 Depth=1
	s_sub_i32 s75, s75, s28
	s_mov_b64 s[14:15], -1
	s_mov_b32 s53, 0
	s_mov_b32 s6, s74
	;; [unrolled: 1-line block ×3, first 2 shown]
.LBB139_136:                            ;   in Loop: Header=BB139_30 Depth=1
	s_mov_b32 s13, s7
	s_mov_b32 s74, s6
	;; [unrolled: 1-line block ×3, first 2 shown]
	s_mov_b64 s[18:19], -1
	s_and_b64 vcc, exec, s[14:15]
	s_cbranch_vccnz .LBB139_139
.LBB139_137:                            ;   in Loop: Header=BB139_30 Depth=1
	s_mov_b64 s[30:31], -1
                                        ; implicit-def: $sgpr20_sgpr21
                                        ; implicit-def: $sgpr24_sgpr25
                                        ; implicit-def: $sgpr22_sgpr23
                                        ; implicit-def: $sgpr75
	s_and_saveexec_b64 s[6:7], s[30:31]
	s_xor_b64 s[14:15], exec, s[6:7]
	s_cbranch_execz .LBB139_28
	s_branch .LBB139_262
.LBB139_138:                            ;   in Loop: Header=BB139_30 Depth=1
	s_mov_b32 s53, 1
	s_mov_b64 s[18:19], -1
	s_and_b64 vcc, exec, s[14:15]
	s_cbranch_vccz .LBB139_137
.LBB139_139:                            ;   in Loop: Header=BB139_30 Depth=1
	s_cmp_eq_u32 s34, 1
	s_cselect_b64 s[6:7], -1, 0
	s_cmp_eq_u32 s35, 1
	s_cselect_b64 s[8:9], -1, 0
	s_and_b64 s[28:29], s[6:7], s[8:9]
	s_mov_b64 s[14:15], -1
	s_and_b64 vcc, exec, s[28:29]
	s_cbranch_vccz .LBB139_151
; %bb.140:                              ;   in Loop: Header=BB139_30 Depth=1
	ds_read_b32 v2, v9 offset:4104
	s_waitcnt lgkmcnt(0)
	s_barrier
	v_readfirstlane_b32 s6, v2
	s_mov_b64 s[14:15], exec
	v_readlane_b32 s8, v52, 21
	v_readlane_b32 s9, v52, 22
	s_and_b64 s[8:9], s[14:15], s[8:9]
	s_mov_b64 exec, s[8:9]
	s_cbranch_execz .LBB139_142
; %bb.141:                              ;   in Loop: Header=BB139_30 Depth=1
	ds_write_b16 v18, v9
.LBB139_142:                            ;   in Loop: Header=BB139_30 Depth=1
	s_or_b64 exec, exec, s[14:15]
	s_lshl_b32 s7, 1, s43
	s_and_b32 s8, s74, s44
	s_or_b32 s74, s8, s7
	s_or_b32 s13, s13, s51
	s_cmp_eq_u32 s6, 0
	s_waitcnt lgkmcnt(0)
	s_barrier
	s_cbranch_scc1 .LBB139_152
; %bb.143:                              ;   in Loop: Header=BB139_30 Depth=1
	v_readlane_b32 s7, v52, 12
	s_add_i32 s7, s6, s7
	v_readlane_b32 s8, v52, 35
	s_mul_hi_u32 s8, s7, s8
	s_mul_i32 s8, s8, s59
	s_sub_i32 s8, s7, s8
	s_sub_i32 s9, s8, s59
	s_cmp_ge_u32 s8, s59
	s_cselect_b32 s8, s9, s8
	s_sub_i32 s9, s8, s59
	s_cmp_ge_u32 s8, s59
	s_cselect_b32 s8, s9, s8
	s_sub_i32 s7, s7, s8
	v_cmp_gt_u32_e32 vcc, s7, v0
	s_mov_b64 s[14:15], 0
                                        ; implicit-def: $vgpr34
	s_and_saveexec_b64 s[20:21], vcc
	s_cbranch_execz .LBB139_154
; %bb.144:                              ;   in Loop: Header=BB139_30 Depth=1
	s_mov_b64 s[22:23], 0
	v_mov_b32_e32 v2, v17
	v_mov_b32_e32 v3, v0
                                        ; implicit-def: $sgpr24_sgpr25
	s_branch .LBB139_146
.LBB139_145:                            ;   in Loop: Header=BB139_146 Depth=2
	s_or_b64 exec, exec, s[14:15]
	s_waitcnt lgkmcnt(0)
	s_barrier
	ds_read_b32 v4, v9 offset:3072
	v_add_u32_e32 v3, s59, v3
	v_cmp_le_u32_e64 s[14:15], s7, v3
	v_add_u32_e32 v2, s1, v2
	s_waitcnt lgkmcnt(0)
	v_and_b32_e32 v5, 0x7fff, v4
	v_cmp_ne_u16_e32 vcc, 0, v5
	s_or_b64 s[8:9], s[14:15], vcc
	s_and_b64 s[8:9], exec, s[8:9]
	s_or_b64 s[22:23], s[8:9], s[22:23]
	s_andn2_b64 s[8:9], s[24:25], exec
	s_and_b64 s[14:15], vcc, exec
	s_or_b64 s[24:25], s[8:9], s[14:15]
	s_barrier
	s_andn2_b64 exec, exec, s[22:23]
	s_cbranch_execz .LBB139_153
.LBB139_146:                            ;   Parent Loop BB139_30 Depth=1
                                        ; =>  This Inner Loop Header: Depth=2
	v_cmp_gt_u32_e32 vcc, s6, v3
	v_mov_b32_e32 v4, 0
	s_and_saveexec_b64 s[14:15], vcc
	s_cbranch_execz .LBB139_148
; %bb.147:                              ;   in Loop: Header=BB139_146 Depth=2
	ds_read_u16 v4, v2
.LBB139_148:                            ;   in Loop: Header=BB139_146 Depth=2
	s_or_b64 exec, exec, s[14:15]
	s_and_saveexec_b64 s[14:15], vcc
	s_cbranch_execz .LBB139_145
; %bb.149:                              ;   in Loop: Header=BB139_146 Depth=2
	s_waitcnt lgkmcnt(0)
	v_cmp_lt_i16_e32 vcc, -1, v4
	v_cndmask_b32_e32 v5, v29, v30, vcc
	v_lshlrev_b32_e32 v8, 16, v4
	v_xor_b32_sdwa v5, v5, v4 dst_sel:DWORD dst_unused:UNUSED_PAD src0_sel:DWORD src1_sel:WORD_0
	v_cmp_o_f32_e32 vcc, v8, v8
	v_cndmask_b32_e32 v5, v29, v5, vcc
	v_and_b32_e32 v5, s13, v5
	v_cmp_eq_u32_e32 vcc, s74, v5
	s_and_b64 exec, exec, vcc
	s_cbranch_execz .LBB139_145
; %bb.150:                              ;   in Loop: Header=BB139_146 Depth=2
	v_perm_b32 v4, v4, s2, v33
	ds_write_b32 v9, v4 offset:3072
	s_branch .LBB139_145
.LBB139_151:                            ;   in Loop: Header=BB139_30 Depth=1
                                        ; implicit-def: $sgpr22_sgpr23
                                        ; implicit-def: $sgpr24_sgpr25
                                        ; implicit-def: $sgpr20_sgpr21
	s_branch .LBB139_165
.LBB139_152:                            ;   in Loop: Header=BB139_30 Depth=1
	s_mov_b64 s[22:23], -1
	s_mov_b64 s[14:15], 0
                                        ; implicit-def: $sgpr20_sgpr21
                                        ; implicit-def: $vgpr34
	s_mov_b64 s[24:25], s[22:23]
	s_cbranch_execnz .LBB139_155
	s_branch .LBB139_165
.LBB139_153:                            ;   in Loop: Header=BB139_30 Depth=1
	s_or_b64 exec, exec, s[22:23]
	v_lshrrev_b32_e32 v34, 16, v4
	s_and_b64 s[14:15], s[24:25], exec
.LBB139_154:                            ;   in Loop: Header=BB139_30 Depth=1
	s_or_b64 exec, exec, s[20:21]
	s_mov_b64 s[20:21], -1
	s_mov_b64 s[22:23], 0
	s_mov_b64 s[24:25], s[22:23]
	s_branch .LBB139_165
.LBB139_155:                            ;   in Loop: Header=BB139_30 Depth=1
	s_mov_b64 s[14:15], 0
                                        ; implicit-def: $vgpr34
	s_mov_b64 s[20:21], exec
	v_readlane_b32 s6, v52, 36
	v_readlane_b32 s7, v52, 37
	s_and_b64 s[6:7], s[20:21], s[6:7]
	s_mov_b64 exec, s[6:7]
	s_cbranch_execz .LBB139_164
; %bb.156:                              ;   in Loop: Header=BB139_30 Depth=1
	s_mov_b64 s[22:23], 0
	v_mov_b32_e32 v8, v6
	v_mov_b32_e32 v2, v0
                                        ; implicit-def: $sgpr24_sgpr25
	s_branch .LBB139_158
.LBB139_157:                            ;   in Loop: Header=BB139_158 Depth=2
	s_or_b64 exec, exec, s[14:15]
	s_waitcnt lgkmcnt(0)
	s_barrier
	s_waitcnt vmcnt(0)
	ds_read_b32 v3, v9 offset:3072
	v_add_u32_e32 v2, s59, v2
	v_cmp_le_u32_e64 s[14:15], s72, v2
	v_add_u32_e32 v8, s76, v8
	s_waitcnt lgkmcnt(0)
	v_and_b32_e32 v4, 0x7fff, v3
	v_cmp_ne_u16_e32 vcc, 0, v4
	s_or_b64 s[6:7], s[14:15], vcc
	s_and_b64 s[6:7], exec, s[6:7]
	s_or_b64 s[22:23], s[6:7], s[22:23]
	s_andn2_b64 s[6:7], s[24:25], exec
	s_and_b64 s[8:9], vcc, exec
	s_or_b64 s[24:25], s[6:7], s[8:9]
	s_barrier
	s_andn2_b64 exec, exec, s[22:23]
	s_cbranch_execz .LBB139_163
.LBB139_158:                            ;   Parent Loop BB139_30 Depth=1
                                        ; =>  This Inner Loop Header: Depth=2
	v_cmp_gt_u32_e32 vcc, s56, v2
	v_mov_b32_e32 v3, 0
	s_and_saveexec_b64 s[26:27], vcc
	s_cbranch_execz .LBB139_160
; %bb.159:                              ;   in Loop: Header=BB139_158 Depth=2
	v_lshlrev_b64 v[4:5], 1, v[8:9]
	v_mov_b32_e32 v3, s62
	v_add_co_u32_e64 v4, s[14:15], s60, v4
	v_addc_co_u32_e64 v5, s[14:15], v3, v5, s[14:15]
	global_load_ushort v3, v[4:5], off
.LBB139_160:                            ;   in Loop: Header=BB139_158 Depth=2
	s_or_b64 exec, exec, s[26:27]
	s_and_saveexec_b64 s[14:15], vcc
	s_cbranch_execz .LBB139_157
; %bb.161:                              ;   in Loop: Header=BB139_158 Depth=2
	s_waitcnt vmcnt(0)
	v_cmp_lt_i16_e32 vcc, -1, v3
	v_cndmask_b32_e32 v4, v29, v30, vcc
	v_lshlrev_b32_e32 v5, 16, v3
	v_xor_b32_sdwa v4, v4, v3 dst_sel:DWORD dst_unused:UNUSED_PAD src0_sel:DWORD src1_sel:WORD_0
	v_cmp_o_f32_e32 vcc, v5, v5
	v_cndmask_b32_e32 v4, v29, v4, vcc
	v_and_b32_e32 v4, s13, v4
	v_cmp_eq_u32_e32 vcc, s74, v4
	s_and_b64 exec, exec, vcc
	s_cbranch_execz .LBB139_157
; %bb.162:                              ;   in Loop: Header=BB139_158 Depth=2
	v_perm_b32 v3, v3, s2, v33
	ds_write_b32 v9, v3 offset:3072
	s_branch .LBB139_157
.LBB139_163:                            ;   in Loop: Header=BB139_30 Depth=1
	s_or_b64 exec, exec, s[22:23]
	v_lshrrev_b32_e32 v34, 16, v3
	s_and_b64 s[14:15], s[24:25], exec
.LBB139_164:                            ;   in Loop: Header=BB139_30 Depth=1
	s_or_b64 exec, exec, s[20:21]
	s_mov_b64 s[24:25], -1
	s_mov_b64 s[22:23], 0
	s_mov_b64 s[20:21], 0
.LBB139_165:                            ;   in Loop: Header=BB139_30 Depth=1
	s_mov_b64 s[30:31], 0
                                        ; implicit-def: $sgpr53
	s_and_saveexec_b64 s[26:27], s[14:15]
	s_cbranch_execz .LBB139_261
; %bb.166:                              ;   in Loop: Header=BB139_30 Depth=1
	s_xor_b64 s[6:7], s[28:29], -1
	s_mov_b64 s[14:15], 0
	s_andn2_b64 vcc, exec, s[6:7]
	s_mov_b32 s45, 1
	s_cbranch_vccnz .LBB139_177
; %bb.167:                              ;   in Loop: Header=BB139_30 Depth=1
	s_cmp_gt_u32 s35, s34
	s_mov_b64 s[14:15], -1
                                        ; implicit-def: $sgpr53
                                        ; implicit-def: $sgpr6
                                        ; implicit-def: $sgpr7
	s_cbranch_scc1 .LBB139_173
; %bb.168:                              ;   in Loop: Header=BB139_30 Depth=1
	ds_read_b32 v2, v9 offset:4104
	s_waitcnt lgkmcnt(0)
	v_cmp_ne_u32_e32 vcc, 0, v2
	s_cbranch_vccnz .LBB139_172
; %bb.169:                              ;   in Loop: Header=BB139_30 Depth=1
	s_mov_b64 s[14:15], exec
	v_readlane_b32 s6, v52, 8
	v_readlane_b32 s7, v52, 9
	s_and_b64 s[6:7], s[14:15], s[6:7]
	s_mov_b64 exec, s[6:7]
	s_cbranch_execz .LBB139_171
; %bb.170:                              ;   in Loop: Header=BB139_30 Depth=1
	v_mov_b32_e32 v2, s34
	ds_write_b32 v9, v2 offset:4108
.LBB139_171:                            ;   in Loop: Header=BB139_30 Depth=1
	s_or_b64 exec, exec, s[14:15]
	s_waitcnt lgkmcnt(0)
	s_barrier
.LBB139_172:                            ;   in Loop: Header=BB139_30 Depth=1
	s_lshl_b32 s6, 1, s43
	s_and_b32 s7, s74, s44
	s_or_b32 s6, s7, s6
	s_or_b32 s7, s13, s51
	s_mov_b64 s[14:15], 0
	s_mov_b32 s53, 8
.LBB139_173:                            ;   in Loop: Header=BB139_30 Depth=1
	s_andn2_b64 vcc, exec, s[14:15]
	s_cbranch_vccnz .LBB139_175
; %bb.174:                              ;   in Loop: Header=BB139_30 Depth=1
	s_sub_i32 s35, s35, s34
	s_mov_b64 s[14:15], -1
	s_mov_b32 s53, 0
	s_mov_b32 s6, s74
	;; [unrolled: 1-line block ×3, first 2 shown]
.LBB139_175:                            ;   in Loop: Header=BB139_30 Depth=1
	s_mov_b32 s13, s7
	s_mov_b32 s74, s6
	;; [unrolled: 1-line block ×3, first 2 shown]
	s_andn2_b64 vcc, exec, s[14:15]
	s_mov_b64 s[40:41], -1
	s_cbranch_vccz .LBB139_178
.LBB139_176:                            ;   in Loop: Header=BB139_30 Depth=1
                                        ; implicit-def: $sgpr30_sgpr31
                                        ; implicit-def: $sgpr34_sgpr35
                                        ; implicit-def: $sgpr28_sgpr29
	s_branch .LBB139_260
.LBB139_177:                            ;   in Loop: Header=BB139_30 Depth=1
	s_mov_b32 s53, 1
	s_andn2_b64 vcc, exec, s[14:15]
	s_mov_b64 s[40:41], -1
	s_cbranch_vccnz .LBB139_176
.LBB139_178:                            ;   in Loop: Header=BB139_30 Depth=1
	s_cmp_eq_u32 s42, 1
	s_cselect_b64 s[6:7], -1, 0
	s_cmp_eq_u32 s45, 1
	s_cselect_b64 s[8:9], -1, 0
	s_and_b64 s[38:39], s[6:7], s[8:9]
	s_mov_b64 s[14:15], -1
	s_and_b64 vcc, exec, s[38:39]
	s_cbranch_vccz .LBB139_190
; %bb.179:                              ;   in Loop: Header=BB139_30 Depth=1
	ds_read_b32 v2, v9 offset:4104
	s_waitcnt lgkmcnt(0)
	s_barrier
	v_readfirstlane_b32 s6, v2
	s_mov_b64 s[14:15], exec
	v_readlane_b32 s8, v52, 21
	v_readlane_b32 s9, v52, 22
	s_and_b64 s[8:9], s[14:15], s[8:9]
	s_mov_b64 exec, s[8:9]
	s_cbranch_execz .LBB139_181
; %bb.180:                              ;   in Loop: Header=BB139_30 Depth=1
	ds_write_b16 v18, v9
.LBB139_181:                            ;   in Loop: Header=BB139_30 Depth=1
	s_or_b64 exec, exec, s[14:15]
	s_lshl_b32 s7, 2, s43
	s_and_b32 s8, s74, s44
	s_or_b32 s74, s8, s7
	s_or_b32 s13, s13, s51
	s_cmp_eq_u32 s6, 0
	s_waitcnt lgkmcnt(0)
	s_barrier
	s_cbranch_scc1 .LBB139_191
; %bb.182:                              ;   in Loop: Header=BB139_30 Depth=1
	v_readlane_b32 s7, v52, 12
	s_add_i32 s7, s6, s7
	v_readlane_b32 s8, v52, 35
	s_mul_hi_u32 s8, s7, s8
	s_mul_i32 s8, s8, s59
	s_sub_i32 s8, s7, s8
	s_sub_i32 s9, s8, s59
	s_cmp_ge_u32 s8, s59
	s_cselect_b32 s8, s9, s8
	s_sub_i32 s9, s8, s59
	s_cmp_ge_u32 s8, s59
	s_cselect_b32 s8, s9, s8
	s_sub_i32 s7, s7, s8
	v_cmp_gt_u32_e32 vcc, s7, v0
	s_mov_b64 s[14:15], 0
                                        ; implicit-def: $vgpr34
	s_and_saveexec_b64 s[28:29], vcc
	s_cbranch_execz .LBB139_193
; %bb.183:                              ;   in Loop: Header=BB139_30 Depth=1
	v_mov_b32_e32 v2, v17
	v_mov_b32_e32 v3, v0
                                        ; implicit-def: $sgpr34_sgpr35
	s_branch .LBB139_185
.LBB139_184:                            ;   in Loop: Header=BB139_185 Depth=2
	s_or_b64 exec, exec, s[14:15]
	s_waitcnt lgkmcnt(0)
	s_barrier
	ds_read_b32 v4, v9 offset:3072
	v_add_u32_e32 v3, s59, v3
	v_cmp_le_u32_e64 s[14:15], s7, v3
	v_add_u32_e32 v2, s1, v2
	s_waitcnt lgkmcnt(0)
	v_and_b32_e32 v5, 0x7fff, v4
	v_cmp_ne_u16_e32 vcc, 0, v5
	s_or_b64 s[8:9], s[14:15], vcc
	s_and_b64 s[8:9], exec, s[8:9]
	s_or_b64 s[30:31], s[8:9], s[30:31]
	s_andn2_b64 s[8:9], s[34:35], exec
	s_and_b64 s[14:15], vcc, exec
	s_or_b64 s[34:35], s[8:9], s[14:15]
	s_barrier
	s_andn2_b64 exec, exec, s[30:31]
	s_cbranch_execz .LBB139_192
.LBB139_185:                            ;   Parent Loop BB139_30 Depth=1
                                        ; =>  This Inner Loop Header: Depth=2
	v_cmp_gt_u32_e32 vcc, s6, v3
	v_mov_b32_e32 v4, 0
	s_and_saveexec_b64 s[14:15], vcc
	s_cbranch_execz .LBB139_187
; %bb.186:                              ;   in Loop: Header=BB139_185 Depth=2
	ds_read_u16 v4, v2
.LBB139_187:                            ;   in Loop: Header=BB139_185 Depth=2
	s_or_b64 exec, exec, s[14:15]
	s_and_saveexec_b64 s[14:15], vcc
	s_cbranch_execz .LBB139_184
; %bb.188:                              ;   in Loop: Header=BB139_185 Depth=2
	s_waitcnt lgkmcnt(0)
	v_cmp_lt_i16_e32 vcc, -1, v4
	v_cndmask_b32_e32 v5, v29, v30, vcc
	v_lshlrev_b32_e32 v8, 16, v4
	v_xor_b32_sdwa v5, v5, v4 dst_sel:DWORD dst_unused:UNUSED_PAD src0_sel:DWORD src1_sel:WORD_0
	v_cmp_o_f32_e32 vcc, v8, v8
	v_cndmask_b32_e32 v5, v29, v5, vcc
	v_and_b32_e32 v5, s13, v5
	v_cmp_eq_u32_e32 vcc, s74, v5
	s_and_b64 exec, exec, vcc
	s_cbranch_execz .LBB139_184
; %bb.189:                              ;   in Loop: Header=BB139_185 Depth=2
	v_perm_b32 v4, v4, s2, v33
	ds_write_b32 v9, v4 offset:3072
	s_branch .LBB139_184
.LBB139_190:                            ;   in Loop: Header=BB139_30 Depth=1
                                        ; implicit-def: $sgpr28_sgpr29
                                        ; implicit-def: $sgpr34_sgpr35
                                        ; implicit-def: $sgpr30_sgpr31
	s_branch .LBB139_204
.LBB139_191:                            ;   in Loop: Header=BB139_30 Depth=1
	s_mov_b64 s[28:29], -1
	s_mov_b64 s[14:15], 0
                                        ; implicit-def: $sgpr30_sgpr31
                                        ; implicit-def: $vgpr34
	s_mov_b64 s[34:35], s[28:29]
	s_cbranch_execnz .LBB139_194
	s_branch .LBB139_204
.LBB139_192:                            ;   in Loop: Header=BB139_30 Depth=1
	s_or_b64 exec, exec, s[30:31]
	v_lshrrev_b32_e32 v34, 16, v4
	s_and_b64 s[14:15], s[34:35], exec
.LBB139_193:                            ;   in Loop: Header=BB139_30 Depth=1
	s_or_b64 exec, exec, s[28:29]
	s_mov_b64 s[30:31], -1
	s_mov_b64 s[28:29], 0
	s_mov_b64 s[34:35], s[28:29]
	s_branch .LBB139_204
.LBB139_194:                            ;   in Loop: Header=BB139_30 Depth=1
	s_mov_b64 s[14:15], 0
                                        ; implicit-def: $vgpr34
	s_mov_b64 s[28:29], exec
	v_readlane_b32 s6, v52, 36
	v_readlane_b32 s7, v52, 37
	s_and_b64 s[6:7], s[28:29], s[6:7]
	s_mov_b64 exec, s[6:7]
	s_cbranch_execz .LBB139_203
; %bb.195:                              ;   in Loop: Header=BB139_30 Depth=1
	s_mov_b64 s[30:31], 0
	v_mov_b32_e32 v8, v6
	v_mov_b32_e32 v2, v0
                                        ; implicit-def: $sgpr34_sgpr35
	s_branch .LBB139_197
.LBB139_196:                            ;   in Loop: Header=BB139_197 Depth=2
	s_or_b64 exec, exec, s[14:15]
	s_waitcnt lgkmcnt(0)
	s_barrier
	s_waitcnt vmcnt(0)
	ds_read_b32 v3, v9 offset:3072
	v_add_u32_e32 v2, s59, v2
	v_cmp_le_u32_e64 s[14:15], s72, v2
	v_add_u32_e32 v8, s76, v8
	s_waitcnt lgkmcnt(0)
	v_and_b32_e32 v4, 0x7fff, v3
	v_cmp_ne_u16_e32 vcc, 0, v4
	s_or_b64 s[6:7], s[14:15], vcc
	s_and_b64 s[6:7], exec, s[6:7]
	s_or_b64 s[30:31], s[6:7], s[30:31]
	s_andn2_b64 s[6:7], s[34:35], exec
	s_and_b64 s[8:9], vcc, exec
	s_or_b64 s[34:35], s[6:7], s[8:9]
	s_barrier
	s_andn2_b64 exec, exec, s[30:31]
	s_cbranch_execz .LBB139_202
.LBB139_197:                            ;   Parent Loop BB139_30 Depth=1
                                        ; =>  This Inner Loop Header: Depth=2
	v_cmp_gt_u32_e32 vcc, s56, v2
	v_mov_b32_e32 v3, 0
	s_and_saveexec_b64 s[36:37], vcc
	s_cbranch_execz .LBB139_199
; %bb.198:                              ;   in Loop: Header=BB139_197 Depth=2
	v_lshlrev_b64 v[4:5], 1, v[8:9]
	v_mov_b32_e32 v3, s62
	v_add_co_u32_e64 v4, s[14:15], s60, v4
	v_addc_co_u32_e64 v5, s[14:15], v3, v5, s[14:15]
	global_load_ushort v3, v[4:5], off
.LBB139_199:                            ;   in Loop: Header=BB139_197 Depth=2
	s_or_b64 exec, exec, s[36:37]
	s_and_saveexec_b64 s[14:15], vcc
	s_cbranch_execz .LBB139_196
; %bb.200:                              ;   in Loop: Header=BB139_197 Depth=2
	s_waitcnt vmcnt(0)
	v_cmp_lt_i16_e32 vcc, -1, v3
	v_cndmask_b32_e32 v4, v29, v30, vcc
	v_lshlrev_b32_e32 v5, 16, v3
	v_xor_b32_sdwa v4, v4, v3 dst_sel:DWORD dst_unused:UNUSED_PAD src0_sel:DWORD src1_sel:WORD_0
	v_cmp_o_f32_e32 vcc, v5, v5
	v_cndmask_b32_e32 v4, v29, v4, vcc
	v_and_b32_e32 v4, s13, v4
	v_cmp_eq_u32_e32 vcc, s74, v4
	s_and_b64 exec, exec, vcc
	s_cbranch_execz .LBB139_196
; %bb.201:                              ;   in Loop: Header=BB139_197 Depth=2
	v_perm_b32 v3, v3, s2, v33
	ds_write_b32 v9, v3 offset:3072
	s_branch .LBB139_196
.LBB139_202:                            ;   in Loop: Header=BB139_30 Depth=1
	s_or_b64 exec, exec, s[30:31]
	v_lshrrev_b32_e32 v34, 16, v3
	s_and_b64 s[14:15], s[34:35], exec
.LBB139_203:                            ;   in Loop: Header=BB139_30 Depth=1
	s_or_b64 exec, exec, s[28:29]
	s_mov_b64 s[34:35], -1
	s_mov_b64 s[28:29], 0
	s_mov_b64 s[30:31], 0
.LBB139_204:                            ;   in Loop: Header=BB139_30 Depth=1
	s_mov_b64 s[40:41], 0
                                        ; implicit-def: $sgpr53
	s_and_saveexec_b64 s[36:37], s[14:15]
	s_cbranch_execz .LBB139_259
; %bb.205:                              ;   in Loop: Header=BB139_30 Depth=1
	s_xor_b64 s[6:7], s[38:39], -1
	s_mov_b64 s[14:15], 0
	s_andn2_b64 vcc, exec, s[6:7]
	s_mov_b32 s52, 1
	s_cbranch_vccnz .LBB139_216
; %bb.206:                              ;   in Loop: Header=BB139_30 Depth=1
	s_cmp_gt_u32 s45, s42
	s_mov_b64 s[14:15], -1
                                        ; implicit-def: $sgpr53
                                        ; implicit-def: $sgpr6
                                        ; implicit-def: $sgpr7
	s_cbranch_scc1 .LBB139_212
; %bb.207:                              ;   in Loop: Header=BB139_30 Depth=1
	ds_read_b32 v2, v9 offset:4104
	s_waitcnt lgkmcnt(0)
	v_cmp_ne_u32_e32 vcc, 0, v2
	s_cbranch_vccnz .LBB139_211
; %bb.208:                              ;   in Loop: Header=BB139_30 Depth=1
	s_mov_b64 s[14:15], exec
	v_readlane_b32 s6, v52, 8
	v_readlane_b32 s7, v52, 9
	s_and_b64 s[6:7], s[14:15], s[6:7]
	s_mov_b64 exec, s[6:7]
	s_cbranch_execz .LBB139_210
; %bb.209:                              ;   in Loop: Header=BB139_30 Depth=1
	v_mov_b32_e32 v2, s42
	ds_write_b32 v9, v2 offset:4108
.LBB139_210:                            ;   in Loop: Header=BB139_30 Depth=1
	s_or_b64 exec, exec, s[14:15]
	s_waitcnt lgkmcnt(0)
	s_barrier
.LBB139_211:                            ;   in Loop: Header=BB139_30 Depth=1
	s_lshl_b32 s6, 2, s43
	s_and_b32 s7, s74, s44
	s_or_b32 s6, s7, s6
	s_or_b32 s7, s13, s51
	s_mov_b64 s[14:15], 0
	s_mov_b32 s53, 8
.LBB139_212:                            ;   in Loop: Header=BB139_30 Depth=1
	s_andn2_b64 vcc, exec, s[14:15]
	s_cbranch_vccnz .LBB139_214
; %bb.213:                              ;   in Loop: Header=BB139_30 Depth=1
	s_sub_i32 s45, s45, s42
	s_mov_b64 s[14:15], -1
	s_mov_b32 s53, 0
	s_mov_b32 s6, s74
	;; [unrolled: 1-line block ×3, first 2 shown]
.LBB139_214:                            ;   in Loop: Header=BB139_30 Depth=1
	s_mov_b32 s13, s7
	s_mov_b32 s74, s6
	;; [unrolled: 1-line block ×3, first 2 shown]
	s_andn2_b64 vcc, exec, s[14:15]
	s_mov_b64 s[48:49], -1
	s_cbranch_vccz .LBB139_217
.LBB139_215:                            ;   in Loop: Header=BB139_30 Depth=1
                                        ; implicit-def: $sgpr14_sgpr15
                                        ; implicit-def: $sgpr42_sgpr43
                                        ; implicit-def: $sgpr40_sgpr41
	s_branch .LBB139_258
.LBB139_216:                            ;   in Loop: Header=BB139_30 Depth=1
	s_mov_b32 s53, 1
	s_andn2_b64 vcc, exec, s[14:15]
	s_mov_b64 s[48:49], -1
	s_cbranch_vccnz .LBB139_215
.LBB139_217:                            ;   in Loop: Header=BB139_30 Depth=1
	s_cmp_eq_u32 s50, 1
	s_cselect_b64 s[6:7], -1, 0
	s_cmp_eq_u32 s52, 1
	s_cselect_b64 s[8:9], -1, 0
	s_and_b64 s[38:39], s[6:7], s[8:9]
	s_mov_b64 s[44:45], -1
	s_and_b64 vcc, exec, s[38:39]
	s_cbranch_vccz .LBB139_229
; %bb.218:                              ;   in Loop: Header=BB139_30 Depth=1
	ds_read_b32 v2, v9 offset:4104
	s_waitcnt lgkmcnt(0)
	s_barrier
	v_readfirstlane_b32 s6, v2
	s_mov_b64 s[14:15], exec
	v_readlane_b32 s8, v52, 21
	v_readlane_b32 s9, v52, 22
	s_and_b64 s[8:9], s[14:15], s[8:9]
	s_mov_b64 exec, s[8:9]
	s_cbranch_execz .LBB139_220
; %bb.219:                              ;   in Loop: Header=BB139_30 Depth=1
	ds_write_b16 v18, v9
.LBB139_220:                            ;   in Loop: Header=BB139_30 Depth=1
	s_or_b64 exec, exec, s[14:15]
	s_or_b32 s74, s74, s51
	s_or_b32 s13, s13, s51
	s_cmp_eq_u32 s6, 0
	s_waitcnt lgkmcnt(0)
	s_barrier
	s_cbranch_scc1 .LBB139_230
; %bb.221:                              ;   in Loop: Header=BB139_30 Depth=1
	v_readlane_b32 s7, v52, 12
	s_add_i32 s7, s6, s7
	v_readlane_b32 s8, v52, 35
	s_mul_hi_u32 s8, s7, s8
	s_mul_i32 s8, s8, s59
	s_sub_i32 s8, s7, s8
	s_sub_i32 s9, s8, s59
	s_cmp_ge_u32 s8, s59
	s_cselect_b32 s8, s9, s8
	s_sub_i32 s9, s8, s59
	s_cmp_ge_u32 s8, s59
	s_cselect_b32 s8, s9, s8
	s_sub_i32 s7, s7, s8
	v_cmp_gt_u32_e32 vcc, s7, v0
	s_mov_b64 s[44:45], 0
                                        ; implicit-def: $vgpr34
	s_and_saveexec_b64 s[40:41], vcc
	s_cbranch_execz .LBB139_232
; %bb.222:                              ;   in Loop: Header=BB139_30 Depth=1
	s_mov_b64 s[42:43], 0
	v_mov_b32_e32 v2, v17
	v_mov_b32_e32 v3, v0
                                        ; implicit-def: $sgpr44_sgpr45
	s_branch .LBB139_224
.LBB139_223:                            ;   in Loop: Header=BB139_224 Depth=2
	s_or_b64 exec, exec, s[14:15]
	s_waitcnt lgkmcnt(0)
	s_barrier
	ds_read_b32 v4, v9 offset:3072
	v_add_u32_e32 v3, s59, v3
	v_cmp_le_u32_e64 s[14:15], s7, v3
	v_add_u32_e32 v2, s1, v2
	s_waitcnt lgkmcnt(0)
	v_and_b32_e32 v5, 0x7fff, v4
	v_cmp_ne_u16_e32 vcc, 0, v5
	s_or_b64 s[8:9], s[14:15], vcc
	s_and_b64 s[8:9], exec, s[8:9]
	s_or_b64 s[42:43], s[8:9], s[42:43]
	s_andn2_b64 s[8:9], s[44:45], exec
	s_and_b64 s[14:15], vcc, exec
	s_or_b64 s[44:45], s[8:9], s[14:15]
	s_barrier
	s_andn2_b64 exec, exec, s[42:43]
	s_cbranch_execz .LBB139_231
.LBB139_224:                            ;   Parent Loop BB139_30 Depth=1
                                        ; =>  This Inner Loop Header: Depth=2
	v_cmp_gt_u32_e32 vcc, s6, v3
	v_mov_b32_e32 v4, 0
	s_and_saveexec_b64 s[14:15], vcc
	s_cbranch_execz .LBB139_226
; %bb.225:                              ;   in Loop: Header=BB139_224 Depth=2
	ds_read_u16 v4, v2
.LBB139_226:                            ;   in Loop: Header=BB139_224 Depth=2
	s_or_b64 exec, exec, s[14:15]
	s_and_saveexec_b64 s[14:15], vcc
	s_cbranch_execz .LBB139_223
; %bb.227:                              ;   in Loop: Header=BB139_224 Depth=2
	s_waitcnt lgkmcnt(0)
	v_cmp_lt_i16_e32 vcc, -1, v4
	v_cndmask_b32_e32 v5, v29, v30, vcc
	v_lshlrev_b32_e32 v8, 16, v4
	v_xor_b32_sdwa v5, v5, v4 dst_sel:DWORD dst_unused:UNUSED_PAD src0_sel:DWORD src1_sel:WORD_0
	v_cmp_o_f32_e32 vcc, v8, v8
	v_cndmask_b32_e32 v5, v29, v5, vcc
	v_and_b32_e32 v5, s13, v5
	v_cmp_eq_u32_e32 vcc, s74, v5
	s_and_b64 exec, exec, vcc
	s_cbranch_execz .LBB139_223
; %bb.228:                              ;   in Loop: Header=BB139_224 Depth=2
	v_perm_b32 v4, v4, s2, v33
	ds_write_b32 v9, v4 offset:3072
	s_branch .LBB139_223
.LBB139_229:                            ;   in Loop: Header=BB139_30 Depth=1
                                        ; implicit-def: $sgpr14_sgpr15
                                        ; implicit-def: $sgpr42_sgpr43
                                        ; implicit-def: $sgpr40_sgpr41
	s_branch .LBB139_243
.LBB139_230:                            ;   in Loop: Header=BB139_30 Depth=1
	s_mov_b64 s[14:15], -1
	s_mov_b64 s[44:45], 0
                                        ; implicit-def: $sgpr40_sgpr41
                                        ; implicit-def: $vgpr34
	s_mov_b64 s[42:43], s[14:15]
	s_cbranch_execnz .LBB139_233
	s_branch .LBB139_243
.LBB139_231:                            ;   in Loop: Header=BB139_30 Depth=1
	s_or_b64 exec, exec, s[42:43]
	v_lshrrev_b32_e32 v34, 16, v4
	s_and_b64 s[44:45], s[44:45], exec
.LBB139_232:                            ;   in Loop: Header=BB139_30 Depth=1
	s_or_b64 exec, exec, s[40:41]
	s_mov_b64 s[40:41], -1
	s_mov_b64 s[14:15], 0
	s_mov_b64 s[42:43], s[14:15]
	s_branch .LBB139_243
.LBB139_233:                            ;   in Loop: Header=BB139_30 Depth=1
	s_mov_b64 s[44:45], 0
                                        ; implicit-def: $vgpr34
	s_mov_b64 s[40:41], exec
	v_readlane_b32 s6, v52, 36
	v_readlane_b32 s7, v52, 37
	s_and_b64 s[6:7], s[40:41], s[6:7]
	s_mov_b64 exec, s[6:7]
	s_cbranch_execz .LBB139_242
; %bb.234:                              ;   in Loop: Header=BB139_30 Depth=1
	s_mov_b64 s[42:43], 0
	v_mov_b32_e32 v8, v6
	v_mov_b32_e32 v2, v0
                                        ; implicit-def: $sgpr44_sgpr45
	s_branch .LBB139_236
.LBB139_235:                            ;   in Loop: Header=BB139_236 Depth=2
	s_or_b64 exec, exec, s[14:15]
	s_waitcnt lgkmcnt(0)
	s_barrier
	s_waitcnt vmcnt(0)
	ds_read_b32 v3, v9 offset:3072
	v_add_u32_e32 v2, s59, v2
	v_cmp_le_u32_e64 s[14:15], s72, v2
	v_add_u32_e32 v8, s76, v8
	s_waitcnt lgkmcnt(0)
	v_and_b32_e32 v4, 0x7fff, v3
	v_cmp_ne_u16_e32 vcc, 0, v4
	s_or_b64 s[6:7], s[14:15], vcc
	s_and_b64 s[6:7], exec, s[6:7]
	s_or_b64 s[42:43], s[6:7], s[42:43]
	s_andn2_b64 s[6:7], s[44:45], exec
	s_and_b64 s[8:9], vcc, exec
	s_or_b64 s[44:45], s[6:7], s[8:9]
	s_barrier
	s_andn2_b64 exec, exec, s[42:43]
	s_cbranch_execz .LBB139_241
.LBB139_236:                            ;   Parent Loop BB139_30 Depth=1
                                        ; =>  This Inner Loop Header: Depth=2
	v_cmp_gt_u32_e32 vcc, s56, v2
	v_mov_b32_e32 v3, 0
	s_and_saveexec_b64 s[46:47], vcc
	s_cbranch_execz .LBB139_238
; %bb.237:                              ;   in Loop: Header=BB139_236 Depth=2
	v_lshlrev_b64 v[4:5], 1, v[8:9]
	v_mov_b32_e32 v3, s62
	v_add_co_u32_e64 v4, s[14:15], s60, v4
	v_addc_co_u32_e64 v5, s[14:15], v3, v5, s[14:15]
	global_load_ushort v3, v[4:5], off
.LBB139_238:                            ;   in Loop: Header=BB139_236 Depth=2
	s_or_b64 exec, exec, s[46:47]
	s_and_saveexec_b64 s[14:15], vcc
	s_cbranch_execz .LBB139_235
; %bb.239:                              ;   in Loop: Header=BB139_236 Depth=2
	s_waitcnt vmcnt(0)
	v_cmp_lt_i16_e32 vcc, -1, v3
	v_cndmask_b32_e32 v4, v29, v30, vcc
	v_lshlrev_b32_e32 v5, 16, v3
	v_xor_b32_sdwa v4, v4, v3 dst_sel:DWORD dst_unused:UNUSED_PAD src0_sel:DWORD src1_sel:WORD_0
	v_cmp_o_f32_e32 vcc, v5, v5
	v_cndmask_b32_e32 v4, v29, v4, vcc
	v_and_b32_e32 v4, s13, v4
	v_cmp_eq_u32_e32 vcc, s74, v4
	s_and_b64 exec, exec, vcc
	s_cbranch_execz .LBB139_235
; %bb.240:                              ;   in Loop: Header=BB139_236 Depth=2
	v_perm_b32 v3, v3, s2, v33
	ds_write_b32 v9, v3 offset:3072
	s_branch .LBB139_235
.LBB139_241:                            ;   in Loop: Header=BB139_30 Depth=1
	s_or_b64 exec, exec, s[42:43]
	v_lshrrev_b32_e32 v34, 16, v3
	s_and_b64 s[44:45], s[44:45], exec
.LBB139_242:                            ;   in Loop: Header=BB139_30 Depth=1
	s_or_b64 exec, exec, s[40:41]
	s_mov_b64 s[42:43], -1
	s_mov_b64 s[14:15], 0
	s_mov_b64 s[40:41], 0
.LBB139_243:                            ;   in Loop: Header=BB139_30 Depth=1
	s_mov_b64 s[48:49], 0
                                        ; implicit-def: $sgpr53
	s_and_saveexec_b64 s[46:47], s[44:45]
	s_cbranch_execz .LBB139_257
; %bb.244:                              ;   in Loop: Header=BB139_30 Depth=1
	s_xor_b64 s[6:7], s[38:39], -1
	s_andn2_b64 vcc, exec, s[6:7]
	s_mov_b32 s53, 1
	s_cbranch_vccnz .LBB139_251
; %bb.245:                              ;   in Loop: Header=BB139_30 Depth=1
	s_cmp_gt_u32 s52, s50
	s_cbranch_scc1 .LBB139_252
; %bb.246:                              ;   in Loop: Header=BB139_30 Depth=1
	ds_read_b32 v2, v9 offset:4104
	s_waitcnt lgkmcnt(0)
	v_cmp_ne_u32_e32 vcc, 0, v2
	s_cbranch_vccnz .LBB139_250
; %bb.247:                              ;   in Loop: Header=BB139_30 Depth=1
	s_mov_b64 s[38:39], exec
	v_readlane_b32 s6, v52, 8
	v_readlane_b32 s7, v52, 9
	s_and_b64 s[6:7], s[38:39], s[6:7]
	s_mov_b64 exec, s[6:7]
	s_cbranch_execz .LBB139_249
; %bb.248:                              ;   in Loop: Header=BB139_30 Depth=1
	v_mov_b32_e32 v2, s50
	ds_write_b32 v9, v2 offset:4108
.LBB139_249:                            ;   in Loop: Header=BB139_30 Depth=1
	s_or_b64 exec, exec, s[38:39]
	s_waitcnt lgkmcnt(0)
	s_barrier
.LBB139_250:                            ;   in Loop: Header=BB139_30 Depth=1
	s_or_b32 s6, s74, s51
	s_or_b32 s7, s13, s51
	s_mov_b64 s[38:39], 0
	s_mov_b32 s53, 8
	s_branch .LBB139_253
.LBB139_251:                            ;   in Loop: Header=BB139_30 Depth=1
	s_mov_b32 s52, 1
	s_branch .LBB139_256
.LBB139_252:                            ;   in Loop: Header=BB139_30 Depth=1
	s_mov_b64 s[38:39], -1
                                        ; implicit-def: $sgpr53
                                        ; implicit-def: $sgpr6
                                        ; implicit-def: $sgpr7
.LBB139_253:                            ;   in Loop: Header=BB139_30 Depth=1
	s_andn2_b64 vcc, exec, s[38:39]
	s_cbranch_vccnz .LBB139_255
; %bb.254:                              ;   in Loop: Header=BB139_30 Depth=1
	s_sub_i32 s52, s52, s50
	s_mov_b32 s53, 8
	s_mov_b32 s6, s74
	;; [unrolled: 1-line block ×3, first 2 shown]
.LBB139_255:                            ;   in Loop: Header=BB139_30 Depth=1
	s_mov_b32 s74, s6
	s_mov_b32 s13, s7
.LBB139_256:                            ;   in Loop: Header=BB139_30 Depth=1
	s_mov_b64 s[48:49], exec
.LBB139_257:                            ;   in Loop: Header=BB139_30 Depth=1
	s_or_b64 exec, exec, s[46:47]
.LBB139_258:                            ;   in Loop: Header=BB139_30 Depth=1
	s_andn2_b64 s[6:7], s[28:29], exec
	s_and_b64 s[8:9], s[14:15], exec
	s_or_b64 s[28:29], s[6:7], s[8:9]
	s_andn2_b64 s[6:7], s[34:35], exec
	s_and_b64 s[8:9], s[42:43], exec
	s_or_b64 s[34:35], s[6:7], s[8:9]
	;; [unrolled: 3-line block ×3, first 2 shown]
	s_and_b64 s[40:41], s[48:49], exec
	s_mov_b32 s45, s52
.LBB139_259:                            ;   in Loop: Header=BB139_30 Depth=1
	s_or_b64 exec, exec, s[36:37]
.LBB139_260:                            ;   in Loop: Header=BB139_30 Depth=1
	s_andn2_b64 s[6:7], s[22:23], exec
	s_and_b64 s[8:9], s[28:29], exec
	s_or_b64 s[22:23], s[6:7], s[8:9]
	s_andn2_b64 s[6:7], s[24:25], exec
	s_and_b64 s[8:9], s[34:35], exec
	s_or_b64 s[24:25], s[6:7], s[8:9]
	;; [unrolled: 3-line block ×3, first 2 shown]
	s_and_b64 s[30:31], s[40:41], exec
	s_mov_b32 s35, s45
.LBB139_261:                            ;   in Loop: Header=BB139_30 Depth=1
	s_or_b64 exec, exec, s[26:27]
                                        ; implicit-def: $sgpr75
	s_and_saveexec_b64 s[6:7], s[30:31]
	s_xor_b64 s[14:15], exec, s[6:7]
	s_cbranch_execz .LBB139_28
.LBB139_262:                            ;   in Loop: Header=BB139_30 Depth=1
	s_and_b32 s6, s53, -9
	s_cmp_eq_u32 s6, 0
	s_cbranch_scc1 .LBB139_26
; %bb.263:                              ;   in Loop: Header=BB139_30 Depth=1
	s_mov_b64 s[18:19], -1
                                        ; implicit-def: $sgpr13
                                        ; implicit-def: $sgpr35
                                        ; implicit-def: $sgpr3
                                        ; implicit-def: $sgpr78
	s_mov_b64 s[26:27], -1
	s_branch .LBB139_27
.LBB139_264:
	s_or_b64 exec, exec, s[86:87]
	s_xor_b64 s[8:9], s[92:93], -1
	s_xor_b64 s[0:1], s[88:89], -1
	;; [unrolled: 1-line block ×3, first 2 shown]
	s_mov_b64 s[4:5], 0
	s_and_saveexec_b64 s[2:3], s[0:1]
	s_xor_b64 s[2:3], exec, s[2:3]
	s_cbranch_execnz .LBB139_269
; %bb.265:
	s_andn2_saveexec_b64 s[0:1], s[2:3]
	s_cbranch_execnz .LBB139_282
.LBB139_266:
	s_or_b64 exec, exec, s[0:1]
	s_and_saveexec_b64 s[0:1], s[4:5]
.LBB139_267:
	; divergent unreachable
.LBB139_268:
	s_endpgm
.LBB139_269:
	s_and_saveexec_b64 s[0:1], s[8:9]
	s_xor_b64 s[4:5], exec, s[0:1]
	s_cbranch_execz .LBB139_280
; %bb.270:
	s_and_saveexec_b64 s[0:1], s[6:7]
	s_xor_b64 s[6:7], exec, s[0:1]
; %bb.271:
	v_and_b32_e32 v1, 0x8000, v2
	v_mov_b32_e32 v3, 0x8000
	v_mov_b32_e32 v4, 0xffff
	v_cmp_eq_u32_e32 vcc, 0, v1
	v_cndmask_b32_e32 v1, v3, v4, vcc
	v_xor_b32_e32 v34, v1, v2
; %bb.272:
	s_or_b64 exec, exec, s[6:7]
	v_readlane_b32 s0, v52, 0
	s_mul_i32 s0, s0, s33
	s_add_i32 s0, s0, s61
	s_mov_b32 s1, 0
	s_lshl_b64 s[0:1], s[0:1], 1
	v_readlane_b32 s6, v52, 2
	v_readlane_b32 s7, v52, 3
	s_add_u32 s0, s6, s0
	s_addc_u32 s1, s7, s1
	v_mov_b32_e32 v7, 0
	global_store_short v7, v34, s[0:1]
	s_mov_b64 s[6:7], exec
	v_readlane_b32 s0, v52, 6
	v_readlane_b32 s1, v52, 7
	s_and_b64 s[0:1], s[6:7], s[0:1]
	s_mov_b64 exec, s[0:1]
	s_cbranch_execz .LBB139_279
; %bb.273:
	v_lshlrev_b32_e32 v1, 16, v34
	v_cmp_u_f32_e32 vcc, v1, v1
	s_mov_b64 s[8:9], 0
	v_mov_b32_e32 v3, s62
	s_xor_b64 s[12:13], vcc, -1
                                        ; implicit-def: $sgpr10_sgpr11
                                        ; implicit-def: $sgpr16_sgpr17
                                        ; implicit-def: $sgpr14_sgpr15
	s_branch .LBB139_275
.LBB139_274:                            ;   in Loop: Header=BB139_275 Depth=1
	s_or_b64 exec, exec, s[0:1]
	s_and_b64 s[0:1], exec, s[16:17]
	s_or_b64 s[8:9], s[0:1], s[8:9]
	s_andn2_b64 s[0:1], s[10:11], exec
	s_and_b64 s[10:11], s[14:15], exec
	s_or_b64 s[10:11], s[0:1], s[10:11]
	s_andn2_b64 exec, exec, s[8:9]
	s_cbranch_execz .LBB139_277
.LBB139_275:                            ; =>This Inner Loop Header: Depth=1
	v_lshlrev_b64 v[4:5], 1, v[6:7]
	v_add_co_u32_e32 v4, vcc, s60, v4
	v_addc_co_u32_e32 v5, vcc, v3, v5, vcc
	global_load_ushort v4, v[4:5], off
	v_mov_b32_e32 v2, v0
	s_or_b64 s[14:15], s[14:15], exec
	s_or_b64 s[16:17], s[16:17], exec
	s_waitcnt vmcnt(0)
	v_lshlrev_b32_e32 v0, 16, v4
	v_cmp_o_f32_e64 s[0:1], v0, v0
	v_cmp_neq_f32_e32 vcc, v0, v1
	s_or_b64 s[0:1], s[12:13], s[0:1]
	s_and_b64 s[18:19], vcc, s[0:1]
                                        ; implicit-def: $vgpr0
	s_and_saveexec_b64 s[0:1], s[18:19]
	s_cbranch_execz .LBB139_274
; %bb.276:                              ;   in Loop: Header=BB139_275 Depth=1
	v_add_u32_e32 v0, s59, v2
	v_cmp_le_u32_e32 vcc, s56, v0
	s_andn2_b64 s[16:17], s[16:17], exec
	s_and_b64 s[18:19], vcc, exec
	v_add_u32_e32 v6, s76, v6
	s_andn2_b64 s[14:15], s[14:15], exec
	s_or_b64 s[16:17], s[16:17], s[18:19]
	s_branch .LBB139_274
.LBB139_277:
	s_or_b64 exec, exec, s[8:9]
	s_and_saveexec_b64 s[0:1], s[10:11]
	s_xor_b64 s[0:1], exec, s[0:1]
	s_cbranch_execz .LBB139_279
; %bb.278:
	v_readlane_b32 s0, v52, 1
	s_mul_i32 s0, s0, s57
	s_add_i32 s0, s0, s63
	s_mov_b32 s1, 0
	s_lshl_b64 s[0:1], s[0:1], 3
	v_readlane_b32 s8, v52, 4
	v_readlane_b32 s9, v52, 5
	s_add_u32 s0, s8, s0
	s_addc_u32 s1, s9, s1
	v_mov_b32_e32 v3, 0
	global_store_dwordx2 v3, v[2:3], s[0:1]
.LBB139_279:
	s_or_b64 exec, exec, s[6:7]
.LBB139_280:
	s_or_saveexec_b64 s[0:1], s[4:5]
	s_mov_b64 s[4:5], 0
	s_xor_b64 exec, exec, s[0:1]
	s_cbranch_execnz .LBB139_283
.LBB139_281:
	s_or_b64 exec, exec, s[0:1]
	s_and_b64 s[4:5], s[4:5], exec
	s_andn2_saveexec_b64 s[0:1], s[2:3]
	s_cbranch_execz .LBB139_266
.LBB139_282:
	s_or_b64 s[4:5], s[4:5], exec
	s_trap 2
	s_or_b64 exec, exec, s[0:1]
	s_and_saveexec_b64 s[0:1], s[4:5]
	s_cbranch_execnz .LBB139_267
	s_branch .LBB139_268
.LBB139_283:
	s_mov_b64 s[4:5], exec
	s_trap 2
	s_branch .LBB139_281
	.section	.rodata,"a",@progbits
	.p2align	6, 0x0
	.amdhsa_kernel _ZN2at6native12_GLOBAL__N_112gatherMedianIN3c108BFloat16EjLin1EEEvNS_4cuda6detail10TensorInfoIT_T0_EENS7_IlS9_EENS7_IKS8_S9_EES9_S9_S9_b
		.amdhsa_group_segment_fixed_size 4120
		.amdhsa_private_segment_fixed_size 0
		.amdhsa_kernarg_size 920
		.amdhsa_user_sgpr_count 6
		.amdhsa_user_sgpr_private_segment_buffer 1
		.amdhsa_user_sgpr_dispatch_ptr 0
		.amdhsa_user_sgpr_queue_ptr 0
		.amdhsa_user_sgpr_kernarg_segment_ptr 1
		.amdhsa_user_sgpr_dispatch_id 0
		.amdhsa_user_sgpr_flat_scratch_init 0
		.amdhsa_user_sgpr_kernarg_preload_length 0
		.amdhsa_user_sgpr_kernarg_preload_offset 0
		.amdhsa_user_sgpr_private_segment_size 0
		.amdhsa_uses_dynamic_stack 0
		.amdhsa_system_sgpr_private_segment_wavefront_offset 0
		.amdhsa_system_sgpr_workgroup_id_x 1
		.amdhsa_system_sgpr_workgroup_id_y 1
		.amdhsa_system_sgpr_workgroup_id_z 1
		.amdhsa_system_sgpr_workgroup_info 0
		.amdhsa_system_vgpr_workitem_id 0
		.amdhsa_next_free_vgpr 53
		.amdhsa_next_free_sgpr 96
		.amdhsa_accum_offset 56
		.amdhsa_reserve_vcc 1
		.amdhsa_reserve_flat_scratch 0
		.amdhsa_float_round_mode_32 0
		.amdhsa_float_round_mode_16_64 0
		.amdhsa_float_denorm_mode_32 3
		.amdhsa_float_denorm_mode_16_64 3
		.amdhsa_dx10_clamp 1
		.amdhsa_ieee_mode 1
		.amdhsa_fp16_overflow 0
		.amdhsa_tg_split 0
		.amdhsa_exception_fp_ieee_invalid_op 0
		.amdhsa_exception_fp_denorm_src 0
		.amdhsa_exception_fp_ieee_div_zero 0
		.amdhsa_exception_fp_ieee_overflow 0
		.amdhsa_exception_fp_ieee_underflow 0
		.amdhsa_exception_fp_ieee_inexact 0
		.amdhsa_exception_int_div_zero 0
	.end_amdhsa_kernel
	.section	.text._ZN2at6native12_GLOBAL__N_112gatherMedianIN3c108BFloat16EjLin1EEEvNS_4cuda6detail10TensorInfoIT_T0_EENS7_IlS9_EENS7_IKS8_S9_EES9_S9_S9_b,"axG",@progbits,_ZN2at6native12_GLOBAL__N_112gatherMedianIN3c108BFloat16EjLin1EEEvNS_4cuda6detail10TensorInfoIT_T0_EENS7_IlS9_EENS7_IKS8_S9_EES9_S9_S9_b,comdat
.Lfunc_end139:
	.size	_ZN2at6native12_GLOBAL__N_112gatherMedianIN3c108BFloat16EjLin1EEEvNS_4cuda6detail10TensorInfoIT_T0_EENS7_IlS9_EENS7_IKS8_S9_EES9_S9_S9_b, .Lfunc_end139-_ZN2at6native12_GLOBAL__N_112gatherMedianIN3c108BFloat16EjLin1EEEvNS_4cuda6detail10TensorInfoIT_T0_EENS7_IlS9_EENS7_IKS8_S9_EES9_S9_S9_b
                                        ; -- End function
	.section	.AMDGPU.csdata,"",@progbits
; Kernel info:
; codeLenInByte = 11452
; NumSgprs: 100
; NumVgprs: 53
; NumAgprs: 0
; TotalNumVgprs: 53
; ScratchSize: 0
; MemoryBound: 0
; FloatMode: 240
; IeeeMode: 1
; LDSByteSize: 4120 bytes/workgroup (compile time only)
; SGPRBlocks: 12
; VGPRBlocks: 6
; NumSGPRsForWavesPerEU: 100
; NumVGPRsForWavesPerEU: 53
; AccumOffset: 56
; Occupancy: 8
; WaveLimiterHint : 1
; COMPUTE_PGM_RSRC2:SCRATCH_EN: 0
; COMPUTE_PGM_RSRC2:USER_SGPR: 6
; COMPUTE_PGM_RSRC2:TRAP_HANDLER: 0
; COMPUTE_PGM_RSRC2:TGID_X_EN: 1
; COMPUTE_PGM_RSRC2:TGID_Y_EN: 1
; COMPUTE_PGM_RSRC2:TGID_Z_EN: 1
; COMPUTE_PGM_RSRC2:TIDIG_COMP_CNT: 0
; COMPUTE_PGM_RSRC3_GFX90A:ACCUM_OFFSET: 13
; COMPUTE_PGM_RSRC3_GFX90A:TG_SPLIT: 0
	.section	.text._ZN2at6native12_GLOBAL__N_112gatherMedianIN3c108BFloat16EmLi1EEEvNS_4cuda6detail10TensorInfoIT_T0_EENS7_IlS9_EENS7_IKS8_S9_EES9_S9_S9_b,"axG",@progbits,_ZN2at6native12_GLOBAL__N_112gatherMedianIN3c108BFloat16EmLi1EEEvNS_4cuda6detail10TensorInfoIT_T0_EENS7_IlS9_EENS7_IKS8_S9_EES9_S9_S9_b,comdat
	.globl	_ZN2at6native12_GLOBAL__N_112gatherMedianIN3c108BFloat16EmLi1EEEvNS_4cuda6detail10TensorInfoIT_T0_EENS7_IlS9_EENS7_IKS8_S9_EES9_S9_S9_b ; -- Begin function _ZN2at6native12_GLOBAL__N_112gatherMedianIN3c108BFloat16EmLi1EEEvNS_4cuda6detail10TensorInfoIT_T0_EENS7_IlS9_EENS7_IKS8_S9_EES9_S9_S9_b
	.p2align	8
	.type	_ZN2at6native12_GLOBAL__N_112gatherMedianIN3c108BFloat16EmLi1EEEvNS_4cuda6detail10TensorInfoIT_T0_EENS7_IlS9_EENS7_IKS8_S9_EES9_S9_S9_b,@function
_ZN2at6native12_GLOBAL__N_112gatherMedianIN3c108BFloat16EmLi1EEEvNS_4cuda6detail10TensorInfoIT_T0_EENS7_IlS9_EENS7_IKS8_S9_EES9_S9_S9_b: ; @_ZN2at6native12_GLOBAL__N_112gatherMedianIN3c108BFloat16EmLi1EEEvNS_4cuda6detail10TensorInfoIT_T0_EENS7_IlS9_EENS7_IKS8_S9_EES9_S9_S9_b
; %bb.0:
	s_load_dwordx4 s[52:55], s[4:5], 0x4e0
	s_load_dwordx2 s[2:3], s[4:5], 0x500
	s_add_u32 s10, s4, 0x500
	s_addc_u32 s11, s5, 0
	s_mov_b32 s1, 0
	s_waitcnt lgkmcnt(0)
	v_mov_b32_e32 v2, s54
	s_mul_i32 s0, s3, s8
	s_add_i32 s0, s0, s7
	s_mul_i32 s0, s0, s2
	v_mov_b32_e32 v3, s55
	s_add_i32 s0, s0, s6
	v_cmp_ge_u64_e32 vcc, s[0:1], v[2:3]
	s_cbranch_vccnz .LBB140_289
; %bb.1:
	s_load_dwordx2 s[64:65], s[4:5], 0x4f0
	s_load_dwordx2 s[8:9], s[4:5], 0x410
	s_mov_b32 s14, s0
	s_load_dwordx2 s[0:1], s[4:5], 0x340
	s_load_dwordx2 s[12:13], s[4:5], 0x270
                                        ; implicit-def: $vgpr52 : SGPR spill to VGPR lane
	v_mov_b32_e32 v1, 0
	v_pk_mov_b32 v[2:3], 0, 0
	s_waitcnt lgkmcnt(0)
	s_mul_i32 s3, s9, s14
	s_mul_hi_u32 s7, s8, s14
	v_writelane_b32 v52, s12, 0
	v_writelane_b32 v52, s13, 1
	s_load_dwordx2 s[12:13], s[4:5], 0x1a0
	s_add_i32 s9, s7, s3
	s_mul_i32 s8, s8, s14
	s_waitcnt lgkmcnt(0)
	v_writelane_b32 v52, s12, 2
	v_writelane_b32 v52, s13, 3
	s_load_dwordx2 s[12:13], s[4:5], 0xd0
	s_waitcnt lgkmcnt(0)
	v_writelane_b32 v52, s12, 4
	v_writelane_b32 v52, s13, 5
	s_load_dwordx2 s[12:13], s[4:5], 0x0
	s_waitcnt lgkmcnt(0)
	v_writelane_b32 v52, s12, 6
	v_writelane_b32 v52, s13, 7
	s_mov_b32 s12, s14
	v_writelane_b32 v52, s12, 8
	v_writelane_b32 v52, s13, 9
	v_cmp_gt_u64_e64 s[14:15], s[52:53], v[0:1]
	s_mov_b64 s[12:13], exec
	v_writelane_b32 v52, s14, 10
	v_writelane_b32 v52, s15, 11
	s_and_b64 s[14:15], s[12:13], s[14:15]
	s_mov_b64 exec, s[14:15]
	s_cbranch_execz .LBB140_5
; %bb.2:
	s_load_dword s3, s[10:11], 0xc
	v_mad_u64_u32 v[2:3], s[14:15], s64, v0, 0
	v_mov_b32_e32 v4, v3
	v_mad_u64_u32 v[4:5], s[14:15], s65, v0, v[4:5]
	s_waitcnt lgkmcnt(0)
	s_and_b32 s3, s3, 0xffff
	s_lshl_b64 s[14:15], s[8:9], 1
	v_mov_b32_e32 v3, v4
	s_add_u32 s14, s0, s14
	v_lshlrev_b64 v[2:3], 1, v[2:3]
	s_addc_u32 s15, s1, s15
	v_mov_b32_e32 v5, s15
	v_add_co_u32_e32 v4, vcc, s14, v2
	s_mul_i32 s14, s65, s3
	s_mul_hi_u32 s15, s64, s3
	s_add_i32 s15, s15, s14
	s_mul_i32 s14, s64, s3
	s_mov_b32 s7, 0
	s_lshl_b64 s[16:17], s[14:15], 1
	v_addc_co_u32_e32 v5, vcc, v5, v3, vcc
	s_mov_b64 s[14:15], 0
	v_pk_mov_b32 v[2:3], 0, 0
	v_mov_b32_e32 v8, s7
	v_mov_b32_e32 v9, s17
	v_pk_mov_b32 v[6:7], v[0:1], v[0:1] op_sel:[0,1]
.LBB140_3:                              ; =>This Inner Loop Header: Depth=1
	global_load_ushort v10, v[4:5], off
	v_add_co_u32_e32 v6, vcc, s3, v6
	v_addc_co_u32_e32 v7, vcc, v7, v8, vcc
	v_add_co_u32_e32 v4, vcc, s16, v4
	v_addc_co_u32_e32 v5, vcc, v5, v9, vcc
	v_cmp_le_u64_e32 vcc, s[52:53], v[6:7]
	s_or_b64 s[14:15], vcc, s[14:15]
	s_waitcnt vmcnt(0)
	v_lshlrev_b32_e32 v10, 16, v10
	v_cmp_u_f32_e32 vcc, v10, v10
	v_cndmask_b32_e64 v10, 0, 1, vcc
	v_add_co_u32_e32 v2, vcc, v2, v10
	v_addc_co_u32_e32 v3, vcc, 0, v3, vcc
	s_andn2_b64 exec, exec, s[14:15]
	s_cbranch_execnz .LBB140_3
; %bb.4:
	s_or_b64 exec, exec, s[14:15]
.LBB140_5:
	s_or_b64 exec, exec, s[12:13]
	v_cmp_eq_u32_e64 s[14:15], 0, v0
	s_mov_b64 s[12:13], exec
	v_writelane_b32 v52, s14, 12
	v_writelane_b32 v52, s15, 13
	s_and_b64 s[14:15], s[12:13], s[14:15]
	s_mov_b64 exec, s[14:15]
	s_cbranch_execz .LBB140_7
; %bb.6:
	v_mov_b32_e32 v4, 0
	v_mov_b32_e32 v5, v4
	ds_write_b64 v4, v[4:5] offset:5136
.LBB140_7:
	s_or_b64 exec, exec, s[12:13]
	s_mov_b64 s[14:15], 0
	v_cmp_ne_u64_e32 vcc, 0, v[2:3]
	s_waitcnt lgkmcnt(0)
	s_barrier
	s_and_saveexec_b64 s[12:13], vcc
	s_cbranch_execz .LBB140_12
; %bb.8:
	s_mov_b64 s[16:17], exec
.LBB140_9:                              ; =>This Inner Loop Header: Depth=1
	s_ff1_i32_b64 s3, s[16:17]
	v_readlane_b32 s18, v2, s3
	v_readlane_b32 s7, v3, s3
	s_add_u32 s14, s14, s18
	s_addc_u32 s15, s15, s7
	s_lshl_b64 s[18:19], 1, s3
	s_andn2_b64 s[16:17], s[16:17], s[18:19]
	s_cmp_lg_u64 s[16:17], 0
	s_cbranch_scc1 .LBB140_9
; %bb.10:
	v_mbcnt_lo_u32_b32 v2, exec_lo, 0
	v_mbcnt_hi_u32_b32 v2, exec_hi, v2
	v_cmp_eq_u32_e32 vcc, 0, v2
	s_and_saveexec_b64 s[16:17], vcc
	s_xor_b64 s[16:17], exec, s[16:17]
	s_cbranch_execz .LBB140_12
; %bb.11:
	v_mov_b32_e32 v4, 0
	v_pk_mov_b32 v[2:3], s[14:15], s[14:15] op_sel:[0,1]
	ds_add_u64 v4, v[2:3] offset:5136
.LBB140_12:
	s_or_b64 exec, exec, s[12:13]
	v_mov_b32_e32 v13, 0
	s_waitcnt lgkmcnt(0)
	s_barrier
	ds_read_b64 v[2:3], v13 offset:5136
	s_waitcnt lgkmcnt(0)
	v_readfirstlane_b32 s12, v2
	v_readfirstlane_b32 s13, v3
	s_mov_b64 s[14:15], exec
	v_readlane_b32 s16, v52, 12
	v_readlane_b32 s17, v52, 13
	s_and_b64 s[16:17], s[14:15], s[16:17]
	s_mov_b64 exec, s[16:17]
	s_cbranch_execz .LBB140_14
; %bb.13:
	v_mov_b32_e32 v2, 0
	v_mov_b32_e32 v4, s52
	;; [unrolled: 1-line block ×4, first 2 shown]
	ds_write_b32 v2, v2 offset:5144
	ds_write_b128 v2, v[2:5] offset:5120
.LBB140_14:
	s_or_b64 exec, exec, s[14:15]
	s_load_dword s3, s[4:5], 0x4f8
	v_cmp_lt_i64_e64 s[4:5], s[12:13], 1
	v_mbcnt_lo_u32_b32 v2, -1, 0
	v_mbcnt_hi_u32_b32 v30, -1, v2
	v_cmp_gt_u32_e32 vcc, 64, v0
	s_waitcnt lgkmcnt(0)
	s_bitcmp1_b32 s3, 0
	s_cselect_b64 s[14:15], -1, 0
	s_not_b64 s[12:13], s[12:13]
	s_or_b64 s[4:5], s[14:15], s[4:5]
	s_add_u32 s12, s12, s52
	s_addc_u32 s13, s13, s53
	s_lshr_b64 s[12:13], s[12:13], 1
	s_add_u32 s3, s12, 1
	s_addc_u32 s7, s13, 0
	s_and_b64 s[4:5], s[4:5], exec
	s_cselect_b32 s73, s7, s53
	s_cselect_b32 s72, s3, s52
	s_lshl_b64 s[4:5], s[8:9], 1
	s_add_u32 s0, s0, s4
	v_cmp_gt_i32_e64 s[8:9], 4, v30
	s_addc_u32 s1, s1, s5
	s_and_b64 s[46:47], vcc, s[8:9]
	v_cmp_gt_u32_e64 s[8:9], 2, v0
	v_mov_b32_e32 v2, 0x600
	v_writelane_b32 v52, s8, 14
	v_mov_b32_e32 v3, 0
	s_barrier
	v_writelane_b32 v52, s9, 15
	v_cmp_gt_u64_e64 s[8:9], s[52:53], v[2:3]
	s_load_dword s3, s[10:11], 0xc
	v_writelane_b32 v52, s8, 16
	v_writelane_b32 v52, s9, 17
	v_mad_u64_u32 v[2:3], s[8:9], v0, s64, 0
	v_mov_b32_e32 v4, v3
	v_mad_u64_u32 v[4:5], s[8:9], v0, s65, v[4:5]
	s_waitcnt lgkmcnt(0)
	s_and_b32 s33, s3, 0xffff
	s_bfe_u32 s7, s3, 0xa0006
	v_cmp_gt_u16_e64 s[8:9], s3, 63
	v_writelane_b32 v52, s8, 18
	s_add_u32 s3, s33, -1
	v_writelane_b32 v52, s9, 19
	s_addc_u32 s8, 0, -1
	s_add_u32 s89, s3, s52
	s_addc_u32 s69, s8, s53
	s_cmp_lt_u32 s6, s2
	s_cselect_b32 s2, 12, 18
	s_add_u32 s48, s10, s2
	v_writelane_b32 v52, s3, 20
	s_addc_u32 s49, s11, 0
	s_add_i32 s2, s7, -1
	s_bfe_u32 s3, s33, 0x30006
	s_cmp_gt_u32 s2, 6
	v_writelane_b32 v52, s8, 21
	s_cselect_b64 s[8:9], -1, 0
	v_mov_b32_e32 v3, v4
	v_writelane_b32 v52, s8, 22
	s_and_b32 s86, s7, 0x3f8
	v_lshlrev_b64 v[4:5], 1, v[2:3]
	v_writelane_b32 v52, s9, 23
	s_cmp_lg_u32 s3, 0
	v_add_co_u32_e32 v10, vcc, s0, v4
	v_lshrrev_b32_e32 v4, 4, v0
	v_writelane_b32 v52, s3, 24
	s_cselect_b64 s[2:3], -1, 0
	v_mov_b32_e32 v6, s1
	v_and_b32_e32 v33, 60, v4
	v_lshlrev_b32_e32 v4, 2, v30
	v_writelane_b32 v52, s2, 25
	v_addc_co_u32_e32 v11, vcc, v6, v5, vcc
	v_and_b32_e32 v34, 0x100, v4
	v_lshlrev_b64 v[4:5], v30, -1
	v_writelane_b32 v52, s3, 26
	s_lshl_b64 s[2:3], s[64:65], 1
	v_lshlrev_b32_e32 v35, 3, v0
	v_not_b32_e32 v17, v5
	v_writelane_b32 v52, s2, 27
	v_or_b32_e32 v5, 6, v35
	v_writelane_b32 v52, s3, 28
	v_mad_u64_u32 v[18:19], s[2:3], s64, v5, 0
	v_not_b32_e32 v16, v4
	v_mov_b32_e32 v4, v19
	v_mad_u64_u32 v[4:5], s[2:3], s65, v5, v[4:5]
	s_lshl_b64 s[2:3], s[64:65], 3
	v_writelane_b32 v52, s2, 29
	v_or_b32_e32 v5, 4, v35
	v_writelane_b32 v52, s3, 30
	v_mad_u64_u32 v[20:21], s[2:3], s64, v5, 0
	v_mov_b32_e32 v19, v4
	v_mov_b32_e32 v4, v21
	v_mad_u64_u32 v[4:5], s[2:3], s65, v5, v[4:5]
	v_or_b32_e32 v5, 2, v35
	v_mad_u64_u32 v[22:23], s[2:3], s64, v5, 0
	v_mov_b32_e32 v21, v4
	v_mov_b32_e32 v4, v23
	v_writelane_b32 v52, s46, 31
	v_mad_u64_u32 v[4:5], s[2:3], s65, v5, v[4:5]
	v_writelane_b32 v52, s47, 32
	s_mul_i32 s2, s65, s33
	s_mul_hi_u32 s3, s64, s33
	v_writelane_b32 v52, s48, 33
	s_mov_b32 s71, 0
	v_cmp_eq_u32_e64 s[4:5], 0, v30
	v_lshlrev_b32_e32 v31, 1, v0
	v_lshlrev_b64 v[24:25], 3, v[2:3]
	v_mov_b32_e32 v2, 0xc00
	s_add_i32 s3, s3, s2
	s_mul_i32 s2, s64, s33
	v_writelane_b32 v52, s49, 34
	v_mov_b32_e32 v15, 0
	v_add_u32_e32 v32, 0xc00, v31
	v_lshlrev_b32_e32 v14, 2, v0
	s_mov_b32 s88, s71
	v_mov_b32_e32 v23, v4
	v_lshl_or_b32 v36, v30, 3, v2
	s_lshl_b32 s87, s33, 1
	s_lshl_b64 s[66:67], s[2:3], 1
	s_mov_b32 s51, 14
	s_mov_b64 s[90:91], 0
	s_movk_i32 s50, 0x3f80
	v_mov_b32_e32 v37, 0xffff
	v_mov_b32_e32 v38, 0x8000
	;; [unrolled: 1-line block ×3, first 2 shown]
	v_mov_b32_e32 v40, -1
	v_mov_b32_e32 v41, 0x5040100
	v_mov_b32_e32 v42, 0
	s_mov_b32 s74, 0
	s_mov_b32 s80, 0
	;; [unrolled: 1-line block ×3, first 2 shown]
	v_writelane_b32 v52, s4, 35
                                        ; implicit-def: $sgpr94_sgpr95
                                        ; implicit-def: $sgpr58_sgpr59
                                        ; implicit-def: $sgpr56_sgpr57
                                        ; implicit-def: $sgpr60_sgpr61
                                        ; implicit-def: $sgpr62_sgpr63
                                        ; implicit-def: $sgpr92_sgpr93
	v_writelane_b32 v52, s5, 36
	s_branch .LBB140_19
.LBB140_15:                             ;   in Loop: Header=BB140_19 Depth=1
	s_xor_b32 s74, s74, 1
	s_add_i32 s10, s51, -2
	s_cmp_eq_u32 s51, 0
	s_mov_b64 s[6:7], 0
	s_cselect_b64 s[8:9], -1, 0
	s_mov_b32 s51, s10
.LBB140_16:                             ;   in Loop: Header=BB140_19 Depth=1
	s_andn2_b64 s[10:11], s[20:21], exec
	s_and_b64 s[6:7], s[6:7], exec
	s_or_b64 s[20:21], s[10:11], s[6:7]
	s_andn2_b64 s[22:23], s[22:23], exec
	s_andn2_b64 s[18:19], s[18:19], exec
	s_orn2_b64 s[14:15], s[8:9], exec
.LBB140_17:                             ;   in Loop: Header=BB140_19 Depth=1
	s_or_b64 exec, exec, s[2:3]
	s_andn2_b64 s[2:3], s[92:93], exec
	s_and_b64 s[6:7], s[20:21], exec
	s_or_b64 s[92:93], s[2:3], s[6:7]
	s_andn2_b64 s[2:3], s[62:63], exec
	s_and_b64 s[6:7], s[22:23], exec
	s_or_b64 s[62:63], s[2:3], s[6:7]
	;; [unrolled: 3-line block ×3, first 2 shown]
	s_orn2_b64 s[18:19], s[14:15], exec
.LBB140_18:                             ;   in Loop: Header=BB140_19 Depth=1
	s_or_b64 exec, exec, s[12:13]
	s_and_b64 s[2:3], exec, s[18:19]
	s_or_b64 s[90:91], s[2:3], s[90:91]
	s_andn2_b64 s[2:3], s[56:57], exec
	s_and_b64 s[6:7], s[92:93], exec
	s_or_b64 s[56:57], s[2:3], s[6:7]
	s_andn2_b64 s[2:3], s[58:59], exec
	s_and_b64 s[6:7], s[62:63], exec
	;; [unrolled: 3-line block ×3, first 2 shown]
	v_mov_b32_e32 v2, s80
	s_or_b64 s[94:95], s[2:3], s[6:7]
	s_andn2_b64 exec, exec, s[90:91]
	s_cbranch_execz .LBB140_285
.LBB140_19:                             ; =>This Loop Header: Depth=1
                                        ;     Child Loop BB140_24 Depth 2
                                        ;     Child Loop BB140_39 Depth 2
	;; [unrolled: 1-line block ×16, first 2 shown]
	ds_read_b128 v[2:5], v13 offset:5120
	s_waitcnt lgkmcnt(0)
	v_readfirstlane_b32 s83, v3
	v_readfirstlane_b32 s82, v2
	s_cmp_lg_u64 s[82:83], 0
	s_cbranch_scc1 .LBB140_46
; %bb.20:                               ;   in Loop: Header=BB140_19 Depth=1
	v_readlane_b32 s2, v52, 16
	v_readlane_b32 s3, v52, 17
	s_and_b64 vcc, exec, s[2:3]
	s_cbranch_vccz .LBB140_32
; %bb.21:                               ;   in Loop: Header=BB140_19 Depth=1
	s_mov_b64 s[2:3], 0x601
	v_cmp_gt_u64_e32 vcc, s[2:3], v[4:5]
	s_mov_b64 s[82:83], 0
	s_mov_b64 s[2:3], 0
	s_cbranch_vccz .LBB140_33
; %bb.22:                               ;   in Loop: Header=BB140_19 Depth=1
	global_load_ushort v6, v13, s[48:49]
	global_load_ushort v7, v[10:11], off
	v_readlane_b32 s10, v52, 27
	v_pk_mov_b32 v[2:3], s[0:1], s[0:1] op_sel:[0,1]
	v_readlane_b32 s11, v52, 28
	s_waitcnt vmcnt(1)
	v_readfirstlane_b32 s6, v6
	s_and_b32 s6, 0xffff, s6
	v_add_u32_e32 v5, s6, v0
	s_mul_i32 s8, s11, s6
	s_mul_hi_u32 s9, s10, s6
	s_mul_i32 s16, s10, s6
	v_mad_u64_u32 v[2:3], s[6:7], s10, v5, v[2:3]
	v_mov_b32_e32 v4, v3
	v_mad_u64_u32 v[4:5], s[6:7], s11, v5, v[4:5]
	s_add_i32 s17, s9, s8
	v_mov_b32_e32 v3, v4
	v_pk_mov_b32 v[4:5], v[0:1], v[0:1] op_sel:[0,1]
	s_branch .LBB140_24
.LBB140_23:                             ;   in Loop: Header=BB140_24 Depth=2
	s_or_b64 exec, exec, s[6:7]
	v_mov_b32_e32 v7, s17
	v_add_co_u32_e32 v2, vcc, s16, v2
	v_addc_co_u32_e32 v3, vcc, v3, v7, vcc
	v_mov_b32_e32 v7, v8
	s_andn2_b64 exec, exec, s[2:3]
	s_cbranch_execz .LBB140_149
.LBB140_24:                             ;   Parent Loop BB140_19 Depth=1
                                        ; =>  This Inner Loop Header: Depth=2
	v_add_co_u32_sdwa v4, vcc, v4, v6 dst_sel:DWORD dst_unused:UNUSED_PAD src0_sel:DWORD src1_sel:WORD_0
	v_addc_co_u32_e32 v5, vcc, 0, v5, vcc
	v_cmp_gt_u64_e64 s[6:7], s[52:53], v[4:5]
	v_cmp_le_u64_e32 vcc, s[52:53], v[4:5]
	s_waitcnt lgkmcnt(0)
	v_mov_b32_e32 v9, 0
	v_mov_b32_e32 v8, 0
	s_and_saveexec_b64 s[8:9], s[6:7]
	s_cbranch_execz .LBB140_26
; %bb.25:                               ;   in Loop: Header=BB140_24 Depth=2
	global_load_ushort v8, v[2:3], off
.LBB140_26:                             ;   in Loop: Header=BB140_24 Depth=2
	s_or_b64 exec, exec, s[8:9]
	s_waitcnt vmcnt(0)
	v_cmp_lt_i16_e64 s[6:7], -1, v7
	v_cndmask_b32_e64 v12, v37, v38, s[6:7]
	v_lshlrev_b32_e32 v26, 16, v7
	v_xor_b32_sdwa v12, v12, v7 dst_sel:DWORD dst_unused:UNUSED_PAD src0_sel:DWORD src1_sel:WORD_0
	v_cmp_o_f32_e64 s[6:7], v26, v26
	v_cndmask_b32_e64 v12, v37, v12, s[6:7]
	v_and_b32_e32 v12, s81, v12
	v_cmp_eq_u32_e64 s[10:11], s80, v12
	s_cmp_lg_u64 s[10:11], 0
	s_cselect_b64 s[6:7], -1, 0
	s_and_b64 s[6:7], s[4:5], s[6:7]
	s_and_saveexec_b64 s[8:9], s[6:7]
	s_cbranch_execz .LBB140_30
; %bb.27:                               ;   in Loop: Header=BB140_24 Depth=2
	s_mov_b64 s[14:15], exec
	v_mbcnt_lo_u32_b32 v9, s14, 0
	v_mbcnt_hi_u32_b32 v9, s15, v9
	s_bcnt1_i32_b64 s18, s[10:11]
	v_cmp_eq_u32_e64 s[6:7], 0, v9
                                        ; implicit-def: $vgpr12
	s_and_saveexec_b64 s[12:13], s[6:7]
	s_cbranch_execz .LBB140_29
; %bb.28:                               ;   in Loop: Header=BB140_24 Depth=2
	s_bcnt1_i32_b64 s6, s[14:15]
	s_mul_i32 s6, s18, s6
	v_mov_b32_e32 v12, s6
	ds_add_rtn_u32 v12, v13, v12 offset:5144
.LBB140_29:                             ;   in Loop: Header=BB140_24 Depth=2
	s_or_b64 exec, exec, s[12:13]
	s_waitcnt lgkmcnt(0)
	v_readfirstlane_b32 s6, v12
	v_mov_b32_e32 v12, s6
	v_mad_u32_u24 v9, s18, v9, v12
.LBB140_30:                             ;   in Loop: Header=BB140_24 Depth=2
	s_or_b64 exec, exec, s[8:9]
	ds_bpermute_b32 v9, v34, v9
	s_and_b64 s[6:7], exec, vcc
	s_or_b64 s[2:3], s[6:7], s[2:3]
	s_and_saveexec_b64 s[6:7], s[10:11]
	s_cbranch_execz .LBB140_23
; %bb.31:                               ;   in Loop: Header=BB140_24 Depth=2
	v_and_b32_e32 v26, s10, v16
	v_and_b32_e32 v12, s11, v17
	v_bcnt_u32_b32 v26, v26, 0
	v_bcnt_u32_b32 v12, v12, v26
	v_lshlrev_b32_e32 v12, 1, v12
	s_waitcnt lgkmcnt(0)
	v_lshl_add_u32 v9, v9, 1, v12
	ds_write_b16 v9, v7
	s_branch .LBB140_23
.LBB140_32:                             ;   in Loop: Header=BB140_19 Depth=1
	s_mov_b64 s[82:83], -1
	s_mov_b64 s[2:3], 0
.LBB140_33:                             ;   in Loop: Header=BB140_19 Depth=1
	s_and_b64 vcc, exec, s[82:83]
	s_cbranch_vccz .LBB140_44
.LBB140_34:                             ;   in Loop: Header=BB140_19 Depth=1
	v_mov_b32_e32 v6, 0
	s_mov_b64 s[2:3], exec
	v_readlane_b32 s6, v52, 10
	v_readlane_b32 s7, v52, 11
	s_and_b64 s[6:7], s[2:3], s[6:7]
	s_mov_b64 exec, s[6:7]
	s_cbranch_execz .LBB140_36
; %bb.35:                               ;   in Loop: Header=BB140_19 Depth=1
	global_load_ushort v6, v[10:11], off
.LBB140_36:                             ;   in Loop: Header=BB140_19 Depth=1
	s_or_b64 exec, exec, s[2:3]
	s_mov_b64 s[2:3], exec
	v_readlane_b32 s6, v52, 10
	v_readlane_b32 s7, v52, 11
	s_and_b64 s[6:7], s[2:3], s[6:7]
	s_mov_b64 exec, s[6:7]
	s_cbranch_execz .LBB140_41
; %bb.37:                               ;   in Loop: Header=BB140_19 Depth=1
	global_load_ushort v7, v13, s[48:49]
	v_readlane_b32 s14, v52, 27
	v_pk_mov_b32 v[2:3], s[0:1], s[0:1] op_sel:[0,1]
	v_readlane_b32 s15, v52, 28
	s_mov_b64 s[8:9], 0
	v_mov_b32_e32 v8, v31
	s_waitcnt vmcnt(0)
	v_readfirstlane_b32 s6, v7
	s_and_b32 s6, 0xffff, s6
	v_add_u32_e32 v5, s6, v0
	s_lshl_b32 s12, s6, 1
	s_mul_i32 s10, s15, s6
	s_mul_hi_u32 s11, s14, s6
	s_mul_i32 s13, s14, s6
	v_mad_u64_u32 v[2:3], s[6:7], s14, v5, v[2:3]
	v_mov_b32_e32 v4, v3
	v_mad_u64_u32 v[4:5], s[6:7], s15, v5, v[4:5]
	s_add_i32 s14, s11, s10
	v_mov_b32_e32 v3, v4
	v_pk_mov_b32 v[4:5], v[0:1], v[0:1] op_sel:[0,1]
	s_branch .LBB140_39
.LBB140_38:                             ;   in Loop: Header=BB140_39 Depth=2
	s_or_b64 exec, exec, s[10:11]
	s_and_b64 s[6:7], exec, vcc
	ds_write_b16 v8, v6
	v_mov_b32_e32 v6, s14
	v_add_co_u32_e32 v2, vcc, s13, v2
	s_or_b64 s[8:9], s[6:7], s[8:9]
	v_add_u32_e32 v8, s12, v8
	v_addc_co_u32_e32 v3, vcc, v3, v6, vcc
	s_waitcnt vmcnt(0)
	v_mov_b32_e32 v6, v9
	s_andn2_b64 exec, exec, s[8:9]
	s_cbranch_execz .LBB140_41
.LBB140_39:                             ;   Parent Loop BB140_19 Depth=1
                                        ; =>  This Inner Loop Header: Depth=2
	v_add_co_u32_sdwa v4, vcc, v4, v7 dst_sel:DWORD dst_unused:UNUSED_PAD src0_sel:DWORD src1_sel:WORD_0
	v_addc_co_u32_e32 v5, vcc, 0, v5, vcc
	v_cmp_gt_u64_e64 s[6:7], s[52:53], v[4:5]
	v_cmp_le_u64_e32 vcc, s[52:53], v[4:5]
	v_mov_b32_e32 v9, 0
	s_and_saveexec_b64 s[10:11], s[6:7]
	s_cbranch_execz .LBB140_38
; %bb.40:                               ;   in Loop: Header=BB140_39 Depth=2
	global_load_ushort v9, v[2:3], off
	s_branch .LBB140_38
.LBB140_41:                             ;   in Loop: Header=BB140_19 Depth=1
	s_or_b64 exec, exec, s[2:3]
	s_waitcnt lgkmcnt(0)
	s_barrier
	s_mov_b64 s[2:3], exec
	v_readlane_b32 s6, v52, 12
	v_readlane_b32 s7, v52, 13
	s_and_b64 s[6:7], s[2:3], s[6:7]
	s_mov_b64 exec, s[6:7]
	s_cbranch_execz .LBB140_43
; %bb.42:                               ;   in Loop: Header=BB140_19 Depth=1
	v_pk_mov_b32 v[2:3], s[52:53], s[52:53] op_sel:[0,1]
	ds_write_b64 v13, v[2:3] offset:5120
.LBB140_43:                             ;   in Loop: Header=BB140_19 Depth=1
	s_or_b64 exec, exec, s[2:3]
	s_mov_b64 s[2:3], -1
	s_waitcnt lgkmcnt(0)
	s_barrier
                                        ; implicit-def: $sgpr82_sgpr83
.LBB140_44:                             ;   in Loop: Header=BB140_19 Depth=1
	s_and_b64 vcc, exec, s[2:3]
	s_cbranch_vccz .LBB140_46
; %bb.45:                               ;   in Loop: Header=BB140_19 Depth=1
	ds_read_b64 v[2:3], v13 offset:5120
	s_waitcnt lgkmcnt(0)
	v_readfirstlane_b32 s82, v2
.LBB140_46:                             ;   in Loop: Header=BB140_19 Depth=1
	s_cmp_lt_i32 s82, 1
	s_cbranch_scc0 .LBB140_61
; %bb.47:                               ;   in Loop: Header=BB140_19 Depth=1
	global_load_ushort v2, v13, s[48:49]
	s_mov_b32 s2, s71
	s_waitcnt vmcnt(0)
	v_readfirstlane_b32 s3, v2
	s_and_b32 s70, s3, 0xffff
	s_lshl_b32 s78, s70, 2
	s_mov_b32 s3, s53
	s_cmp_lg_u64 s[2:3], 0
	s_cbranch_scc0 .LBB140_81
; %bb.48:                               ;   in Loop: Header=BB140_19 Depth=1
	v_cvt_f32_u32_e32 v2, s78
	s_sub_u32 s2, 0, s78
	s_subb_u32 s3, 0, 0
	v_mac_f32_e32 v2, 0, v39
	v_rcp_f32_e32 v2, v2
	v_mul_f32_e32 v2, 0x5f7ffffc, v2
	v_mul_f32_e32 v3, 0x2f800000, v2
	v_trunc_f32_e32 v3, v3
	v_mac_f32_e32 v2, 0xcf800000, v3
	v_cvt_u32_f32_e32 v3, v3
	v_cvt_u32_f32_e32 v2, v2
	v_readfirstlane_b32 s6, v3
	v_readfirstlane_b32 s7, v2
	s_mul_i32 s8, s2, s6
	s_mul_hi_u32 s10, s2, s7
	s_mul_i32 s9, s3, s7
	s_add_i32 s8, s10, s8
	s_mul_i32 s11, s2, s7
	s_add_i32 s8, s8, s9
	s_mul_hi_u32 s10, s7, s11
	s_mul_hi_u32 s9, s7, s8
	s_mul_i32 s7, s7, s8
	s_add_u32 s7, s10, s7
	s_addc_u32 s9, 0, s9
	s_mul_hi_u32 s12, s6, s11
	s_mul_i32 s11, s6, s11
	s_add_u32 s7, s7, s11
	s_mul_hi_u32 s10, s6, s8
	s_addc_u32 s7, s9, s12
	s_addc_u32 s9, s10, 0
	s_mul_i32 s8, s6, s8
	s_add_u32 s7, s7, s8
	s_addc_u32 s8, 0, s9
	v_add_co_u32_e32 v2, vcc, s7, v2
	s_cmp_lg_u64 vcc, 0
	s_addc_u32 s6, s6, s8
	v_readfirstlane_b32 s8, v2
	s_mul_i32 s7, s2, s6
	s_mul_hi_u32 s9, s2, s8
	s_add_i32 s7, s9, s7
	s_mul_i32 s3, s3, s8
	s_add_i32 s7, s7, s3
	s_mul_i32 s2, s2, s8
	s_mul_hi_u32 s9, s6, s2
	s_mul_i32 s10, s6, s2
	s_mul_i32 s12, s8, s7
	s_mul_hi_u32 s2, s8, s2
	s_mul_hi_u32 s11, s8, s7
	s_add_u32 s2, s2, s12
	s_addc_u32 s8, 0, s11
	s_add_u32 s2, s2, s10
	s_mul_hi_u32 s3, s6, s7
	s_addc_u32 s2, s8, s9
	s_addc_u32 s3, s3, 0
	s_mul_i32 s7, s6, s7
	s_add_u32 s2, s2, s7
	s_addc_u32 s3, 0, s3
	v_add_co_u32_e32 v2, vcc, s2, v2
	s_cmp_lg_u64 vcc, 0
	s_addc_u32 s2, s6, s3
	v_readfirstlane_b32 s7, v2
	s_mul_i32 s6, s52, s2
	s_mul_hi_u32 s8, s52, s7
	s_mul_hi_u32 s3, s52, s2
	s_add_u32 s6, s8, s6
	s_addc_u32 s3, 0, s3
	s_mul_hi_u32 s9, s53, s7
	s_mul_i32 s7, s53, s7
	s_add_u32 s6, s6, s7
	s_mul_hi_u32 s8, s53, s2
	s_addc_u32 s3, s3, s9
	s_addc_u32 s6, s8, 0
	s_mul_i32 s2, s53, s2
	s_add_u32 s2, s3, s2
	s_addc_u32 s3, 0, s6
	s_mul_hi_u32 s6, s78, s2
	s_mul_i32 s2, s78, s2
	s_mul_i32 s3, s78, s3
	v_mov_b32_e32 v2, s2
	s_add_i32 s6, s6, s3
	v_sub_co_u32_e32 v2, vcc, s52, v2
	s_cmp_lg_u64 vcc, 0
	s_subb_u32 s2, s53, s6
	v_subrev_co_u32_e32 v3, vcc, s78, v2
	s_cmp_lg_u64 vcc, 0
	s_subb_u32 s3, s2, 0
	v_subrev_co_u32_e32 v4, vcc, s78, v3
	s_cmp_lg_u64 vcc, 0
	s_subb_u32 s6, s3, 0
	v_cmp_le_u32_e32 vcc, s78, v3
	s_cmp_eq_u32 s3, 0
	v_cndmask_b32_e64 v5, 0, -1, vcc
	s_cselect_b64 vcc, -1, 0
	v_cndmask_b32_e32 v5, -1, v5, vcc
	v_mov_b32_e32 v6, s3
	v_mov_b32_e32 v7, s6
	v_cmp_ne_u32_e32 vcc, 0, v5
	v_cndmask_b32_e32 v5, v6, v7, vcc
	v_cndmask_b32_e32 v4, v3, v4, vcc
	v_cmp_le_u32_e32 vcc, s78, v2
	s_cmp_eq_u32 s2, 0
	v_cndmask_b32_e64 v3, 0, -1, vcc
	s_cselect_b64 vcc, -1, 0
	v_cndmask_b32_e32 v3, -1, v3, vcc
	v_mov_b32_e32 v6, s2
	v_cmp_ne_u32_e32 vcc, 0, v3
	v_cndmask_b32_e32 v3, v6, v5, vcc
	v_cndmask_b32_e32 v2, v2, v4, vcc
	s_cbranch_execnz .LBB140_50
.LBB140_49:                             ;   in Loop: Header=BB140_19 Depth=1
	v_cvt_f32_u32_e32 v2, s78
	s_sub_i32 s2, 0, s78
	v_rcp_iflag_f32_e32 v2, v2
	v_mul_f32_e32 v2, 0x4f7ffffe, v2
	v_cvt_u32_f32_e32 v2, v2
	v_mul_lo_u32 v3, s2, v2
	v_mul_hi_u32 v3, v2, v3
	v_add_u32_e32 v2, v2, v3
	v_mul_hi_u32 v2, s52, v2
	v_mul_lo_u32 v2, v2, s78
	v_sub_u32_e32 v2, s52, v2
	v_subrev_u32_e32 v3, s78, v2
	v_cmp_le_u32_e32 vcc, s78, v2
	v_cndmask_b32_e32 v2, v2, v3, vcc
	v_subrev_u32_e32 v3, s78, v2
	v_cmp_le_u32_e32 vcc, s78, v2
	v_cndmask_b32_e32 v12, v2, v3, vcc
	v_pk_mov_b32 v[2:3], v[12:13], v[12:13] op_sel:[0,1]
.LBB140_50:                             ;   in Loop: Header=BB140_19 Depth=1
	v_mov_b32_e32 v4, s53
	v_sub_co_u32_e32 v26, vcc, s52, v2
	v_subb_co_u32_e32 v27, vcc, v4, v3, vcc
	v_pk_mov_b32 v[2:3], 0, 0
	v_cmp_gt_u64_e32 vcc, v[26:27], v[14:15]
	s_mov_b64 s[54:55], 0
	v_pk_mov_b32 v[4:5], v[2:3], v[2:3] op_sel:[0,1]
	v_pk_mov_b32 v[6:7], v[2:3], v[2:3] op_sel:[0,1]
	v_pk_mov_b32 v[8:9], v[2:3], v[2:3] op_sel:[0,1]
	s_and_saveexec_b64 s[84:85], vcc
	s_cbranch_execz .LBB140_54
; %bb.51:                               ;   in Loop: Header=BB140_19 Depth=1
	v_readlane_b32 s6, v52, 29
	v_readlane_b32 s7, v52, 30
	s_mul_i32 s2, s7, s70
	s_mul_hi_u32 s3, s6, s70
	s_mov_b64 s[4:5], s[72:73]
	s_mov_b32 s75, s69
	s_mov_b32 s73, s89
	;; [unrolled: 1-line block ×3, first 2 shown]
	s_and_b32 s83, s51, 0xfe
	s_add_i32 s72, s3, s2
	s_mul_i32 s89, s6, s70
	s_mov_b64 s[68:69], s[0:1]
	s_mov_b64 s[8:9], 0
	;; [unrolled: 1-line block ×5, first 2 shown]
	v_pk_mov_b32 v[28:29], v[14:15], v[14:15] op_sel:[0,1]
.LBB140_52:                             ;   Parent Loop BB140_19 Depth=1
                                        ; =>  This Inner Loop Header: Depth=2
	v_add_co_u32_e64 v28, s[6:7], s78, v28
	v_addc_co_u32_e64 v29, s[6:7], 0, v29, s[6:7]
	v_mov_b32_e32 v7, s69
	v_add_co_u32_e32 v2, vcc, s68, v22
	v_add_co_u32_e64 v8, s[6:7], s68, v24
	v_add_co_u32_e64 v4, s[10:11], s68, v20
	;; [unrolled: 1-line block ×3, first 2 shown]
	v_addc_co_u32_e64 v9, s[6:7], v7, v25, s[6:7]
	v_addc_co_u32_e32 v3, vcc, v7, v23, vcc
	v_addc_co_u32_e64 v5, vcc, v7, v21, s[10:11]
	v_addc_co_u32_e64 v7, vcc, v7, v19, s[12:13]
	global_load_ushort v8, v[8:9], off
	s_nop 0
	global_load_ushort v2, v[2:3], off
	s_nop 0
	;; [unrolled: 2-line block ×3, first 2 shown]
	global_load_ushort v4, v[6:7], off
	v_cmp_ge_u64_e32 vcc, v[28:29], v[26:27]
	s_waitcnt vmcnt(3)
	v_cmp_lt_i16_e64 s[6:7], -1, v8
	v_cndmask_b32_e64 v12, v37, v38, s[6:7]
	s_waitcnt vmcnt(2)
	v_cmp_lt_i16_e64 s[6:7], -1, v2
	v_cndmask_b32_e64 v43, v37, v38, s[6:7]
	s_waitcnt vmcnt(1)
	v_cmp_lt_i16_e64 s[6:7], -1, v3
	v_lshlrev_b32_e32 v5, 16, v8
	v_lshlrev_b32_e32 v6, 16, v2
	v_cndmask_b32_e64 v44, v37, v38, s[6:7]
	s_waitcnt vmcnt(0)
	v_cmp_lt_i16_e64 s[6:7], -1, v4
	v_cndmask_b32_e64 v45, v37, v38, s[6:7]
	v_cmp_o_f32_e64 s[6:7], v6, v6
	v_xor_b32_sdwa v6, v12, v8 dst_sel:DWORD dst_unused:UNUSED_PAD src0_sel:DWORD src1_sel:WORD_0
	v_cmp_o_f32_e64 s[14:15], v5, v5
	v_lshlrev_b32_e32 v7, 16, v3
	v_xor_b32_sdwa v2, v43, v2 dst_sel:DWORD dst_unused:UNUSED_PAD src0_sel:DWORD src1_sel:WORD_0
	v_cndmask_b32_e64 v5, v37, v6, s[14:15]
	v_lshlrev_b32_e32 v9, 16, v4
	v_xor_b32_sdwa v3, v44, v3 dst_sel:DWORD dst_unused:UNUSED_PAD src0_sel:DWORD src1_sel:WORD_0
	v_cmp_o_f32_e64 s[10:11], v7, v7
	v_cndmask_b32_e64 v2, v37, v2, s[6:7]
	v_and_b32_e32 v6, s81, v5
	v_bfe_u32 v5, v5, s83, 2
	v_xor_b32_sdwa v4, v45, v4 dst_sel:DWORD dst_unused:UNUSED_PAD src0_sel:DWORD src1_sel:WORD_0
	v_cmp_o_f32_e64 s[12:13], v9, v9
	v_cndmask_b32_e64 v3, v37, v3, s[10:11]
	v_and_b32_e32 v7, s81, v2
	v_bfe_u32 v2, v2, s83, 2
	v_cmp_eq_u32_e64 s[16:17], s80, v6
	v_cmp_eq_u32_e64 s[6:7], 0, v5
	v_cndmask_b32_e64 v4, v37, v4, s[12:13]
	v_and_b32_e32 v8, s81, v3
	v_bfe_u32 v3, v3, s83, 2
	v_cmp_eq_u32_e64 s[14:15], s80, v7
	v_cmp_eq_u32_e64 s[28:29], 0, v2
	s_and_b64 s[6:7], s[16:17], s[6:7]
	v_and_b32_e32 v9, s81, v4
	v_bfe_u32 v4, v4, s83, 2
	v_cmp_eq_u32_e64 s[12:13], s80, v8
	v_cmp_eq_u32_e64 s[30:31], 0, v3
	;; [unrolled: 1-line block ×5, first 2 shown]
	v_cndmask_b32_e64 v2, 0, 1, s[6:7]
	s_and_b64 s[6:7], s[14:15], s[28:29]
	v_cmp_eq_u32_e64 s[10:11], s80, v9
	v_cmp_eq_u32_e64 s[34:35], 0, v4
	;; [unrolled: 1-line block ×5, first 2 shown]
	v_cndmask_b32_e64 v3, 0, 1, s[6:7]
	s_and_b64 s[6:7], s[12:13], s[30:31]
	v_cmp_eq_u32_e64 s[42:43], 1, v4
	v_cmp_eq_u32_e64 s[50:51], 2, v4
	;; [unrolled: 1-line block ×3, first 2 shown]
	v_cndmask_b32_e64 v4, 0, 1, s[6:7]
	s_and_b64 s[6:7], s[10:11], s[34:35]
	v_cmp_eq_u32_e64 s[36:37], 1, v5
	v_cmp_eq_u32_e64 s[44:45], 2, v5
	;; [unrolled: 1-line block ×3, first 2 shown]
	v_cndmask_b32_e64 v5, 0, 1, s[6:7]
	v_cmp_ne_u32_e64 s[6:7], 0, v2
	v_cmp_ne_u32_e64 s[28:29], 0, v3
	v_cmp_ne_u32_e64 s[30:31], 0, v4
	v_cmp_ne_u32_e64 s[34:35], 0, v5
	s_bcnt1_i32_b64 s6, s[6:7]
	s_bcnt1_i32_b64 s7, s[28:29]
	s_bcnt1_i32_b64 s28, s[30:31]
	s_bcnt1_i32_b64 s29, s[34:35]
	s_add_u32 s6, s6, s26
	s_addc_u32 s26, 0, s27
	s_add_u32 s6, s6, s7
	s_addc_u32 s7, s26, 0
	s_add_u32 s6, s6, s28
	s_addc_u32 s7, s7, 0
	s_add_u32 s26, s6, s29
	s_addc_u32 s27, s7, 0
	s_and_b64 s[6:7], s[16:17], s[36:37]
	v_cndmask_b32_e64 v4, 0, 1, s[6:7]
	s_and_b64 s[6:7], s[14:15], s[38:39]
	v_cndmask_b32_e64 v5, 0, 1, s[6:7]
	s_and_b64 s[6:7], s[12:13], s[40:41]
	v_cndmask_b32_e64 v6, 0, 1, s[6:7]
	s_and_b64 s[6:7], s[10:11], s[42:43]
	v_cndmask_b32_e64 v7, 0, 1, s[6:7]
	v_cmp_ne_u32_e64 s[6:7], 0, v4
	v_cmp_ne_u32_e64 s[28:29], 0, v5
	v_cmp_ne_u32_e64 s[30:31], 0, v6
	v_cmp_ne_u32_e64 s[34:35], 0, v7
	s_bcnt1_i32_b64 s6, s[6:7]
	s_bcnt1_i32_b64 s7, s[28:29]
	s_bcnt1_i32_b64 s28, s[30:31]
	s_bcnt1_i32_b64 s29, s[34:35]
	s_add_u32 s6, s6, s76
	s_addc_u32 s30, 0, s77
	s_add_u32 s6, s6, s7
	s_addc_u32 s7, s30, 0
	s_add_u32 s6, s6, s28
	s_addc_u32 s7, s7, 0
	s_add_u32 s76, s6, s29
	s_addc_u32 s77, s7, 0
	s_and_b64 s[6:7], s[16:17], s[44:45]
	v_cndmask_b32_e64 v6, 0, 1, s[6:7]
	s_and_b64 s[6:7], s[14:15], s[46:47]
	v_cndmask_b32_e64 v7, 0, 1, s[6:7]
	s_and_b64 s[6:7], s[12:13], s[48:49]
	v_cndmask_b32_e64 v8, 0, 1, s[6:7]
	s_and_b64 s[6:7], s[10:11], s[50:51]
	;; [unrolled: 24-line block ×3, first 2 shown]
	v_cndmask_b32_e64 v43, 0, 1, s[6:7]
	v_cmp_ne_u32_e64 s[6:7], 0, v8
	v_cmp_ne_u32_e64 s[10:11], 0, v9
	;; [unrolled: 1-line block ×4, first 2 shown]
	s_bcnt1_i32_b64 s6, s[6:7]
	s_bcnt1_i32_b64 s7, s[10:11]
	;; [unrolled: 1-line block ×4, first 2 shown]
	s_add_u32 s6, s6, s8
	s_addc_u32 s8, 0, s9
	s_add_u32 s6, s6, s7
	s_addc_u32 s7, s8, 0
	;; [unrolled: 2-line block ×5, first 2 shown]
	v_pk_mov_b32 v[2:3], s[26:27], s[26:27] op_sel:[0,1]
	v_pk_mov_b32 v[4:5], s[76:77], s[76:77] op_sel:[0,1]
	;; [unrolled: 1-line block ×3, first 2 shown]
	s_or_b64 s[54:55], vcc, s[54:55]
	v_pk_mov_b32 v[8:9], s[8:9], s[8:9] op_sel:[0,1]
	s_andn2_b64 exec, exec, s[54:55]
	s_cbranch_execnz .LBB140_52
; %bb.53:                               ;   in Loop: Header=BB140_19 Depth=1
	s_or_b64 exec, exec, s[54:55]
	v_readlane_b32 s46, v52, 31
	s_mov_b32 s89, s73
	v_readlane_b32 s48, v52, 33
	s_mov_b64 s[72:73], s[4:5]
	v_readlane_b32 s4, v52, 35
	v_readlane_b32 s47, v52, 32
	;; [unrolled: 1-line block ×3, first 2 shown]
	s_movk_i32 s50, 0x3f80
	s_mov_b32 s51, s79
	s_mov_b32 s69, s75
	v_readlane_b32 s5, v52, 36
.LBB140_54:                             ;   in Loop: Header=BB140_19 Depth=1
	s_or_b64 exec, exec, s[84:85]
	v_add_co_u32_e32 v26, vcc, v26, v0
	v_addc_co_u32_e32 v27, vcc, 0, v27, vcc
	v_cmp_gt_u64_e32 vcc, s[52:53], v[26:27]
	v_mov_b32_e32 v12, 0
	s_and_saveexec_b64 s[2:3], vcc
	s_cbranch_execz .LBB140_56
; %bb.55:                               ;   in Loop: Header=BB140_19 Depth=1
	v_mul_lo_u32 v12, v27, s64
	v_mul_lo_u32 v43, v26, s65
	v_mad_u64_u32 v[28:29], s[6:7], v26, s64, 0
	v_add3_u32 v29, v29, v43, v12
	v_lshlrev_b64 v[28:29], 1, v[28:29]
	v_mov_b32_e32 v12, s1
	v_add_co_u32_e64 v28, s[6:7], s0, v28
	v_addc_co_u32_e64 v29, s[6:7], v12, v29, s[6:7]
	global_load_ushort v12, v[28:29], off
.LBB140_56:                             ;   in Loop: Header=BB140_19 Depth=1
	s_or_b64 exec, exec, s[2:3]
	s_and_saveexec_b64 s[2:3], vcc
	s_cbranch_execz .LBB140_63
; %bb.57:                               ;   in Loop: Header=BB140_19 Depth=1
	s_and_b32 s12, s51, 0xfe
	s_mov_b64 s[8:9], 0
	s_branch .LBB140_59
.LBB140_58:                             ;   in Loop: Header=BB140_59 Depth=2
	s_or_b64 exec, exec, s[10:11]
	s_and_b64 s[6:7], exec, vcc
	s_waitcnt vmcnt(0)
	v_cmp_lt_i16_e32 vcc, -1, v12
	v_cndmask_b32_e32 v29, v37, v38, vcc
	v_lshlrev_b32_e32 v43, 16, v12
	v_xor_b32_sdwa v12, v29, v12 dst_sel:DWORD dst_unused:UNUSED_PAD src0_sel:DWORD src1_sel:WORD_0
	v_cmp_o_f32_e32 vcc, v43, v43
	v_cndmask_b32_e32 v12, v37, v12, vcc
	v_and_b32_e32 v29, s81, v12
	v_bfe_u32 v12, v12, s12, 2
	s_or_b64 s[8:9], s[6:7], s[8:9]
	v_cmp_eq_u32_e32 vcc, s80, v29
	v_cmp_eq_u32_e64 s[6:7], 0, v12
	s_and_b64 s[6:7], vcc, s[6:7]
	v_cndmask_b32_e64 v29, 0, 1, s[6:7]
	v_cmp_ne_u32_e64 s[6:7], 0, v29
	s_bcnt1_i32_b64 s6, s[6:7]
	v_add_co_u32_e64 v2, s[6:7], s6, v2
	v_addc_co_u32_e64 v3, s[6:7], 0, v3, s[6:7]
	v_cmp_eq_u32_e64 s[6:7], 1, v12
	s_and_b64 s[6:7], vcc, s[6:7]
	v_cndmask_b32_e64 v29, 0, 1, s[6:7]
	v_cmp_ne_u32_e64 s[6:7], 0, v29
	s_bcnt1_i32_b64 s6, s[6:7]
	v_add_co_u32_e64 v4, s[6:7], s6, v4
	v_addc_co_u32_e64 v5, s[6:7], 0, v5, s[6:7]
	;; [unrolled: 7-line block ×3, first 2 shown]
	v_cmp_eq_u32_e64 s[6:7], 3, v12
	s_and_b64 s[6:7], vcc, s[6:7]
	v_cndmask_b32_e64 v12, 0, 1, s[6:7]
	v_cmp_ne_u32_e32 vcc, 0, v12
	s_bcnt1_i32_b64 s6, vcc
	v_add_co_u32_e32 v8, vcc, s6, v8
	v_addc_co_u32_e32 v9, vcc, 0, v9, vcc
	v_mov_b32_e32 v12, v28
	s_andn2_b64 exec, exec, s[8:9]
	s_cbranch_execz .LBB140_62
.LBB140_59:                             ;   Parent Loop BB140_19 Depth=1
                                        ; =>  This Inner Loop Header: Depth=2
	v_mov_b32_e32 v28, s71
	v_add_co_u32_e32 v26, vcc, s70, v26
	v_addc_co_u32_e32 v27, vcc, v27, v28, vcc
	v_cmp_gt_u64_e64 s[6:7], s[52:53], v[26:27]
	v_cmp_le_u64_e32 vcc, s[52:53], v[26:27]
	v_mov_b32_e32 v28, 0
	s_and_saveexec_b64 s[10:11], s[6:7]
	s_cbranch_execz .LBB140_58
; %bb.60:                               ;   in Loop: Header=BB140_59 Depth=2
	v_mul_lo_u32 v43, v27, s64
	v_mul_lo_u32 v44, v26, s65
	v_mad_u64_u32 v[28:29], s[6:7], v26, s64, 0
	v_add3_u32 v29, v29, v44, v43
	v_lshlrev_b64 v[28:29], 1, v[28:29]
	v_mov_b32_e32 v43, s1
	v_add_co_u32_e64 v28, s[6:7], s0, v28
	v_addc_co_u32_e64 v29, s[6:7], v43, v29, s[6:7]
	global_load_ushort v28, v[28:29], off
	s_branch .LBB140_58
.LBB140_61:                             ;   in Loop: Header=BB140_19 Depth=1
                                        ; implicit-def: $vgpr8_vgpr9
                                        ; implicit-def: $vgpr4_vgpr5
	s_cbranch_execnz .LBB140_64
	s_branch .LBB140_73
.LBB140_62:                             ;   in Loop: Header=BB140_19 Depth=1
	s_or_b64 exec, exec, s[8:9]
.LBB140_63:                             ;   in Loop: Header=BB140_19 Depth=1
	s_or_b64 exec, exec, s[2:3]
	s_branch .LBB140_73
.LBB140_64:                             ;   in Loop: Header=BB140_19 Depth=1
	global_load_ushort v8, v13, s[48:49]
	s_mov_b64 s[54:55], 0
	s_waitcnt vmcnt(0)
	v_readfirstlane_b32 s2, v8
	s_and_b32 s2, 0xffff, s2
	s_lshl_b32 s78, s2, 2
	v_cvt_f32_u32_e32 v2, s78
	s_sub_i32 s2, 0, s78
	v_and_b32_e32 v28, 0xffff, v8
	v_rcp_iflag_f32_e32 v6, v2
	v_pk_mov_b32 v[2:3], 0, 0
	v_pk_mov_b32 v[4:5], v[2:3], v[2:3] op_sel:[0,1]
	v_mul_f32_e32 v6, 0x4f7ffffe, v6
	v_cvt_u32_f32_e32 v9, v6
	v_pk_mov_b32 v[6:7], v[2:3], v[2:3] op_sel:[0,1]
	v_readfirstlane_b32 s3, v9
	s_mul_i32 s2, s2, s3
	s_mul_hi_u32 s2, s3, s2
	s_add_i32 s3, s3, s2
	s_mul_hi_u32 s2, s82, s3
	s_mul_i32 s2, s2, s78
	s_sub_i32 s2, s82, s2
	s_sub_i32 s3, s2, s78
	s_cmp_ge_u32 s2, s78
	s_cselect_b32 s2, s3, s2
	s_sub_i32 s3, s2, s78
	s_cmp_ge_u32 s2, s78
	s_cselect_b32 s2, s3, s2
	s_sub_i32 s70, s82, s2
	v_cmp_gt_u32_e32 vcc, s70, v14
	v_pk_mov_b32 v[8:9], v[2:3], v[2:3] op_sel:[0,1]
	s_and_saveexec_b64 s[2:3], vcc
	s_cbranch_execz .LBB140_68
; %bb.65:                               ;   in Loop: Header=BB140_19 Depth=1
	s_mov_b64 s[4:5], s[72:73]
	s_mov_b32 s75, s69
	s_mov_b32 s73, s51
	s_and_b32 s72, s51, 0xfe
	v_lshlrev_b32_e32 v12, 3, v28
	v_mov_b32_e32 v29, v35
	s_mov_b64 s[8:9], 0
	s_mov_b64 s[26:27], 0
	;; [unrolled: 1-line block ×4, first 2 shown]
	v_pk_mov_b32 v[26:27], v[14:15], v[14:15] op_sel:[0,1]
.LBB140_66:                             ;   Parent Loop BB140_19 Depth=1
                                        ; =>  This Inner Loop Header: Depth=2
	ds_read_b64 v[2:3], v29
	v_add_co_u32_e32 v26, vcc, s78, v26
	v_addc_co_u32_e32 v27, vcc, 0, v27, vcc
	s_waitcnt lgkmcnt(0)
	v_cmp_lt_i16_e64 s[6:7], -1, v2
	v_cndmask_b32_e64 v8, v37, v38, s[6:7]
	v_cmp_gt_i16_sdwa s[6:7], v2, v40 src0_sel:WORD_1 src1_sel:DWORD
	v_lshlrev_b32_e32 v4, 16, v2
	v_cndmask_b32_e64 v9, v37, v38, s[6:7]
	v_cmp_lt_i16_e64 s[6:7], -1, v3
	v_and_b32_e32 v5, 0xffff0000, v2
	v_cndmask_b32_e64 v43, v37, v38, s[6:7]
	v_cmp_gt_i16_sdwa s[6:7], v3, v40 src0_sel:WORD_1 src1_sel:DWORD
	v_xor_b32_sdwa v9, v9, v2 dst_sel:DWORD dst_unused:UNUSED_PAD src0_sel:DWORD src1_sel:WORD_1
	v_xor_b32_sdwa v2, v8, v2 dst_sel:DWORD dst_unused:UNUSED_PAD src0_sel:DWORD src1_sel:WORD_0
	v_cmp_o_f32_e64 s[14:15], v4, v4
	v_lshlrev_b32_e32 v6, 16, v3
	v_cndmask_b32_e64 v44, v37, v38, s[6:7]
	v_cmp_o_f32_e64 s[6:7], v5, v5
	v_cndmask_b32_e64 v2, v37, v2, s[14:15]
	v_and_b32_e32 v7, 0xffff0000, v3
	v_xor_b32_sdwa v5, v43, v3 dst_sel:DWORD dst_unused:UNUSED_PAD src0_sel:DWORD src1_sel:WORD_0
	v_cmp_o_f32_e64 s[10:11], v6, v6
	v_cndmask_b32_e64 v4, v37, v9, s[6:7]
	v_and_b32_e32 v6, s81, v2
	v_bfe_u32 v2, v2, s72, 2
	v_xor_b32_sdwa v3, v44, v3 dst_sel:DWORD dst_unused:UNUSED_PAD src0_sel:DWORD src1_sel:WORD_1
	v_cmp_o_f32_e64 s[12:13], v7, v7
	v_cndmask_b32_e64 v5, v37, v5, s[10:11]
	v_and_b32_e32 v7, s81, v4
	v_bfe_u32 v4, v4, s72, 2
	v_cmp_eq_u32_e64 s[16:17], s80, v6
	v_cmp_eq_u32_e64 s[6:7], 0, v2
	v_cndmask_b32_e64 v3, v37, v3, s[12:13]
	v_and_b32_e32 v8, s81, v5
	v_bfe_u32 v5, v5, s72, 2
	v_cmp_eq_u32_e64 s[14:15], s80, v7
	v_cmp_eq_u32_e64 s[28:29], 0, v4
	s_and_b64 s[6:7], s[16:17], s[6:7]
	v_and_b32_e32 v9, s81, v3
	v_bfe_u32 v3, v3, s72, 2
	v_cmp_eq_u32_e64 s[12:13], s80, v8
	v_cmp_eq_u32_e64 s[30:31], 0, v5
	v_cmp_eq_u32_e64 s[36:37], 1, v2
	v_cmp_eq_u32_e64 s[44:45], 2, v2
	v_cmp_eq_u32_e64 s[24:25], 3, v2
	v_cndmask_b32_e64 v2, 0, 1, s[6:7]
	s_and_b64 s[6:7], s[14:15], s[28:29]
	v_cmp_eq_u32_e64 s[10:11], s80, v9
	v_cmp_eq_u32_e64 s[34:35], 0, v3
	;; [unrolled: 1-line block ×5, first 2 shown]
	v_cndmask_b32_e64 v3, 0, 1, s[6:7]
	s_and_b64 s[6:7], s[12:13], s[30:31]
	v_cmp_eq_u32_e64 s[38:39], 1, v4
	v_cmp_eq_u32_e64 s[46:47], 2, v4
	;; [unrolled: 1-line block ×3, first 2 shown]
	v_cndmask_b32_e64 v4, 0, 1, s[6:7]
	s_and_b64 s[6:7], s[10:11], s[34:35]
	v_cmp_eq_u32_e64 s[40:41], 1, v5
	v_cmp_eq_u32_e64 s[48:49], 2, v5
	;; [unrolled: 1-line block ×3, first 2 shown]
	v_cndmask_b32_e64 v5, 0, 1, s[6:7]
	v_cmp_ne_u32_e64 s[6:7], 0, v2
	v_cmp_ne_u32_e64 s[28:29], 0, v3
	v_cmp_ne_u32_e64 s[30:31], 0, v4
	v_cmp_ne_u32_e64 s[34:35], 0, v5
	s_bcnt1_i32_b64 s6, s[6:7]
	s_bcnt1_i32_b64 s7, s[28:29]
	s_bcnt1_i32_b64 s28, s[30:31]
	s_bcnt1_i32_b64 s29, s[34:35]
	s_add_u32 s6, s6, s76
	s_addc_u32 s30, 0, s77
	s_add_u32 s6, s6, s7
	s_addc_u32 s7, s30, 0
	s_add_u32 s6, s6, s28
	s_addc_u32 s7, s7, 0
	s_add_u32 s76, s6, s29
	s_addc_u32 s77, s7, 0
	s_and_b64 s[6:7], s[16:17], s[36:37]
	v_cndmask_b32_e64 v4, 0, 1, s[6:7]
	s_and_b64 s[6:7], s[14:15], s[38:39]
	v_cndmask_b32_e64 v5, 0, 1, s[6:7]
	s_and_b64 s[6:7], s[12:13], s[40:41]
	v_cndmask_b32_e64 v6, 0, 1, s[6:7]
	s_and_b64 s[6:7], s[10:11], s[42:43]
	v_cndmask_b32_e64 v7, 0, 1, s[6:7]
	v_cmp_ne_u32_e64 s[6:7], 0, v4
	v_cmp_ne_u32_e64 s[28:29], 0, v5
	v_cmp_ne_u32_e64 s[30:31], 0, v6
	v_cmp_ne_u32_e64 s[34:35], 0, v7
	s_bcnt1_i32_b64 s6, s[6:7]
	s_bcnt1_i32_b64 s7, s[28:29]
	s_bcnt1_i32_b64 s28, s[30:31]
	s_bcnt1_i32_b64 s29, s[34:35]
	s_add_u32 s6, s6, s68
	s_addc_u32 s30, 0, s69
	s_add_u32 s6, s6, s7
	s_addc_u32 s7, s30, 0
	s_add_u32 s6, s6, s28
	s_addc_u32 s7, s7, 0
	s_add_u32 s68, s6, s29
	s_addc_u32 s69, s7, 0
	s_and_b64 s[6:7], s[16:17], s[44:45]
	v_cndmask_b32_e64 v6, 0, 1, s[6:7]
	s_and_b64 s[6:7], s[14:15], s[46:47]
	v_cndmask_b32_e64 v7, 0, 1, s[6:7]
	s_and_b64 s[6:7], s[12:13], s[48:49]
	v_cndmask_b32_e64 v8, 0, 1, s[6:7]
	s_and_b64 s[6:7], s[10:11], s[50:51]
	;; [unrolled: 24-line block ×3, first 2 shown]
	v_cndmask_b32_e64 v44, 0, 1, s[6:7]
	v_cmp_ne_u32_e64 s[6:7], 0, v8
	v_cmp_ne_u32_e64 s[10:11], 0, v9
	;; [unrolled: 1-line block ×4, first 2 shown]
	s_bcnt1_i32_b64 s6, s[6:7]
	s_bcnt1_i32_b64 s7, s[10:11]
	;; [unrolled: 1-line block ×4, first 2 shown]
	s_add_u32 s6, s6, s8
	s_addc_u32 s8, 0, s9
	s_add_u32 s6, s6, s7
	s_addc_u32 s7, s8, 0
	;; [unrolled: 2-line block ×3, first 2 shown]
	s_add_u32 s8, s6, s11
	v_cmp_le_u64_e32 vcc, s[70:71], v[26:27]
	s_addc_u32 s9, s7, 0
	v_add_u32_e32 v29, v29, v12
	v_pk_mov_b32 v[2:3], s[76:77], s[76:77] op_sel:[0,1]
	v_pk_mov_b32 v[4:5], s[68:69], s[68:69] op_sel:[0,1]
	;; [unrolled: 1-line block ×3, first 2 shown]
	s_or_b64 s[54:55], vcc, s[54:55]
	v_pk_mov_b32 v[8:9], s[8:9], s[8:9] op_sel:[0,1]
	s_andn2_b64 exec, exec, s[54:55]
	s_cbranch_execnz .LBB140_66
; %bb.67:                               ;   in Loop: Header=BB140_19 Depth=1
	s_or_b64 exec, exec, s[54:55]
	v_readlane_b32 s46, v52, 31
	v_readlane_b32 s48, v52, 33
	s_mov_b32 s51, s73
	s_mov_b64 s[72:73], s[4:5]
	v_readlane_b32 s4, v52, 35
	v_readlane_b32 s47, v52, 32
	;; [unrolled: 1-line block ×3, first 2 shown]
	s_movk_i32 s50, 0x3f80
	s_mov_b32 s69, s75
	v_readlane_b32 s5, v52, 36
.LBB140_68:                             ;   in Loop: Header=BB140_19 Depth=1
	s_or_b64 exec, exec, s[2:3]
	v_add_u32_e32 v12, s70, v0
	v_cmp_gt_u32_e32 vcc, s82, v12
	s_and_saveexec_b64 s[2:3], vcc
	s_cbranch_execz .LBB140_72
; %bb.69:                               ;   in Loop: Header=BB140_19 Depth=1
	s_and_b32 s70, s82, 0x7fffffff
	s_and_b32 s18, s51, 0xfe
	v_lshlrev_b32_e32 v29, 1, v12
	v_lshlrev_b32_e32 v43, 1, v28
	s_mov_b64 s[8:9], 0
	v_pk_mov_b32 v[26:27], v[12:13], v[12:13] op_sel:[0,1]
.LBB140_70:                             ;   Parent Loop BB140_19 Depth=1
                                        ; =>  This Inner Loop Header: Depth=2
	ds_read_u16 v12, v29
	v_add_co_u32_e32 v26, vcc, v26, v28
	v_addc_co_u32_e32 v27, vcc, 0, v27, vcc
	s_waitcnt lgkmcnt(0)
	v_cmp_lt_i16_e64 s[6:7], -1, v12
	v_cndmask_b32_e64 v44, v37, v38, s[6:7]
	v_lshlrev_b32_e32 v45, 16, v12
	v_xor_b32_sdwa v12, v44, v12 dst_sel:DWORD dst_unused:UNUSED_PAD src0_sel:DWORD src1_sel:WORD_0
	v_cmp_o_f32_e64 s[6:7], v45, v45
	v_cndmask_b32_e64 v12, v37, v12, s[6:7]
	v_and_b32_e32 v44, s81, v12
	v_bfe_u32 v12, v12, s18, 2
	v_cmp_eq_u32_e64 s[6:7], s80, v44
	v_cmp_eq_u32_e64 s[10:11], 0, v12
	;; [unrolled: 1-line block ×3, first 2 shown]
	s_and_b64 s[10:11], s[6:7], s[10:11]
	v_cmp_eq_u32_e64 s[14:15], 2, v12
	v_cmp_eq_u32_e64 s[16:17], 3, v12
	v_cndmask_b32_e64 v12, 0, 1, s[10:11]
	s_and_b64 s[10:11], s[6:7], s[12:13]
	v_cndmask_b32_e64 v44, 0, 1, s[10:11]
	s_and_b64 s[10:11], s[6:7], s[14:15]
	s_and_b64 s[6:7], s[6:7], s[16:17]
	v_cndmask_b32_e64 v46, 0, 1, s[6:7]
	v_cmp_ne_u32_e64 s[6:7], 0, v12
	s_bcnt1_i32_b64 s6, s[6:7]
	v_cndmask_b32_e64 v45, 0, 1, s[10:11]
	v_cmp_ne_u32_e64 s[10:11], 0, v44
	v_add_co_u32_e64 v2, s[6:7], s6, v2
	s_bcnt1_i32_b64 s10, s[10:11]
	v_addc_co_u32_e64 v3, s[6:7], 0, v3, s[6:7]
	v_cmp_ne_u32_e64 s[12:13], 0, v45
	v_cmp_ne_u32_e64 s[14:15], 0, v46
	v_add_co_u32_e64 v4, s[6:7], s10, v4
	v_cmp_le_u64_e32 vcc, s[70:71], v[26:27]
	s_bcnt1_i32_b64 s11, s[12:13]
	s_bcnt1_i32_b64 s12, s[14:15]
	v_addc_co_u32_e64 v5, s[6:7], 0, v5, s[6:7]
	v_add_co_u32_e64 v6, s[6:7], s11, v6
	s_or_b64 s[8:9], vcc, s[8:9]
	v_add_co_u32_e32 v8, vcc, s12, v8
	v_add_u32_e32 v29, v29, v43
	v_addc_co_u32_e64 v7, s[6:7], 0, v7, s[6:7]
	v_addc_co_u32_e32 v9, vcc, 0, v9, vcc
	s_andn2_b64 exec, exec, s[8:9]
	s_cbranch_execnz .LBB140_70
; %bb.71:                               ;   in Loop: Header=BB140_19 Depth=1
	s_or_b64 exec, exec, s[8:9]
.LBB140_72:                             ;   in Loop: Header=BB140_19 Depth=1
	s_or_b64 exec, exec, s[2:3]
.LBB140_73:                             ;   in Loop: Header=BB140_19 Depth=1
	s_lshl_b32 s6, s74, 6
	s_and_saveexec_b64 s[2:3], s[4:5]
	s_cbranch_execz .LBB140_75
; %bb.74:                               ;   in Loop: Header=BB140_19 Depth=1
	s_waitcnt vmcnt(0)
	v_or_b32_e32 v12, s6, v33
	v_lshlrev_b32_e32 v12, 3, v12
	ds_write_b128 v12, v[2:5] offset:3072
	ds_write_b128 v12, v[6:9] offset:3088
.LBB140_75:                             ;   in Loop: Header=BB140_19 Depth=1
	s_or_b64 exec, exec, s[2:3]
	s_waitcnt lgkmcnt(0)
	s_barrier
	s_and_saveexec_b64 s[2:3], s[46:47]
	s_cbranch_execz .LBB140_87
; %bb.76:                               ;   in Loop: Header=BB140_19 Depth=1
	v_readlane_b32 s8, v52, 18
	v_readlane_b32 s9, v52, 19
	s_andn2_b64 vcc, exec, s[8:9]
	v_pk_mov_b32 v[2:3], 0, 0
	s_cbranch_vccnz .LBB140_86
; %bb.77:                               ;   in Loop: Header=BB140_19 Depth=1
	v_readlane_b32 s8, v52, 22
	v_readlane_b32 s9, v52, 23
	s_andn2_b64 vcc, exec, s[8:9]
	s_cbranch_vccnz .LBB140_82
; %bb.78:                               ;   in Loop: Header=BB140_19 Depth=1
	v_lshl_add_u32 v4, s74, 9, v36
	s_mov_b32 s7, 0
	v_pk_mov_b32 v[2:3], 0, 0
.LBB140_79:                             ;   Parent Loop BB140_19 Depth=1
                                        ; =>  This Inner Loop Header: Depth=2
	s_waitcnt vmcnt(0)
	ds_read2_b64 v[6:9], v4 offset1:4
	ds_read2_b64 v[26:29], v4 offset0:8 offset1:12
	ds_read2_b64 v[44:47], v4 offset0:16 offset1:20
	;; [unrolled: 1-line block ×3, first 2 shown]
	s_add_i32 s7, s7, 8
	s_waitcnt lgkmcnt(3)
	v_add_co_u32_e32 v2, vcc, v6, v2
	v_addc_co_u32_e32 v3, vcc, v7, v3, vcc
	v_add_co_u32_e32 v2, vcc, v8, v2
	v_addc_co_u32_e32 v3, vcc, v9, v3, vcc
	s_waitcnt lgkmcnt(2)
	v_add_co_u32_e32 v2, vcc, v26, v2
	v_addc_co_u32_e32 v3, vcc, v27, v3, vcc
	v_add_co_u32_e32 v2, vcc, v28, v2
	v_addc_co_u32_e32 v3, vcc, v29, v3, vcc
	s_waitcnt lgkmcnt(1)
	v_add_co_u32_e32 v2, vcc, v44, v2
	v_addc_co_u32_e32 v3, vcc, v45, v3, vcc
	v_add_co_u32_e32 v2, vcc, v46, v2
	v_addc_co_u32_e32 v3, vcc, v47, v3, vcc
	s_waitcnt lgkmcnt(0)
	v_add_co_u32_e32 v2, vcc, v48, v2
	v_addc_co_u32_e32 v3, vcc, v49, v3, vcc
	v_add_co_u32_e32 v2, vcc, v50, v2
	v_add_u32_e32 v4, 0x100, v4
	s_cmp_eq_u32 s86, s7
	v_addc_co_u32_e32 v3, vcc, v51, v3, vcc
	s_cbranch_scc0 .LBB140_79
; %bb.80:                               ;   in Loop: Header=BB140_19 Depth=1
	s_mov_b32 s7, s86
	s_branch .LBB140_83
.LBB140_81:                             ;   in Loop: Header=BB140_19 Depth=1
                                        ; implicit-def: $vgpr2_vgpr3
	s_branch .LBB140_49
.LBB140_82:                             ;   in Loop: Header=BB140_19 Depth=1
	s_mov_b32 s7, 0
	v_pk_mov_b32 v[2:3], 0, 0
.LBB140_83:                             ;   in Loop: Header=BB140_19 Depth=1
	v_readlane_b32 s8, v52, 25
	v_readlane_b32 s9, v52, 26
	s_andn2_b64 vcc, exec, s[8:9]
	s_cbranch_vccnz .LBB140_86
; %bb.84:                               ;   in Loop: Header=BB140_19 Depth=1
	s_lshl_b32 s8, s74, 9
	s_lshl_b32 s7, s7, 5
	s_add_i32 s8, s8, s7
	v_add_u32_e32 v4, s8, v36
	v_readlane_b32 s7, v52, 24
.LBB140_85:                             ;   Parent Loop BB140_19 Depth=1
                                        ; =>  This Inner Loop Header: Depth=2
	s_waitcnt vmcnt(0)
	ds_read_b64 v[6:7], v4
	s_add_i32 s7, s7, -1
	v_add_u32_e32 v4, 32, v4
	s_cmp_lg_u32 s7, 0
	s_waitcnt lgkmcnt(0)
	v_add_co_u32_e32 v2, vcc, v6, v2
	v_addc_co_u32_e32 v3, vcc, v7, v3, vcc
	s_cbranch_scc1 .LBB140_85
.LBB140_86:                             ;   in Loop: Header=BB140_19 Depth=1
	v_add_lshl_u32 v4, s6, v30, 3
	ds_write_b64 v4, v[2:3] offset:3072
.LBB140_87:                             ;   in Loop: Header=BB140_19 Depth=1
	s_or_b64 exec, exec, s[2:3]
	s_lshl_b32 s2, s6, 3
	s_waitcnt vmcnt(0)
	v_mov_b32_e32 v6, s2
	s_waitcnt lgkmcnt(0)
	s_barrier
	ds_read_b128 v[2:5], v6 offset:3072
	ds_read_b128 v[6:9], v6 offset:3088
	s_and_b32 s40, s51, 0xfe
	s_lshl_b32 s44, 3, s40
	s_not_b32 s41, s44
	s_waitcnt lgkmcnt(1)
	v_readfirstlane_b32 s15, v3
	v_readfirstlane_b32 s14, v2
	s_cmp_eq_u64 s[14:15], 1
	s_cselect_b64 s[2:3], -1, 0
	s_cmp_eq_u64 s[72:73], 1
	s_cselect_b64 s[6:7], -1, 0
	s_and_b64 s[20:21], s[2:3], s[6:7]
	v_readfirstlane_b32 s28, v4
	v_readfirstlane_b32 s29, v5
	s_waitcnt lgkmcnt(0)
	v_readfirstlane_b32 s16, v6
	v_readfirstlane_b32 s17, v7
	;; [unrolled: 1-line block ×4, first 2 shown]
	s_mov_b64 s[18:19], -1
	s_and_b64 vcc, exec, s[20:21]
	s_cbranch_vccz .LBB140_102
; %bb.88:                               ;   in Loop: Header=BB140_19 Depth=1
	ds_read_b64 v[2:3], v13 offset:5120
	s_waitcnt lgkmcnt(0)
	s_barrier
	v_readfirstlane_b32 s2, v2
	v_readfirstlane_b32 s3, v3
	s_mov_b64 s[6:7], exec
	v_readlane_b32 s8, v52, 14
	v_readlane_b32 s9, v52, 15
	s_and_b64 s[8:9], s[6:7], s[8:9]
	s_mov_b64 exec, s[8:9]
	s_cbranch_execz .LBB140_90
; %bb.89:                               ;   in Loop: Header=BB140_19 Depth=1
	ds_write_b16 v32, v15
.LBB140_90:                             ;   in Loop: Header=BB140_19 Depth=1
	s_or_b64 exec, exec, s[6:7]
	s_and_b32 s80, s80, s41
	s_or_b32 s81, s81, s44
	s_cmp_eq_u64 s[2:3], 0
	s_waitcnt lgkmcnt(0)
	s_barrier
	s_cbranch_scc1 .LBB140_103
; %bb.91:                               ;   in Loop: Header=BB140_19 Depth=1
	v_readlane_b32 s6, v52, 20
	s_add_u32 s12, s6, s2
	v_readlane_b32 s6, v52, 21
	s_addc_u32 s7, s6, s3
	s_mov_b32 s6, s71
	s_cmp_lg_u64 s[6:7], 0
	s_cbranch_scc0 .LBB140_148
; %bb.92:                               ;   in Loop: Header=BB140_19 Depth=1
	v_cvt_f32_u32_e32 v2, s33
	s_sub_u32 s6, 0, s33
	s_subb_u32 s8, 0, 0
	v_mac_f32_e32 v2, 0, v39
	v_rcp_f32_e32 v2, v2
	v_mul_f32_e32 v2, 0x5f7ffffc, v2
	v_mul_f32_e32 v3, 0x2f800000, v2
	v_trunc_f32_e32 v3, v3
	v_mac_f32_e32 v2, 0xcf800000, v3
	v_cvt_u32_f32_e32 v3, v3
	v_cvt_u32_f32_e32 v2, v2
	v_readfirstlane_b32 s9, v3
	v_readfirstlane_b32 s13, v2
	s_mul_i32 s22, s6, s9
	s_mul_hi_u32 s24, s6, s13
	s_mul_i32 s23, s8, s13
	s_add_i32 s22, s24, s22
	s_mul_i32 s25, s6, s13
	s_add_i32 s22, s22, s23
	s_mul_hi_u32 s24, s13, s25
	s_mul_hi_u32 s23, s13, s22
	s_mul_i32 s13, s13, s22
	s_add_u32 s13, s24, s13
	s_addc_u32 s23, 0, s23
	s_mul_hi_u32 s26, s9, s25
	s_mul_i32 s25, s9, s25
	s_add_u32 s13, s13, s25
	s_mul_hi_u32 s24, s9, s22
	s_addc_u32 s13, s23, s26
	s_addc_u32 s23, s24, 0
	s_mul_i32 s22, s9, s22
	s_add_u32 s13, s13, s22
	s_addc_u32 s22, 0, s23
	v_add_co_u32_e32 v2, vcc, s13, v2
	s_cmp_lg_u64 vcc, 0
	s_addc_u32 s9, s9, s22
	v_readfirstlane_b32 s22, v2
	s_mul_i32 s13, s6, s9
	s_mul_hi_u32 s23, s6, s22
	s_add_i32 s13, s23, s13
	s_mul_i32 s8, s8, s22
	s_add_i32 s13, s13, s8
	s_mul_i32 s6, s6, s22
	s_mul_hi_u32 s23, s9, s6
	s_mul_i32 s24, s9, s6
	s_mul_i32 s26, s22, s13
	s_mul_hi_u32 s6, s22, s6
	s_mul_hi_u32 s25, s22, s13
	s_add_u32 s6, s6, s26
	s_addc_u32 s22, 0, s25
	s_add_u32 s6, s6, s24
	s_mul_hi_u32 s8, s9, s13
	s_addc_u32 s6, s22, s23
	s_addc_u32 s8, s8, 0
	s_mul_i32 s13, s9, s13
	s_add_u32 s6, s6, s13
	s_addc_u32 s8, 0, s8
	v_add_co_u32_e32 v2, vcc, s6, v2
	s_cmp_lg_u64 vcc, 0
	s_addc_u32 s6, s9, s8
	v_readfirstlane_b32 s13, v2
	s_mul_i32 s9, s12, s6
	s_mul_hi_u32 s22, s12, s13
	s_mul_hi_u32 s8, s12, s6
	s_add_u32 s9, s22, s9
	s_addc_u32 s8, 0, s8
	s_mul_hi_u32 s23, s7, s13
	s_mul_i32 s13, s7, s13
	s_add_u32 s9, s9, s13
	s_mul_hi_u32 s22, s7, s6
	s_addc_u32 s8, s8, s23
	s_addc_u32 s9, s22, 0
	s_mul_i32 s6, s7, s6
	s_add_u32 s6, s8, s6
	s_addc_u32 s8, 0, s9
	s_mul_hi_u32 s9, s33, s6
	s_mul_i32 s6, s33, s6
	s_mul_i32 s8, s33, s8
	v_mov_b32_e32 v2, s6
	s_add_i32 s9, s9, s8
	v_sub_co_u32_e32 v2, vcc, s12, v2
	s_cmp_lg_u64 vcc, 0
	s_subb_u32 s6, s7, s9
	v_subrev_co_u32_e32 v3, vcc, s33, v2
	s_cmp_lg_u64 vcc, 0
	s_subb_u32 s8, s6, 0
	v_subrev_co_u32_e32 v4, vcc, s33, v3
	s_cmp_lg_u64 vcc, 0
	s_subb_u32 s9, s8, 0
	v_cmp_le_u32_e32 vcc, s33, v3
	s_cmp_eq_u32 s8, 0
	v_cndmask_b32_e64 v5, 0, -1, vcc
	s_cselect_b64 vcc, -1, 0
	v_cndmask_b32_e32 v5, -1, v5, vcc
	v_mov_b32_e32 v6, s8
	v_mov_b32_e32 v7, s9
	v_cmp_ne_u32_e32 vcc, 0, v5
	v_cndmask_b32_e32 v5, v6, v7, vcc
	v_cndmask_b32_e32 v4, v3, v4, vcc
	v_cmp_le_u32_e32 vcc, s33, v2
	s_cmp_eq_u32 s6, 0
	v_cndmask_b32_e64 v3, 0, -1, vcc
	s_cselect_b64 vcc, -1, 0
	v_cndmask_b32_e32 v3, -1, v3, vcc
	v_mov_b32_e32 v6, s6
	v_cmp_ne_u32_e32 vcc, 0, v3
	v_cndmask_b32_e32 v3, v6, v5, vcc
	v_cndmask_b32_e32 v2, v2, v4, vcc
	s_cbranch_execnz .LBB140_94
.LBB140_93:                             ;   in Loop: Header=BB140_19 Depth=1
	v_cvt_f32_u32_e32 v2, s33
	s_sub_i32 s6, 0, s33
	v_rcp_iflag_f32_e32 v2, v2
	v_mul_f32_e32 v2, 0x4f7ffffe, v2
	v_cvt_u32_f32_e32 v2, v2
	v_mul_lo_u32 v3, s6, v2
	v_mul_hi_u32 v3, v2, v3
	v_add_u32_e32 v2, v2, v3
	v_mul_hi_u32 v2, s12, v2
	v_mul_lo_u32 v2, v2, s33
	v_sub_u32_e32 v2, s12, v2
	v_subrev_u32_e32 v3, s33, v2
	v_cmp_le_u32_e32 vcc, s33, v2
	v_cndmask_b32_e32 v2, v2, v3, vcc
	v_subrev_u32_e32 v3, s33, v2
	v_cmp_le_u32_e32 vcc, s33, v2
	v_cndmask_b32_e32 v12, v2, v3, vcc
	v_pk_mov_b32 v[2:3], v[12:13], v[12:13] op_sel:[0,1]
.LBB140_94:                             ;   in Loop: Header=BB140_19 Depth=1
	v_mov_b32_e32 v4, s7
	v_sub_co_u32_e32 v2, vcc, s12, v2
	v_subb_co_u32_e32 v3, vcc, v4, v3, vcc
	v_cmp_gt_u64_e32 vcc, v[2:3], v[0:1]
	s_mov_b64 s[6:7], 0
                                        ; implicit-def: $vgpr42
	s_and_saveexec_b64 s[8:9], vcc
	s_cbranch_execz .LBB140_105
; %bb.95:                               ;   in Loop: Header=BB140_19 Depth=1
	s_mov_b64 s[12:13], 0
	v_mov_b32_e32 v6, v31
	v_pk_mov_b32 v[4:5], v[0:1], v[0:1] op_sel:[0,1]
                                        ; implicit-def: $sgpr22_sgpr23
	s_branch .LBB140_97
.LBB140_96:                             ;   in Loop: Header=BB140_97 Depth=2
	s_or_b64 exec, exec, s[6:7]
	s_waitcnt lgkmcnt(0)
	s_barrier
	ds_read_b32 v7, v13 offset:3072
	v_add_co_u32_e64 v4, s[6:7], s33, v4
	v_add_u32_e32 v6, s87, v6
	s_waitcnt lgkmcnt(0)
	v_and_b32_e32 v8, 0x7fff, v7
	v_cmp_ne_u16_e32 vcc, 0, v8
	v_mov_b32_e32 v8, s88
	v_addc_co_u32_e64 v5, s[6:7], v5, v8, s[6:7]
	v_cmp_ge_u64_e64 s[6:7], v[4:5], v[2:3]
	s_or_b64 s[6:7], s[6:7], vcc
	s_and_b64 s[6:7], exec, s[6:7]
	s_or_b64 s[12:13], s[6:7], s[12:13]
	s_andn2_b64 s[6:7], s[22:23], exec
	s_and_b64 s[22:23], vcc, exec
	s_or_b64 s[22:23], s[6:7], s[22:23]
	s_barrier
	s_andn2_b64 exec, exec, s[12:13]
	s_cbranch_execz .LBB140_104
.LBB140_97:                             ;   Parent Loop BB140_19 Depth=1
                                        ; =>  This Inner Loop Header: Depth=2
	v_cmp_gt_u64_e32 vcc, s[2:3], v[4:5]
	v_mov_b32_e32 v7, 0
	s_and_saveexec_b64 s[6:7], vcc
	s_cbranch_execz .LBB140_99
; %bb.98:                               ;   in Loop: Header=BB140_97 Depth=2
	ds_read_u16 v7, v6
.LBB140_99:                             ;   in Loop: Header=BB140_97 Depth=2
	s_or_b64 exec, exec, s[6:7]
	s_and_saveexec_b64 s[6:7], vcc
	s_cbranch_execz .LBB140_96
; %bb.100:                              ;   in Loop: Header=BB140_97 Depth=2
	s_waitcnt lgkmcnt(0)
	v_cmp_lt_i16_e32 vcc, -1, v7
	v_cndmask_b32_e32 v8, v37, v38, vcc
	v_lshlrev_b32_e32 v9, 16, v7
	v_xor_b32_sdwa v8, v8, v7 dst_sel:DWORD dst_unused:UNUSED_PAD src0_sel:DWORD src1_sel:WORD_0
	v_cmp_o_f32_e32 vcc, v9, v9
	v_cndmask_b32_e32 v8, v37, v8, vcc
	v_and_b32_e32 v8, s81, v8
	v_cmp_eq_u32_e32 vcc, s80, v8
	s_and_b64 exec, exec, vcc
	s_cbranch_execz .LBB140_96
; %bb.101:                              ;   in Loop: Header=BB140_97 Depth=2
	v_perm_b32 v7, v7, s50, v41
	ds_write_b32 v13, v7 offset:3072
	s_branch .LBB140_96
.LBB140_102:                            ;   in Loop: Header=BB140_19 Depth=1
	s_mov_b64 s[6:7], -1
                                        ; implicit-def: $sgpr2_sgpr3
                                        ; implicit-def: $sgpr12_sgpr13
                                        ; implicit-def: $sgpr8_sgpr9
	s_branch .LBB140_119
.LBB140_103:                            ;   in Loop: Header=BB140_19 Depth=1
	s_mov_b64 s[2:3], -1
	s_mov_b64 s[6:7], 0
                                        ; implicit-def: $sgpr8_sgpr9
                                        ; implicit-def: $vgpr42
	s_mov_b64 s[12:13], s[2:3]
	s_cbranch_execnz .LBB140_106
	s_branch .LBB140_119
.LBB140_104:                            ;   in Loop: Header=BB140_19 Depth=1
	s_or_b64 exec, exec, s[12:13]
	v_lshrrev_b32_e32 v42, 16, v7
	s_and_b64 s[6:7], s[22:23], exec
.LBB140_105:                            ;   in Loop: Header=BB140_19 Depth=1
	s_or_b64 exec, exec, s[8:9]
	s_mov_b64 s[8:9], -1
	s_mov_b64 s[2:3], 0
	s_mov_b64 s[12:13], s[2:3]
	s_branch .LBB140_119
.LBB140_106:                            ;   in Loop: Header=BB140_19 Depth=1
	s_mov_b32 s68, s71
	s_cmp_lg_u64 s[68:69], 0
	s_cbranch_scc0 .LBB140_152
; %bb.107:                              ;   in Loop: Header=BB140_19 Depth=1
	v_cvt_f32_u32_e32 v2, s33
	s_sub_u32 s2, 0, s33
	s_subb_u32 s3, 0, 0
	v_mac_f32_e32 v2, 0, v39
	v_rcp_f32_e32 v2, v2
	v_mul_f32_e32 v2, 0x5f7ffffc, v2
	v_mul_f32_e32 v3, 0x2f800000, v2
	v_trunc_f32_e32 v3, v3
	v_mac_f32_e32 v2, 0xcf800000, v3
	v_cvt_u32_f32_e32 v3, v3
	v_cvt_u32_f32_e32 v2, v2
	v_readfirstlane_b32 s6, v3
	v_readfirstlane_b32 s7, v2
	s_mul_i32 s8, s2, s6
	s_mul_hi_u32 s12, s2, s7
	s_mul_i32 s9, s3, s7
	s_add_i32 s8, s12, s8
	s_mul_i32 s13, s2, s7
	s_add_i32 s8, s8, s9
	s_mul_hi_u32 s12, s7, s13
	s_mul_hi_u32 s9, s7, s8
	s_mul_i32 s7, s7, s8
	s_add_u32 s7, s12, s7
	s_addc_u32 s9, 0, s9
	s_mul_hi_u32 s22, s6, s13
	s_mul_i32 s13, s6, s13
	s_add_u32 s7, s7, s13
	s_mul_hi_u32 s12, s6, s8
	s_addc_u32 s7, s9, s22
	s_addc_u32 s9, s12, 0
	s_mul_i32 s8, s6, s8
	s_add_u32 s7, s7, s8
	s_addc_u32 s8, 0, s9
	v_add_co_u32_e32 v2, vcc, s7, v2
	s_cmp_lg_u64 vcc, 0
	s_addc_u32 s6, s6, s8
	v_readfirstlane_b32 s8, v2
	s_mul_i32 s7, s2, s6
	s_mul_hi_u32 s9, s2, s8
	s_add_i32 s7, s9, s7
	s_mul_i32 s3, s3, s8
	s_add_i32 s7, s7, s3
	s_mul_i32 s2, s2, s8
	s_mul_hi_u32 s9, s6, s2
	s_mul_i32 s12, s6, s2
	s_mul_i32 s22, s8, s7
	s_mul_hi_u32 s2, s8, s2
	s_mul_hi_u32 s13, s8, s7
	s_add_u32 s2, s2, s22
	s_addc_u32 s8, 0, s13
	s_add_u32 s2, s2, s12
	s_mul_hi_u32 s3, s6, s7
	s_addc_u32 s2, s8, s9
	s_addc_u32 s3, s3, 0
	s_mul_i32 s7, s6, s7
	s_add_u32 s2, s2, s7
	s_addc_u32 s3, 0, s3
	v_add_co_u32_e32 v2, vcc, s2, v2
	s_cmp_lg_u64 vcc, 0
	s_addc_u32 s2, s6, s3
	v_readfirstlane_b32 s7, v2
	s_mul_i32 s6, s89, s2
	s_mul_hi_u32 s8, s89, s7
	s_mul_hi_u32 s3, s89, s2
	s_add_u32 s6, s8, s6
	s_addc_u32 s3, 0, s3
	s_mul_hi_u32 s9, s69, s7
	s_mul_i32 s7, s69, s7
	s_add_u32 s6, s6, s7
	s_mul_hi_u32 s8, s69, s2
	s_addc_u32 s3, s3, s9
	s_addc_u32 s6, s8, 0
	s_mul_i32 s2, s69, s2
	s_add_u32 s2, s3, s2
	s_addc_u32 s3, 0, s6
	s_mul_hi_u32 s6, s33, s2
	s_mul_i32 s2, s33, s2
	s_mul_i32 s3, s33, s3
	v_mov_b32_e32 v2, s2
	s_add_i32 s6, s6, s3
	v_sub_co_u32_e32 v2, vcc, s89, v2
	s_cmp_lg_u64 vcc, 0
	s_subb_u32 s2, s69, s6
	v_subrev_co_u32_e32 v3, vcc, s33, v2
	s_cmp_lg_u64 vcc, 0
	s_subb_u32 s3, s2, 0
	v_subrev_co_u32_e32 v4, vcc, s33, v3
	s_cmp_lg_u64 vcc, 0
	s_subb_u32 s6, s3, 0
	v_cmp_le_u32_e32 vcc, s33, v3
	s_cmp_eq_u32 s3, 0
	v_cndmask_b32_e64 v5, 0, -1, vcc
	s_cselect_b64 vcc, -1, 0
	v_cndmask_b32_e32 v5, -1, v5, vcc
	v_mov_b32_e32 v6, s3
	v_mov_b32_e32 v7, s6
	v_cmp_ne_u32_e32 vcc, 0, v5
	v_cndmask_b32_e32 v5, v6, v7, vcc
	v_cndmask_b32_e32 v4, v3, v4, vcc
	v_cmp_le_u32_e32 vcc, s33, v2
	s_cmp_eq_u32 s2, 0
	v_cndmask_b32_e64 v3, 0, -1, vcc
	s_cselect_b64 vcc, -1, 0
	v_cndmask_b32_e32 v3, -1, v3, vcc
	v_mov_b32_e32 v6, s2
	v_cmp_ne_u32_e32 vcc, 0, v3
	v_cndmask_b32_e32 v3, v6, v5, vcc
	v_cndmask_b32_e32 v2, v2, v4, vcc
	s_cbranch_execnz .LBB140_109
.LBB140_108:                            ;   in Loop: Header=BB140_19 Depth=1
	v_cvt_f32_u32_e32 v2, s33
	s_sub_i32 s2, 0, s33
	v_rcp_iflag_f32_e32 v2, v2
	v_mul_f32_e32 v2, 0x4f7ffffe, v2
	v_cvt_u32_f32_e32 v2, v2
	v_mul_lo_u32 v3, s2, v2
	v_mul_hi_u32 v3, v2, v3
	v_add_u32_e32 v2, v2, v3
	v_mul_hi_u32 v2, s89, v2
	v_mul_lo_u32 v2, v2, s33
	v_sub_u32_e32 v2, s89, v2
	v_subrev_u32_e32 v3, s33, v2
	v_cmp_le_u32_e32 vcc, s33, v2
	v_cndmask_b32_e32 v2, v2, v3, vcc
	v_subrev_u32_e32 v3, s33, v2
	v_cmp_le_u32_e32 vcc, s33, v2
	v_cndmask_b32_e32 v12, v2, v3, vcc
	v_pk_mov_b32 v[2:3], v[12:13], v[12:13] op_sel:[0,1]
.LBB140_109:                            ;   in Loop: Header=BB140_19 Depth=1
	v_mov_b32_e32 v4, s69
	v_sub_co_u32_e32 v2, vcc, s89, v2
	v_subb_co_u32_e32 v3, vcc, v4, v3, vcc
	v_cmp_gt_u64_e32 vcc, v[2:3], v[0:1]
	s_mov_b64 s[6:7], 0
                                        ; implicit-def: $vgpr42
	s_and_saveexec_b64 s[2:3], vcc
	s_cbranch_execz .LBB140_118
; %bb.110:                              ;   in Loop: Header=BB140_19 Depth=1
	s_mov_b64 s[8:9], 0
	v_pk_mov_b32 v[4:5], v[10:11], v[10:11] op_sel:[0,1]
	v_pk_mov_b32 v[6:7], v[0:1], v[0:1] op_sel:[0,1]
                                        ; implicit-def: $sgpr12_sgpr13
	s_branch .LBB140_112
.LBB140_111:                            ;   in Loop: Header=BB140_112 Depth=2
	s_or_b64 exec, exec, s[6:7]
	s_waitcnt lgkmcnt(0)
	s_barrier
	s_waitcnt vmcnt(0)
	ds_read_b32 v8, v13 offset:3072
	v_add_co_u32_e64 v6, s[6:7], s33, v6
	s_waitcnt lgkmcnt(0)
	s_barrier
	v_and_b32_e32 v9, 0x7fff, v8
	v_cmp_ne_u16_e32 vcc, 0, v9
	v_mov_b32_e32 v9, s88
	v_addc_co_u32_e64 v7, s[6:7], v7, v9, s[6:7]
	v_cmp_ge_u64_e64 s[6:7], v[6:7], v[2:3]
	s_or_b64 s[22:23], s[6:7], vcc
	v_mov_b32_e32 v9, s67
	v_add_co_u32_e64 v4, s[6:7], s66, v4
	v_addc_co_u32_e64 v5, s[6:7], v5, v9, s[6:7]
	s_and_b64 s[6:7], exec, s[22:23]
	s_or_b64 s[8:9], s[6:7], s[8:9]
	s_andn2_b64 s[6:7], s[12:13], exec
	s_and_b64 s[12:13], vcc, exec
	s_or_b64 s[12:13], s[6:7], s[12:13]
	s_andn2_b64 exec, exec, s[8:9]
	s_cbranch_execz .LBB140_117
.LBB140_112:                            ;   Parent Loop BB140_19 Depth=1
                                        ; =>  This Inner Loop Header: Depth=2
	v_cmp_gt_u64_e32 vcc, s[52:53], v[6:7]
	v_mov_b32_e32 v8, 0
	s_and_saveexec_b64 s[6:7], vcc
	s_cbranch_execz .LBB140_114
; %bb.113:                              ;   in Loop: Header=BB140_112 Depth=2
	global_load_ushort v8, v[4:5], off
.LBB140_114:                            ;   in Loop: Header=BB140_112 Depth=2
	s_or_b64 exec, exec, s[6:7]
	s_and_saveexec_b64 s[6:7], vcc
	s_cbranch_execz .LBB140_111
; %bb.115:                              ;   in Loop: Header=BB140_112 Depth=2
	s_waitcnt vmcnt(0)
	v_cmp_lt_i16_e32 vcc, -1, v8
	v_cndmask_b32_e32 v9, v37, v38, vcc
	v_lshlrev_b32_e32 v12, 16, v8
	v_xor_b32_sdwa v9, v9, v8 dst_sel:DWORD dst_unused:UNUSED_PAD src0_sel:DWORD src1_sel:WORD_0
	v_cmp_o_f32_e32 vcc, v12, v12
	v_cndmask_b32_e32 v9, v37, v9, vcc
	v_and_b32_e32 v9, s81, v9
	v_cmp_eq_u32_e32 vcc, s80, v9
	s_and_b64 exec, exec, vcc
	s_cbranch_execz .LBB140_111
; %bb.116:                              ;   in Loop: Header=BB140_112 Depth=2
	v_perm_b32 v8, v8, s50, v41
	ds_write_b32 v13, v8 offset:3072
	s_branch .LBB140_111
.LBB140_117:                            ;   in Loop: Header=BB140_19 Depth=1
	s_or_b64 exec, exec, s[8:9]
	v_lshrrev_b32_e32 v42, 16, v8
	s_and_b64 s[6:7], s[12:13], exec
.LBB140_118:                            ;   in Loop: Header=BB140_19 Depth=1
	s_or_b64 exec, exec, s[2:3]
	s_mov_b64 s[12:13], -1
	s_mov_b64 s[2:3], 0
	s_mov_b64 s[8:9], 0
.LBB140_119:                            ;   in Loop: Header=BB140_19 Depth=1
	s_andn2_b64 s[22:23], s[92:93], exec
	s_and_b64 s[2:3], s[2:3], exec
	s_or_b64 s[92:93], s[22:23], s[2:3]
	s_andn2_b64 s[2:3], s[62:63], exec
	s_and_b64 s[12:13], s[12:13], exec
	s_or_b64 s[62:63], s[2:3], s[12:13]
	;; [unrolled: 3-line block ×3, first 2 shown]
	s_and_saveexec_b64 s[12:13], s[6:7]
	s_cbranch_execz .LBB140_18
; %bb.120:                              ;   in Loop: Header=BB140_19 Depth=1
	s_xor_b64 s[2:3], s[20:21], -1
	s_andn2_b64 vcc, exec, s[2:3]
	s_mov_b32 s45, 1
	s_cbranch_vccnz .LBB140_131
; %bb.121:                              ;   in Loop: Header=BB140_19 Depth=1
	v_pk_mov_b32 v[2:3], s[14:15], s[14:15] op_sel:[0,1]
	v_cmp_gt_u64_e32 vcc, s[72:73], v[2:3]
	s_mov_b64 s[2:3], -1
                                        ; implicit-def: $sgpr45
                                        ; implicit-def: $sgpr6
                                        ; implicit-def: $sgpr7
	s_cbranch_vccnz .LBB140_127
; %bb.122:                              ;   in Loop: Header=BB140_19 Depth=1
	ds_read_b64 v[2:3], v13 offset:5120
	s_waitcnt lgkmcnt(0)
	v_cmp_ne_u64_e32 vcc, 0, v[2:3]
	s_cbranch_vccnz .LBB140_126
; %bb.123:                              ;   in Loop: Header=BB140_19 Depth=1
	s_mov_b64 s[2:3], exec
	v_readlane_b32 s6, v52, 12
	v_readlane_b32 s7, v52, 13
	s_and_b64 s[6:7], s[2:3], s[6:7]
	s_mov_b64 exec, s[6:7]
	s_cbranch_execz .LBB140_125
; %bb.124:                              ;   in Loop: Header=BB140_19 Depth=1
	v_pk_mov_b32 v[2:3], s[14:15], s[14:15] op_sel:[0,1]
	ds_write_b64 v13, v[2:3] offset:5128
.LBB140_125:                            ;   in Loop: Header=BB140_19 Depth=1
	s_or_b64 exec, exec, s[2:3]
	s_waitcnt lgkmcnt(0)
	s_barrier
.LBB140_126:                            ;   in Loop: Header=BB140_19 Depth=1
	s_and_b32 s6, s80, s41
	s_or_b32 s7, s81, s44
	s_mov_b64 s[2:3], 0
	s_mov_b32 s45, 8
.LBB140_127:                            ;   in Loop: Header=BB140_19 Depth=1
	s_andn2_b64 vcc, exec, s[2:3]
	s_cbranch_vccnz .LBB140_129
; %bb.128:                              ;   in Loop: Header=BB140_19 Depth=1
	s_sub_u32 s72, s72, s14
	s_subb_u32 s73, s73, s15
	s_mov_b64 s[2:3], -1
	s_mov_b32 s45, 0
	s_mov_b32 s6, s80
	s_mov_b32 s7, s81
.LBB140_129:                            ;   in Loop: Header=BB140_19 Depth=1
	s_mov_b32 s81, s7
	s_mov_b32 s80, s6
	s_mov_b64 s[14:15], -1
	s_and_b64 vcc, exec, s[2:3]
	s_cbranch_vccnz .LBB140_132
.LBB140_130:                            ;   in Loop: Header=BB140_19 Depth=1
	s_mov_b64 s[2:3], -1
                                        ; implicit-def: $sgpr18_sgpr19
                                        ; implicit-def: $sgpr22_sgpr23
                                        ; implicit-def: $sgpr20_sgpr21
	s_and_saveexec_b64 s[6:7], s[2:3]
	s_xor_b64 s[2:3], exec, s[6:7]
	s_cbranch_execz .LBB140_17
	s_branch .LBB140_281
.LBB140_131:                            ;   in Loop: Header=BB140_19 Depth=1
	s_mov_b64 s[72:73], 1
	s_mov_b64 s[14:15], -1
	s_branch .LBB140_130
.LBB140_132:                            ;   in Loop: Header=BB140_19 Depth=1
	s_cmp_eq_u64 s[28:29], 1
	s_cselect_b64 s[2:3], -1, 0
	s_cmp_eq_u64 s[72:73], 1
	s_cselect_b64 s[6:7], -1, 0
	s_and_b64 s[30:31], s[2:3], s[6:7]
	s_mov_b64 s[6:7], -1
	s_and_b64 vcc, exec, s[30:31]
	s_cbranch_vccz .LBB140_147
; %bb.133:                              ;   in Loop: Header=BB140_19 Depth=1
	ds_read_b64 v[2:3], v13 offset:5120
	s_waitcnt lgkmcnt(0)
	s_barrier
	v_readfirstlane_b32 s2, v2
	v_readfirstlane_b32 s3, v3
	s_mov_b64 s[6:7], exec
	v_readlane_b32 s8, v52, 14
	v_readlane_b32 s9, v52, 15
	s_and_b64 s[8:9], s[6:7], s[8:9]
	s_mov_b64 exec, s[8:9]
	s_cbranch_execz .LBB140_135
; %bb.134:                              ;   in Loop: Header=BB140_19 Depth=1
	ds_write_b16 v32, v15
.LBB140_135:                            ;   in Loop: Header=BB140_19 Depth=1
	s_or_b64 exec, exec, s[6:7]
	s_lshl_b32 s6, 1, s40
	s_and_b32 s7, s80, s41
	s_or_b32 s80, s7, s6
	s_or_b32 s81, s81, s44
	s_cmp_eq_u64 s[2:3], 0
	s_waitcnt lgkmcnt(0)
	s_barrier
	s_cbranch_scc1 .LBB140_153
; %bb.136:                              ;   in Loop: Header=BB140_19 Depth=1
	v_readlane_b32 s6, v52, 20
	s_add_u32 s18, s6, s2
	v_readlane_b32 s6, v52, 21
	s_addc_u32 s7, s6, s3
	s_mov_b32 s6, s71
	s_cmp_lg_u64 s[6:7], 0
	s_cbranch_scc0 .LBB140_198
; %bb.137:                              ;   in Loop: Header=BB140_19 Depth=1
	v_cvt_f32_u32_e32 v2, s33
	s_sub_u32 s6, 0, s33
	s_subb_u32 s8, 0, 0
	v_mac_f32_e32 v2, 0, v39
	v_rcp_f32_e32 v2, v2
	v_mul_f32_e32 v2, 0x5f7ffffc, v2
	v_mul_f32_e32 v3, 0x2f800000, v2
	v_trunc_f32_e32 v3, v3
	v_mac_f32_e32 v2, 0xcf800000, v3
	v_cvt_u32_f32_e32 v3, v3
	v_cvt_u32_f32_e32 v2, v2
	v_readfirstlane_b32 s9, v3
	v_readfirstlane_b32 s19, v2
	s_mul_i32 s20, s6, s9
	s_mul_hi_u32 s22, s6, s19
	s_mul_i32 s21, s8, s19
	s_add_i32 s20, s22, s20
	s_mul_i32 s23, s6, s19
	s_add_i32 s20, s20, s21
	s_mul_hi_u32 s22, s19, s23
	s_mul_hi_u32 s21, s19, s20
	s_mul_i32 s19, s19, s20
	s_add_u32 s19, s22, s19
	s_addc_u32 s21, 0, s21
	s_mul_hi_u32 s24, s9, s23
	s_mul_i32 s23, s9, s23
	s_add_u32 s19, s19, s23
	s_mul_hi_u32 s22, s9, s20
	s_addc_u32 s19, s21, s24
	s_addc_u32 s21, s22, 0
	s_mul_i32 s20, s9, s20
	s_add_u32 s19, s19, s20
	s_addc_u32 s20, 0, s21
	v_add_co_u32_e32 v2, vcc, s19, v2
	s_cmp_lg_u64 vcc, 0
	s_addc_u32 s9, s9, s20
	v_readfirstlane_b32 s20, v2
	s_mul_i32 s19, s6, s9
	s_mul_hi_u32 s21, s6, s20
	s_add_i32 s19, s21, s19
	s_mul_i32 s8, s8, s20
	s_add_i32 s19, s19, s8
	s_mul_i32 s6, s6, s20
	s_mul_hi_u32 s21, s9, s6
	s_mul_i32 s22, s9, s6
	s_mul_i32 s24, s20, s19
	s_mul_hi_u32 s6, s20, s6
	s_mul_hi_u32 s23, s20, s19
	s_add_u32 s6, s6, s24
	s_addc_u32 s20, 0, s23
	s_add_u32 s6, s6, s22
	s_mul_hi_u32 s8, s9, s19
	s_addc_u32 s6, s20, s21
	s_addc_u32 s8, s8, 0
	s_mul_i32 s19, s9, s19
	s_add_u32 s6, s6, s19
	s_addc_u32 s8, 0, s8
	v_add_co_u32_e32 v2, vcc, s6, v2
	s_cmp_lg_u64 vcc, 0
	s_addc_u32 s6, s9, s8
	v_readfirstlane_b32 s19, v2
	s_mul_i32 s9, s18, s6
	s_mul_hi_u32 s20, s18, s19
	s_mul_hi_u32 s8, s18, s6
	s_add_u32 s9, s20, s9
	s_addc_u32 s8, 0, s8
	s_mul_hi_u32 s21, s7, s19
	s_mul_i32 s19, s7, s19
	s_add_u32 s9, s9, s19
	s_mul_hi_u32 s20, s7, s6
	s_addc_u32 s8, s8, s21
	s_addc_u32 s9, s20, 0
	s_mul_i32 s6, s7, s6
	s_add_u32 s6, s8, s6
	s_addc_u32 s8, 0, s9
	s_mul_hi_u32 s9, s33, s6
	s_mul_i32 s6, s33, s6
	s_mul_i32 s8, s33, s8
	v_mov_b32_e32 v2, s6
	s_add_i32 s9, s9, s8
	v_sub_co_u32_e32 v2, vcc, s18, v2
	s_cmp_lg_u64 vcc, 0
	s_subb_u32 s6, s7, s9
	v_subrev_co_u32_e32 v3, vcc, s33, v2
	s_cmp_lg_u64 vcc, 0
	s_subb_u32 s8, s6, 0
	v_subrev_co_u32_e32 v4, vcc, s33, v3
	s_cmp_lg_u64 vcc, 0
	s_subb_u32 s9, s8, 0
	v_cmp_le_u32_e32 vcc, s33, v3
	s_cmp_eq_u32 s8, 0
	v_cndmask_b32_e64 v5, 0, -1, vcc
	s_cselect_b64 vcc, -1, 0
	v_cndmask_b32_e32 v5, -1, v5, vcc
	v_mov_b32_e32 v6, s8
	v_mov_b32_e32 v7, s9
	v_cmp_ne_u32_e32 vcc, 0, v5
	v_cndmask_b32_e32 v5, v6, v7, vcc
	v_cndmask_b32_e32 v4, v3, v4, vcc
	v_cmp_le_u32_e32 vcc, s33, v2
	s_cmp_eq_u32 s6, 0
	v_cndmask_b32_e64 v3, 0, -1, vcc
	s_cselect_b64 vcc, -1, 0
	v_cndmask_b32_e32 v3, -1, v3, vcc
	v_mov_b32_e32 v6, s6
	v_cmp_ne_u32_e32 vcc, 0, v3
	v_cndmask_b32_e32 v3, v6, v5, vcc
	v_cndmask_b32_e32 v2, v2, v4, vcc
	s_cbranch_execnz .LBB140_139
.LBB140_138:                            ;   in Loop: Header=BB140_19 Depth=1
	v_cvt_f32_u32_e32 v2, s33
	s_sub_i32 s6, 0, s33
	v_rcp_iflag_f32_e32 v2, v2
	v_mul_f32_e32 v2, 0x4f7ffffe, v2
	v_cvt_u32_f32_e32 v2, v2
	v_mul_lo_u32 v3, s6, v2
	v_mul_hi_u32 v3, v2, v3
	v_add_u32_e32 v2, v2, v3
	v_mul_hi_u32 v2, s18, v2
	v_mul_lo_u32 v2, v2, s33
	v_sub_u32_e32 v2, s18, v2
	v_subrev_u32_e32 v3, s33, v2
	v_cmp_le_u32_e32 vcc, s33, v2
	v_cndmask_b32_e32 v2, v2, v3, vcc
	v_subrev_u32_e32 v3, s33, v2
	v_cmp_le_u32_e32 vcc, s33, v2
	v_cndmask_b32_e32 v12, v2, v3, vcc
	v_pk_mov_b32 v[2:3], v[12:13], v[12:13] op_sel:[0,1]
.LBB140_139:                            ;   in Loop: Header=BB140_19 Depth=1
	v_mov_b32_e32 v4, s7
	v_sub_co_u32_e32 v2, vcc, s18, v2
	v_subb_co_u32_e32 v3, vcc, v4, v3, vcc
	v_cmp_gt_u64_e32 vcc, v[2:3], v[0:1]
	s_mov_b64 s[6:7], 0
                                        ; implicit-def: $vgpr42
	s_and_saveexec_b64 s[8:9], vcc
	s_cbranch_execz .LBB140_155
; %bb.140:                              ;   in Loop: Header=BB140_19 Depth=1
	s_mov_b64 s[18:19], 0
	v_mov_b32_e32 v6, v31
	v_pk_mov_b32 v[4:5], v[0:1], v[0:1] op_sel:[0,1]
                                        ; implicit-def: $sgpr20_sgpr21
	s_branch .LBB140_142
.LBB140_141:                            ;   in Loop: Header=BB140_142 Depth=2
	s_or_b64 exec, exec, s[6:7]
	s_waitcnt lgkmcnt(0)
	s_barrier
	ds_read_b32 v7, v13 offset:3072
	v_add_co_u32_e64 v4, s[6:7], s33, v4
	v_add_u32_e32 v6, s87, v6
	s_waitcnt lgkmcnt(0)
	v_and_b32_e32 v8, 0x7fff, v7
	v_cmp_ne_u16_e32 vcc, 0, v8
	v_mov_b32_e32 v8, s88
	v_addc_co_u32_e64 v5, s[6:7], v5, v8, s[6:7]
	v_cmp_ge_u64_e64 s[6:7], v[4:5], v[2:3]
	s_or_b64 s[6:7], s[6:7], vcc
	s_and_b64 s[6:7], exec, s[6:7]
	s_or_b64 s[18:19], s[6:7], s[18:19]
	s_andn2_b64 s[6:7], s[20:21], exec
	s_and_b64 s[20:21], vcc, exec
	s_or_b64 s[20:21], s[6:7], s[20:21]
	s_barrier
	s_andn2_b64 exec, exec, s[18:19]
	s_cbranch_execz .LBB140_154
.LBB140_142:                            ;   Parent Loop BB140_19 Depth=1
                                        ; =>  This Inner Loop Header: Depth=2
	v_cmp_gt_u64_e32 vcc, s[2:3], v[4:5]
	v_mov_b32_e32 v7, 0
	s_and_saveexec_b64 s[6:7], vcc
	s_cbranch_execz .LBB140_144
; %bb.143:                              ;   in Loop: Header=BB140_142 Depth=2
	ds_read_u16 v7, v6
.LBB140_144:                            ;   in Loop: Header=BB140_142 Depth=2
	s_or_b64 exec, exec, s[6:7]
	s_and_saveexec_b64 s[6:7], vcc
	s_cbranch_execz .LBB140_141
; %bb.145:                              ;   in Loop: Header=BB140_142 Depth=2
	s_waitcnt lgkmcnt(0)
	v_cmp_lt_i16_e32 vcc, -1, v7
	v_cndmask_b32_e32 v8, v37, v38, vcc
	v_lshlrev_b32_e32 v9, 16, v7
	v_xor_b32_sdwa v8, v8, v7 dst_sel:DWORD dst_unused:UNUSED_PAD src0_sel:DWORD src1_sel:WORD_0
	v_cmp_o_f32_e32 vcc, v9, v9
	v_cndmask_b32_e32 v8, v37, v8, vcc
	v_and_b32_e32 v8, s81, v8
	v_cmp_eq_u32_e32 vcc, s80, v8
	s_and_b64 exec, exec, vcc
	s_cbranch_execz .LBB140_141
; %bb.146:                              ;   in Loop: Header=BB140_142 Depth=2
	v_perm_b32 v7, v7, s50, v41
	ds_write_b32 v13, v7 offset:3072
	s_branch .LBB140_141
.LBB140_147:                            ;   in Loop: Header=BB140_19 Depth=1
                                        ; implicit-def: $sgpr20_sgpr21
                                        ; implicit-def: $sgpr22_sgpr23
                                        ; implicit-def: $sgpr18_sgpr19
	s_branch .LBB140_169
.LBB140_148:                            ;   in Loop: Header=BB140_19 Depth=1
                                        ; implicit-def: $vgpr2_vgpr3
	s_branch .LBB140_93
.LBB140_149:                            ;   in Loop: Header=BB140_19 Depth=1
	s_or_b64 exec, exec, s[2:3]
	s_waitcnt lgkmcnt(0)
	s_barrier
	s_mov_b64 s[2:3], exec
	v_readlane_b32 s6, v52, 12
	v_readlane_b32 s7, v52, 13
	s_and_b64 s[6:7], s[2:3], s[6:7]
	s_mov_b64 exec, s[6:7]
	s_cbranch_execz .LBB140_151
; %bb.150:                              ;   in Loop: Header=BB140_19 Depth=1
	ds_read_b32 v2, v13 offset:5144
	s_waitcnt lgkmcnt(0)
	v_ashrrev_i32_e32 v3, 31, v2
	ds_write_b64 v13, v[2:3] offset:5120
.LBB140_151:                            ;   in Loop: Header=BB140_19 Depth=1
	s_or_b64 exec, exec, s[2:3]
	s_waitcnt lgkmcnt(0)
	s_barrier
	s_mov_b64 s[2:3], -1
	s_and_b64 vcc, exec, s[82:83]
	s_cbranch_vccnz .LBB140_34
	s_branch .LBB140_44
.LBB140_152:                            ;   in Loop: Header=BB140_19 Depth=1
                                        ; implicit-def: $vgpr2_vgpr3
	s_branch .LBB140_108
.LBB140_153:                            ;   in Loop: Header=BB140_19 Depth=1
	s_mov_b64 s[20:21], -1
	s_mov_b64 s[6:7], 0
                                        ; implicit-def: $sgpr18_sgpr19
                                        ; implicit-def: $vgpr42
	s_mov_b64 s[22:23], s[20:21]
	s_cbranch_execnz .LBB140_156
	s_branch .LBB140_169
.LBB140_154:                            ;   in Loop: Header=BB140_19 Depth=1
	s_or_b64 exec, exec, s[18:19]
	v_lshrrev_b32_e32 v42, 16, v7
	s_and_b64 s[6:7], s[20:21], exec
.LBB140_155:                            ;   in Loop: Header=BB140_19 Depth=1
	s_or_b64 exec, exec, s[8:9]
	s_mov_b64 s[18:19], -1
	s_mov_b64 s[20:21], 0
	s_mov_b64 s[22:23], s[20:21]
	s_branch .LBB140_169
.LBB140_156:                            ;   in Loop: Header=BB140_19 Depth=1
	s_mov_b32 s68, s71
	s_cmp_lg_u64 s[68:69], 0
	s_cbranch_scc0 .LBB140_199
; %bb.157:                              ;   in Loop: Header=BB140_19 Depth=1
	v_cvt_f32_u32_e32 v2, s33
	s_sub_u32 s2, 0, s33
	s_subb_u32 s3, 0, 0
	v_mac_f32_e32 v2, 0, v39
	v_rcp_f32_e32 v2, v2
	v_mul_f32_e32 v2, 0x5f7ffffc, v2
	v_mul_f32_e32 v3, 0x2f800000, v2
	v_trunc_f32_e32 v3, v3
	v_mac_f32_e32 v2, 0xcf800000, v3
	v_cvt_u32_f32_e32 v3, v3
	v_cvt_u32_f32_e32 v2, v2
	v_readfirstlane_b32 s6, v3
	v_readfirstlane_b32 s7, v2
	s_mul_i32 s8, s2, s6
	s_mul_hi_u32 s18, s2, s7
	s_mul_i32 s9, s3, s7
	s_add_i32 s8, s18, s8
	s_mul_i32 s19, s2, s7
	s_add_i32 s8, s8, s9
	s_mul_hi_u32 s18, s7, s19
	s_mul_hi_u32 s9, s7, s8
	s_mul_i32 s7, s7, s8
	s_add_u32 s7, s18, s7
	s_addc_u32 s9, 0, s9
	s_mul_hi_u32 s20, s6, s19
	s_mul_i32 s19, s6, s19
	s_add_u32 s7, s7, s19
	s_mul_hi_u32 s18, s6, s8
	s_addc_u32 s7, s9, s20
	s_addc_u32 s9, s18, 0
	s_mul_i32 s8, s6, s8
	s_add_u32 s7, s7, s8
	s_addc_u32 s8, 0, s9
	v_add_co_u32_e32 v2, vcc, s7, v2
	s_cmp_lg_u64 vcc, 0
	s_addc_u32 s6, s6, s8
	v_readfirstlane_b32 s8, v2
	s_mul_i32 s7, s2, s6
	s_mul_hi_u32 s9, s2, s8
	s_add_i32 s7, s9, s7
	s_mul_i32 s3, s3, s8
	s_add_i32 s7, s7, s3
	s_mul_i32 s2, s2, s8
	s_mul_hi_u32 s9, s6, s2
	s_mul_i32 s18, s6, s2
	s_mul_i32 s20, s8, s7
	s_mul_hi_u32 s2, s8, s2
	s_mul_hi_u32 s19, s8, s7
	s_add_u32 s2, s2, s20
	s_addc_u32 s8, 0, s19
	s_add_u32 s2, s2, s18
	s_mul_hi_u32 s3, s6, s7
	s_addc_u32 s2, s8, s9
	s_addc_u32 s3, s3, 0
	s_mul_i32 s7, s6, s7
	s_add_u32 s2, s2, s7
	s_addc_u32 s3, 0, s3
	v_add_co_u32_e32 v2, vcc, s2, v2
	s_cmp_lg_u64 vcc, 0
	s_addc_u32 s2, s6, s3
	v_readfirstlane_b32 s7, v2
	s_mul_i32 s6, s89, s2
	s_mul_hi_u32 s8, s89, s7
	s_mul_hi_u32 s3, s89, s2
	s_add_u32 s6, s8, s6
	s_addc_u32 s3, 0, s3
	s_mul_hi_u32 s9, s69, s7
	s_mul_i32 s7, s69, s7
	s_add_u32 s6, s6, s7
	s_mul_hi_u32 s8, s69, s2
	s_addc_u32 s3, s3, s9
	s_addc_u32 s6, s8, 0
	s_mul_i32 s2, s69, s2
	s_add_u32 s2, s3, s2
	s_addc_u32 s3, 0, s6
	s_mul_hi_u32 s6, s33, s2
	s_mul_i32 s2, s33, s2
	s_mul_i32 s3, s33, s3
	v_mov_b32_e32 v2, s2
	s_add_i32 s6, s6, s3
	v_sub_co_u32_e32 v2, vcc, s89, v2
	s_cmp_lg_u64 vcc, 0
	s_subb_u32 s2, s69, s6
	v_subrev_co_u32_e32 v3, vcc, s33, v2
	s_cmp_lg_u64 vcc, 0
	s_subb_u32 s3, s2, 0
	v_subrev_co_u32_e32 v4, vcc, s33, v3
	s_cmp_lg_u64 vcc, 0
	s_subb_u32 s6, s3, 0
	v_cmp_le_u32_e32 vcc, s33, v3
	s_cmp_eq_u32 s3, 0
	v_cndmask_b32_e64 v5, 0, -1, vcc
	s_cselect_b64 vcc, -1, 0
	v_cndmask_b32_e32 v5, -1, v5, vcc
	v_mov_b32_e32 v6, s3
	v_mov_b32_e32 v7, s6
	v_cmp_ne_u32_e32 vcc, 0, v5
	v_cndmask_b32_e32 v5, v6, v7, vcc
	v_cndmask_b32_e32 v4, v3, v4, vcc
	v_cmp_le_u32_e32 vcc, s33, v2
	s_cmp_eq_u32 s2, 0
	v_cndmask_b32_e64 v3, 0, -1, vcc
	s_cselect_b64 vcc, -1, 0
	v_cndmask_b32_e32 v3, -1, v3, vcc
	v_mov_b32_e32 v6, s2
	v_cmp_ne_u32_e32 vcc, 0, v3
	v_cndmask_b32_e32 v3, v6, v5, vcc
	v_cndmask_b32_e32 v2, v2, v4, vcc
	s_cbranch_execnz .LBB140_159
.LBB140_158:                            ;   in Loop: Header=BB140_19 Depth=1
	v_cvt_f32_u32_e32 v2, s33
	s_sub_i32 s2, 0, s33
	v_rcp_iflag_f32_e32 v2, v2
	v_mul_f32_e32 v2, 0x4f7ffffe, v2
	v_cvt_u32_f32_e32 v2, v2
	v_mul_lo_u32 v3, s2, v2
	v_mul_hi_u32 v3, v2, v3
	v_add_u32_e32 v2, v2, v3
	v_mul_hi_u32 v2, s89, v2
	v_mul_lo_u32 v2, v2, s33
	v_sub_u32_e32 v2, s89, v2
	v_subrev_u32_e32 v3, s33, v2
	v_cmp_le_u32_e32 vcc, s33, v2
	v_cndmask_b32_e32 v2, v2, v3, vcc
	v_subrev_u32_e32 v3, s33, v2
	v_cmp_le_u32_e32 vcc, s33, v2
	v_cndmask_b32_e32 v12, v2, v3, vcc
	v_pk_mov_b32 v[2:3], v[12:13], v[12:13] op_sel:[0,1]
.LBB140_159:                            ;   in Loop: Header=BB140_19 Depth=1
	v_mov_b32_e32 v4, s69
	v_sub_co_u32_e32 v2, vcc, s89, v2
	v_subb_co_u32_e32 v3, vcc, v4, v3, vcc
	v_cmp_gt_u64_e32 vcc, v[2:3], v[0:1]
	s_mov_b64 s[6:7], 0
                                        ; implicit-def: $vgpr42
	s_and_saveexec_b64 s[2:3], vcc
	s_cbranch_execz .LBB140_168
; %bb.160:                              ;   in Loop: Header=BB140_19 Depth=1
	s_mov_b64 s[8:9], 0
	v_pk_mov_b32 v[4:5], v[10:11], v[10:11] op_sel:[0,1]
	v_pk_mov_b32 v[6:7], v[0:1], v[0:1] op_sel:[0,1]
                                        ; implicit-def: $sgpr18_sgpr19
	s_branch .LBB140_162
.LBB140_161:                            ;   in Loop: Header=BB140_162 Depth=2
	s_or_b64 exec, exec, s[6:7]
	s_waitcnt lgkmcnt(0)
	s_barrier
	s_waitcnt vmcnt(0)
	ds_read_b32 v8, v13 offset:3072
	v_add_co_u32_e64 v6, s[6:7], s33, v6
	s_waitcnt lgkmcnt(0)
	s_barrier
	v_and_b32_e32 v9, 0x7fff, v8
	v_cmp_ne_u16_e32 vcc, 0, v9
	v_mov_b32_e32 v9, s88
	v_addc_co_u32_e64 v7, s[6:7], v7, v9, s[6:7]
	v_cmp_ge_u64_e64 s[6:7], v[6:7], v[2:3]
	s_or_b64 s[20:21], s[6:7], vcc
	v_mov_b32_e32 v9, s67
	v_add_co_u32_e64 v4, s[6:7], s66, v4
	v_addc_co_u32_e64 v5, s[6:7], v5, v9, s[6:7]
	s_and_b64 s[6:7], exec, s[20:21]
	s_or_b64 s[8:9], s[6:7], s[8:9]
	s_andn2_b64 s[6:7], s[18:19], exec
	s_and_b64 s[18:19], vcc, exec
	s_or_b64 s[18:19], s[6:7], s[18:19]
	s_andn2_b64 exec, exec, s[8:9]
	s_cbranch_execz .LBB140_167
.LBB140_162:                            ;   Parent Loop BB140_19 Depth=1
                                        ; =>  This Inner Loop Header: Depth=2
	v_cmp_gt_u64_e32 vcc, s[52:53], v[6:7]
	v_mov_b32_e32 v8, 0
	s_and_saveexec_b64 s[6:7], vcc
	s_cbranch_execz .LBB140_164
; %bb.163:                              ;   in Loop: Header=BB140_162 Depth=2
	global_load_ushort v8, v[4:5], off
.LBB140_164:                            ;   in Loop: Header=BB140_162 Depth=2
	s_or_b64 exec, exec, s[6:7]
	s_and_saveexec_b64 s[6:7], vcc
	s_cbranch_execz .LBB140_161
; %bb.165:                              ;   in Loop: Header=BB140_162 Depth=2
	s_waitcnt vmcnt(0)
	v_cmp_lt_i16_e32 vcc, -1, v8
	v_cndmask_b32_e32 v9, v37, v38, vcc
	v_lshlrev_b32_e32 v12, 16, v8
	v_xor_b32_sdwa v9, v9, v8 dst_sel:DWORD dst_unused:UNUSED_PAD src0_sel:DWORD src1_sel:WORD_0
	v_cmp_o_f32_e32 vcc, v12, v12
	v_cndmask_b32_e32 v9, v37, v9, vcc
	v_and_b32_e32 v9, s81, v9
	v_cmp_eq_u32_e32 vcc, s80, v9
	s_and_b64 exec, exec, vcc
	s_cbranch_execz .LBB140_161
; %bb.166:                              ;   in Loop: Header=BB140_162 Depth=2
	v_perm_b32 v8, v8, s50, v41
	ds_write_b32 v13, v8 offset:3072
	s_branch .LBB140_161
.LBB140_167:                            ;   in Loop: Header=BB140_19 Depth=1
	s_or_b64 exec, exec, s[8:9]
	v_lshrrev_b32_e32 v42, 16, v8
	s_and_b64 s[6:7], s[18:19], exec
.LBB140_168:                            ;   in Loop: Header=BB140_19 Depth=1
	s_or_b64 exec, exec, s[2:3]
	s_mov_b64 s[22:23], -1
	s_mov_b64 s[20:21], 0
	s_mov_b64 s[18:19], 0
.LBB140_169:                            ;   in Loop: Header=BB140_19 Depth=1
	s_mov_b64 s[2:3], 0
                                        ; implicit-def: $sgpr45
	s_and_saveexec_b64 s[24:25], s[6:7]
	s_cbranch_execz .LBB140_280
; %bb.170:                              ;   in Loop: Header=BB140_19 Depth=1
	s_xor_b64 s[2:3], s[30:31], -1
	s_andn2_b64 vcc, exec, s[2:3]
	s_mov_b32 s45, 1
	s_cbranch_vccnz .LBB140_181
; %bb.171:                              ;   in Loop: Header=BB140_19 Depth=1
	v_pk_mov_b32 v[2:3], s[28:29], s[28:29] op_sel:[0,1]
	v_cmp_gt_u64_e32 vcc, s[72:73], v[2:3]
	s_mov_b64 s[2:3], -1
                                        ; implicit-def: $sgpr45
                                        ; implicit-def: $sgpr6
                                        ; implicit-def: $sgpr7
	s_cbranch_vccnz .LBB140_177
; %bb.172:                              ;   in Loop: Header=BB140_19 Depth=1
	ds_read_b64 v[2:3], v13 offset:5120
	s_waitcnt lgkmcnt(0)
	v_cmp_ne_u64_e32 vcc, 0, v[2:3]
	s_cbranch_vccnz .LBB140_176
; %bb.173:                              ;   in Loop: Header=BB140_19 Depth=1
	s_mov_b64 s[2:3], exec
	v_readlane_b32 s6, v52, 12
	v_readlane_b32 s7, v52, 13
	s_and_b64 s[6:7], s[2:3], s[6:7]
	s_mov_b64 exec, s[6:7]
	s_cbranch_execz .LBB140_175
; %bb.174:                              ;   in Loop: Header=BB140_19 Depth=1
	v_pk_mov_b32 v[2:3], s[28:29], s[28:29] op_sel:[0,1]
	ds_write_b64 v13, v[2:3] offset:5128
.LBB140_175:                            ;   in Loop: Header=BB140_19 Depth=1
	s_or_b64 exec, exec, s[2:3]
	s_waitcnt lgkmcnt(0)
	s_barrier
.LBB140_176:                            ;   in Loop: Header=BB140_19 Depth=1
	s_lshl_b32 s2, 1, s40
	s_and_b32 s3, s80, s41
	s_or_b32 s6, s3, s2
	s_or_b32 s7, s81, s44
	s_mov_b64 s[2:3], 0
	s_mov_b32 s45, 8
.LBB140_177:                            ;   in Loop: Header=BB140_19 Depth=1
	s_andn2_b64 vcc, exec, s[2:3]
	s_cbranch_vccnz .LBB140_179
; %bb.178:                              ;   in Loop: Header=BB140_19 Depth=1
	s_sub_u32 s72, s72, s28
	s_subb_u32 s73, s73, s29
	s_mov_b64 s[2:3], -1
	s_mov_b32 s45, 0
	s_mov_b32 s6, s80
	;; [unrolled: 1-line block ×3, first 2 shown]
.LBB140_179:                            ;   in Loop: Header=BB140_19 Depth=1
	s_mov_b32 s81, s7
	s_mov_b32 s80, s6
	s_andn2_b64 vcc, exec, s[2:3]
	s_mov_b64 s[2:3], -1
	s_cbranch_vccz .LBB140_182
.LBB140_180:                            ;   in Loop: Header=BB140_19 Depth=1
                                        ; implicit-def: $sgpr30_sgpr31
                                        ; implicit-def: $sgpr34_sgpr35
                                        ; implicit-def: $sgpr28_sgpr29
	s_branch .LBB140_279
.LBB140_181:                            ;   in Loop: Header=BB140_19 Depth=1
	s_mov_b64 s[72:73], 1
	s_mov_b64 s[2:3], -1
	s_cbranch_execnz .LBB140_180
.LBB140_182:                            ;   in Loop: Header=BB140_19 Depth=1
	s_cmp_eq_u64 s[16:17], 1
	s_cselect_b64 s[2:3], -1, 0
	s_cmp_eq_u64 s[72:73], 1
	s_cselect_b64 s[6:7], -1, 0
	s_and_b64 s[38:39], s[2:3], s[6:7]
	s_mov_b64 s[6:7], -1
	s_and_b64 vcc, exec, s[38:39]
	s_cbranch_vccz .LBB140_197
; %bb.183:                              ;   in Loop: Header=BB140_19 Depth=1
	ds_read_b64 v[2:3], v13 offset:5120
	s_waitcnt lgkmcnt(0)
	s_barrier
	v_readfirstlane_b32 s2, v2
	v_readfirstlane_b32 s3, v3
	s_mov_b64 s[6:7], exec
	v_readlane_b32 s8, v52, 14
	v_readlane_b32 s9, v52, 15
	s_and_b64 s[8:9], s[6:7], s[8:9]
	s_mov_b64 exec, s[8:9]
	s_cbranch_execz .LBB140_185
; %bb.184:                              ;   in Loop: Header=BB140_19 Depth=1
	ds_write_b16 v32, v15
.LBB140_185:                            ;   in Loop: Header=BB140_19 Depth=1
	s_or_b64 exec, exec, s[6:7]
	s_lshl_b32 s6, 2, s40
	s_and_b32 s7, s80, s41
	s_or_b32 s80, s7, s6
	s_or_b32 s81, s81, s44
	s_cmp_eq_u64 s[2:3], 0
	s_waitcnt lgkmcnt(0)
	s_barrier
	s_cbranch_scc1 .LBB140_200
; %bb.186:                              ;   in Loop: Header=BB140_19 Depth=1
	v_readlane_b32 s6, v52, 20
	s_add_u32 s26, s6, s2
	v_readlane_b32 s6, v52, 21
	s_addc_u32 s7, s6, s3
	s_mov_b32 s6, s71
	s_cmp_lg_u64 s[6:7], 0
	s_cbranch_scc0 .LBB140_245
; %bb.187:                              ;   in Loop: Header=BB140_19 Depth=1
	v_cvt_f32_u32_e32 v2, s33
	s_sub_u32 s6, 0, s33
	s_subb_u32 s8, 0, 0
	v_mac_f32_e32 v2, 0, v39
	v_rcp_f32_e32 v2, v2
	v_mul_f32_e32 v2, 0x5f7ffffc, v2
	v_mul_f32_e32 v3, 0x2f800000, v2
	v_trunc_f32_e32 v3, v3
	v_mac_f32_e32 v2, 0xcf800000, v3
	v_cvt_u32_f32_e32 v3, v3
	v_cvt_u32_f32_e32 v2, v2
	v_readfirstlane_b32 s9, v3
	v_readfirstlane_b32 s27, v2
	s_mul_i32 s28, s6, s9
	s_mul_hi_u32 s30, s6, s27
	s_mul_i32 s29, s8, s27
	s_add_i32 s28, s30, s28
	s_mul_i32 s31, s6, s27
	s_add_i32 s28, s28, s29
	s_mul_hi_u32 s30, s27, s31
	s_mul_hi_u32 s29, s27, s28
	s_mul_i32 s27, s27, s28
	s_add_u32 s27, s30, s27
	s_addc_u32 s29, 0, s29
	s_mul_hi_u32 s34, s9, s31
	s_mul_i32 s31, s9, s31
	s_add_u32 s27, s27, s31
	s_mul_hi_u32 s30, s9, s28
	s_addc_u32 s27, s29, s34
	s_addc_u32 s29, s30, 0
	s_mul_i32 s28, s9, s28
	s_add_u32 s27, s27, s28
	s_addc_u32 s28, 0, s29
	v_add_co_u32_e32 v2, vcc, s27, v2
	s_cmp_lg_u64 vcc, 0
	s_addc_u32 s9, s9, s28
	v_readfirstlane_b32 s28, v2
	s_mul_i32 s27, s6, s9
	s_mul_hi_u32 s29, s6, s28
	s_add_i32 s27, s29, s27
	s_mul_i32 s8, s8, s28
	s_add_i32 s27, s27, s8
	s_mul_i32 s6, s6, s28
	s_mul_hi_u32 s29, s9, s6
	s_mul_i32 s30, s9, s6
	s_mul_i32 s34, s28, s27
	s_mul_hi_u32 s6, s28, s6
	s_mul_hi_u32 s31, s28, s27
	s_add_u32 s6, s6, s34
	s_addc_u32 s28, 0, s31
	s_add_u32 s6, s6, s30
	s_mul_hi_u32 s8, s9, s27
	s_addc_u32 s6, s28, s29
	s_addc_u32 s8, s8, 0
	s_mul_i32 s27, s9, s27
	s_add_u32 s6, s6, s27
	s_addc_u32 s8, 0, s8
	v_add_co_u32_e32 v2, vcc, s6, v2
	s_cmp_lg_u64 vcc, 0
	s_addc_u32 s6, s9, s8
	v_readfirstlane_b32 s27, v2
	s_mul_i32 s9, s26, s6
	s_mul_hi_u32 s28, s26, s27
	s_mul_hi_u32 s8, s26, s6
	s_add_u32 s9, s28, s9
	s_addc_u32 s8, 0, s8
	s_mul_hi_u32 s29, s7, s27
	s_mul_i32 s27, s7, s27
	s_add_u32 s9, s9, s27
	s_mul_hi_u32 s28, s7, s6
	s_addc_u32 s8, s8, s29
	s_addc_u32 s9, s28, 0
	s_mul_i32 s6, s7, s6
	s_add_u32 s6, s8, s6
	s_addc_u32 s8, 0, s9
	s_mul_hi_u32 s9, s33, s6
	s_mul_i32 s6, s33, s6
	s_mul_i32 s8, s33, s8
	v_mov_b32_e32 v2, s6
	s_add_i32 s9, s9, s8
	v_sub_co_u32_e32 v2, vcc, s26, v2
	s_cmp_lg_u64 vcc, 0
	s_subb_u32 s6, s7, s9
	v_subrev_co_u32_e32 v3, vcc, s33, v2
	s_cmp_lg_u64 vcc, 0
	s_subb_u32 s8, s6, 0
	v_subrev_co_u32_e32 v4, vcc, s33, v3
	s_cmp_lg_u64 vcc, 0
	s_subb_u32 s9, s8, 0
	v_cmp_le_u32_e32 vcc, s33, v3
	s_cmp_eq_u32 s8, 0
	v_cndmask_b32_e64 v5, 0, -1, vcc
	s_cselect_b64 vcc, -1, 0
	v_cndmask_b32_e32 v5, -1, v5, vcc
	v_mov_b32_e32 v6, s8
	v_mov_b32_e32 v7, s9
	v_cmp_ne_u32_e32 vcc, 0, v5
	v_cndmask_b32_e32 v5, v6, v7, vcc
	v_cndmask_b32_e32 v4, v3, v4, vcc
	v_cmp_le_u32_e32 vcc, s33, v2
	s_cmp_eq_u32 s6, 0
	v_cndmask_b32_e64 v3, 0, -1, vcc
	s_cselect_b64 vcc, -1, 0
	v_cndmask_b32_e32 v3, -1, v3, vcc
	v_mov_b32_e32 v6, s6
	v_cmp_ne_u32_e32 vcc, 0, v3
	v_cndmask_b32_e32 v3, v6, v5, vcc
	v_cndmask_b32_e32 v2, v2, v4, vcc
	s_cbranch_execnz .LBB140_189
.LBB140_188:                            ;   in Loop: Header=BB140_19 Depth=1
	v_cvt_f32_u32_e32 v2, s33
	s_sub_i32 s6, 0, s33
	v_rcp_iflag_f32_e32 v2, v2
	v_mul_f32_e32 v2, 0x4f7ffffe, v2
	v_cvt_u32_f32_e32 v2, v2
	v_mul_lo_u32 v3, s6, v2
	v_mul_hi_u32 v3, v2, v3
	v_add_u32_e32 v2, v2, v3
	v_mul_hi_u32 v2, s26, v2
	v_mul_lo_u32 v2, v2, s33
	v_sub_u32_e32 v2, s26, v2
	v_subrev_u32_e32 v3, s33, v2
	v_cmp_le_u32_e32 vcc, s33, v2
	v_cndmask_b32_e32 v2, v2, v3, vcc
	v_subrev_u32_e32 v3, s33, v2
	v_cmp_le_u32_e32 vcc, s33, v2
	v_cndmask_b32_e32 v12, v2, v3, vcc
	v_pk_mov_b32 v[2:3], v[12:13], v[12:13] op_sel:[0,1]
.LBB140_189:                            ;   in Loop: Header=BB140_19 Depth=1
	v_mov_b32_e32 v4, s7
	v_sub_co_u32_e32 v2, vcc, s26, v2
	v_subb_co_u32_e32 v3, vcc, v4, v3, vcc
	v_cmp_gt_u64_e32 vcc, v[2:3], v[0:1]
	s_mov_b64 s[6:7], 0
                                        ; implicit-def: $vgpr42
	s_and_saveexec_b64 s[8:9], vcc
	s_cbranch_execz .LBB140_202
; %bb.190:                              ;   in Loop: Header=BB140_19 Depth=1
	s_mov_b64 s[26:27], 0
	v_mov_b32_e32 v6, v31
	v_pk_mov_b32 v[4:5], v[0:1], v[0:1] op_sel:[0,1]
                                        ; implicit-def: $sgpr28_sgpr29
	s_branch .LBB140_192
.LBB140_191:                            ;   in Loop: Header=BB140_192 Depth=2
	s_or_b64 exec, exec, s[6:7]
	s_waitcnt lgkmcnt(0)
	s_barrier
	ds_read_b32 v7, v13 offset:3072
	v_add_co_u32_e64 v4, s[6:7], s33, v4
	v_add_u32_e32 v6, s87, v6
	s_waitcnt lgkmcnt(0)
	v_and_b32_e32 v8, 0x7fff, v7
	v_cmp_ne_u16_e32 vcc, 0, v8
	v_mov_b32_e32 v8, s88
	v_addc_co_u32_e64 v5, s[6:7], v5, v8, s[6:7]
	v_cmp_ge_u64_e64 s[6:7], v[4:5], v[2:3]
	s_or_b64 s[6:7], s[6:7], vcc
	s_and_b64 s[6:7], exec, s[6:7]
	s_or_b64 s[26:27], s[6:7], s[26:27]
	s_andn2_b64 s[6:7], s[28:29], exec
	s_and_b64 s[28:29], vcc, exec
	s_or_b64 s[28:29], s[6:7], s[28:29]
	s_barrier
	s_andn2_b64 exec, exec, s[26:27]
	s_cbranch_execz .LBB140_201
.LBB140_192:                            ;   Parent Loop BB140_19 Depth=1
                                        ; =>  This Inner Loop Header: Depth=2
	v_cmp_gt_u64_e32 vcc, s[2:3], v[4:5]
	v_mov_b32_e32 v7, 0
	s_and_saveexec_b64 s[6:7], vcc
	s_cbranch_execz .LBB140_194
; %bb.193:                              ;   in Loop: Header=BB140_192 Depth=2
	ds_read_u16 v7, v6
.LBB140_194:                            ;   in Loop: Header=BB140_192 Depth=2
	s_or_b64 exec, exec, s[6:7]
	s_and_saveexec_b64 s[6:7], vcc
	s_cbranch_execz .LBB140_191
; %bb.195:                              ;   in Loop: Header=BB140_192 Depth=2
	s_waitcnt lgkmcnt(0)
	v_cmp_lt_i16_e32 vcc, -1, v7
	v_cndmask_b32_e32 v8, v37, v38, vcc
	v_lshlrev_b32_e32 v9, 16, v7
	v_xor_b32_sdwa v8, v8, v7 dst_sel:DWORD dst_unused:UNUSED_PAD src0_sel:DWORD src1_sel:WORD_0
	v_cmp_o_f32_e32 vcc, v9, v9
	v_cndmask_b32_e32 v8, v37, v8, vcc
	v_and_b32_e32 v8, s81, v8
	v_cmp_eq_u32_e32 vcc, s80, v8
	s_and_b64 exec, exec, vcc
	s_cbranch_execz .LBB140_191
; %bb.196:                              ;   in Loop: Header=BB140_192 Depth=2
	v_perm_b32 v7, v7, s50, v41
	ds_write_b32 v13, v7 offset:3072
	s_branch .LBB140_191
.LBB140_197:                            ;   in Loop: Header=BB140_19 Depth=1
                                        ; implicit-def: $sgpr28_sgpr29
                                        ; implicit-def: $sgpr34_sgpr35
                                        ; implicit-def: $sgpr30_sgpr31
	s_branch .LBB140_216
.LBB140_198:                            ;   in Loop: Header=BB140_19 Depth=1
                                        ; implicit-def: $vgpr2_vgpr3
	s_branch .LBB140_138
.LBB140_199:                            ;   in Loop: Header=BB140_19 Depth=1
                                        ; implicit-def: $vgpr2_vgpr3
	s_branch .LBB140_158
.LBB140_200:                            ;   in Loop: Header=BB140_19 Depth=1
	s_mov_b64 s[28:29], -1
	s_mov_b64 s[6:7], 0
                                        ; implicit-def: $sgpr30_sgpr31
                                        ; implicit-def: $vgpr42
	s_mov_b64 s[34:35], s[28:29]
	s_cbranch_execnz .LBB140_203
	s_branch .LBB140_216
.LBB140_201:                            ;   in Loop: Header=BB140_19 Depth=1
	s_or_b64 exec, exec, s[26:27]
	v_lshrrev_b32_e32 v42, 16, v7
	s_and_b64 s[6:7], s[28:29], exec
.LBB140_202:                            ;   in Loop: Header=BB140_19 Depth=1
	s_or_b64 exec, exec, s[8:9]
	s_mov_b64 s[30:31], -1
	s_mov_b64 s[28:29], 0
	s_mov_b64 s[34:35], s[28:29]
	s_branch .LBB140_216
.LBB140_203:                            ;   in Loop: Header=BB140_19 Depth=1
	s_mov_b32 s68, s71
	s_cmp_lg_u64 s[68:69], 0
	s_cbranch_scc0 .LBB140_246
; %bb.204:                              ;   in Loop: Header=BB140_19 Depth=1
	v_cvt_f32_u32_e32 v2, s33
	s_sub_u32 s2, 0, s33
	s_subb_u32 s3, 0, 0
	v_mac_f32_e32 v2, 0, v39
	v_rcp_f32_e32 v2, v2
	v_mul_f32_e32 v2, 0x5f7ffffc, v2
	v_mul_f32_e32 v3, 0x2f800000, v2
	v_trunc_f32_e32 v3, v3
	v_mac_f32_e32 v2, 0xcf800000, v3
	v_cvt_u32_f32_e32 v3, v3
	v_cvt_u32_f32_e32 v2, v2
	v_readfirstlane_b32 s6, v3
	v_readfirstlane_b32 s7, v2
	s_mul_i32 s8, s2, s6
	s_mul_hi_u32 s26, s2, s7
	s_mul_i32 s9, s3, s7
	s_add_i32 s8, s26, s8
	s_mul_i32 s27, s2, s7
	s_add_i32 s8, s8, s9
	s_mul_hi_u32 s26, s7, s27
	s_mul_hi_u32 s9, s7, s8
	s_mul_i32 s7, s7, s8
	s_add_u32 s7, s26, s7
	s_addc_u32 s9, 0, s9
	s_mul_hi_u32 s28, s6, s27
	s_mul_i32 s27, s6, s27
	s_add_u32 s7, s7, s27
	s_mul_hi_u32 s26, s6, s8
	s_addc_u32 s7, s9, s28
	s_addc_u32 s9, s26, 0
	s_mul_i32 s8, s6, s8
	s_add_u32 s7, s7, s8
	s_addc_u32 s8, 0, s9
	v_add_co_u32_e32 v2, vcc, s7, v2
	s_cmp_lg_u64 vcc, 0
	s_addc_u32 s6, s6, s8
	v_readfirstlane_b32 s8, v2
	s_mul_i32 s7, s2, s6
	s_mul_hi_u32 s9, s2, s8
	s_add_i32 s7, s9, s7
	s_mul_i32 s3, s3, s8
	s_add_i32 s7, s7, s3
	s_mul_i32 s2, s2, s8
	s_mul_hi_u32 s9, s6, s2
	s_mul_i32 s26, s6, s2
	s_mul_i32 s28, s8, s7
	s_mul_hi_u32 s2, s8, s2
	s_mul_hi_u32 s27, s8, s7
	s_add_u32 s2, s2, s28
	s_addc_u32 s8, 0, s27
	s_add_u32 s2, s2, s26
	s_mul_hi_u32 s3, s6, s7
	s_addc_u32 s2, s8, s9
	s_addc_u32 s3, s3, 0
	s_mul_i32 s7, s6, s7
	s_add_u32 s2, s2, s7
	s_addc_u32 s3, 0, s3
	v_add_co_u32_e32 v2, vcc, s2, v2
	s_cmp_lg_u64 vcc, 0
	s_addc_u32 s2, s6, s3
	v_readfirstlane_b32 s7, v2
	s_mul_i32 s6, s89, s2
	s_mul_hi_u32 s8, s89, s7
	s_mul_hi_u32 s3, s89, s2
	s_add_u32 s6, s8, s6
	s_addc_u32 s3, 0, s3
	s_mul_hi_u32 s9, s69, s7
	s_mul_i32 s7, s69, s7
	s_add_u32 s6, s6, s7
	s_mul_hi_u32 s8, s69, s2
	s_addc_u32 s3, s3, s9
	s_addc_u32 s6, s8, 0
	s_mul_i32 s2, s69, s2
	s_add_u32 s2, s3, s2
	s_addc_u32 s3, 0, s6
	s_mul_hi_u32 s6, s33, s2
	s_mul_i32 s2, s33, s2
	s_mul_i32 s3, s33, s3
	v_mov_b32_e32 v2, s2
	s_add_i32 s6, s6, s3
	v_sub_co_u32_e32 v2, vcc, s89, v2
	s_cmp_lg_u64 vcc, 0
	s_subb_u32 s2, s69, s6
	v_subrev_co_u32_e32 v3, vcc, s33, v2
	s_cmp_lg_u64 vcc, 0
	s_subb_u32 s3, s2, 0
	v_subrev_co_u32_e32 v4, vcc, s33, v3
	s_cmp_lg_u64 vcc, 0
	s_subb_u32 s6, s3, 0
	v_cmp_le_u32_e32 vcc, s33, v3
	s_cmp_eq_u32 s3, 0
	v_cndmask_b32_e64 v5, 0, -1, vcc
	s_cselect_b64 vcc, -1, 0
	v_cndmask_b32_e32 v5, -1, v5, vcc
	v_mov_b32_e32 v6, s3
	v_mov_b32_e32 v7, s6
	v_cmp_ne_u32_e32 vcc, 0, v5
	v_cndmask_b32_e32 v5, v6, v7, vcc
	v_cndmask_b32_e32 v4, v3, v4, vcc
	v_cmp_le_u32_e32 vcc, s33, v2
	s_cmp_eq_u32 s2, 0
	v_cndmask_b32_e64 v3, 0, -1, vcc
	s_cselect_b64 vcc, -1, 0
	v_cndmask_b32_e32 v3, -1, v3, vcc
	v_mov_b32_e32 v6, s2
	v_cmp_ne_u32_e32 vcc, 0, v3
	v_cndmask_b32_e32 v3, v6, v5, vcc
	v_cndmask_b32_e32 v2, v2, v4, vcc
	s_cbranch_execnz .LBB140_206
.LBB140_205:                            ;   in Loop: Header=BB140_19 Depth=1
	v_cvt_f32_u32_e32 v2, s33
	s_sub_i32 s2, 0, s33
	v_rcp_iflag_f32_e32 v2, v2
	v_mul_f32_e32 v2, 0x4f7ffffe, v2
	v_cvt_u32_f32_e32 v2, v2
	v_mul_lo_u32 v3, s2, v2
	v_mul_hi_u32 v3, v2, v3
	v_add_u32_e32 v2, v2, v3
	v_mul_hi_u32 v2, s89, v2
	v_mul_lo_u32 v2, v2, s33
	v_sub_u32_e32 v2, s89, v2
	v_subrev_u32_e32 v3, s33, v2
	v_cmp_le_u32_e32 vcc, s33, v2
	v_cndmask_b32_e32 v2, v2, v3, vcc
	v_subrev_u32_e32 v3, s33, v2
	v_cmp_le_u32_e32 vcc, s33, v2
	v_cndmask_b32_e32 v12, v2, v3, vcc
	v_pk_mov_b32 v[2:3], v[12:13], v[12:13] op_sel:[0,1]
.LBB140_206:                            ;   in Loop: Header=BB140_19 Depth=1
	v_mov_b32_e32 v4, s69
	v_sub_co_u32_e32 v2, vcc, s89, v2
	v_subb_co_u32_e32 v3, vcc, v4, v3, vcc
	v_cmp_gt_u64_e32 vcc, v[2:3], v[0:1]
	s_mov_b64 s[6:7], 0
                                        ; implicit-def: $vgpr42
	s_and_saveexec_b64 s[2:3], vcc
	s_cbranch_execz .LBB140_215
; %bb.207:                              ;   in Loop: Header=BB140_19 Depth=1
	s_mov_b64 s[8:9], 0
	v_pk_mov_b32 v[4:5], v[10:11], v[10:11] op_sel:[0,1]
	v_pk_mov_b32 v[6:7], v[0:1], v[0:1] op_sel:[0,1]
                                        ; implicit-def: $sgpr26_sgpr27
	s_branch .LBB140_209
.LBB140_208:                            ;   in Loop: Header=BB140_209 Depth=2
	s_or_b64 exec, exec, s[6:7]
	s_waitcnt lgkmcnt(0)
	s_barrier
	s_waitcnt vmcnt(0)
	ds_read_b32 v8, v13 offset:3072
	v_add_co_u32_e64 v6, s[6:7], s33, v6
	s_waitcnt lgkmcnt(0)
	s_barrier
	v_and_b32_e32 v9, 0x7fff, v8
	v_cmp_ne_u16_e32 vcc, 0, v9
	v_mov_b32_e32 v9, s88
	v_addc_co_u32_e64 v7, s[6:7], v7, v9, s[6:7]
	v_cmp_ge_u64_e64 s[6:7], v[6:7], v[2:3]
	s_or_b64 s[28:29], s[6:7], vcc
	v_mov_b32_e32 v9, s67
	v_add_co_u32_e64 v4, s[6:7], s66, v4
	v_addc_co_u32_e64 v5, s[6:7], v5, v9, s[6:7]
	s_and_b64 s[6:7], exec, s[28:29]
	s_or_b64 s[8:9], s[6:7], s[8:9]
	s_andn2_b64 s[6:7], s[26:27], exec
	s_and_b64 s[26:27], vcc, exec
	s_or_b64 s[26:27], s[6:7], s[26:27]
	s_andn2_b64 exec, exec, s[8:9]
	s_cbranch_execz .LBB140_214
.LBB140_209:                            ;   Parent Loop BB140_19 Depth=1
                                        ; =>  This Inner Loop Header: Depth=2
	v_cmp_gt_u64_e32 vcc, s[52:53], v[6:7]
	v_mov_b32_e32 v8, 0
	s_and_saveexec_b64 s[6:7], vcc
	s_cbranch_execz .LBB140_211
; %bb.210:                              ;   in Loop: Header=BB140_209 Depth=2
	global_load_ushort v8, v[4:5], off
.LBB140_211:                            ;   in Loop: Header=BB140_209 Depth=2
	s_or_b64 exec, exec, s[6:7]
	s_and_saveexec_b64 s[6:7], vcc
	s_cbranch_execz .LBB140_208
; %bb.212:                              ;   in Loop: Header=BB140_209 Depth=2
	s_waitcnt vmcnt(0)
	v_cmp_lt_i16_e32 vcc, -1, v8
	v_cndmask_b32_e32 v9, v37, v38, vcc
	v_lshlrev_b32_e32 v12, 16, v8
	v_xor_b32_sdwa v9, v9, v8 dst_sel:DWORD dst_unused:UNUSED_PAD src0_sel:DWORD src1_sel:WORD_0
	v_cmp_o_f32_e32 vcc, v12, v12
	v_cndmask_b32_e32 v9, v37, v9, vcc
	v_and_b32_e32 v9, s81, v9
	v_cmp_eq_u32_e32 vcc, s80, v9
	s_and_b64 exec, exec, vcc
	s_cbranch_execz .LBB140_208
; %bb.213:                              ;   in Loop: Header=BB140_209 Depth=2
	v_perm_b32 v8, v8, s50, v41
	ds_write_b32 v13, v8 offset:3072
	s_branch .LBB140_208
.LBB140_214:                            ;   in Loop: Header=BB140_19 Depth=1
	s_or_b64 exec, exec, s[8:9]
	v_lshrrev_b32_e32 v42, 16, v8
	s_and_b64 s[6:7], s[26:27], exec
.LBB140_215:                            ;   in Loop: Header=BB140_19 Depth=1
	s_or_b64 exec, exec, s[2:3]
	s_mov_b64 s[34:35], -1
	s_mov_b64 s[28:29], 0
	s_mov_b64 s[30:31], 0
.LBB140_216:                            ;   in Loop: Header=BB140_19 Depth=1
	s_mov_b64 s[2:3], 0
                                        ; implicit-def: $sgpr45
	s_and_saveexec_b64 s[36:37], s[6:7]
	s_cbranch_execz .LBB140_278
; %bb.217:                              ;   in Loop: Header=BB140_19 Depth=1
	s_xor_b64 s[2:3], s[38:39], -1
	s_andn2_b64 vcc, exec, s[2:3]
	s_mov_b32 s45, 1
	s_cbranch_vccnz .LBB140_228
; %bb.218:                              ;   in Loop: Header=BB140_19 Depth=1
	v_pk_mov_b32 v[2:3], s[16:17], s[16:17] op_sel:[0,1]
	v_cmp_gt_u64_e32 vcc, s[72:73], v[2:3]
	s_mov_b64 s[2:3], -1
                                        ; implicit-def: $sgpr45
                                        ; implicit-def: $sgpr6
                                        ; implicit-def: $sgpr7
	s_cbranch_vccnz .LBB140_224
; %bb.219:                              ;   in Loop: Header=BB140_19 Depth=1
	ds_read_b64 v[2:3], v13 offset:5120
	s_waitcnt lgkmcnt(0)
	v_cmp_ne_u64_e32 vcc, 0, v[2:3]
	s_cbranch_vccnz .LBB140_223
; %bb.220:                              ;   in Loop: Header=BB140_19 Depth=1
	s_mov_b64 s[2:3], exec
	v_readlane_b32 s6, v52, 12
	v_readlane_b32 s7, v52, 13
	s_and_b64 s[6:7], s[2:3], s[6:7]
	s_mov_b64 exec, s[6:7]
	s_cbranch_execz .LBB140_222
; %bb.221:                              ;   in Loop: Header=BB140_19 Depth=1
	v_pk_mov_b32 v[2:3], s[16:17], s[16:17] op_sel:[0,1]
	ds_write_b64 v13, v[2:3] offset:5128
.LBB140_222:                            ;   in Loop: Header=BB140_19 Depth=1
	s_or_b64 exec, exec, s[2:3]
	s_waitcnt lgkmcnt(0)
	s_barrier
.LBB140_223:                            ;   in Loop: Header=BB140_19 Depth=1
	s_lshl_b32 s2, 2, s40
	s_and_b32 s3, s80, s41
	s_or_b32 s6, s3, s2
	s_or_b32 s7, s81, s44
	s_mov_b64 s[2:3], 0
	s_mov_b32 s45, 8
.LBB140_224:                            ;   in Loop: Header=BB140_19 Depth=1
	s_andn2_b64 vcc, exec, s[2:3]
	s_cbranch_vccnz .LBB140_226
; %bb.225:                              ;   in Loop: Header=BB140_19 Depth=1
	s_sub_u32 s72, s72, s16
	s_subb_u32 s73, s73, s17
	s_mov_b64 s[2:3], -1
	s_mov_b32 s45, 0
	s_mov_b32 s6, s80
	;; [unrolled: 1-line block ×3, first 2 shown]
.LBB140_226:                            ;   in Loop: Header=BB140_19 Depth=1
	s_mov_b32 s81, s7
	s_mov_b32 s80, s6
	s_andn2_b64 vcc, exec, s[2:3]
	s_mov_b64 s[40:41], -1
	s_cbranch_vccz .LBB140_229
.LBB140_227:                            ;   in Loop: Header=BB140_19 Depth=1
                                        ; implicit-def: $sgpr2_sgpr3
                                        ; implicit-def: $sgpr8_sgpr9
                                        ; implicit-def: $sgpr6_sgpr7
	s_branch .LBB140_277
.LBB140_228:                            ;   in Loop: Header=BB140_19 Depth=1
	s_mov_b64 s[72:73], 1
	s_mov_b64 s[40:41], -1
	s_cbranch_execnz .LBB140_227
.LBB140_229:                            ;   in Loop: Header=BB140_19 Depth=1
	s_cmp_eq_u64 s[10:11], 1
	s_cselect_b64 s[2:3], -1, 0
	s_cmp_eq_u64 s[72:73], 1
	s_cselect_b64 s[6:7], -1, 0
	s_and_b64 s[16:17], s[2:3], s[6:7]
	s_mov_b64 s[26:27], -1
	s_and_b64 vcc, exec, s[16:17]
	s_cbranch_vccz .LBB140_244
; %bb.230:                              ;   in Loop: Header=BB140_19 Depth=1
	ds_read_b64 v[2:3], v13 offset:5120
	s_waitcnt lgkmcnt(0)
	s_barrier
	v_readfirstlane_b32 s2, v2
	v_readfirstlane_b32 s3, v3
	s_mov_b64 s[6:7], exec
	v_readlane_b32 s8, v52, 14
	v_readlane_b32 s9, v52, 15
	s_and_b64 s[8:9], s[6:7], s[8:9]
	s_mov_b64 exec, s[8:9]
	s_cbranch_execz .LBB140_232
; %bb.231:                              ;   in Loop: Header=BB140_19 Depth=1
	ds_write_b16 v32, v15
.LBB140_232:                            ;   in Loop: Header=BB140_19 Depth=1
	s_or_b64 exec, exec, s[6:7]
	s_or_b32 s80, s80, s44
	s_or_b32 s81, s81, s44
	s_cmp_eq_u64 s[2:3], 0
	s_waitcnt lgkmcnt(0)
	s_barrier
	s_cbranch_scc1 .LBB140_247
; %bb.233:                              ;   in Loop: Header=BB140_19 Depth=1
	v_readlane_b32 s6, v52, 20
	s_add_u32 s26, s6, s2
	v_readlane_b32 s6, v52, 21
	s_addc_u32 s7, s6, s3
	s_mov_b32 s6, s71
	s_cmp_lg_u64 s[6:7], 0
	s_cbranch_scc0 .LBB140_283
; %bb.234:                              ;   in Loop: Header=BB140_19 Depth=1
	v_cvt_f32_u32_e32 v2, s33
	s_sub_u32 s6, 0, s33
	s_subb_u32 s8, 0, 0
	v_mac_f32_e32 v2, 0, v39
	v_rcp_f32_e32 v2, v2
	v_mul_f32_e32 v2, 0x5f7ffffc, v2
	v_mul_f32_e32 v3, 0x2f800000, v2
	v_trunc_f32_e32 v3, v3
	v_mac_f32_e32 v2, 0xcf800000, v3
	v_cvt_u32_f32_e32 v3, v3
	v_cvt_u32_f32_e32 v2, v2
	v_readfirstlane_b32 s9, v3
	v_readfirstlane_b32 s27, v2
	s_mul_i32 s38, s6, s9
	s_mul_hi_u32 s40, s6, s27
	s_mul_i32 s39, s8, s27
	s_add_i32 s38, s40, s38
	s_mul_i32 s41, s6, s27
	s_add_i32 s38, s38, s39
	s_mul_hi_u32 s40, s27, s41
	s_mul_hi_u32 s39, s27, s38
	s_mul_i32 s27, s27, s38
	s_add_u32 s27, s40, s27
	s_addc_u32 s39, 0, s39
	s_mul_hi_u32 s42, s9, s41
	s_mul_i32 s41, s9, s41
	s_add_u32 s27, s27, s41
	s_mul_hi_u32 s40, s9, s38
	s_addc_u32 s27, s39, s42
	s_addc_u32 s39, s40, 0
	s_mul_i32 s38, s9, s38
	s_add_u32 s27, s27, s38
	s_addc_u32 s38, 0, s39
	v_add_co_u32_e32 v2, vcc, s27, v2
	s_cmp_lg_u64 vcc, 0
	s_addc_u32 s9, s9, s38
	v_readfirstlane_b32 s38, v2
	s_mul_i32 s27, s6, s9
	s_mul_hi_u32 s39, s6, s38
	s_add_i32 s27, s39, s27
	s_mul_i32 s8, s8, s38
	s_add_i32 s27, s27, s8
	s_mul_i32 s6, s6, s38
	s_mul_hi_u32 s39, s9, s6
	s_mul_i32 s40, s9, s6
	s_mul_i32 s42, s38, s27
	s_mul_hi_u32 s6, s38, s6
	s_mul_hi_u32 s41, s38, s27
	s_add_u32 s6, s6, s42
	s_addc_u32 s38, 0, s41
	s_add_u32 s6, s6, s40
	s_mul_hi_u32 s8, s9, s27
	s_addc_u32 s6, s38, s39
	s_addc_u32 s8, s8, 0
	s_mul_i32 s27, s9, s27
	s_add_u32 s6, s6, s27
	s_addc_u32 s8, 0, s8
	v_add_co_u32_e32 v2, vcc, s6, v2
	s_cmp_lg_u64 vcc, 0
	s_addc_u32 s6, s9, s8
	v_readfirstlane_b32 s27, v2
	s_mul_i32 s9, s26, s6
	s_mul_hi_u32 s38, s26, s27
	s_mul_hi_u32 s8, s26, s6
	s_add_u32 s9, s38, s9
	s_addc_u32 s8, 0, s8
	s_mul_hi_u32 s39, s7, s27
	s_mul_i32 s27, s7, s27
	s_add_u32 s9, s9, s27
	s_mul_hi_u32 s38, s7, s6
	s_addc_u32 s8, s8, s39
	s_addc_u32 s9, s38, 0
	s_mul_i32 s6, s7, s6
	s_add_u32 s6, s8, s6
	s_addc_u32 s8, 0, s9
	s_mul_hi_u32 s9, s33, s6
	s_mul_i32 s6, s33, s6
	s_mul_i32 s8, s33, s8
	v_mov_b32_e32 v2, s6
	s_add_i32 s9, s9, s8
	v_sub_co_u32_e32 v2, vcc, s26, v2
	s_cmp_lg_u64 vcc, 0
	s_subb_u32 s6, s7, s9
	v_subrev_co_u32_e32 v3, vcc, s33, v2
	s_cmp_lg_u64 vcc, 0
	s_subb_u32 s8, s6, 0
	v_subrev_co_u32_e32 v4, vcc, s33, v3
	s_cmp_lg_u64 vcc, 0
	s_subb_u32 s9, s8, 0
	v_cmp_le_u32_e32 vcc, s33, v3
	s_cmp_eq_u32 s8, 0
	v_cndmask_b32_e64 v5, 0, -1, vcc
	s_cselect_b64 vcc, -1, 0
	v_cndmask_b32_e32 v5, -1, v5, vcc
	v_mov_b32_e32 v6, s8
	v_mov_b32_e32 v7, s9
	v_cmp_ne_u32_e32 vcc, 0, v5
	v_cndmask_b32_e32 v5, v6, v7, vcc
	v_cndmask_b32_e32 v4, v3, v4, vcc
	v_cmp_le_u32_e32 vcc, s33, v2
	s_cmp_eq_u32 s6, 0
	v_cndmask_b32_e64 v3, 0, -1, vcc
	s_cselect_b64 vcc, -1, 0
	v_cndmask_b32_e32 v3, -1, v3, vcc
	v_mov_b32_e32 v6, s6
	v_cmp_ne_u32_e32 vcc, 0, v3
	v_cndmask_b32_e32 v3, v6, v5, vcc
	v_cndmask_b32_e32 v2, v2, v4, vcc
	s_cbranch_execnz .LBB140_236
.LBB140_235:                            ;   in Loop: Header=BB140_19 Depth=1
	v_cvt_f32_u32_e32 v2, s33
	s_sub_i32 s6, 0, s33
	v_rcp_iflag_f32_e32 v2, v2
	v_mul_f32_e32 v2, 0x4f7ffffe, v2
	v_cvt_u32_f32_e32 v2, v2
	v_mul_lo_u32 v3, s6, v2
	v_mul_hi_u32 v3, v2, v3
	v_add_u32_e32 v2, v2, v3
	v_mul_hi_u32 v2, s26, v2
	v_mul_lo_u32 v2, v2, s33
	v_sub_u32_e32 v2, s26, v2
	v_subrev_u32_e32 v3, s33, v2
	v_cmp_le_u32_e32 vcc, s33, v2
	v_cndmask_b32_e32 v2, v2, v3, vcc
	v_subrev_u32_e32 v3, s33, v2
	v_cmp_le_u32_e32 vcc, s33, v2
	v_cndmask_b32_e32 v12, v2, v3, vcc
	v_pk_mov_b32 v[2:3], v[12:13], v[12:13] op_sel:[0,1]
.LBB140_236:                            ;   in Loop: Header=BB140_19 Depth=1
	v_mov_b32_e32 v4, s7
	v_sub_co_u32_e32 v2, vcc, s26, v2
	v_subb_co_u32_e32 v3, vcc, v4, v3, vcc
	v_cmp_gt_u64_e32 vcc, v[2:3], v[0:1]
	s_mov_b64 s[26:27], 0
                                        ; implicit-def: $vgpr42
	s_and_saveexec_b64 s[8:9], vcc
	s_cbranch_execz .LBB140_249
; %bb.237:                              ;   in Loop: Header=BB140_19 Depth=1
	v_mov_b32_e32 v6, v31
	v_pk_mov_b32 v[4:5], v[0:1], v[0:1] op_sel:[0,1]
                                        ; implicit-def: $sgpr38_sgpr39
	s_branch .LBB140_239
.LBB140_238:                            ;   in Loop: Header=BB140_239 Depth=2
	s_or_b64 exec, exec, s[6:7]
	s_waitcnt lgkmcnt(0)
	s_barrier
	ds_read_b32 v7, v13 offset:3072
	v_add_co_u32_e64 v4, s[6:7], s33, v4
	v_add_u32_e32 v6, s87, v6
	s_waitcnt lgkmcnt(0)
	v_and_b32_e32 v8, 0x7fff, v7
	v_cmp_ne_u16_e32 vcc, 0, v8
	v_mov_b32_e32 v8, s88
	v_addc_co_u32_e64 v5, s[6:7], v5, v8, s[6:7]
	v_cmp_ge_u64_e64 s[6:7], v[4:5], v[2:3]
	s_or_b64 s[6:7], s[6:7], vcc
	s_and_b64 s[6:7], exec, s[6:7]
	s_or_b64 s[26:27], s[6:7], s[26:27]
	s_andn2_b64 s[6:7], s[38:39], exec
	s_and_b64 s[38:39], vcc, exec
	s_or_b64 s[38:39], s[6:7], s[38:39]
	s_barrier
	s_andn2_b64 exec, exec, s[26:27]
	s_cbranch_execz .LBB140_248
.LBB140_239:                            ;   Parent Loop BB140_19 Depth=1
                                        ; =>  This Inner Loop Header: Depth=2
	v_cmp_gt_u64_e32 vcc, s[2:3], v[4:5]
	v_mov_b32_e32 v7, 0
	s_and_saveexec_b64 s[6:7], vcc
	s_cbranch_execz .LBB140_241
; %bb.240:                              ;   in Loop: Header=BB140_239 Depth=2
	ds_read_u16 v7, v6
.LBB140_241:                            ;   in Loop: Header=BB140_239 Depth=2
	s_or_b64 exec, exec, s[6:7]
	s_and_saveexec_b64 s[6:7], vcc
	s_cbranch_execz .LBB140_238
; %bb.242:                              ;   in Loop: Header=BB140_239 Depth=2
	s_waitcnt lgkmcnt(0)
	v_cmp_lt_i16_e32 vcc, -1, v7
	v_cndmask_b32_e32 v8, v37, v38, vcc
	v_lshlrev_b32_e32 v9, 16, v7
	v_xor_b32_sdwa v8, v8, v7 dst_sel:DWORD dst_unused:UNUSED_PAD src0_sel:DWORD src1_sel:WORD_0
	v_cmp_o_f32_e32 vcc, v9, v9
	v_cndmask_b32_e32 v8, v37, v8, vcc
	v_and_b32_e32 v8, s81, v8
	v_cmp_eq_u32_e32 vcc, s80, v8
	s_and_b64 exec, exec, vcc
	s_cbranch_execz .LBB140_238
; %bb.243:                              ;   in Loop: Header=BB140_239 Depth=2
	v_perm_b32 v7, v7, s50, v41
	ds_write_b32 v13, v7 offset:3072
	s_branch .LBB140_238
.LBB140_244:                            ;   in Loop: Header=BB140_19 Depth=1
                                        ; implicit-def: $sgpr2_sgpr3
                                        ; implicit-def: $sgpr8_sgpr9
                                        ; implicit-def: $sgpr6_sgpr7
	s_branch .LBB140_263
.LBB140_245:                            ;   in Loop: Header=BB140_19 Depth=1
                                        ; implicit-def: $vgpr2_vgpr3
	s_branch .LBB140_188
.LBB140_246:                            ;   in Loop: Header=BB140_19 Depth=1
                                        ; implicit-def: $vgpr2_vgpr3
	s_branch .LBB140_205
.LBB140_247:                            ;   in Loop: Header=BB140_19 Depth=1
	s_mov_b64 s[2:3], -1
	s_mov_b64 s[26:27], 0
                                        ; implicit-def: $sgpr6_sgpr7
                                        ; implicit-def: $vgpr42
	s_mov_b64 s[8:9], s[2:3]
	s_cbranch_execnz .LBB140_250
	s_branch .LBB140_263
.LBB140_248:                            ;   in Loop: Header=BB140_19 Depth=1
	s_or_b64 exec, exec, s[26:27]
	v_lshrrev_b32_e32 v42, 16, v7
	s_and_b64 s[26:27], s[38:39], exec
.LBB140_249:                            ;   in Loop: Header=BB140_19 Depth=1
	s_or_b64 exec, exec, s[8:9]
	s_mov_b64 s[6:7], -1
	s_mov_b64 s[2:3], 0
	s_mov_b64 s[8:9], s[2:3]
	s_branch .LBB140_263
.LBB140_250:                            ;   in Loop: Header=BB140_19 Depth=1
	s_mov_b32 s68, s71
	s_cmp_lg_u64 s[68:69], 0
	s_cbranch_scc0 .LBB140_284
; %bb.251:                              ;   in Loop: Header=BB140_19 Depth=1
	v_cvt_f32_u32_e32 v2, s33
	s_sub_u32 s2, 0, s33
	s_subb_u32 s3, 0, 0
	v_mac_f32_e32 v2, 0, v39
	v_rcp_f32_e32 v2, v2
	v_mul_f32_e32 v2, 0x5f7ffffc, v2
	v_mul_f32_e32 v3, 0x2f800000, v2
	v_trunc_f32_e32 v3, v3
	v_mac_f32_e32 v2, 0xcf800000, v3
	v_cvt_u32_f32_e32 v3, v3
	v_cvt_u32_f32_e32 v2, v2
	v_readfirstlane_b32 s6, v3
	v_readfirstlane_b32 s7, v2
	s_mul_i32 s8, s2, s6
	s_mul_hi_u32 s26, s2, s7
	s_mul_i32 s9, s3, s7
	s_add_i32 s8, s26, s8
	s_mul_i32 s27, s2, s7
	s_add_i32 s8, s8, s9
	s_mul_hi_u32 s26, s7, s27
	s_mul_hi_u32 s9, s7, s8
	s_mul_i32 s7, s7, s8
	s_add_u32 s7, s26, s7
	s_addc_u32 s9, 0, s9
	s_mul_hi_u32 s38, s6, s27
	s_mul_i32 s27, s6, s27
	s_add_u32 s7, s7, s27
	s_mul_hi_u32 s26, s6, s8
	s_addc_u32 s7, s9, s38
	s_addc_u32 s9, s26, 0
	s_mul_i32 s8, s6, s8
	s_add_u32 s7, s7, s8
	s_addc_u32 s8, 0, s9
	v_add_co_u32_e32 v2, vcc, s7, v2
	s_cmp_lg_u64 vcc, 0
	s_addc_u32 s6, s6, s8
	v_readfirstlane_b32 s8, v2
	s_mul_i32 s7, s2, s6
	s_mul_hi_u32 s9, s2, s8
	s_add_i32 s7, s9, s7
	s_mul_i32 s3, s3, s8
	s_add_i32 s7, s7, s3
	s_mul_i32 s2, s2, s8
	s_mul_hi_u32 s9, s6, s2
	s_mul_i32 s26, s6, s2
	s_mul_i32 s38, s8, s7
	s_mul_hi_u32 s2, s8, s2
	s_mul_hi_u32 s27, s8, s7
	s_add_u32 s2, s2, s38
	s_addc_u32 s8, 0, s27
	s_add_u32 s2, s2, s26
	s_mul_hi_u32 s3, s6, s7
	s_addc_u32 s2, s8, s9
	s_addc_u32 s3, s3, 0
	s_mul_i32 s7, s6, s7
	s_add_u32 s2, s2, s7
	s_addc_u32 s3, 0, s3
	v_add_co_u32_e32 v2, vcc, s2, v2
	s_cmp_lg_u64 vcc, 0
	s_addc_u32 s2, s6, s3
	v_readfirstlane_b32 s7, v2
	s_mul_i32 s6, s89, s2
	s_mul_hi_u32 s8, s89, s7
	s_mul_hi_u32 s3, s89, s2
	s_add_u32 s6, s8, s6
	s_addc_u32 s3, 0, s3
	s_mul_hi_u32 s9, s69, s7
	s_mul_i32 s7, s69, s7
	s_add_u32 s6, s6, s7
	s_mul_hi_u32 s8, s69, s2
	s_addc_u32 s3, s3, s9
	s_addc_u32 s6, s8, 0
	s_mul_i32 s2, s69, s2
	s_add_u32 s2, s3, s2
	s_addc_u32 s3, 0, s6
	s_mul_hi_u32 s6, s33, s2
	s_mul_i32 s2, s33, s2
	s_mul_i32 s3, s33, s3
	v_mov_b32_e32 v2, s2
	s_add_i32 s6, s6, s3
	v_sub_co_u32_e32 v2, vcc, s89, v2
	s_cmp_lg_u64 vcc, 0
	s_subb_u32 s2, s69, s6
	v_subrev_co_u32_e32 v3, vcc, s33, v2
	s_cmp_lg_u64 vcc, 0
	s_subb_u32 s3, s2, 0
	v_subrev_co_u32_e32 v4, vcc, s33, v3
	s_cmp_lg_u64 vcc, 0
	s_subb_u32 s6, s3, 0
	v_cmp_le_u32_e32 vcc, s33, v3
	s_cmp_eq_u32 s3, 0
	v_cndmask_b32_e64 v5, 0, -1, vcc
	s_cselect_b64 vcc, -1, 0
	v_cndmask_b32_e32 v5, -1, v5, vcc
	v_mov_b32_e32 v6, s3
	v_mov_b32_e32 v7, s6
	v_cmp_ne_u32_e32 vcc, 0, v5
	v_cndmask_b32_e32 v5, v6, v7, vcc
	v_cndmask_b32_e32 v4, v3, v4, vcc
	v_cmp_le_u32_e32 vcc, s33, v2
	s_cmp_eq_u32 s2, 0
	v_cndmask_b32_e64 v3, 0, -1, vcc
	s_cselect_b64 vcc, -1, 0
	v_cndmask_b32_e32 v3, -1, v3, vcc
	v_mov_b32_e32 v6, s2
	v_cmp_ne_u32_e32 vcc, 0, v3
	v_cndmask_b32_e32 v3, v6, v5, vcc
	v_cndmask_b32_e32 v2, v2, v4, vcc
	s_cbranch_execnz .LBB140_253
.LBB140_252:                            ;   in Loop: Header=BB140_19 Depth=1
	v_cvt_f32_u32_e32 v2, s33
	s_sub_i32 s2, 0, s33
	v_rcp_iflag_f32_e32 v2, v2
	v_mul_f32_e32 v2, 0x4f7ffffe, v2
	v_cvt_u32_f32_e32 v2, v2
	v_mul_lo_u32 v3, s2, v2
	v_mul_hi_u32 v3, v2, v3
	v_add_u32_e32 v2, v2, v3
	v_mul_hi_u32 v2, s89, v2
	v_mul_lo_u32 v2, v2, s33
	v_sub_u32_e32 v2, s89, v2
	v_subrev_u32_e32 v3, s33, v2
	v_cmp_le_u32_e32 vcc, s33, v2
	v_cndmask_b32_e32 v2, v2, v3, vcc
	v_subrev_u32_e32 v3, s33, v2
	v_cmp_le_u32_e32 vcc, s33, v2
	v_cndmask_b32_e32 v12, v2, v3, vcc
	v_pk_mov_b32 v[2:3], v[12:13], v[12:13] op_sel:[0,1]
.LBB140_253:                            ;   in Loop: Header=BB140_19 Depth=1
	v_mov_b32_e32 v4, s69
	v_sub_co_u32_e32 v2, vcc, s89, v2
	v_subb_co_u32_e32 v3, vcc, v4, v3, vcc
	v_cmp_gt_u64_e32 vcc, v[2:3], v[0:1]
	s_mov_b64 s[26:27], 0
                                        ; implicit-def: $vgpr42
	s_and_saveexec_b64 s[2:3], vcc
	s_cbranch_execz .LBB140_262
; %bb.254:                              ;   in Loop: Header=BB140_19 Depth=1
	s_mov_b64 s[8:9], 0
	v_pk_mov_b32 v[4:5], v[10:11], v[10:11] op_sel:[0,1]
	v_pk_mov_b32 v[6:7], v[0:1], v[0:1] op_sel:[0,1]
                                        ; implicit-def: $sgpr26_sgpr27
	s_branch .LBB140_256
.LBB140_255:                            ;   in Loop: Header=BB140_256 Depth=2
	s_or_b64 exec, exec, s[6:7]
	s_waitcnt lgkmcnt(0)
	s_barrier
	s_waitcnt vmcnt(0)
	ds_read_b32 v8, v13 offset:3072
	v_add_co_u32_e64 v6, s[6:7], s33, v6
	s_waitcnt lgkmcnt(0)
	s_barrier
	v_and_b32_e32 v9, 0x7fff, v8
	v_cmp_ne_u16_e32 vcc, 0, v9
	v_mov_b32_e32 v9, s88
	v_addc_co_u32_e64 v7, s[6:7], v7, v9, s[6:7]
	v_cmp_ge_u64_e64 s[6:7], v[6:7], v[2:3]
	s_or_b64 s[38:39], s[6:7], vcc
	v_mov_b32_e32 v9, s67
	v_add_co_u32_e64 v4, s[6:7], s66, v4
	v_addc_co_u32_e64 v5, s[6:7], v5, v9, s[6:7]
	s_and_b64 s[6:7], exec, s[38:39]
	s_or_b64 s[8:9], s[6:7], s[8:9]
	s_andn2_b64 s[6:7], s[26:27], exec
	s_and_b64 s[26:27], vcc, exec
	s_or_b64 s[26:27], s[6:7], s[26:27]
	s_andn2_b64 exec, exec, s[8:9]
	s_cbranch_execz .LBB140_261
.LBB140_256:                            ;   Parent Loop BB140_19 Depth=1
                                        ; =>  This Inner Loop Header: Depth=2
	v_cmp_gt_u64_e32 vcc, s[52:53], v[6:7]
	v_mov_b32_e32 v8, 0
	s_and_saveexec_b64 s[6:7], vcc
	s_cbranch_execz .LBB140_258
; %bb.257:                              ;   in Loop: Header=BB140_256 Depth=2
	global_load_ushort v8, v[4:5], off
.LBB140_258:                            ;   in Loop: Header=BB140_256 Depth=2
	s_or_b64 exec, exec, s[6:7]
	s_and_saveexec_b64 s[6:7], vcc
	s_cbranch_execz .LBB140_255
; %bb.259:                              ;   in Loop: Header=BB140_256 Depth=2
	s_waitcnt vmcnt(0)
	v_cmp_lt_i16_e32 vcc, -1, v8
	v_cndmask_b32_e32 v9, v37, v38, vcc
	v_lshlrev_b32_e32 v12, 16, v8
	v_xor_b32_sdwa v9, v9, v8 dst_sel:DWORD dst_unused:UNUSED_PAD src0_sel:DWORD src1_sel:WORD_0
	v_cmp_o_f32_e32 vcc, v12, v12
	v_cndmask_b32_e32 v9, v37, v9, vcc
	v_and_b32_e32 v9, s81, v9
	v_cmp_eq_u32_e32 vcc, s80, v9
	s_and_b64 exec, exec, vcc
	s_cbranch_execz .LBB140_255
; %bb.260:                              ;   in Loop: Header=BB140_256 Depth=2
	v_perm_b32 v8, v8, s50, v41
	ds_write_b32 v13, v8 offset:3072
	s_branch .LBB140_255
.LBB140_261:                            ;   in Loop: Header=BB140_19 Depth=1
	s_or_b64 exec, exec, s[8:9]
	v_lshrrev_b32_e32 v42, 16, v8
	s_and_b64 s[26:27], s[26:27], exec
.LBB140_262:                            ;   in Loop: Header=BB140_19 Depth=1
	s_or_b64 exec, exec, s[2:3]
	s_mov_b64 s[8:9], -1
	s_mov_b64 s[2:3], 0
	s_mov_b64 s[6:7], 0
.LBB140_263:                            ;   in Loop: Header=BB140_19 Depth=1
	s_mov_b64 s[40:41], 0
                                        ; implicit-def: $sgpr45
                                        ; implicit-def: $sgpr42_sgpr43
	s_and_saveexec_b64 s[38:39], s[26:27]
	s_cbranch_execz .LBB140_276
; %bb.264:                              ;   in Loop: Header=BB140_19 Depth=1
	s_xor_b64 s[16:17], s[16:17], -1
	s_mov_b64 s[42:43], 1
	s_andn2_b64 vcc, exec, s[16:17]
	s_mov_b32 s45, 1
	s_cbranch_vccnz .LBB140_275
; %bb.265:                              ;   in Loop: Header=BB140_19 Depth=1
	v_pk_mov_b32 v[2:3], s[10:11], s[10:11] op_sel:[0,1]
	v_cmp_gt_u64_e32 vcc, s[72:73], v[2:3]
	s_cbranch_vccnz .LBB140_271
; %bb.266:                              ;   in Loop: Header=BB140_19 Depth=1
	ds_read_b64 v[2:3], v13 offset:5120
	s_waitcnt lgkmcnt(0)
	v_cmp_ne_u64_e32 vcc, 0, v[2:3]
	s_cbranch_vccnz .LBB140_270
; %bb.267:                              ;   in Loop: Header=BB140_19 Depth=1
	s_mov_b64 s[16:17], exec
	v_readlane_b32 s26, v52, 12
	v_readlane_b32 s27, v52, 13
	s_and_b64 s[26:27], s[16:17], s[26:27]
	s_mov_b64 exec, s[26:27]
	s_cbranch_execz .LBB140_269
; %bb.268:                              ;   in Loop: Header=BB140_19 Depth=1
	v_pk_mov_b32 v[2:3], s[10:11], s[10:11] op_sel:[0,1]
	ds_write_b64 v13, v[2:3] offset:5128
.LBB140_269:                            ;   in Loop: Header=BB140_19 Depth=1
	s_or_b64 exec, exec, s[16:17]
	s_waitcnt lgkmcnt(0)
	s_barrier
.LBB140_270:                            ;   in Loop: Header=BB140_19 Depth=1
	s_or_b32 s26, s80, s44
	s_or_b32 s27, s81, s44
	s_mov_b64 s[16:17], 0
	s_mov_b32 s45, 8
	s_branch .LBB140_272
.LBB140_271:                            ;   in Loop: Header=BB140_19 Depth=1
	s_mov_b64 s[16:17], -1
                                        ; implicit-def: $sgpr45
                                        ; implicit-def: $sgpr26
                                        ; implicit-def: $sgpr27
.LBB140_272:                            ;   in Loop: Header=BB140_19 Depth=1
	s_andn2_b64 vcc, exec, s[16:17]
	s_cbranch_vccnz .LBB140_274
; %bb.273:                              ;   in Loop: Header=BB140_19 Depth=1
	s_sub_u32 s72, s72, s10
	s_subb_u32 s73, s73, s11
	s_mov_b32 s45, 8
	s_mov_b32 s26, s80
	;; [unrolled: 1-line block ×3, first 2 shown]
.LBB140_274:                            ;   in Loop: Header=BB140_19 Depth=1
	s_mov_b64 s[42:43], s[72:73]
	s_mov_b32 s80, s26
	s_mov_b32 s81, s27
.LBB140_275:                            ;   in Loop: Header=BB140_19 Depth=1
	s_mov_b64 s[40:41], exec
.LBB140_276:                            ;   in Loop: Header=BB140_19 Depth=1
	s_or_b64 exec, exec, s[38:39]
	s_mov_b64 s[72:73], s[42:43]
.LBB140_277:                            ;   in Loop: Header=BB140_19 Depth=1
	s_andn2_b64 s[10:11], s[28:29], exec
	s_and_b64 s[2:3], s[2:3], exec
	s_or_b64 s[28:29], s[10:11], s[2:3]
	s_andn2_b64 s[2:3], s[34:35], exec
	s_and_b64 s[8:9], s[8:9], exec
	s_or_b64 s[34:35], s[2:3], s[8:9]
	s_andn2_b64 s[2:3], s[30:31], exec
	s_and_b64 s[6:7], s[6:7], exec
	s_or_b64 s[30:31], s[2:3], s[6:7]
	s_and_b64 s[2:3], s[40:41], exec
.LBB140_278:                            ;   in Loop: Header=BB140_19 Depth=1
	s_or_b64 exec, exec, s[36:37]
.LBB140_279:                            ;   in Loop: Header=BB140_19 Depth=1
	s_andn2_b64 s[6:7], s[20:21], exec
	s_and_b64 s[8:9], s[28:29], exec
	s_or_b64 s[20:21], s[6:7], s[8:9]
	s_andn2_b64 s[6:7], s[22:23], exec
	s_and_b64 s[8:9], s[34:35], exec
	s_or_b64 s[22:23], s[6:7], s[8:9]
	;; [unrolled: 3-line block ×3, first 2 shown]
	s_and_b64 s[2:3], s[2:3], exec
.LBB140_280:                            ;   in Loop: Header=BB140_19 Depth=1
	s_or_b64 exec, exec, s[24:25]
	s_and_saveexec_b64 s[6:7], s[2:3]
	s_xor_b64 s[2:3], exec, s[6:7]
	s_cbranch_execz .LBB140_17
.LBB140_281:                            ;   in Loop: Header=BB140_19 Depth=1
	s_and_b32 s6, s45, -9
	s_cmp_eq_u32 s6, 0
	s_cbranch_scc1 .LBB140_15
; %bb.282:                              ;   in Loop: Header=BB140_19 Depth=1
	s_mov_b64 s[6:7], -1
                                        ; implicit-def: $sgpr81
                                        ; implicit-def: $sgpr72_sgpr73
                                        ; implicit-def: $sgpr51
                                        ; implicit-def: $sgpr74
	s_mov_b64 s[8:9], -1
	s_branch .LBB140_16
.LBB140_283:                            ;   in Loop: Header=BB140_19 Depth=1
                                        ; implicit-def: $vgpr2_vgpr3
	s_branch .LBB140_235
.LBB140_284:                            ;   in Loop: Header=BB140_19 Depth=1
                                        ; implicit-def: $vgpr2_vgpr3
	s_branch .LBB140_252
.LBB140_285:
	s_or_b64 exec, exec, s[90:91]
	s_xor_b64 s[4:5], s[58:59], -1
	s_xor_b64 s[2:3], s[94:95], -1
	;; [unrolled: 1-line block ×3, first 2 shown]
	s_mov_b64 s[0:1], 0
	s_and_saveexec_b64 s[8:9], s[2:3]
	s_xor_b64 s[2:3], exec, s[8:9]
	s_cbranch_execnz .LBB140_290
; %bb.286:
	s_andn2_saveexec_b64 s[2:3], s[2:3]
	s_cbranch_execnz .LBB140_303
.LBB140_287:
	s_or_b64 exec, exec, s[2:3]
	s_and_saveexec_b64 s[2:3], s[0:1]
.LBB140_288:
	; divergent unreachable
.LBB140_289:
	s_endpgm
.LBB140_290:
	s_and_saveexec_b64 s[0:1], s[4:5]
	s_xor_b64 s[4:5], exec, s[0:1]
	s_cbranch_execz .LBB140_301
; %bb.291:
	s_and_saveexec_b64 s[0:1], s[6:7]
	s_xor_b64 s[0:1], exec, s[0:1]
; %bb.292:
	v_and_b32_e32 v3, 0x8000, v2
	v_mov_b32_e32 v4, 0x8000
	v_mov_b32_e32 v5, 0xffff
	v_cmp_eq_u32_e32 vcc, 0, v3
	v_cndmask_b32_e32 v3, v4, v5, vcc
	v_xor_b32_e32 v42, v3, v2
; %bb.293:
	s_or_b64 exec, exec, s[0:1]
	v_readlane_b32 s0, v52, 8
	v_readlane_b32 s8, v52, 4
	;; [unrolled: 1-line block ×3, first 2 shown]
	s_mov_b32 s6, s0
	v_readlane_b32 s9, v52, 5
	s_mul_i32 s0, s9, s0
	s_mul_hi_u32 s1, s8, s6
	s_add_i32 s1, s1, s0
	s_mul_i32 s0, s8, s6
	s_lshl_b64 s[0:1], s[0:1], 1
	v_readlane_b32 s6, v52, 6
	v_readlane_b32 s7, v52, 7
	s_add_u32 s0, s6, s0
	s_addc_u32 s1, s7, s1
	v_mov_b32_e32 v2, 0
	global_store_short v2, v42, s[0:1]
	s_mov_b64 s[6:7], exec
	v_readlane_b32 s0, v52, 10
	v_readlane_b32 s1, v52, 11
	s_and_b64 s[0:1], s[6:7], s[0:1]
	s_mov_b64 exec, s[0:1]
	s_cbranch_execz .LBB140_300
; %bb.294:
	v_lshlrev_b32_e32 v4, 16, v42
	v_cmp_u_f32_e32 vcc, v4, v4
	s_mov_b64 s[8:9], 0
	s_xor_b64 s[12:13], vcc, -1
                                        ; implicit-def: $sgpr10_sgpr11
                                        ; implicit-def: $sgpr16_sgpr17
                                        ; implicit-def: $sgpr14_sgpr15
	s_branch .LBB140_296
.LBB140_295:                            ;   in Loop: Header=BB140_296 Depth=1
	s_or_b64 exec, exec, s[0:1]
	s_and_b64 s[0:1], exec, s[16:17]
	s_or_b64 s[8:9], s[0:1], s[8:9]
	s_andn2_b64 s[0:1], s[10:11], exec
	s_and_b64 s[10:11], s[14:15], exec
	s_or_b64 s[10:11], s[0:1], s[10:11]
	s_andn2_b64 exec, exec, s[8:9]
	s_cbranch_execz .LBB140_298
.LBB140_296:                            ; =>This Inner Loop Header: Depth=1
	global_load_ushort v5, v[10:11], off
	v_pk_mov_b32 v[2:3], v[0:1], v[0:1] op_sel:[0,1]
	s_or_b64 s[14:15], s[14:15], exec
	s_or_b64 s[16:17], s[16:17], exec
	s_waitcnt vmcnt(0)
	v_lshlrev_b32_e32 v0, 16, v5
	v_cmp_o_f32_e64 s[0:1], v0, v0
	v_cmp_neq_f32_e32 vcc, v0, v4
	s_or_b64 s[0:1], s[12:13], s[0:1]
	s_and_b64 s[18:19], vcc, s[0:1]
                                        ; implicit-def: $vgpr0_vgpr1
	s_and_saveexec_b64 s[0:1], s[18:19]
	s_cbranch_execz .LBB140_295
; %bb.297:                              ;   in Loop: Header=BB140_296 Depth=1
	v_mov_b32_e32 v1, s88
	v_add_co_u32_e32 v0, vcc, s33, v2
	v_addc_co_u32_e32 v1, vcc, v3, v1, vcc
	v_mov_b32_e32 v5, s67
	v_add_co_u32_e32 v10, vcc, s66, v10
	v_addc_co_u32_e32 v11, vcc, v11, v5, vcc
	v_cmp_le_u64_e32 vcc, s[52:53], v[0:1]
	s_andn2_b64 s[16:17], s[16:17], exec
	s_and_b64 s[18:19], vcc, exec
	s_andn2_b64 s[14:15], s[14:15], exec
	s_or_b64 s[16:17], s[16:17], s[18:19]
	s_branch .LBB140_295
.LBB140_298:
	s_or_b64 exec, exec, s[8:9]
	s_and_saveexec_b64 s[0:1], s[10:11]
	s_xor_b64 s[0:1], exec, s[0:1]
	s_cbranch_execz .LBB140_300
; %bb.299:
	v_readlane_b32 s0, v52, 8
	v_readlane_b32 s10, v52, 0
	;; [unrolled: 1-line block ×3, first 2 shown]
	s_mov_b32 s8, s0
	v_readlane_b32 s11, v52, 1
	s_mul_i32 s0, s11, s0
	s_mul_hi_u32 s1, s10, s8
	s_add_i32 s1, s1, s0
	s_mul_i32 s0, s10, s8
	s_lshl_b64 s[0:1], s[0:1], 3
	v_readlane_b32 s8, v52, 2
	v_readlane_b32 s9, v52, 3
	s_add_u32 s0, s8, s0
	s_addc_u32 s1, s9, s1
	v_mov_b32_e32 v0, 0
	global_store_dwordx2 v0, v[2:3], s[0:1]
.LBB140_300:
	s_or_b64 exec, exec, s[6:7]
.LBB140_301:
	s_or_saveexec_b64 s[0:1], s[4:5]
	s_mov_b64 s[4:5], 0
	s_xor_b64 exec, exec, s[0:1]
	s_cbranch_execnz .LBB140_304
.LBB140_302:
	s_or_b64 exec, exec, s[0:1]
	s_and_b64 s[0:1], s[4:5], exec
	s_andn2_saveexec_b64 s[2:3], s[2:3]
	s_cbranch_execz .LBB140_287
.LBB140_303:
	s_or_b64 s[0:1], s[0:1], exec
	s_trap 2
	s_or_b64 exec, exec, s[2:3]
	s_and_saveexec_b64 s[2:3], s[0:1]
	s_cbranch_execnz .LBB140_288
	s_branch .LBB140_289
.LBB140_304:
	s_mov_b64 s[4:5], exec
	s_trap 2
	s_branch .LBB140_302
	.section	.rodata,"a",@progbits
	.p2align	6, 0x0
	.amdhsa_kernel _ZN2at6native12_GLOBAL__N_112gatherMedianIN3c108BFloat16EmLi1EEEvNS_4cuda6detail10TensorInfoIT_T0_EENS7_IlS9_EENS7_IKS8_S9_EES9_S9_S9_b
		.amdhsa_group_segment_fixed_size 5152
		.amdhsa_private_segment_fixed_size 0
		.amdhsa_kernarg_size 1536
		.amdhsa_user_sgpr_count 6
		.amdhsa_user_sgpr_private_segment_buffer 1
		.amdhsa_user_sgpr_dispatch_ptr 0
		.amdhsa_user_sgpr_queue_ptr 0
		.amdhsa_user_sgpr_kernarg_segment_ptr 1
		.amdhsa_user_sgpr_dispatch_id 0
		.amdhsa_user_sgpr_flat_scratch_init 0
		.amdhsa_user_sgpr_kernarg_preload_length 0
		.amdhsa_user_sgpr_kernarg_preload_offset 0
		.amdhsa_user_sgpr_private_segment_size 0
		.amdhsa_uses_dynamic_stack 0
		.amdhsa_system_sgpr_private_segment_wavefront_offset 0
		.amdhsa_system_sgpr_workgroup_id_x 1
		.amdhsa_system_sgpr_workgroup_id_y 1
		.amdhsa_system_sgpr_workgroup_id_z 1
		.amdhsa_system_sgpr_workgroup_info 0
		.amdhsa_system_vgpr_workitem_id 0
		.amdhsa_next_free_vgpr 53
		.amdhsa_next_free_sgpr 96
		.amdhsa_accum_offset 56
		.amdhsa_reserve_vcc 1
		.amdhsa_reserve_flat_scratch 0
		.amdhsa_float_round_mode_32 0
		.amdhsa_float_round_mode_16_64 0
		.amdhsa_float_denorm_mode_32 3
		.amdhsa_float_denorm_mode_16_64 3
		.amdhsa_dx10_clamp 1
		.amdhsa_ieee_mode 1
		.amdhsa_fp16_overflow 0
		.amdhsa_tg_split 0
		.amdhsa_exception_fp_ieee_invalid_op 0
		.amdhsa_exception_fp_denorm_src 0
		.amdhsa_exception_fp_ieee_div_zero 0
		.amdhsa_exception_fp_ieee_overflow 0
		.amdhsa_exception_fp_ieee_underflow 0
		.amdhsa_exception_fp_ieee_inexact 0
		.amdhsa_exception_int_div_zero 0
	.end_amdhsa_kernel
	.section	.text._ZN2at6native12_GLOBAL__N_112gatherMedianIN3c108BFloat16EmLi1EEEvNS_4cuda6detail10TensorInfoIT_T0_EENS7_IlS9_EENS7_IKS8_S9_EES9_S9_S9_b,"axG",@progbits,_ZN2at6native12_GLOBAL__N_112gatherMedianIN3c108BFloat16EmLi1EEEvNS_4cuda6detail10TensorInfoIT_T0_EENS7_IlS9_EENS7_IKS8_S9_EES9_S9_S9_b,comdat
.Lfunc_end140:
	.size	_ZN2at6native12_GLOBAL__N_112gatherMedianIN3c108BFloat16EmLi1EEEvNS_4cuda6detail10TensorInfoIT_T0_EENS7_IlS9_EENS7_IKS8_S9_EES9_S9_S9_b, .Lfunc_end140-_ZN2at6native12_GLOBAL__N_112gatherMedianIN3c108BFloat16EmLi1EEEvNS_4cuda6detail10TensorInfoIT_T0_EENS7_IlS9_EENS7_IKS8_S9_EES9_S9_S9_b
                                        ; -- End function
	.section	.AMDGPU.csdata,"",@progbits
; Kernel info:
; codeLenInByte = 16480
; NumSgprs: 100
; NumVgprs: 53
; NumAgprs: 0
; TotalNumVgprs: 53
; ScratchSize: 0
; MemoryBound: 0
; FloatMode: 240
; IeeeMode: 1
; LDSByteSize: 5152 bytes/workgroup (compile time only)
; SGPRBlocks: 12
; VGPRBlocks: 6
; NumSGPRsForWavesPerEU: 100
; NumVGPRsForWavesPerEU: 53
; AccumOffset: 56
; Occupancy: 8
; WaveLimiterHint : 1
; COMPUTE_PGM_RSRC2:SCRATCH_EN: 0
; COMPUTE_PGM_RSRC2:USER_SGPR: 6
; COMPUTE_PGM_RSRC2:TRAP_HANDLER: 0
; COMPUTE_PGM_RSRC2:TGID_X_EN: 1
; COMPUTE_PGM_RSRC2:TGID_Y_EN: 1
; COMPUTE_PGM_RSRC2:TGID_Z_EN: 1
; COMPUTE_PGM_RSRC2:TIDIG_COMP_CNT: 0
; COMPUTE_PGM_RSRC3_GFX90A:ACCUM_OFFSET: 13
; COMPUTE_PGM_RSRC3_GFX90A:TG_SPLIT: 0
	.section	.text._ZN2at6native12_GLOBAL__N_112gatherMedianIN3c108BFloat16EmLi2EEEvNS_4cuda6detail10TensorInfoIT_T0_EENS7_IlS9_EENS7_IKS8_S9_EES9_S9_S9_b,"axG",@progbits,_ZN2at6native12_GLOBAL__N_112gatherMedianIN3c108BFloat16EmLi2EEEvNS_4cuda6detail10TensorInfoIT_T0_EENS7_IlS9_EENS7_IKS8_S9_EES9_S9_S9_b,comdat
	.globl	_ZN2at6native12_GLOBAL__N_112gatherMedianIN3c108BFloat16EmLi2EEEvNS_4cuda6detail10TensorInfoIT_T0_EENS7_IlS9_EENS7_IKS8_S9_EES9_S9_S9_b ; -- Begin function _ZN2at6native12_GLOBAL__N_112gatherMedianIN3c108BFloat16EmLi2EEEvNS_4cuda6detail10TensorInfoIT_T0_EENS7_IlS9_EENS7_IKS8_S9_EES9_S9_S9_b
	.p2align	8
	.type	_ZN2at6native12_GLOBAL__N_112gatherMedianIN3c108BFloat16EmLi2EEEvNS_4cuda6detail10TensorInfoIT_T0_EENS7_IlS9_EENS7_IKS8_S9_EES9_S9_S9_b,@function
_ZN2at6native12_GLOBAL__N_112gatherMedianIN3c108BFloat16EmLi2EEEvNS_4cuda6detail10TensorInfoIT_T0_EENS7_IlS9_EENS7_IKS8_S9_EES9_S9_S9_b: ; @_ZN2at6native12_GLOBAL__N_112gatherMedianIN3c108BFloat16EmLi2EEEvNS_4cuda6detail10TensorInfoIT_T0_EENS7_IlS9_EENS7_IKS8_S9_EES9_S9_S9_b
; %bb.0:
	s_load_dwordx4 s[52:55], s[4:5], 0x4e0
	s_load_dwordx2 s[10:11], s[4:5], 0x500
	s_add_u32 s12, s4, 0x500
	s_addc_u32 s13, s5, 0
	s_mov_b32 s19, 0
	s_waitcnt lgkmcnt(0)
	v_mov_b32_e32 v2, s54
	s_mul_i32 s0, s11, s8
	s_add_i32 s0, s0, s7
	s_mul_i32 s0, s0, s10
	v_mov_b32_e32 v3, s55
	s_add_i32 s18, s0, s6
	v_cmp_ge_u64_e32 vcc, s[18:19], v[2:3]
	s_cbranch_vccnz .LBB141_295
; %bb.1:
	s_load_dwordx2 s[20:21], s[4:5], 0x10
	s_load_dwordx2 s[68:69], s[4:5], 0x4f0
	;; [unrolled: 1-line block ×4, first 2 shown]
                                        ; implicit-def: $vgpr44 : SGPR spill to VGPR lane
	s_mov_b64 s[22:23], 0
	s_waitcnt lgkmcnt(0)
	v_pk_mov_b32 v[2:3], s[20:21], s[20:21] op_sel:[0,1]
	v_cmp_lt_u64_e32 vcc, s[18:19], v[2:3]
	s_and_b64 vcc, exec, vcc
	v_writelane_b32 v44, s0, 0
	v_writelane_b32 v44, s1, 1
	s_mov_b64 s[0:1], 0
	v_writelane_b32 v44, s0, 2
	v_writelane_b32 v44, s1, 3
	s_cbranch_vccnz .LBB141_3
; %bb.2:
	v_cvt_f32_u32_e32 v1, s20
	s_sub_i32 s0, 0, s20
	v_rcp_iflag_f32_e32 v1, v1
	v_mul_f32_e32 v1, 0x4f7ffffe, v1
	v_cvt_u32_f32_e32 v1, v1
	v_readfirstlane_b32 s1, v1
	s_mul_i32 s0, s0, s1
	s_mul_hi_u32 s0, s1, s0
	s_add_i32 s1, s1, s0
	s_mul_hi_u32 s0, s18, s1
	s_mul_i32 s2, s0, s20
	s_sub_i32 s2, s18, s2
	s_add_i32 s1, s0, 1
	s_sub_i32 s3, s2, s20
	s_cmp_ge_u32 s2, s20
	s_cselect_b32 s0, s1, s0
	s_cselect_b32 s2, s3, s2
	s_add_i32 s1, s0, 1
	s_cmp_ge_u32 s2, s20
	s_cselect_b32 s22, s1, s0
.LBB141_3:
	s_load_dwordx2 s[14:15], s[4:5], 0x340
	s_load_dwordx2 s[0:1], s[4:5], 0x1b0
	s_waitcnt lgkmcnt(0)
	v_pk_mov_b32 v[2:3], s[0:1], s[0:1] op_sel:[0,1]
	v_cmp_lt_u64_e32 vcc, s[18:19], v[2:3]
	s_cbranch_vccnz .LBB141_5
; %bb.4:
	s_load_dwordx2 s[16:17], s[4:5], 0x1b0
	s_waitcnt lgkmcnt(0)
	v_cvt_f32_u32_e32 v1, s16
	s_sub_i32 s0, 0, s16
	v_rcp_iflag_f32_e32 v1, v1
	v_mul_f32_e32 v1, 0x4f7ffffe, v1
	v_cvt_u32_f32_e32 v1, v1
	v_readfirstlane_b32 s1, v1
	s_mul_i32 s0, s0, s1
	s_mul_hi_u32 s0, s1, s0
	s_add_i32 s1, s1, s0
	s_mul_hi_u32 s0, s18, s1
	s_mul_i32 s2, s0, s16
	s_sub_i32 s2, s18, s2
	s_add_i32 s1, s0, 1
	s_sub_i32 s3, s2, s16
	s_cmp_ge_u32 s2, s16
	s_cselect_b32 s0, s1, s0
	s_cselect_b32 s2, s3, s2
	s_add_i32 s1, s0, 1
	s_cmp_ge_u32 s2, s16
	s_cselect_b32 s0, s1, s0
	v_writelane_b32 v44, s0, 2
	v_writelane_b32 v44, s1, 3
.LBB141_5:
	s_load_dwordx4 s[0:3], s[4:5], 0x410
	v_writelane_b32 v44, s22, 4
	v_pk_mov_b32 v[2:3], s[8:9], s[8:9] op_sel:[0,1]
	v_writelane_b32 v44, s23, 5
	v_cmp_lt_u64_e32 vcc, s[18:19], v[2:3]
	v_writelane_b32 v44, s20, 6
	s_mov_b64 s[16:17], 0
	v_writelane_b32 v44, s21, 7
	s_cbranch_vccnz .LBB141_7
; %bb.6:
	v_cvt_f32_u32_e32 v1, s8
	s_sub_i32 s7, 0, s8
	v_rcp_iflag_f32_e32 v1, v1
	v_mul_f32_e32 v1, 0x4f7ffffe, v1
	v_cvt_u32_f32_e32 v1, v1
	v_readfirstlane_b32 s11, v1
	s_mul_i32 s7, s7, s11
	s_mul_hi_u32 s7, s11, s7
	s_add_i32 s11, s11, s7
	s_mul_hi_u32 s7, s18, s11
	s_mul_i32 s16, s7, s8
	s_sub_i32 s16, s18, s16
	s_add_i32 s11, s7, 1
	s_sub_i32 s17, s16, s8
	s_cmp_ge_u32 s16, s8
	s_cselect_b32 s7, s11, s7
	s_cselect_b32 s16, s17, s16
	s_add_i32 s11, s7, 1
	s_cmp_ge_u32 s16, s8
	s_cselect_b32 s16, s11, s7
.LBB141_7:
	s_load_dwordx2 s[20:21], s[4:5], 0x1a0
	s_mul_i32 s7, s16, s9
	s_mul_hi_u32 s9, s16, s8
	s_add_i32 s9, s9, s7
	s_mul_i32 s7, s16, s8
	s_waitcnt lgkmcnt(0)
	v_writelane_b32 v44, s20, 8
	v_writelane_b32 v44, s21, 9
	s_load_dwordx2 s[20:21], s[4:5], 0x0
	s_mov_b32 s8, s18
	s_sub_u32 s7, s18, s7
	s_mul_i32 s3, s7, s3
	s_mul_i32 s1, s16, s1
	s_waitcnt lgkmcnt(0)
	v_writelane_b32 v44, s20, 10
	v_writelane_b32 v44, s21, 11
	;; [unrolled: 1-line block ×4, first 2 shown]
	s_subb_u32 s8, 0, s9
	s_mul_hi_u32 s9, s7, s2
	s_mul_i32 s8, s8, s2
	s_mul_i32 s2, s7, s2
	s_mul_hi_u32 s7, s16, s0
	s_add_i32 s3, s9, s3
	s_add_i32 s1, s7, s1
	s_mul_i32 s0, s16, s0
	s_add_i32 s3, s3, s8
	s_lshl_b64 s[0:1], s[0:1], 1
	s_add_u32 s7, s14, s0
	s_addc_u32 s8, s15, s1
	s_lshl_b64 s[0:1], s[2:3], 1
	s_add_u32 s33, s7, s0
	s_addc_u32 s55, s8, s1
	v_mov_b32_e32 v1, 0
	v_pk_mov_b32 v[2:3], 0, 0
	v_cmp_gt_u64_e64 s[0:1], s[52:53], v[0:1]
	s_mov_b64 s[2:3], exec
	v_writelane_b32 v44, s0, 14
	v_writelane_b32 v44, s1, 15
	s_and_b64 s[0:1], s[2:3], s[0:1]
	s_mov_b64 exec, s[0:1]
	s_cbranch_execz .LBB141_11
; %bb.8:
	s_load_dword s0, s[12:13], 0xc
	s_mov_b32 s1, 0
	s_mov_b64 s[8:9], 0
	v_pk_mov_b32 v[2:3], 0, 0
	v_mov_b32_e32 v6, s55
	s_waitcnt lgkmcnt(0)
	s_and_b32 s0, s0, 0xffff
	v_mov_b32_e32 v7, s1
	v_pk_mov_b32 v[4:5], v[0:1], v[0:1] op_sel:[0,1]
.LBB141_9:                              ; =>This Inner Loop Header: Depth=1
	v_mul_lo_u32 v10, v5, s68
	v_mul_lo_u32 v11, v4, s69
	v_mad_u64_u32 v[8:9], s[14:15], v4, s68, 0
	v_add3_u32 v9, v9, v11, v10
	v_lshlrev_b64 v[8:9], 1, v[8:9]
	v_add_co_u32_e32 v8, vcc, s33, v8
	v_addc_co_u32_e32 v9, vcc, v6, v9, vcc
	global_load_ushort v8, v[8:9], off
	v_add_co_u32_e32 v4, vcc, s0, v4
	v_addc_co_u32_e32 v5, vcc, v5, v7, vcc
	v_cmp_le_u64_e32 vcc, s[52:53], v[4:5]
	s_or_b64 s[8:9], vcc, s[8:9]
	s_waitcnt vmcnt(0)
	v_lshlrev_b32_e32 v8, 16, v8
	v_cmp_u_f32_e32 vcc, v8, v8
	v_cndmask_b32_e64 v8, 0, 1, vcc
	v_add_co_u32_e32 v2, vcc, v2, v8
	v_addc_co_u32_e32 v3, vcc, 0, v3, vcc
	s_andn2_b64 exec, exec, s[8:9]
	s_cbranch_execnz .LBB141_9
; %bb.10:
	s_or_b64 exec, exec, s[8:9]
.LBB141_11:
	s_or_b64 exec, exec, s[2:3]
	s_load_dwordx4 s[0:3], s[4:5], 0x270
	s_waitcnt lgkmcnt(0)
	v_writelane_b32 v44, s0, 18
	v_writelane_b32 v44, s1, 19
	;; [unrolled: 1-line block ×4, first 2 shown]
	s_load_dwordx4 s[0:3], s[4:5], 0xd0
	s_waitcnt lgkmcnt(0)
	v_writelane_b32 v44, s0, 22
	v_writelane_b32 v44, s1, 23
	;; [unrolled: 1-line block ×4, first 2 shown]
	v_cmp_eq_u32_e64 s[0:1], 0, v0
	s_mov_b64 s[8:9], exec
	v_writelane_b32 v44, s0, 16
	v_writelane_b32 v44, s1, 17
	s_and_b64 s[0:1], s[8:9], s[0:1]
	s_mov_b64 exec, s[0:1]
	s_cbranch_execz .LBB141_13
; %bb.12:
	v_mov_b32_e32 v4, 0
	v_mov_b32_e32 v5, v4
	ds_write_b64 v4, v[4:5] offset:5136
.LBB141_13:
	s_or_b64 exec, exec, s[8:9]
	s_mov_b64 s[14:15], 0
	v_cmp_ne_u64_e32 vcc, 0, v[2:3]
	s_waitcnt lgkmcnt(0)
	s_barrier
	s_and_saveexec_b64 s[8:9], vcc
	s_cbranch_execz .LBB141_18
; %bb.14:
	s_mov_b64 s[16:17], exec
.LBB141_15:                             ; =>This Inner Loop Header: Depth=1
	s_ff1_i32_b64 s0, s[16:17]
	v_readlane_b32 s2, v2, s0
	v_readlane_b32 s1, v3, s0
	s_add_u32 s14, s14, s2
	s_addc_u32 s15, s15, s1
	s_lshl_b64 s[0:1], 1, s0
	s_andn2_b64 s[16:17], s[16:17], s[0:1]
	s_cmp_lg_u64 s[16:17], 0
	s_cbranch_scc1 .LBB141_15
; %bb.16:
	v_mbcnt_lo_u32_b32 v2, exec_lo, 0
	v_mbcnt_hi_u32_b32 v2, exec_hi, v2
	v_cmp_eq_u32_e32 vcc, 0, v2
	s_and_saveexec_b64 s[0:1], vcc
	s_xor_b64 s[0:1], exec, s[0:1]
	s_cbranch_execz .LBB141_18
; %bb.17:
	v_mov_b32_e32 v4, 0
	v_pk_mov_b32 v[2:3], s[14:15], s[14:15] op_sel:[0,1]
	ds_add_u64 v4, v[2:3] offset:5136
.LBB141_18:
	s_or_b64 exec, exec, s[8:9]
	v_mov_b32_e32 v11, 0
	s_waitcnt lgkmcnt(0)
	s_barrier
	ds_read_b64 v[2:3], v11 offset:5136
	s_waitcnt lgkmcnt(0)
	v_readfirstlane_b32 s8, v2
	v_readfirstlane_b32 s9, v3
	s_mov_b64 s[14:15], exec
	v_readlane_b32 s0, v44, 16
	v_readlane_b32 s1, v44, 17
	s_and_b64 s[0:1], s[14:15], s[0:1]
	s_mov_b64 exec, s[0:1]
	s_cbranch_execz .LBB141_20
; %bb.19:
	v_mov_b32_e32 v2, 0
	v_mov_b32_e32 v4, s52
	;; [unrolled: 1-line block ×4, first 2 shown]
	ds_write_b32 v2, v2 offset:5144
	ds_write_b128 v2, v[2:5] offset:5120
.LBB141_20:
	s_or_b64 exec, exec, s[14:15]
	s_load_dword s2, s[4:5], 0x4f8
	v_cmp_lt_i64_e64 s[0:1], s[8:9], 1
	v_mbcnt_lo_u32_b32 v2, -1, 0
	v_mbcnt_hi_u32_b32 v22, -1, v2
	v_mov_b32_e32 v2, 0x600
	s_waitcnt lgkmcnt(0)
	s_bitcmp1_b32 s2, 0
	s_cselect_b64 s[2:3], -1, 0
	s_not_b64 s[4:5], s[8:9]
	s_or_b64 s[0:1], s[2:3], s[0:1]
	s_add_u32 s2, s4, s52
	s_addc_u32 s3, s5, s53
	s_lshr_b64 s[2:3], s[2:3], 1
	s_add_u32 s2, s2, 1
	s_addc_u32 s3, s3, 0
	s_and_b64 s[0:1], s[0:1], exec
	v_cmp_gt_u32_e64 s[0:1], 2, v0
	v_writelane_b32 v44, s0, 26
	v_mov_b32_e32 v3, 0
	v_writelane_b32 v44, s1, 27
	v_cmp_gt_u64_e64 s[0:1], s[52:53], v[2:3]
	v_writelane_b32 v44, s0, 28
	v_writelane_b32 v44, s1, 29
	v_mad_u64_u32 v[2:3], s[0:1], v0, s68, 0
	v_mov_b32_e32 v4, v3
	v_mad_u64_u32 v[4:5], s[0:1], v0, s69, v[4:5]
	s_barrier
	s_load_dword s0, s[12:13], 0xc
	v_cmp_gt_u32_e32 vcc, 64, v0
	v_cmp_gt_i32_e64 s[8:9], 4, v22
	s_cselect_b32 s83, s3, s53
	s_cselect_b32 s82, s2, s52
	s_and_b64 s[74:75], vcc, s[8:9]
	s_waitcnt lgkmcnt(0)
	s_and_b32 s54, s0, 0xffff
	s_bfe_u32 s1, s0, 0xa0006
	v_cmp_gt_u16_e64 s[2:3], s0, 63
	v_writelane_b32 v44, s2, 30
	s_add_u32 s0, s54, -1
	v_writelane_b32 v44, s3, 31
	s_addc_u32 s2, 0, -1
	s_add_u32 s3, s0, s52
	s_addc_u32 s87, s2, s53
	s_cmp_lt_u32 s6, s10
	v_writelane_b32 v44, s0, 32
	s_cselect_b32 s0, 12, 18
	s_add_u32 s88, s12, s0
	v_writelane_b32 v44, s2, 33
	s_addc_u32 s89, s13, 0
	s_add_i32 s0, s1, -1
	s_bfe_u32 s2, s54, 0x30006
	s_cmp_gt_u32 s0, 6
	v_mov_b32_e32 v3, v4
	s_cselect_b64 s[6:7], -1, 0
	v_lshlrev_b64 v[2:3], 1, v[2:3]
	v_writelane_b32 v44, s6, 34
	s_and_b32 s85, s1, 0x3f8
	v_add_co_u32_e32 v14, vcc, s33, v2
	v_lshrrev_b32_e32 v2, 4, v0
	v_writelane_b32 v44, s7, 35
	s_cmp_lg_u32 s2, 0
	v_mov_b32_e32 v25, s55
	v_and_b32_e32 v26, 60, v2
	v_lshlrev_b32_e32 v2, 2, v22
	v_writelane_b32 v44, s2, 36
	s_cselect_b64 s[0:1], -1, 0
	v_addc_co_u32_e32 v15, vcc, v25, v3, vcc
	v_and_b32_e32 v27, 0x100, v2
	v_lshlrev_b64 v[2:3], v22, -1
	v_writelane_b32 v44, s0, 37
	s_mov_b32 s79, 0
	v_lshlrev_b32_e32 v23, 1, v0
	v_not_b32_e32 v16, v2
	v_writelane_b32 v44, s1, 38
	v_mov_b32_e32 v2, 0xc00
	v_mov_b32_e32 v13, 0
	v_cmp_eq_u32_e64 s[4:5], 0, v22
	v_add_u32_e32 v24, 0xc00, v23
	v_lshlrev_b32_e32 v12, 2, v0
	v_not_b32_e32 v17, v3
	s_mov_b32 s84, s79
	v_lshlrev_b32_e32 v28, 3, v0
	v_lshl_or_b32 v29, v22, 3, v2
	s_lshl_b32 s2, s54, 1
	s_mov_b32 s1, 14
	s_mov_b64 s[94:95], 0
	s_movk_i32 s0, 0x3f80
	v_mov_b32_e32 v30, 0xffff
	v_mov_b32_e32 v31, 0x8000
	;; [unrolled: 1-line block ×3, first 2 shown]
	v_mov_b32_e32 v33, -1
	v_mov_b32_e32 v34, 0x5040100
	v_mov_b32_e32 v35, 0
	s_mov_b32 s26, 0
	s_mov_b32 s80, 0
	;; [unrolled: 1-line block ×3, first 2 shown]
	v_writelane_b32 v44, s74, 39
                                        ; implicit-def: $sgpr56_sgpr57
                                        ; implicit-def: $sgpr76_sgpr77
                                        ; implicit-def: $sgpr58_sgpr59
                                        ; implicit-def: $sgpr60_sgpr61
                                        ; implicit-def: $sgpr62_sgpr63
                                        ; implicit-def: $sgpr66_sgpr67
	v_writelane_b32 v44, s75, 40
	s_branch .LBB141_25
.LBB141_21:                             ;   in Loop: Header=BB141_25 Depth=1
	s_xor_b32 s26, s26, 1
	s_add_i32 s14, s1, -2
	s_cmp_eq_u32 s1, 0
	s_mov_b64 s[8:9], 0
	s_cselect_b64 s[10:11], -1, 0
	s_mov_b32 s1, s14
.LBB141_22:                             ;   in Loop: Header=BB141_25 Depth=1
	s_andn2_b64 s[14:15], s[20:21], exec
	s_and_b64 s[8:9], s[8:9], exec
	s_or_b64 s[20:21], s[14:15], s[8:9]
	s_andn2_b64 s[22:23], s[22:23], exec
	s_andn2_b64 s[18:19], s[18:19], exec
	s_orn2_b64 s[14:15], s[10:11], exec
.LBB141_23:                             ;   in Loop: Header=BB141_25 Depth=1
	s_or_b64 exec, exec, s[6:7]
	s_andn2_b64 s[6:7], s[66:67], exec
	s_and_b64 s[8:9], s[20:21], exec
	s_or_b64 s[66:67], s[6:7], s[8:9]
	s_andn2_b64 s[6:7], s[62:63], exec
	s_and_b64 s[8:9], s[22:23], exec
	s_or_b64 s[62:63], s[6:7], s[8:9]
	;; [unrolled: 3-line block ×3, first 2 shown]
	s_orn2_b64 s[18:19], s[14:15], exec
.LBB141_24:                             ;   in Loop: Header=BB141_25 Depth=1
	s_or_b64 exec, exec, s[12:13]
	s_and_b64 s[6:7], exec, s[18:19]
	s_or_b64 s[94:95], s[6:7], s[94:95]
	s_andn2_b64 s[6:7], s[58:59], exec
	s_and_b64 s[8:9], s[66:67], exec
	s_or_b64 s[58:59], s[6:7], s[8:9]
	s_andn2_b64 s[6:7], s[76:77], exec
	s_and_b64 s[8:9], s[62:63], exec
	;; [unrolled: 3-line block ×3, first 2 shown]
	v_mov_b32_e32 v2, s80
	s_or_b64 s[56:57], s[6:7], s[8:9]
	s_andn2_b64 exec, exec, s[94:95]
	s_cbranch_execz .LBB141_291
.LBB141_25:                             ; =>This Loop Header: Depth=1
                                        ;     Child Loop BB141_30 Depth 2
                                        ;     Child Loop BB141_45 Depth 2
	;; [unrolled: 1-line block ×16, first 2 shown]
	ds_read_b128 v[2:5], v11 offset:5120
	s_waitcnt lgkmcnt(0)
	v_readfirstlane_b32 s65, v3
	v_readfirstlane_b32 s64, v2
	s_cmp_lg_u64 s[64:65], 0
	s_cbranch_scc1 .LBB141_52
; %bb.26:                               ;   in Loop: Header=BB141_25 Depth=1
	v_readlane_b32 s6, v44, 28
	v_readlane_b32 s7, v44, 29
	s_and_b64 vcc, exec, s[6:7]
	s_cbranch_vccz .LBB141_38
; %bb.27:                               ;   in Loop: Header=BB141_25 Depth=1
	s_mov_b64 s[6:7], 0x601
	v_cmp_gt_u64_e32 vcc, s[6:7], v[4:5]
	s_mov_b64 s[64:65], 0
	s_mov_b64 s[6:7], 0
	s_cbranch_vccz .LBB141_39
; %bb.28:                               ;   in Loop: Header=BB141_25 Depth=1
	global_load_ushort v5, v[14:15], off
	global_load_ushort v4, v11, s[88:89]
	s_mov_b64 s[8:9], 0
	v_pk_mov_b32 v[2:3], v[0:1], v[0:1] op_sel:[0,1]
	s_branch .LBB141_30
.LBB141_29:                             ;   in Loop: Header=BB141_30 Depth=2
	s_or_b64 exec, exec, s[6:7]
	s_waitcnt vmcnt(0)
	v_mov_b32_e32 v5, v6
	s_andn2_b64 exec, exec, s[8:9]
	s_cbranch_execz .LBB141_155
.LBB141_30:                             ;   Parent Loop BB141_25 Depth=1
                                        ; =>  This Inner Loop Header: Depth=2
	s_waitcnt vmcnt(0)
	v_add_co_u32_sdwa v2, vcc, v2, v4 dst_sel:DWORD dst_unused:UNUSED_PAD src0_sel:DWORD src1_sel:WORD_0
	v_addc_co_u32_e32 v3, vcc, 0, v3, vcc
	v_cmp_gt_u64_e64 s[6:7], s[52:53], v[2:3]
	v_cmp_le_u64_e32 vcc, s[52:53], v[2:3]
	s_waitcnt lgkmcnt(0)
	v_mov_b32_e32 v7, 0
	v_mov_b32_e32 v6, 0
	s_and_saveexec_b64 s[10:11], s[6:7]
	s_cbranch_execz .LBB141_32
; %bb.31:                               ;   in Loop: Header=BB141_30 Depth=2
	v_mul_lo_u32 v6, v3, s68
	v_mul_lo_u32 v10, v2, s69
	v_mad_u64_u32 v[8:9], s[6:7], v2, s68, 0
	v_add3_u32 v9, v9, v10, v6
	v_lshlrev_b64 v[8:9], 1, v[8:9]
	v_add_co_u32_e64 v8, s[6:7], s33, v8
	v_addc_co_u32_e64 v9, s[6:7], v25, v9, s[6:7]
	global_load_ushort v6, v[8:9], off
.LBB141_32:                             ;   in Loop: Header=BB141_30 Depth=2
	s_or_b64 exec, exec, s[10:11]
	v_cmp_lt_i16_e64 s[6:7], -1, v5
	v_cndmask_b32_e64 v8, v30, v31, s[6:7]
	v_lshlrev_b32_e32 v9, 16, v5
	v_xor_b32_sdwa v8, v8, v5 dst_sel:DWORD dst_unused:UNUSED_PAD src0_sel:DWORD src1_sel:WORD_0
	v_cmp_o_f32_e64 s[6:7], v9, v9
	v_cndmask_b32_e64 v8, v30, v8, s[6:7]
	v_and_b32_e32 v8, s27, v8
	v_cmp_eq_u32_e64 s[10:11], s80, v8
	s_cmp_lg_u64 s[10:11], 0
	s_cselect_b64 s[6:7], -1, 0
	s_and_b64 s[6:7], s[4:5], s[6:7]
	s_and_saveexec_b64 s[12:13], s[6:7]
	s_cbranch_execz .LBB141_36
; %bb.33:                               ;   in Loop: Header=BB141_30 Depth=2
	s_mov_b64 s[16:17], exec
	v_mbcnt_lo_u32_b32 v7, s16, 0
	v_mbcnt_hi_u32_b32 v7, s17, v7
	s_bcnt1_i32_b64 s18, s[10:11]
	v_cmp_eq_u32_e64 s[6:7], 0, v7
                                        ; implicit-def: $vgpr8
	s_and_saveexec_b64 s[14:15], s[6:7]
	s_cbranch_execz .LBB141_35
; %bb.34:                               ;   in Loop: Header=BB141_30 Depth=2
	s_bcnt1_i32_b64 s6, s[16:17]
	s_mul_i32 s6, s18, s6
	v_mov_b32_e32 v8, s6
	ds_add_rtn_u32 v8, v11, v8 offset:5144
.LBB141_35:                             ;   in Loop: Header=BB141_30 Depth=2
	s_or_b64 exec, exec, s[14:15]
	s_waitcnt lgkmcnt(0)
	v_readfirstlane_b32 s6, v8
	v_mov_b32_e32 v8, s6
	v_mad_u32_u24 v7, s18, v7, v8
.LBB141_36:                             ;   in Loop: Header=BB141_30 Depth=2
	s_or_b64 exec, exec, s[12:13]
	ds_bpermute_b32 v7, v27, v7
	s_and_b64 s[6:7], exec, vcc
	s_or_b64 s[8:9], s[6:7], s[8:9]
	s_and_saveexec_b64 s[6:7], s[10:11]
	s_cbranch_execz .LBB141_29
; %bb.37:                               ;   in Loop: Header=BB141_30 Depth=2
	v_and_b32_e32 v9, s10, v16
	v_and_b32_e32 v8, s11, v17
	v_bcnt_u32_b32 v9, v9, 0
	v_bcnt_u32_b32 v8, v8, v9
	v_lshlrev_b32_e32 v8, 1, v8
	s_waitcnt lgkmcnt(0)
	v_lshl_add_u32 v7, v7, 1, v8
	ds_write_b16 v7, v5
	s_branch .LBB141_29
.LBB141_38:                             ;   in Loop: Header=BB141_25 Depth=1
	s_mov_b64 s[64:65], -1
	s_mov_b64 s[6:7], 0
.LBB141_39:                             ;   in Loop: Header=BB141_25 Depth=1
	s_and_b64 vcc, exec, s[64:65]
	s_cbranch_vccz .LBB141_50
.LBB141_40:                             ;   in Loop: Header=BB141_25 Depth=1
	v_mov_b32_e32 v4, 0
	s_mov_b64 s[6:7], exec
	v_readlane_b32 s8, v44, 14
	v_readlane_b32 s9, v44, 15
	s_and_b64 s[8:9], s[6:7], s[8:9]
	s_mov_b64 exec, s[8:9]
	s_cbranch_execz .LBB141_42
; %bb.41:                               ;   in Loop: Header=BB141_25 Depth=1
	global_load_ushort v4, v[14:15], off
.LBB141_42:                             ;   in Loop: Header=BB141_25 Depth=1
	s_or_b64 exec, exec, s[6:7]
	s_mov_b64 s[8:9], exec
	v_readlane_b32 s6, v44, 14
	v_readlane_b32 s7, v44, 15
	s_and_b64 s[6:7], s[8:9], s[6:7]
	s_mov_b64 exec, s[6:7]
	s_cbranch_execz .LBB141_47
; %bb.43:                               ;   in Loop: Header=BB141_25 Depth=1
	global_load_ushort v2, v11, s[88:89]
	s_mov_b64 s[10:11], 0
	v_mov_b32_e32 v5, v23
	s_waitcnt vmcnt(0)
	v_and_b32_e32 v6, 0xffff, v2
	v_lshlrev_b32_e32 v7, 1, v6
	v_pk_mov_b32 v[2:3], v[0:1], v[0:1] op_sel:[0,1]
	s_branch .LBB141_45
.LBB141_44:                             ;   in Loop: Header=BB141_45 Depth=2
	s_or_b64 exec, exec, s[12:13]
	s_and_b64 s[6:7], exec, vcc
	s_or_b64 s[10:11], s[6:7], s[10:11]
	ds_write_b16 v5, v4
	v_add_u32_e32 v5, v5, v7
	s_waitcnt vmcnt(0)
	v_mov_b32_e32 v4, v8
	s_andn2_b64 exec, exec, s[10:11]
	s_cbranch_execz .LBB141_47
.LBB141_45:                             ;   Parent Loop BB141_25 Depth=1
                                        ; =>  This Inner Loop Header: Depth=2
	v_add_co_u32_e32 v2, vcc, v2, v6
	v_addc_co_u32_e32 v3, vcc, 0, v3, vcc
	v_cmp_gt_u64_e64 s[6:7], s[52:53], v[2:3]
	v_cmp_le_u64_e32 vcc, s[52:53], v[2:3]
	v_mov_b32_e32 v8, 0
	s_and_saveexec_b64 s[12:13], s[6:7]
	s_cbranch_execz .LBB141_44
; %bb.46:                               ;   in Loop: Header=BB141_45 Depth=2
	v_mul_lo_u32 v10, v3, s68
	v_mul_lo_u32 v18, v2, s69
	v_mad_u64_u32 v[8:9], s[6:7], v2, s68, 0
	v_add3_u32 v9, v9, v18, v10
	v_lshlrev_b64 v[8:9], 1, v[8:9]
	v_mov_b32_e32 v10, s55
	v_add_co_u32_e64 v8, s[6:7], s33, v8
	v_addc_co_u32_e64 v9, s[6:7], v10, v9, s[6:7]
	global_load_ushort v8, v[8:9], off
	s_branch .LBB141_44
.LBB141_47:                             ;   in Loop: Header=BB141_25 Depth=1
	s_or_b64 exec, exec, s[8:9]
	s_waitcnt lgkmcnt(0)
	s_barrier
	s_mov_b64 s[6:7], exec
	v_readlane_b32 s8, v44, 16
	v_readlane_b32 s9, v44, 17
	s_and_b64 s[8:9], s[6:7], s[8:9]
	s_mov_b64 exec, s[8:9]
	s_cbranch_execz .LBB141_49
; %bb.48:                               ;   in Loop: Header=BB141_25 Depth=1
	v_pk_mov_b32 v[2:3], s[52:53], s[52:53] op_sel:[0,1]
	ds_write_b64 v11, v[2:3] offset:5120
.LBB141_49:                             ;   in Loop: Header=BB141_25 Depth=1
	s_or_b64 exec, exec, s[6:7]
	s_mov_b64 s[6:7], -1
	s_waitcnt lgkmcnt(0)
	s_barrier
                                        ; implicit-def: $sgpr64_sgpr65
.LBB141_50:                             ;   in Loop: Header=BB141_25 Depth=1
	s_and_b64 vcc, exec, s[6:7]
	s_cbranch_vccz .LBB141_52
; %bb.51:                               ;   in Loop: Header=BB141_25 Depth=1
	ds_read_b64 v[2:3], v11 offset:5120
	s_waitcnt lgkmcnt(0)
	v_readfirstlane_b32 s64, v2
.LBB141_52:                             ;   in Loop: Header=BB141_25 Depth=1
	s_cmp_lt_i32 s64, 1
	s_cbranch_scc0 .LBB141_67
; %bb.53:                               ;   in Loop: Header=BB141_25 Depth=1
	global_load_ushort v36, v11, s[88:89]
	s_mov_b32 s6, s79
	s_waitcnt vmcnt(0)
	v_readfirstlane_b32 s7, v36
	s_and_b32 s7, 0xffff, s7
	s_lshl_b32 s65, s7, 2
	s_mov_b32 s7, s53
	s_cmp_lg_u64 s[6:7], 0
	s_cbranch_scc0 .LBB141_87
; %bb.54:                               ;   in Loop: Header=BB141_25 Depth=1
	v_cvt_f32_u32_e32 v2, s65
	s_sub_u32 s6, 0, s65
	s_subb_u32 s7, 0, 0
	v_mac_f32_e32 v2, 0, v32
	v_rcp_f32_e32 v2, v2
	v_mul_f32_e32 v2, 0x5f7ffffc, v2
	v_mul_f32_e32 v3, 0x2f800000, v2
	v_trunc_f32_e32 v3, v3
	v_mac_f32_e32 v2, 0xcf800000, v3
	v_cvt_u32_f32_e32 v3, v3
	v_cvt_u32_f32_e32 v2, v2
	v_readfirstlane_b32 s8, v3
	v_readfirstlane_b32 s9, v2
	s_mul_i32 s10, s6, s8
	s_mul_hi_u32 s12, s6, s9
	s_mul_i32 s11, s7, s9
	s_add_i32 s10, s12, s10
	s_mul_i32 s13, s6, s9
	s_add_i32 s10, s10, s11
	s_mul_hi_u32 s12, s9, s13
	s_mul_hi_u32 s11, s9, s10
	s_mul_i32 s9, s9, s10
	s_add_u32 s9, s12, s9
	s_addc_u32 s11, 0, s11
	s_mul_hi_u32 s14, s8, s13
	s_mul_i32 s13, s8, s13
	s_add_u32 s9, s9, s13
	s_mul_hi_u32 s12, s8, s10
	s_addc_u32 s9, s11, s14
	s_addc_u32 s11, s12, 0
	s_mul_i32 s10, s8, s10
	s_add_u32 s9, s9, s10
	s_addc_u32 s10, 0, s11
	v_add_co_u32_e32 v2, vcc, s9, v2
	s_cmp_lg_u64 vcc, 0
	s_addc_u32 s8, s8, s10
	v_readfirstlane_b32 s10, v2
	s_mul_i32 s9, s6, s8
	s_mul_hi_u32 s11, s6, s10
	s_add_i32 s9, s11, s9
	s_mul_i32 s7, s7, s10
	s_add_i32 s9, s9, s7
	s_mul_i32 s6, s6, s10
	s_mul_hi_u32 s11, s8, s6
	s_mul_i32 s12, s8, s6
	s_mul_i32 s14, s10, s9
	s_mul_hi_u32 s6, s10, s6
	s_mul_hi_u32 s13, s10, s9
	s_add_u32 s6, s6, s14
	s_addc_u32 s10, 0, s13
	s_add_u32 s6, s6, s12
	s_mul_hi_u32 s7, s8, s9
	s_addc_u32 s6, s10, s11
	s_addc_u32 s7, s7, 0
	s_mul_i32 s9, s8, s9
	s_add_u32 s6, s6, s9
	s_addc_u32 s7, 0, s7
	v_add_co_u32_e32 v2, vcc, s6, v2
	s_cmp_lg_u64 vcc, 0
	s_addc_u32 s6, s8, s7
	v_readfirstlane_b32 s9, v2
	s_mul_i32 s8, s52, s6
	s_mul_hi_u32 s10, s52, s9
	s_mul_hi_u32 s7, s52, s6
	s_add_u32 s8, s10, s8
	s_addc_u32 s7, 0, s7
	s_mul_hi_u32 s11, s53, s9
	s_mul_i32 s9, s53, s9
	s_add_u32 s8, s8, s9
	s_mul_hi_u32 s10, s53, s6
	s_addc_u32 s7, s7, s11
	s_addc_u32 s8, s10, 0
	s_mul_i32 s6, s53, s6
	s_add_u32 s6, s7, s6
	s_addc_u32 s7, 0, s8
	s_mul_hi_u32 s8, s65, s6
	s_mul_i32 s6, s65, s6
	s_mul_i32 s7, s65, s7
	v_mov_b32_e32 v2, s6
	s_add_i32 s8, s8, s7
	v_sub_co_u32_e32 v2, vcc, s52, v2
	s_cmp_lg_u64 vcc, 0
	s_subb_u32 s6, s53, s8
	v_subrev_co_u32_e32 v3, vcc, s65, v2
	s_cmp_lg_u64 vcc, 0
	s_subb_u32 s7, s6, 0
	v_subrev_co_u32_e32 v4, vcc, s65, v3
	s_cmp_lg_u64 vcc, 0
	s_subb_u32 s8, s7, 0
	v_cmp_le_u32_e32 vcc, s65, v3
	s_cmp_eq_u32 s7, 0
	v_cndmask_b32_e64 v5, 0, -1, vcc
	s_cselect_b64 vcc, -1, 0
	v_cndmask_b32_e32 v5, -1, v5, vcc
	v_mov_b32_e32 v6, s7
	v_mov_b32_e32 v7, s8
	v_cmp_ne_u32_e32 vcc, 0, v5
	v_cndmask_b32_e32 v5, v6, v7, vcc
	v_cndmask_b32_e32 v4, v3, v4, vcc
	v_cmp_le_u32_e32 vcc, s65, v2
	s_cmp_eq_u32 s6, 0
	v_cndmask_b32_e64 v3, 0, -1, vcc
	s_cselect_b64 vcc, -1, 0
	v_cndmask_b32_e32 v3, -1, v3, vcc
	v_mov_b32_e32 v6, s6
	v_cmp_ne_u32_e32 vcc, 0, v3
	v_cndmask_b32_e32 v3, v6, v5, vcc
	v_cndmask_b32_e32 v2, v2, v4, vcc
	s_cbranch_execnz .LBB141_56
.LBB141_55:                             ;   in Loop: Header=BB141_25 Depth=1
	v_cvt_f32_u32_e32 v2, s65
	s_sub_i32 s6, 0, s65
	v_rcp_iflag_f32_e32 v2, v2
	v_mul_f32_e32 v2, 0x4f7ffffe, v2
	v_cvt_u32_f32_e32 v2, v2
	v_mul_lo_u32 v3, s6, v2
	v_mul_hi_u32 v3, v2, v3
	v_add_u32_e32 v2, v2, v3
	v_mul_hi_u32 v2, s52, v2
	v_mul_lo_u32 v2, v2, s65
	v_sub_u32_e32 v2, s52, v2
	v_subrev_u32_e32 v3, s65, v2
	v_cmp_le_u32_e32 vcc, s65, v2
	v_cndmask_b32_e32 v2, v2, v3, vcc
	v_subrev_u32_e32 v3, s65, v2
	v_cmp_le_u32_e32 vcc, s65, v2
	v_cndmask_b32_e32 v10, v2, v3, vcc
	v_pk_mov_b32 v[2:3], v[10:11], v[10:11] op_sel:[0,1]
.LBB141_56:                             ;   in Loop: Header=BB141_25 Depth=1
	v_mov_b32_e32 v4, s53
	v_sub_co_u32_e32 v18, vcc, s52, v2
	v_subb_co_u32_e32 v19, vcc, v4, v3, vcc
	v_pk_mov_b32 v[2:3], 0, 0
	v_cmp_gt_u64_e32 vcc, v[18:19], v[12:13]
	s_mov_b64 s[72:73], 0
	v_pk_mov_b32 v[4:5], v[2:3], v[2:3] op_sel:[0,1]
	v_pk_mov_b32 v[6:7], v[2:3], v[2:3] op_sel:[0,1]
	;; [unrolled: 1-line block ×3, first 2 shown]
	s_and_saveexec_b64 s[50:51], vcc
	s_cbranch_execz .LBB141_60
; %bb.57:                               ;   in Loop: Header=BB141_25 Depth=1
	s_and_b32 s78, s1, 0xfe
	s_mov_b64 s[74:75], 0
	s_mov_b64 s[70:71], 0
	;; [unrolled: 1-line block ×4, first 2 shown]
	v_pk_mov_b32 v[20:21], v[12:13], v[12:13] op_sel:[0,1]
.LBB141_58:                             ;   Parent Loop BB141_25 Depth=1
                                        ; =>  This Inner Loop Header: Depth=2
	v_mul_lo_u32 v4, v21, s68
	v_mul_lo_u32 v5, v20, s69
	v_mad_u64_u32 v[2:3], s[6:7], v20, s68, 0
	v_add3_u32 v3, v3, v5, v4
	v_lshlrev_b64 v[2:3], 1, v[2:3]
	v_mov_b32_e32 v6, s55
	v_add_co_u32_e64 v2, s[6:7], s33, v2
	s_lshl_b64 s[8:9], s[68:69], 1
	v_addc_co_u32_e64 v3, s[6:7], v6, v3, s[6:7]
	v_mov_b32_e32 v4, s9
	global_load_ushort v5, v[2:3], off
	v_add_co_u32_e64 v2, s[6:7], s8, v2
	v_addc_co_u32_e64 v3, s[6:7], v3, v4, s[6:7]
	global_load_ushort v6, v[2:3], off
	v_add_co_u32_e64 v2, s[6:7], s8, v2
	v_addc_co_u32_e64 v3, s[6:7], v3, v4, s[6:7]
	;; [unrolled: 3-line block ×3, first 2 shown]
	global_load_ushort v2, v[2:3], off
	v_add_co_u32_e32 v20, vcc, s65, v20
	v_addc_co_u32_e32 v21, vcc, 0, v21, vcc
	v_cmp_ge_u64_e32 vcc, v[20:21], v[18:19]
	s_waitcnt vmcnt(3)
	v_cmp_lt_i16_e64 s[6:7], -1, v5
	v_lshlrev_b32_e32 v3, 16, v5
	v_cndmask_b32_e64 v4, v30, v31, s[6:7]
	v_xor_b32_sdwa v4, v4, v5 dst_sel:DWORD dst_unused:UNUSED_PAD src0_sel:DWORD src1_sel:WORD_0
	s_waitcnt vmcnt(2)
	v_cmp_lt_i16_e64 s[6:7], -1, v6
	v_cndmask_b32_e64 v5, v30, v31, s[6:7]
	v_cmp_o_f32_e64 s[6:7], v3, v3
	v_lshlrev_b32_e32 v8, 16, v6
	v_cndmask_b32_e64 v4, v30, v4, s[6:7]
	s_waitcnt vmcnt(1)
	v_cmp_lt_i16_e64 s[6:7], -1, v7
	v_xor_b32_sdwa v5, v5, v6 dst_sel:DWORD dst_unused:UNUSED_PAD src0_sel:DWORD src1_sel:WORD_0
	v_cndmask_b32_e64 v6, v30, v31, s[6:7]
	v_cmp_o_f32_e64 s[6:7], v8, v8
	v_lshlrev_b32_e32 v3, 16, v7
	v_cndmask_b32_e64 v5, v30, v5, s[6:7]
	s_waitcnt vmcnt(0)
	v_cmp_lt_i16_e64 s[6:7], -1, v2
	v_lshlrev_b32_e32 v8, 16, v2
	v_xor_b32_sdwa v6, v6, v7 dst_sel:DWORD dst_unused:UNUSED_PAD src0_sel:DWORD src1_sel:WORD_0
	v_cndmask_b32_e64 v7, v30, v31, s[6:7]
	v_and_b32_e32 v9, s27, v4
	v_bfe_u32 v4, v4, s78, 2
	v_cmp_o_f32_e64 s[6:7], v3, v3
	v_cndmask_b32_e64 v3, v30, v6, s[6:7]
	v_xor_b32_sdwa v2, v7, v2 dst_sel:DWORD dst_unused:UNUSED_PAD src0_sel:DWORD src1_sel:WORD_0
	v_cmp_eq_u32_e64 s[10:11], s80, v9
	v_cmp_eq_u32_e64 s[6:7], 0, v4
	v_cmp_o_f32_e64 s[12:13], v8, v8
	v_and_b32_e32 v6, s27, v5
	v_bfe_u32 v5, v5, s78, 2
	v_cmp_eq_u32_e64 s[28:29], 1, v4
	v_cmp_eq_u32_e64 s[30:31], 2, v4
	;; [unrolled: 1-line block ×3, first 2 shown]
	v_cndmask_b32_e64 v2, v30, v2, s[12:13]
	v_and_b32_e32 v4, s27, v3
	v_bfe_u32 v3, v3, s78, 2
	s_and_b64 s[6:7], s[10:11], s[6:7]
	v_cmp_eq_u32_e64 s[12:13], s80, v6
	v_cmp_eq_u32_e64 s[22:23], 0, v5
	;; [unrolled: 1-line block ×5, first 2 shown]
	v_cndmask_b32_e64 v5, 0, 1, s[6:7]
	v_cmp_eq_u32_e64 s[18:19], s80, v4
	v_and_b32_e32 v4, s27, v2
	v_bfe_u32 v2, v2, s78, 2
	v_cmp_eq_u32_e64 s[6:7], 0, v3
	s_and_b64 s[8:9], s[12:13], s[22:23]
	v_cmp_eq_u32_e64 s[22:23], s80, v4
	v_cmp_eq_u32_e64 s[44:45], 0, v2
	s_and_b64 s[6:7], s[18:19], s[6:7]
	v_cmp_eq_u32_e64 s[38:39], 1, v3
	v_cmp_eq_u32_e64 s[40:41], 2, v3
	;; [unrolled: 1-line block ×3, first 2 shown]
	v_cndmask_b32_e64 v3, 0, 1, s[8:9]
	v_cmp_eq_u32_e64 s[46:47], 1, v2
	v_cmp_eq_u32_e64 s[48:49], 2, v2
	;; [unrolled: 1-line block ×3, first 2 shown]
	v_cndmask_b32_e64 v2, 0, 1, s[6:7]
	s_and_b64 s[8:9], s[22:23], s[44:45]
	v_cmp_ne_u32_e64 s[42:43], 0, v5
	v_cmp_ne_u32_e64 s[6:7], 0, v2
	v_cndmask_b32_e64 v2, 0, 1, s[8:9]
	s_bcnt1_i32_b64 s81, s[42:43]
	v_cmp_ne_u32_e64 s[42:43], 0, v3
	s_bcnt1_i32_b64 s8, s[6:7]
	v_cmp_ne_u32_e64 s[6:7], 0, v2
	s_bcnt1_i32_b64 s42, s[42:43]
	s_bcnt1_i32_b64 s6, s[6:7]
	s_add_u32 s7, s81, s92
	s_addc_u32 s9, 0, s93
	s_add_u32 s7, s7, s42
	s_addc_u32 s9, s9, 0
	s_add_u32 s7, s7, s8
	s_addc_u32 s8, s9, 0
	s_add_u32 s92, s7, s6
	s_addc_u32 s93, s8, 0
	s_and_b64 s[6:7], s[10:11], s[28:29]
	v_cndmask_b32_e64 v4, 0, 1, s[6:7]
	s_and_b64 s[6:7], s[12:13], s[34:35]
	v_cndmask_b32_e64 v5, 0, 1, s[6:7]
	s_and_b64 s[6:7], s[18:19], s[38:39]
	v_cndmask_b32_e64 v6, 0, 1, s[6:7]
	s_and_b64 s[6:7], s[22:23], s[46:47]
	v_cndmask_b32_e64 v7, 0, 1, s[6:7]
	v_cmp_ne_u32_e64 s[6:7], 0, v4
	v_cmp_ne_u32_e64 s[28:29], 0, v5
	v_cmp_ne_u32_e64 s[34:35], 0, v6
	v_cmp_ne_u32_e64 s[38:39], 0, v7
	s_bcnt1_i32_b64 s6, s[6:7]
	s_bcnt1_i32_b64 s7, s[28:29]
	s_bcnt1_i32_b64 s8, s[34:35]
	s_bcnt1_i32_b64 s9, s[38:39]
	s_add_u32 s6, s6, s90
	s_addc_u32 s28, 0, s91
	s_add_u32 s6, s6, s7
	s_addc_u32 s7, s28, 0
	s_add_u32 s6, s6, s8
	s_addc_u32 s7, s7, 0
	s_add_u32 s90, s6, s9
	s_addc_u32 s91, s7, 0
	s_and_b64 s[6:7], s[10:11], s[30:31]
	v_cndmask_b32_e64 v6, 0, 1, s[6:7]
	s_and_b64 s[6:7], s[12:13], s[36:37]
	v_cndmask_b32_e64 v7, 0, 1, s[6:7]
	s_and_b64 s[6:7], s[18:19], s[40:41]
	v_cndmask_b32_e64 v8, 0, 1, s[6:7]
	s_and_b64 s[6:7], s[22:23], s[48:49]
	v_cndmask_b32_e64 v9, 0, 1, s[6:7]
	v_cmp_ne_u32_e64 s[6:7], 0, v6
	v_cmp_ne_u32_e64 s[28:29], 0, v7
	v_cmp_ne_u32_e64 s[30:31], 0, v8
	v_cmp_ne_u32_e64 s[34:35], 0, v9
	s_bcnt1_i32_b64 s6, s[6:7]
	s_bcnt1_i32_b64 s7, s[28:29]
	;; [unrolled: 24-line block ×3, first 2 shown]
	s_bcnt1_i32_b64 s8, s[12:13]
	s_bcnt1_i32_b64 s9, s[14:15]
	s_add_u32 s6, s6, s74
	s_addc_u32 s10, 0, s75
	s_add_u32 s6, s6, s7
	s_addc_u32 s7, s10, 0
	;; [unrolled: 2-line block ×4, first 2 shown]
	v_pk_mov_b32 v[2:3], s[92:93], s[92:93] op_sel:[0,1]
	v_pk_mov_b32 v[4:5], s[90:91], s[90:91] op_sel:[0,1]
	;; [unrolled: 1-line block ×3, first 2 shown]
	s_or_b64 s[72:73], vcc, s[72:73]
	v_pk_mov_b32 v[8:9], s[74:75], s[74:75] op_sel:[0,1]
	s_andn2_b64 exec, exec, s[72:73]
	s_cbranch_execnz .LBB141_58
; %bb.59:                               ;   in Loop: Header=BB141_25 Depth=1
	s_or_b64 exec, exec, s[72:73]
	v_readlane_b32 s74, v44, 39
	v_readlane_b32 s75, v44, 40
.LBB141_60:                             ;   in Loop: Header=BB141_25 Depth=1
	s_or_b64 exec, exec, s[50:51]
	v_add_co_u32_e32 v18, vcc, v18, v0
	v_addc_co_u32_e32 v19, vcc, 0, v19, vcc
	v_cmp_gt_u64_e32 vcc, s[52:53], v[18:19]
	v_mov_b32_e32 v10, 0
	s_and_saveexec_b64 s[8:9], vcc
	s_cbranch_execz .LBB141_62
; %bb.61:                               ;   in Loop: Header=BB141_25 Depth=1
	v_mul_lo_u32 v10, v19, s68
	v_mul_lo_u32 v37, v18, s69
	v_mad_u64_u32 v[20:21], s[6:7], v18, s68, 0
	v_add3_u32 v21, v21, v37, v10
	v_lshlrev_b64 v[20:21], 1, v[20:21]
	v_mov_b32_e32 v10, s55
	v_add_co_u32_e64 v20, s[6:7], s33, v20
	v_addc_co_u32_e64 v21, s[6:7], v10, v21, s[6:7]
	global_load_ushort v10, v[20:21], off
.LBB141_62:                             ;   in Loop: Header=BB141_25 Depth=1
	s_or_b64 exec, exec, s[8:9]
	s_and_saveexec_b64 s[8:9], vcc
	s_cbranch_execz .LBB141_69
; %bb.63:                               ;   in Loop: Header=BB141_25 Depth=1
	s_and_b32 s14, s1, 0xfe
	s_mov_b64 s[10:11], 0
	s_branch .LBB141_65
.LBB141_64:                             ;   in Loop: Header=BB141_65 Depth=2
	s_or_b64 exec, exec, s[12:13]
	s_and_b64 s[6:7], exec, vcc
	s_waitcnt vmcnt(0)
	v_cmp_lt_i16_e32 vcc, -1, v10
	v_cndmask_b32_e32 v21, v30, v31, vcc
	v_lshlrev_b32_e32 v37, 16, v10
	v_xor_b32_sdwa v10, v21, v10 dst_sel:DWORD dst_unused:UNUSED_PAD src0_sel:DWORD src1_sel:WORD_0
	v_cmp_o_f32_e32 vcc, v37, v37
	v_cndmask_b32_e32 v10, v30, v10, vcc
	v_and_b32_e32 v21, s27, v10
	v_bfe_u32 v10, v10, s14, 2
	s_or_b64 s[10:11], s[6:7], s[10:11]
	v_cmp_eq_u32_e32 vcc, s80, v21
	v_cmp_eq_u32_e64 s[6:7], 0, v10
	s_and_b64 s[6:7], vcc, s[6:7]
	v_cndmask_b32_e64 v21, 0, 1, s[6:7]
	v_cmp_ne_u32_e64 s[6:7], 0, v21
	s_bcnt1_i32_b64 s6, s[6:7]
	v_add_co_u32_e64 v2, s[6:7], s6, v2
	v_addc_co_u32_e64 v3, s[6:7], 0, v3, s[6:7]
	v_cmp_eq_u32_e64 s[6:7], 1, v10
	s_and_b64 s[6:7], vcc, s[6:7]
	v_cndmask_b32_e64 v21, 0, 1, s[6:7]
	v_cmp_ne_u32_e64 s[6:7], 0, v21
	s_bcnt1_i32_b64 s6, s[6:7]
	v_add_co_u32_e64 v4, s[6:7], s6, v4
	v_addc_co_u32_e64 v5, s[6:7], 0, v5, s[6:7]
	;; [unrolled: 7-line block ×3, first 2 shown]
	v_cmp_eq_u32_e64 s[6:7], 3, v10
	s_and_b64 s[6:7], vcc, s[6:7]
	v_cndmask_b32_e64 v10, 0, 1, s[6:7]
	v_cmp_ne_u32_e32 vcc, 0, v10
	s_bcnt1_i32_b64 s6, vcc
	v_add_co_u32_e32 v8, vcc, s6, v8
	v_addc_co_u32_e32 v9, vcc, 0, v9, vcc
	v_mov_b32_e32 v10, v20
	s_andn2_b64 exec, exec, s[10:11]
	s_cbranch_execz .LBB141_68
.LBB141_65:                             ;   Parent Loop BB141_25 Depth=1
                                        ; =>  This Inner Loop Header: Depth=2
	v_add_co_u32_sdwa v18, vcc, v18, v36 dst_sel:DWORD dst_unused:UNUSED_PAD src0_sel:DWORD src1_sel:WORD_0
	v_addc_co_u32_e32 v19, vcc, 0, v19, vcc
	v_cmp_gt_u64_e64 s[6:7], s[52:53], v[18:19]
	v_cmp_le_u64_e32 vcc, s[52:53], v[18:19]
	v_mov_b32_e32 v20, 0
	s_and_saveexec_b64 s[12:13], s[6:7]
	s_cbranch_execz .LBB141_64
; %bb.66:                               ;   in Loop: Header=BB141_65 Depth=2
	v_mul_lo_u32 v37, v19, s68
	v_mul_lo_u32 v38, v18, s69
	v_mad_u64_u32 v[20:21], s[6:7], v18, s68, 0
	v_add3_u32 v21, v21, v38, v37
	v_lshlrev_b64 v[20:21], 1, v[20:21]
	v_mov_b32_e32 v37, s55
	v_add_co_u32_e64 v20, s[6:7], s33, v20
	v_addc_co_u32_e64 v21, s[6:7], v37, v21, s[6:7]
	global_load_ushort v20, v[20:21], off
	s_branch .LBB141_64
.LBB141_67:                             ;   in Loop: Header=BB141_25 Depth=1
                                        ; implicit-def: $vgpr8_vgpr9
                                        ; implicit-def: $vgpr4_vgpr5
	s_cbranch_execnz .LBB141_70
	s_branch .LBB141_79
.LBB141_68:                             ;   in Loop: Header=BB141_25 Depth=1
	s_or_b64 exec, exec, s[10:11]
.LBB141_69:                             ;   in Loop: Header=BB141_25 Depth=1
	s_or_b64 exec, exec, s[8:9]
	s_branch .LBB141_79
.LBB141_70:                             ;   in Loop: Header=BB141_25 Depth=1
	global_load_ushort v8, v11, s[88:89]
	s_mov_b64 s[70:71], 0
	s_waitcnt vmcnt(0)
	v_readfirstlane_b32 s6, v8
	s_and_b32 s6, 0xffff, s6
	s_lshl_b32 s65, s6, 2
	v_cvt_f32_u32_e32 v2, s65
	s_sub_i32 s6, 0, s65
	v_and_b32_e32 v20, 0xffff, v8
	v_rcp_iflag_f32_e32 v6, v2
	v_pk_mov_b32 v[2:3], 0, 0
	v_pk_mov_b32 v[4:5], v[2:3], v[2:3] op_sel:[0,1]
	v_mul_f32_e32 v6, 0x4f7ffffe, v6
	v_cvt_u32_f32_e32 v9, v6
	v_pk_mov_b32 v[6:7], v[2:3], v[2:3] op_sel:[0,1]
	v_readfirstlane_b32 s7, v9
	s_mul_i32 s6, s6, s7
	s_mul_hi_u32 s6, s7, s6
	s_add_i32 s7, s7, s6
	s_mul_hi_u32 s6, s64, s7
	s_mul_i32 s6, s6, s65
	s_sub_i32 s6, s64, s6
	s_sub_i32 s7, s6, s65
	s_cmp_ge_u32 s6, s65
	s_cselect_b32 s6, s7, s6
	s_sub_i32 s7, s6, s65
	s_cmp_ge_u32 s6, s65
	s_cselect_b32 s6, s7, s6
	s_sub_i32 s78, s64, s6
	v_cmp_gt_u32_e32 vcc, s78, v12
	v_pk_mov_b32 v[8:9], v[2:3], v[2:3] op_sel:[0,1]
	s_and_saveexec_b64 s[72:73], vcc
	s_cbranch_execz .LBB141_74
; %bb.71:                               ;   in Loop: Header=BB141_25 Depth=1
	s_and_b32 s81, s1, 0xfe
	v_lshlrev_b32_e32 v10, 3, v20
	v_mov_b32_e32 v21, v28
	s_mov_b64 s[74:75], 0
	s_mov_b64 s[90:91], 0
	s_mov_b64 s[92:93], 0
	s_mov_b64 s[8:9], 0
	v_pk_mov_b32 v[18:19], v[12:13], v[12:13] op_sel:[0,1]
.LBB141_72:                             ;   Parent Loop BB141_25 Depth=1
                                        ; =>  This Inner Loop Header: Depth=2
	ds_read_b64 v[2:3], v21
	v_add_co_u32_e32 v18, vcc, s65, v18
	v_addc_co_u32_e32 v19, vcc, 0, v19, vcc
	s_waitcnt lgkmcnt(0)
	v_cmp_lt_i16_e64 s[6:7], -1, v2
	v_cndmask_b32_e64 v8, v30, v31, s[6:7]
	v_cmp_gt_i16_sdwa s[6:7], v2, v33 src0_sel:WORD_1 src1_sel:DWORD
	v_lshlrev_b32_e32 v4, 16, v2
	v_cndmask_b32_e64 v9, v30, v31, s[6:7]
	v_cmp_lt_i16_e64 s[6:7], -1, v3
	v_and_b32_e32 v5, 0xffff0000, v2
	v_cndmask_b32_e64 v36, v30, v31, s[6:7]
	v_cmp_gt_i16_sdwa s[6:7], v3, v33 src0_sel:WORD_1 src1_sel:DWORD
	v_xor_b32_sdwa v9, v9, v2 dst_sel:DWORD dst_unused:UNUSED_PAD src0_sel:DWORD src1_sel:WORD_1
	v_xor_b32_sdwa v2, v8, v2 dst_sel:DWORD dst_unused:UNUSED_PAD src0_sel:DWORD src1_sel:WORD_0
	v_cmp_o_f32_e64 s[14:15], v4, v4
	v_lshlrev_b32_e32 v6, 16, v3
	v_cndmask_b32_e64 v37, v30, v31, s[6:7]
	v_cmp_o_f32_e64 s[6:7], v5, v5
	v_cndmask_b32_e64 v2, v30, v2, s[14:15]
	v_and_b32_e32 v7, 0xffff0000, v3
	v_xor_b32_sdwa v5, v36, v3 dst_sel:DWORD dst_unused:UNUSED_PAD src0_sel:DWORD src1_sel:WORD_0
	v_cmp_o_f32_e64 s[10:11], v6, v6
	v_cndmask_b32_e64 v4, v30, v9, s[6:7]
	v_and_b32_e32 v6, s27, v2
	v_bfe_u32 v2, v2, s81, 2
	v_xor_b32_sdwa v3, v37, v3 dst_sel:DWORD dst_unused:UNUSED_PAD src0_sel:DWORD src1_sel:WORD_1
	v_cmp_o_f32_e64 s[12:13], v7, v7
	v_cndmask_b32_e64 v5, v30, v5, s[10:11]
	v_and_b32_e32 v7, s27, v4
	v_bfe_u32 v4, v4, s81, 2
	v_cmp_eq_u32_e64 s[16:17], s80, v6
	v_cmp_eq_u32_e64 s[6:7], 0, v2
	v_cndmask_b32_e64 v3, v30, v3, s[12:13]
	v_and_b32_e32 v8, s27, v5
	v_bfe_u32 v5, v5, s81, 2
	v_cmp_eq_u32_e64 s[14:15], s80, v7
	v_cmp_eq_u32_e64 s[28:29], 0, v4
	s_and_b64 s[6:7], s[16:17], s[6:7]
	v_and_b32_e32 v9, s27, v3
	v_bfe_u32 v3, v3, s81, 2
	v_cmp_eq_u32_e64 s[12:13], s80, v8
	v_cmp_eq_u32_e64 s[30:31], 0, v5
	;; [unrolled: 1-line block ×5, first 2 shown]
	v_cndmask_b32_e64 v2, 0, 1, s[6:7]
	s_and_b64 s[6:7], s[14:15], s[28:29]
	v_cmp_eq_u32_e64 s[10:11], s80, v9
	v_cmp_eq_u32_e64 s[34:35], 0, v3
	;; [unrolled: 1-line block ×5, first 2 shown]
	v_cndmask_b32_e64 v3, 0, 1, s[6:7]
	s_and_b64 s[6:7], s[12:13], s[30:31]
	v_cmp_eq_u32_e64 s[38:39], 1, v4
	v_cmp_eq_u32_e64 s[46:47], 2, v4
	v_cmp_eq_u32_e64 s[22:23], 3, v4
	v_cndmask_b32_e64 v4, 0, 1, s[6:7]
	s_and_b64 s[6:7], s[10:11], s[34:35]
	v_cmp_eq_u32_e64 s[40:41], 1, v5
	v_cmp_eq_u32_e64 s[48:49], 2, v5
	;; [unrolled: 1-line block ×3, first 2 shown]
	v_cndmask_b32_e64 v5, 0, 1, s[6:7]
	v_cmp_ne_u32_e64 s[6:7], 0, v2
	v_cmp_ne_u32_e64 s[28:29], 0, v3
	v_cmp_ne_u32_e64 s[30:31], 0, v4
	v_cmp_ne_u32_e64 s[34:35], 0, v5
	s_bcnt1_i32_b64 s6, s[6:7]
	s_bcnt1_i32_b64 s7, s[28:29]
	s_bcnt1_i32_b64 s28, s[30:31]
	s_bcnt1_i32_b64 s29, s[34:35]
	s_add_u32 s6, s6, s8
	s_addc_u32 s8, 0, s9
	s_add_u32 s6, s6, s7
	s_addc_u32 s7, s8, 0
	s_add_u32 s6, s6, s28
	s_addc_u32 s7, s7, 0
	s_add_u32 s8, s6, s29
	s_addc_u32 s9, s7, 0
	s_and_b64 s[6:7], s[16:17], s[36:37]
	v_cndmask_b32_e64 v4, 0, 1, s[6:7]
	s_and_b64 s[6:7], s[14:15], s[38:39]
	v_cndmask_b32_e64 v5, 0, 1, s[6:7]
	s_and_b64 s[6:7], s[12:13], s[40:41]
	v_cndmask_b32_e64 v6, 0, 1, s[6:7]
	s_and_b64 s[6:7], s[10:11], s[42:43]
	v_cndmask_b32_e64 v7, 0, 1, s[6:7]
	v_cmp_ne_u32_e64 s[6:7], 0, v4
	v_cmp_ne_u32_e64 s[28:29], 0, v5
	v_cmp_ne_u32_e64 s[30:31], 0, v6
	v_cmp_ne_u32_e64 s[34:35], 0, v7
	s_bcnt1_i32_b64 s6, s[6:7]
	s_bcnt1_i32_b64 s7, s[28:29]
	s_bcnt1_i32_b64 s28, s[30:31]
	s_bcnt1_i32_b64 s29, s[34:35]
	s_add_u32 s6, s6, s92
	s_addc_u32 s30, 0, s93
	s_add_u32 s6, s6, s7
	s_addc_u32 s7, s30, 0
	s_add_u32 s6, s6, s28
	s_addc_u32 s7, s7, 0
	s_add_u32 s92, s6, s29
	s_addc_u32 s93, s7, 0
	s_and_b64 s[6:7], s[16:17], s[44:45]
	v_cndmask_b32_e64 v6, 0, 1, s[6:7]
	s_and_b64 s[6:7], s[14:15], s[46:47]
	v_cndmask_b32_e64 v7, 0, 1, s[6:7]
	s_and_b64 s[6:7], s[12:13], s[48:49]
	v_cndmask_b32_e64 v8, 0, 1, s[6:7]
	s_and_b64 s[6:7], s[10:11], s[50:51]
	;; [unrolled: 24-line block ×3, first 2 shown]
	v_cndmask_b32_e64 v37, 0, 1, s[6:7]
	v_cmp_ne_u32_e64 s[6:7], 0, v8
	v_cmp_ne_u32_e64 s[10:11], 0, v9
	;; [unrolled: 1-line block ×4, first 2 shown]
	s_bcnt1_i32_b64 s6, s[6:7]
	s_bcnt1_i32_b64 s7, s[10:11]
	;; [unrolled: 1-line block ×4, first 2 shown]
	s_add_u32 s6, s6, s74
	s_addc_u32 s12, 0, s75
	s_add_u32 s6, s6, s7
	s_addc_u32 s7, s12, 0
	;; [unrolled: 2-line block ×3, first 2 shown]
	s_add_u32 s74, s6, s11
	v_cmp_le_u64_e32 vcc, s[78:79], v[18:19]
	s_addc_u32 s75, s7, 0
	v_add_u32_e32 v21, v21, v10
	v_pk_mov_b32 v[2:3], s[8:9], s[8:9] op_sel:[0,1]
	v_pk_mov_b32 v[4:5], s[92:93], s[92:93] op_sel:[0,1]
	;; [unrolled: 1-line block ×3, first 2 shown]
	s_or_b64 s[70:71], vcc, s[70:71]
	v_pk_mov_b32 v[8:9], s[74:75], s[74:75] op_sel:[0,1]
	s_andn2_b64 exec, exec, s[70:71]
	s_cbranch_execnz .LBB141_72
; %bb.73:                               ;   in Loop: Header=BB141_25 Depth=1
	s_or_b64 exec, exec, s[70:71]
	v_readlane_b32 s74, v44, 39
	v_readlane_b32 s75, v44, 40
.LBB141_74:                             ;   in Loop: Header=BB141_25 Depth=1
	s_or_b64 exec, exec, s[72:73]
	v_add_u32_e32 v10, s78, v0
	v_cmp_gt_u32_e32 vcc, s64, v10
	s_and_saveexec_b64 s[8:9], vcc
	s_cbranch_execz .LBB141_78
; %bb.75:                               ;   in Loop: Header=BB141_25 Depth=1
	s_and_b32 s78, s64, 0x7fffffff
	s_and_b32 s20, s1, 0xfe
	v_lshlrev_b32_e32 v21, 1, v10
	v_lshlrev_b32_e32 v36, 1, v20
	s_mov_b64 s[18:19], 0
	v_pk_mov_b32 v[18:19], v[10:11], v[10:11] op_sel:[0,1]
.LBB141_76:                             ;   Parent Loop BB141_25 Depth=1
                                        ; =>  This Inner Loop Header: Depth=2
	ds_read_u16 v10, v21
	v_add_co_u32_e32 v18, vcc, v18, v20
	v_addc_co_u32_e32 v19, vcc, 0, v19, vcc
	s_waitcnt lgkmcnt(0)
	v_cmp_lt_i16_e64 s[6:7], -1, v10
	v_cndmask_b32_e64 v37, v30, v31, s[6:7]
	v_lshlrev_b32_e32 v38, 16, v10
	v_xor_b32_sdwa v10, v37, v10 dst_sel:DWORD dst_unused:UNUSED_PAD src0_sel:DWORD src1_sel:WORD_0
	v_cmp_o_f32_e64 s[6:7], v38, v38
	v_cndmask_b32_e64 v10, v30, v10, s[6:7]
	v_and_b32_e32 v37, s27, v10
	v_bfe_u32 v10, v10, s20, 2
	v_cmp_eq_u32_e64 s[6:7], s80, v37
	v_cmp_eq_u32_e64 s[10:11], 0, v10
	;; [unrolled: 1-line block ×3, first 2 shown]
	s_and_b64 s[10:11], s[6:7], s[10:11]
	v_cmp_eq_u32_e64 s[14:15], 2, v10
	v_cmp_eq_u32_e64 s[16:17], 3, v10
	v_cndmask_b32_e64 v10, 0, 1, s[10:11]
	s_and_b64 s[10:11], s[6:7], s[12:13]
	v_cndmask_b32_e64 v37, 0, 1, s[10:11]
	s_and_b64 s[10:11], s[6:7], s[14:15]
	s_and_b64 s[6:7], s[6:7], s[16:17]
	v_cndmask_b32_e64 v39, 0, 1, s[6:7]
	v_cmp_ne_u32_e64 s[6:7], 0, v10
	s_bcnt1_i32_b64 s6, s[6:7]
	v_cndmask_b32_e64 v38, 0, 1, s[10:11]
	v_cmp_ne_u32_e64 s[10:11], 0, v37
	v_add_co_u32_e64 v2, s[6:7], s6, v2
	s_bcnt1_i32_b64 s10, s[10:11]
	v_addc_co_u32_e64 v3, s[6:7], 0, v3, s[6:7]
	v_cmp_ne_u32_e64 s[12:13], 0, v38
	v_cmp_ne_u32_e64 s[14:15], 0, v39
	v_add_co_u32_e64 v4, s[6:7], s10, v4
	v_cmp_le_u64_e32 vcc, s[78:79], v[18:19]
	s_bcnt1_i32_b64 s11, s[12:13]
	s_bcnt1_i32_b64 s12, s[14:15]
	v_addc_co_u32_e64 v5, s[6:7], 0, v5, s[6:7]
	v_add_co_u32_e64 v6, s[6:7], s11, v6
	s_or_b64 s[18:19], vcc, s[18:19]
	v_add_co_u32_e32 v8, vcc, s12, v8
	v_add_u32_e32 v21, v21, v36
	v_addc_co_u32_e64 v7, s[6:7], 0, v7, s[6:7]
	v_addc_co_u32_e32 v9, vcc, 0, v9, vcc
	s_andn2_b64 exec, exec, s[18:19]
	s_cbranch_execnz .LBB141_76
; %bb.77:                               ;   in Loop: Header=BB141_25 Depth=1
	s_or_b64 exec, exec, s[18:19]
.LBB141_78:                             ;   in Loop: Header=BB141_25 Depth=1
	s_or_b64 exec, exec, s[8:9]
.LBB141_79:                             ;   in Loop: Header=BB141_25 Depth=1
	s_lshl_b32 s8, s26, 6
	s_and_saveexec_b64 s[6:7], s[4:5]
	s_cbranch_execz .LBB141_81
; %bb.80:                               ;   in Loop: Header=BB141_25 Depth=1
	s_waitcnt vmcnt(0)
	v_or_b32_e32 v10, s8, v26
	v_lshlrev_b32_e32 v10, 3, v10
	ds_write_b128 v10, v[2:5] offset:3072
	ds_write_b128 v10, v[6:9] offset:3088
.LBB141_81:                             ;   in Loop: Header=BB141_25 Depth=1
	s_or_b64 exec, exec, s[6:7]
	s_waitcnt lgkmcnt(0)
	s_barrier
	s_and_saveexec_b64 s[6:7], s[74:75]
	s_cbranch_execz .LBB141_93
; %bb.82:                               ;   in Loop: Header=BB141_25 Depth=1
	v_readlane_b32 s10, v44, 30
	v_readlane_b32 s11, v44, 31
	s_andn2_b64 vcc, exec, s[10:11]
	v_pk_mov_b32 v[2:3], 0, 0
	s_cbranch_vccnz .LBB141_92
; %bb.83:                               ;   in Loop: Header=BB141_25 Depth=1
	v_readlane_b32 s10, v44, 34
	v_readlane_b32 s11, v44, 35
	s_andn2_b64 vcc, exec, s[10:11]
	s_cbranch_vccnz .LBB141_88
; %bb.84:                               ;   in Loop: Header=BB141_25 Depth=1
	s_waitcnt vmcnt(0)
	v_lshl_add_u32 v4, s26, 9, v29
	s_mov_b32 s9, 0
	v_pk_mov_b32 v[2:3], 0, 0
.LBB141_85:                             ;   Parent Loop BB141_25 Depth=1
                                        ; =>  This Inner Loop Header: Depth=2
	ds_read2_b64 v[6:9], v4 offset1:4
	ds_read2_b64 v[18:21], v4 offset0:8 offset1:12
	ds_read2_b64 v[36:39], v4 offset0:16 offset1:20
	;; [unrolled: 1-line block ×3, first 2 shown]
	s_add_i32 s9, s9, 8
	s_waitcnt lgkmcnt(3)
	v_add_co_u32_e32 v2, vcc, v6, v2
	v_addc_co_u32_e32 v3, vcc, v7, v3, vcc
	v_add_co_u32_e32 v2, vcc, v8, v2
	v_addc_co_u32_e32 v3, vcc, v9, v3, vcc
	s_waitcnt lgkmcnt(2)
	v_add_co_u32_e32 v2, vcc, v18, v2
	v_addc_co_u32_e32 v3, vcc, v19, v3, vcc
	v_add_co_u32_e32 v2, vcc, v20, v2
	v_addc_co_u32_e32 v3, vcc, v21, v3, vcc
	;; [unrolled: 5-line block ×3, first 2 shown]
	s_waitcnt lgkmcnt(0)
	v_add_co_u32_e32 v2, vcc, v40, v2
	v_addc_co_u32_e32 v3, vcc, v41, v3, vcc
	v_add_co_u32_e32 v2, vcc, v42, v2
	v_add_u32_e32 v4, 0x100, v4
	s_cmp_eq_u32 s85, s9
	v_addc_co_u32_e32 v3, vcc, v43, v3, vcc
	s_cbranch_scc0 .LBB141_85
; %bb.86:                               ;   in Loop: Header=BB141_25 Depth=1
	s_mov_b32 s9, s85
	s_branch .LBB141_89
.LBB141_87:                             ;   in Loop: Header=BB141_25 Depth=1
                                        ; implicit-def: $vgpr2_vgpr3
	s_branch .LBB141_55
.LBB141_88:                             ;   in Loop: Header=BB141_25 Depth=1
	s_mov_b32 s9, 0
	v_pk_mov_b32 v[2:3], 0, 0
.LBB141_89:                             ;   in Loop: Header=BB141_25 Depth=1
	v_readlane_b32 s10, v44, 37
	v_readlane_b32 s11, v44, 38
	s_andn2_b64 vcc, exec, s[10:11]
	s_cbranch_vccnz .LBB141_92
; %bb.90:                               ;   in Loop: Header=BB141_25 Depth=1
	s_lshl_b32 s10, s26, 9
	s_lshl_b32 s9, s9, 5
	s_add_i32 s10, s10, s9
	s_waitcnt vmcnt(0)
	v_add_u32_e32 v4, s10, v29
	v_readlane_b32 s9, v44, 36
.LBB141_91:                             ;   Parent Loop BB141_25 Depth=1
                                        ; =>  This Inner Loop Header: Depth=2
	ds_read_b64 v[6:7], v4
	s_add_i32 s9, s9, -1
	v_add_u32_e32 v4, 32, v4
	s_cmp_lg_u32 s9, 0
	s_waitcnt lgkmcnt(0)
	v_add_co_u32_e32 v2, vcc, v6, v2
	v_addc_co_u32_e32 v3, vcc, v7, v3, vcc
	s_cbranch_scc1 .LBB141_91
.LBB141_92:                             ;   in Loop: Header=BB141_25 Depth=1
	s_waitcnt vmcnt(0)
	v_add_lshl_u32 v4, s8, v22, 3
	ds_write_b64 v4, v[2:3] offset:3072
.LBB141_93:                             ;   in Loop: Header=BB141_25 Depth=1
	s_or_b64 exec, exec, s[6:7]
	s_lshl_b32 s6, s8, 3
	v_mov_b32_e32 v6, s6
	s_waitcnt lgkmcnt(0)
	s_barrier
	s_waitcnt vmcnt(0)
	ds_read_b128 v[2:5], v6 offset:3072
	ds_read_b128 v[6:9], v6 offset:3088
	s_and_b32 s40, s1, 0xfe
	s_lshl_b32 s48, 3, s40
	s_not_b32 s41, s48
	s_waitcnt lgkmcnt(1)
	v_readfirstlane_b32 s15, v3
	v_readfirstlane_b32 s14, v2
	s_cmp_eq_u64 s[14:15], 1
	s_cselect_b64 s[6:7], -1, 0
	s_cmp_eq_u64 s[82:83], 1
	s_cselect_b64 s[8:9], -1, 0
	s_and_b64 s[20:21], s[6:7], s[8:9]
	v_readfirstlane_b32 s28, v4
	v_readfirstlane_b32 s29, v5
	s_waitcnt lgkmcnt(0)
	v_readfirstlane_b32 s16, v6
	v_readfirstlane_b32 s17, v7
	;; [unrolled: 1-line block ×4, first 2 shown]
	s_mov_b64 s[18:19], -1
	s_and_b64 vcc, exec, s[20:21]
	s_cbranch_vccz .LBB141_108
; %bb.94:                               ;   in Loop: Header=BB141_25 Depth=1
	ds_read_b64 v[2:3], v11 offset:5120
	s_waitcnt lgkmcnt(0)
	s_barrier
	v_readfirstlane_b32 s8, v2
	v_readfirstlane_b32 s9, v3
	s_mov_b64 s[6:7], exec
	v_readlane_b32 s12, v44, 26
	v_readlane_b32 s13, v44, 27
	s_and_b64 s[12:13], s[6:7], s[12:13]
	s_mov_b64 exec, s[12:13]
	s_cbranch_execz .LBB141_96
; %bb.95:                               ;   in Loop: Header=BB141_25 Depth=1
	ds_write_b16 v24, v13
.LBB141_96:                             ;   in Loop: Header=BB141_25 Depth=1
	s_or_b64 exec, exec, s[6:7]
	s_and_b32 s80, s80, s41
	s_or_b32 s27, s27, s48
	s_cmp_eq_u64 s[8:9], 0
	s_waitcnt lgkmcnt(0)
	s_barrier
	s_cbranch_scc1 .LBB141_109
; %bb.97:                               ;   in Loop: Header=BB141_25 Depth=1
	v_readlane_b32 s6, v44, 32
	s_add_u32 s22, s6, s8
	v_readlane_b32 s6, v44, 33
	s_addc_u32 s7, s6, s9
	s_mov_b32 s6, s79
	s_cmp_lg_u64 s[6:7], 0
	s_cbranch_scc0 .LBB141_154
; %bb.98:                               ;   in Loop: Header=BB141_25 Depth=1
	v_cvt_f32_u32_e32 v2, s54
	s_sub_u32 s6, 0, s54
	s_subb_u32 s12, 0, 0
	v_mac_f32_e32 v2, 0, v32
	v_rcp_f32_e32 v2, v2
	v_mul_f32_e32 v2, 0x5f7ffffc, v2
	v_mul_f32_e32 v3, 0x2f800000, v2
	v_trunc_f32_e32 v3, v3
	v_mac_f32_e32 v2, 0xcf800000, v3
	v_cvt_u32_f32_e32 v3, v3
	v_cvt_u32_f32_e32 v2, v2
	v_readfirstlane_b32 s13, v3
	v_readfirstlane_b32 s23, v2
	s_mul_i32 s24, s6, s13
	s_mul_hi_u32 s30, s6, s23
	s_mul_i32 s25, s12, s23
	s_add_i32 s24, s30, s24
	s_mul_i32 s31, s6, s23
	s_add_i32 s24, s24, s25
	s_mul_hi_u32 s30, s23, s31
	s_mul_hi_u32 s25, s23, s24
	s_mul_i32 s23, s23, s24
	s_add_u32 s23, s30, s23
	s_addc_u32 s25, 0, s25
	s_mul_hi_u32 s34, s13, s31
	s_mul_i32 s31, s13, s31
	s_add_u32 s23, s23, s31
	s_mul_hi_u32 s30, s13, s24
	s_addc_u32 s23, s25, s34
	s_addc_u32 s25, s30, 0
	s_mul_i32 s24, s13, s24
	s_add_u32 s23, s23, s24
	s_addc_u32 s24, 0, s25
	v_add_co_u32_e32 v2, vcc, s23, v2
	s_cmp_lg_u64 vcc, 0
	s_addc_u32 s13, s13, s24
	v_readfirstlane_b32 s24, v2
	s_mul_i32 s23, s6, s13
	s_mul_hi_u32 s25, s6, s24
	s_add_i32 s23, s25, s23
	s_mul_i32 s12, s12, s24
	s_add_i32 s23, s23, s12
	s_mul_i32 s6, s6, s24
	s_mul_hi_u32 s25, s13, s6
	s_mul_i32 s30, s13, s6
	s_mul_i32 s34, s24, s23
	s_mul_hi_u32 s6, s24, s6
	s_mul_hi_u32 s31, s24, s23
	s_add_u32 s6, s6, s34
	s_addc_u32 s24, 0, s31
	s_add_u32 s6, s6, s30
	s_mul_hi_u32 s12, s13, s23
	s_addc_u32 s6, s24, s25
	s_addc_u32 s12, s12, 0
	s_mul_i32 s23, s13, s23
	s_add_u32 s6, s6, s23
	s_addc_u32 s12, 0, s12
	v_add_co_u32_e32 v2, vcc, s6, v2
	s_cmp_lg_u64 vcc, 0
	s_addc_u32 s6, s13, s12
	v_readfirstlane_b32 s23, v2
	s_mul_i32 s13, s22, s6
	s_mul_hi_u32 s24, s22, s23
	s_mul_hi_u32 s12, s22, s6
	s_add_u32 s13, s24, s13
	s_addc_u32 s12, 0, s12
	s_mul_hi_u32 s25, s7, s23
	s_mul_i32 s23, s7, s23
	s_add_u32 s13, s13, s23
	s_mul_hi_u32 s24, s7, s6
	s_addc_u32 s12, s12, s25
	s_addc_u32 s13, s24, 0
	s_mul_i32 s6, s7, s6
	s_add_u32 s6, s12, s6
	s_addc_u32 s12, 0, s13
	s_mul_hi_u32 s13, s54, s6
	s_mul_i32 s6, s54, s6
	s_mul_i32 s12, s54, s12
	v_mov_b32_e32 v2, s6
	s_add_i32 s13, s13, s12
	v_sub_co_u32_e32 v2, vcc, s22, v2
	s_cmp_lg_u64 vcc, 0
	s_subb_u32 s6, s7, s13
	v_subrev_co_u32_e32 v3, vcc, s54, v2
	s_cmp_lg_u64 vcc, 0
	s_subb_u32 s12, s6, 0
	v_subrev_co_u32_e32 v4, vcc, s54, v3
	s_cmp_lg_u64 vcc, 0
	s_subb_u32 s13, s12, 0
	v_cmp_le_u32_e32 vcc, s54, v3
	s_cmp_eq_u32 s12, 0
	v_cndmask_b32_e64 v5, 0, -1, vcc
	s_cselect_b64 vcc, -1, 0
	v_cndmask_b32_e32 v5, -1, v5, vcc
	v_mov_b32_e32 v6, s12
	v_mov_b32_e32 v7, s13
	v_cmp_ne_u32_e32 vcc, 0, v5
	v_cndmask_b32_e32 v5, v6, v7, vcc
	v_cndmask_b32_e32 v4, v3, v4, vcc
	v_cmp_le_u32_e32 vcc, s54, v2
	s_cmp_eq_u32 s6, 0
	v_cndmask_b32_e64 v3, 0, -1, vcc
	s_cselect_b64 vcc, -1, 0
	v_cndmask_b32_e32 v3, -1, v3, vcc
	v_mov_b32_e32 v6, s6
	v_cmp_ne_u32_e32 vcc, 0, v3
	v_cndmask_b32_e32 v3, v6, v5, vcc
	v_cndmask_b32_e32 v2, v2, v4, vcc
	s_cbranch_execnz .LBB141_100
.LBB141_99:                             ;   in Loop: Header=BB141_25 Depth=1
	v_cvt_f32_u32_e32 v2, s54
	s_sub_i32 s6, 0, s54
	v_rcp_iflag_f32_e32 v2, v2
	v_mul_f32_e32 v2, 0x4f7ffffe, v2
	v_cvt_u32_f32_e32 v2, v2
	v_mul_lo_u32 v3, s6, v2
	v_mul_hi_u32 v3, v2, v3
	v_add_u32_e32 v2, v2, v3
	v_mul_hi_u32 v2, s22, v2
	v_mul_lo_u32 v2, v2, s54
	v_sub_u32_e32 v2, s22, v2
	v_subrev_u32_e32 v3, s54, v2
	v_cmp_le_u32_e32 vcc, s54, v2
	v_cndmask_b32_e32 v2, v2, v3, vcc
	v_subrev_u32_e32 v3, s54, v2
	v_cmp_le_u32_e32 vcc, s54, v2
	v_cndmask_b32_e32 v10, v2, v3, vcc
	v_pk_mov_b32 v[2:3], v[10:11], v[10:11] op_sel:[0,1]
.LBB141_100:                            ;   in Loop: Header=BB141_25 Depth=1
	v_mov_b32_e32 v4, s7
	v_sub_co_u32_e32 v2, vcc, s22, v2
	v_subb_co_u32_e32 v3, vcc, v4, v3, vcc
	v_cmp_gt_u64_e32 vcc, v[2:3], v[0:1]
	s_mov_b64 s[6:7], 0
                                        ; implicit-def: $vgpr35
	s_and_saveexec_b64 s[12:13], vcc
	s_cbranch_execz .LBB141_111
; %bb.101:                              ;   in Loop: Header=BB141_25 Depth=1
	s_mov_b64 s[22:23], 0
	v_mov_b32_e32 v6, v23
	v_pk_mov_b32 v[4:5], v[0:1], v[0:1] op_sel:[0,1]
                                        ; implicit-def: $sgpr24_sgpr25
	s_branch .LBB141_103
.LBB141_102:                            ;   in Loop: Header=BB141_103 Depth=2
	s_or_b64 exec, exec, s[6:7]
	s_waitcnt lgkmcnt(0)
	s_barrier
	ds_read_b32 v7, v11 offset:3072
	v_add_co_u32_e64 v4, s[6:7], s54, v4
	v_add_u32_e32 v6, s2, v6
	s_waitcnt lgkmcnt(0)
	v_and_b32_e32 v8, 0x7fff, v7
	v_cmp_ne_u16_e32 vcc, 0, v8
	v_mov_b32_e32 v8, s84
	v_addc_co_u32_e64 v5, s[6:7], v5, v8, s[6:7]
	v_cmp_ge_u64_e64 s[6:7], v[4:5], v[2:3]
	s_or_b64 s[6:7], s[6:7], vcc
	s_and_b64 s[6:7], exec, s[6:7]
	s_or_b64 s[22:23], s[6:7], s[22:23]
	s_andn2_b64 s[6:7], s[24:25], exec
	s_and_b64 s[24:25], vcc, exec
	s_or_b64 s[24:25], s[6:7], s[24:25]
	s_barrier
	s_andn2_b64 exec, exec, s[22:23]
	s_cbranch_execz .LBB141_110
.LBB141_103:                            ;   Parent Loop BB141_25 Depth=1
                                        ; =>  This Inner Loop Header: Depth=2
	v_cmp_gt_u64_e32 vcc, s[8:9], v[4:5]
	v_mov_b32_e32 v7, 0
	s_and_saveexec_b64 s[6:7], vcc
	s_cbranch_execz .LBB141_105
; %bb.104:                              ;   in Loop: Header=BB141_103 Depth=2
	ds_read_u16 v7, v6
.LBB141_105:                            ;   in Loop: Header=BB141_103 Depth=2
	s_or_b64 exec, exec, s[6:7]
	s_and_saveexec_b64 s[6:7], vcc
	s_cbranch_execz .LBB141_102
; %bb.106:                              ;   in Loop: Header=BB141_103 Depth=2
	s_waitcnt lgkmcnt(0)
	v_cmp_lt_i16_e32 vcc, -1, v7
	v_cndmask_b32_e32 v8, v30, v31, vcc
	v_lshlrev_b32_e32 v9, 16, v7
	v_xor_b32_sdwa v8, v8, v7 dst_sel:DWORD dst_unused:UNUSED_PAD src0_sel:DWORD src1_sel:WORD_0
	v_cmp_o_f32_e32 vcc, v9, v9
	v_cndmask_b32_e32 v8, v30, v8, vcc
	v_and_b32_e32 v8, s27, v8
	v_cmp_eq_u32_e32 vcc, s80, v8
	s_and_b64 exec, exec, vcc
	s_cbranch_execz .LBB141_102
; %bb.107:                              ;   in Loop: Header=BB141_103 Depth=2
	v_perm_b32 v7, v7, s0, v34
	ds_write_b32 v11, v7 offset:3072
	s_branch .LBB141_102
.LBB141_108:                            ;   in Loop: Header=BB141_25 Depth=1
	s_mov_b64 s[6:7], -1
                                        ; implicit-def: $sgpr8_sgpr9
                                        ; implicit-def: $sgpr22_sgpr23
                                        ; implicit-def: $sgpr12_sgpr13
	s_branch .LBB141_125
.LBB141_109:                            ;   in Loop: Header=BB141_25 Depth=1
	s_mov_b64 s[8:9], -1
	s_mov_b64 s[6:7], 0
                                        ; implicit-def: $sgpr12_sgpr13
                                        ; implicit-def: $vgpr35
	s_mov_b64 s[22:23], s[8:9]
	s_cbranch_execnz .LBB141_112
	s_branch .LBB141_125
.LBB141_110:                            ;   in Loop: Header=BB141_25 Depth=1
	s_or_b64 exec, exec, s[22:23]
	v_lshrrev_b32_e32 v35, 16, v7
	s_and_b64 s[6:7], s[24:25], exec
.LBB141_111:                            ;   in Loop: Header=BB141_25 Depth=1
	s_or_b64 exec, exec, s[12:13]
	s_mov_b64 s[12:13], -1
	s_mov_b64 s[8:9], 0
	s_mov_b64 s[22:23], s[8:9]
	s_branch .LBB141_125
.LBB141_112:                            ;   in Loop: Header=BB141_25 Depth=1
	s_mov_b32 s86, s79
	s_cmp_lg_u64 s[86:87], 0
	s_cbranch_scc0 .LBB141_158
; %bb.113:                              ;   in Loop: Header=BB141_25 Depth=1
	v_cvt_f32_u32_e32 v2, s54
	s_sub_u32 s6, 0, s54
	s_subb_u32 s7, 0, 0
	v_mac_f32_e32 v2, 0, v32
	v_rcp_f32_e32 v2, v2
	v_mul_f32_e32 v2, 0x5f7ffffc, v2
	v_mul_f32_e32 v3, 0x2f800000, v2
	v_trunc_f32_e32 v3, v3
	v_mac_f32_e32 v2, 0xcf800000, v3
	v_cvt_u32_f32_e32 v3, v3
	v_cvt_u32_f32_e32 v2, v2
	v_readfirstlane_b32 s8, v3
	v_readfirstlane_b32 s9, v2
	s_mul_i32 s12, s6, s8
	s_mul_hi_u32 s22, s6, s9
	s_mul_i32 s13, s7, s9
	s_add_i32 s12, s22, s12
	s_mul_i32 s23, s6, s9
	s_add_i32 s12, s12, s13
	s_mul_hi_u32 s22, s9, s23
	s_mul_hi_u32 s13, s9, s12
	s_mul_i32 s9, s9, s12
	s_add_u32 s9, s22, s9
	s_addc_u32 s13, 0, s13
	s_mul_hi_u32 s24, s8, s23
	s_mul_i32 s23, s8, s23
	s_add_u32 s9, s9, s23
	s_mul_hi_u32 s22, s8, s12
	s_addc_u32 s9, s13, s24
	s_addc_u32 s13, s22, 0
	s_mul_i32 s12, s8, s12
	s_add_u32 s9, s9, s12
	s_addc_u32 s12, 0, s13
	v_add_co_u32_e32 v2, vcc, s9, v2
	s_cmp_lg_u64 vcc, 0
	s_addc_u32 s8, s8, s12
	v_readfirstlane_b32 s12, v2
	s_mul_i32 s9, s6, s8
	s_mul_hi_u32 s13, s6, s12
	s_add_i32 s9, s13, s9
	s_mul_i32 s7, s7, s12
	s_add_i32 s9, s9, s7
	s_mul_i32 s6, s6, s12
	s_mul_hi_u32 s13, s8, s6
	s_mul_i32 s22, s8, s6
	s_mul_i32 s24, s12, s9
	s_mul_hi_u32 s6, s12, s6
	s_mul_hi_u32 s23, s12, s9
	s_add_u32 s6, s6, s24
	s_addc_u32 s12, 0, s23
	s_add_u32 s6, s6, s22
	s_mul_hi_u32 s7, s8, s9
	s_addc_u32 s6, s12, s13
	s_addc_u32 s7, s7, 0
	s_mul_i32 s9, s8, s9
	s_add_u32 s6, s6, s9
	s_addc_u32 s7, 0, s7
	v_add_co_u32_e32 v2, vcc, s6, v2
	s_cmp_lg_u64 vcc, 0
	s_addc_u32 s6, s8, s7
	v_readfirstlane_b32 s9, v2
	s_mul_i32 s8, s3, s6
	s_mul_hi_u32 s12, s3, s9
	s_mul_hi_u32 s7, s3, s6
	s_add_u32 s8, s12, s8
	s_addc_u32 s7, 0, s7
	s_mul_hi_u32 s13, s87, s9
	s_mul_i32 s9, s87, s9
	s_add_u32 s8, s8, s9
	s_mul_hi_u32 s12, s87, s6
	s_addc_u32 s7, s7, s13
	s_addc_u32 s8, s12, 0
	s_mul_i32 s6, s87, s6
	s_add_u32 s6, s7, s6
	s_addc_u32 s7, 0, s8
	s_mul_hi_u32 s8, s54, s6
	s_mul_i32 s6, s54, s6
	s_mul_i32 s7, s54, s7
	v_mov_b32_e32 v2, s6
	s_add_i32 s8, s8, s7
	v_sub_co_u32_e32 v2, vcc, s3, v2
	s_cmp_lg_u64 vcc, 0
	s_subb_u32 s6, s87, s8
	v_subrev_co_u32_e32 v3, vcc, s54, v2
	s_cmp_lg_u64 vcc, 0
	s_subb_u32 s7, s6, 0
	v_subrev_co_u32_e32 v4, vcc, s54, v3
	s_cmp_lg_u64 vcc, 0
	s_subb_u32 s8, s7, 0
	v_cmp_le_u32_e32 vcc, s54, v3
	s_cmp_eq_u32 s7, 0
	v_cndmask_b32_e64 v5, 0, -1, vcc
	s_cselect_b64 vcc, -1, 0
	v_cndmask_b32_e32 v5, -1, v5, vcc
	v_mov_b32_e32 v6, s7
	v_mov_b32_e32 v7, s8
	v_cmp_ne_u32_e32 vcc, 0, v5
	v_cndmask_b32_e32 v5, v6, v7, vcc
	v_cndmask_b32_e32 v4, v3, v4, vcc
	v_cmp_le_u32_e32 vcc, s54, v2
	s_cmp_eq_u32 s6, 0
	v_cndmask_b32_e64 v3, 0, -1, vcc
	s_cselect_b64 vcc, -1, 0
	v_cndmask_b32_e32 v3, -1, v3, vcc
	v_mov_b32_e32 v6, s6
	v_cmp_ne_u32_e32 vcc, 0, v3
	v_cndmask_b32_e32 v3, v6, v5, vcc
	v_cndmask_b32_e32 v2, v2, v4, vcc
	s_cbranch_execnz .LBB141_115
.LBB141_114:                            ;   in Loop: Header=BB141_25 Depth=1
	v_cvt_f32_u32_e32 v2, s54
	s_sub_i32 s6, 0, s54
	v_rcp_iflag_f32_e32 v2, v2
	v_mul_f32_e32 v2, 0x4f7ffffe, v2
	v_cvt_u32_f32_e32 v2, v2
	v_mul_lo_u32 v3, s6, v2
	v_mul_hi_u32 v3, v2, v3
	v_add_u32_e32 v2, v2, v3
	v_mul_hi_u32 v2, s3, v2
	v_mul_lo_u32 v2, v2, s54
	v_sub_u32_e32 v2, s3, v2
	v_subrev_u32_e32 v3, s54, v2
	v_cmp_le_u32_e32 vcc, s54, v2
	v_cndmask_b32_e32 v2, v2, v3, vcc
	v_subrev_u32_e32 v3, s54, v2
	v_cmp_le_u32_e32 vcc, s54, v2
	v_cndmask_b32_e32 v10, v2, v3, vcc
	v_pk_mov_b32 v[2:3], v[10:11], v[10:11] op_sel:[0,1]
.LBB141_115:                            ;   in Loop: Header=BB141_25 Depth=1
	v_mov_b32_e32 v4, s87
	v_sub_co_u32_e32 v2, vcc, s3, v2
	v_subb_co_u32_e32 v3, vcc, v4, v3, vcc
	v_cmp_gt_u64_e32 vcc, v[2:3], v[0:1]
	s_mov_b64 s[6:7], 0
                                        ; implicit-def: $vgpr35
	s_and_saveexec_b64 s[8:9], vcc
	s_cbranch_execz .LBB141_124
; %bb.116:                              ;   in Loop: Header=BB141_25 Depth=1
	s_mov_b64 s[12:13], 0
	v_pk_mov_b32 v[4:5], v[0:1], v[0:1] op_sel:[0,1]
                                        ; implicit-def: $sgpr22_sgpr23
	s_branch .LBB141_118
.LBB141_117:                            ;   in Loop: Header=BB141_118 Depth=2
	s_or_b64 exec, exec, s[6:7]
	s_waitcnt lgkmcnt(0)
	s_barrier
	s_waitcnt vmcnt(0)
	ds_read_b32 v6, v11 offset:3072
	v_add_co_u32_e64 v4, s[6:7], s54, v4
	s_waitcnt lgkmcnt(0)
	s_barrier
	v_and_b32_e32 v7, 0x7fff, v6
	v_cmp_ne_u16_e32 vcc, 0, v7
	v_mov_b32_e32 v7, s84
	v_addc_co_u32_e64 v5, s[6:7], v5, v7, s[6:7]
	v_cmp_ge_u64_e64 s[6:7], v[4:5], v[2:3]
	s_or_b64 s[6:7], s[6:7], vcc
	s_and_b64 s[6:7], exec, s[6:7]
	s_or_b64 s[12:13], s[6:7], s[12:13]
	s_andn2_b64 s[6:7], s[22:23], exec
	s_and_b64 s[22:23], vcc, exec
	s_or_b64 s[22:23], s[6:7], s[22:23]
	s_andn2_b64 exec, exec, s[12:13]
	s_cbranch_execz .LBB141_123
.LBB141_118:                            ;   Parent Loop BB141_25 Depth=1
                                        ; =>  This Inner Loop Header: Depth=2
	v_cmp_gt_u64_e32 vcc, s[52:53], v[4:5]
	v_mov_b32_e32 v6, 0
	s_and_saveexec_b64 s[24:25], vcc
	s_cbranch_execz .LBB141_120
; %bb.119:                              ;   in Loop: Header=BB141_118 Depth=2
	v_mul_lo_u32 v8, v5, s68
	v_mul_lo_u32 v9, v4, s69
	v_mad_u64_u32 v[6:7], s[6:7], v4, s68, 0
	v_add3_u32 v7, v7, v9, v8
	v_lshlrev_b64 v[6:7], 1, v[6:7]
	v_mov_b32_e32 v8, s55
	v_add_co_u32_e64 v6, s[6:7], s33, v6
	v_addc_co_u32_e64 v7, s[6:7], v8, v7, s[6:7]
	global_load_ushort v6, v[6:7], off
.LBB141_120:                            ;   in Loop: Header=BB141_118 Depth=2
	s_or_b64 exec, exec, s[24:25]
	s_and_saveexec_b64 s[6:7], vcc
	s_cbranch_execz .LBB141_117
; %bb.121:                              ;   in Loop: Header=BB141_118 Depth=2
	s_waitcnt vmcnt(0)
	v_cmp_lt_i16_e32 vcc, -1, v6
	v_cndmask_b32_e32 v7, v30, v31, vcc
	v_lshlrev_b32_e32 v8, 16, v6
	v_xor_b32_sdwa v7, v7, v6 dst_sel:DWORD dst_unused:UNUSED_PAD src0_sel:DWORD src1_sel:WORD_0
	v_cmp_o_f32_e32 vcc, v8, v8
	v_cndmask_b32_e32 v7, v30, v7, vcc
	v_and_b32_e32 v7, s27, v7
	v_cmp_eq_u32_e32 vcc, s80, v7
	s_and_b64 exec, exec, vcc
	s_cbranch_execz .LBB141_117
; %bb.122:                              ;   in Loop: Header=BB141_118 Depth=2
	v_perm_b32 v6, v6, s0, v34
	ds_write_b32 v11, v6 offset:3072
	s_branch .LBB141_117
.LBB141_123:                            ;   in Loop: Header=BB141_25 Depth=1
	s_or_b64 exec, exec, s[12:13]
	v_lshrrev_b32_e32 v35, 16, v6
	s_and_b64 s[6:7], s[22:23], exec
.LBB141_124:                            ;   in Loop: Header=BB141_25 Depth=1
	s_or_b64 exec, exec, s[8:9]
	s_mov_b64 s[22:23], -1
	s_mov_b64 s[8:9], 0
	s_mov_b64 s[12:13], 0
.LBB141_125:                            ;   in Loop: Header=BB141_25 Depth=1
	s_andn2_b64 s[24:25], s[66:67], exec
	s_and_b64 s[8:9], s[8:9], exec
	s_or_b64 s[66:67], s[24:25], s[8:9]
	s_andn2_b64 s[8:9], s[62:63], exec
	s_and_b64 s[22:23], s[22:23], exec
	s_or_b64 s[62:63], s[8:9], s[22:23]
	;; [unrolled: 3-line block ×3, first 2 shown]
	s_and_saveexec_b64 s[12:13], s[6:7]
	s_cbranch_execz .LBB141_24
; %bb.126:                              ;   in Loop: Header=BB141_25 Depth=1
	s_xor_b64 s[6:7], s[20:21], -1
	s_andn2_b64 vcc, exec, s[6:7]
	s_mov_b32 s49, 1
	s_cbranch_vccnz .LBB141_137
; %bb.127:                              ;   in Loop: Header=BB141_25 Depth=1
	v_pk_mov_b32 v[2:3], s[14:15], s[14:15] op_sel:[0,1]
	v_cmp_gt_u64_e32 vcc, s[82:83], v[2:3]
	s_mov_b64 s[6:7], -1
                                        ; implicit-def: $sgpr49
                                        ; implicit-def: $sgpr8
                                        ; implicit-def: $sgpr9
	s_cbranch_vccnz .LBB141_133
; %bb.128:                              ;   in Loop: Header=BB141_25 Depth=1
	ds_read_b64 v[2:3], v11 offset:5120
	s_waitcnt lgkmcnt(0)
	v_cmp_ne_u64_e32 vcc, 0, v[2:3]
	s_cbranch_vccnz .LBB141_132
; %bb.129:                              ;   in Loop: Header=BB141_25 Depth=1
	s_mov_b64 s[6:7], exec
	v_readlane_b32 s8, v44, 16
	v_readlane_b32 s9, v44, 17
	s_and_b64 s[8:9], s[6:7], s[8:9]
	s_mov_b64 exec, s[8:9]
	s_cbranch_execz .LBB141_131
; %bb.130:                              ;   in Loop: Header=BB141_25 Depth=1
	v_pk_mov_b32 v[2:3], s[14:15], s[14:15] op_sel:[0,1]
	ds_write_b64 v11, v[2:3] offset:5128
.LBB141_131:                            ;   in Loop: Header=BB141_25 Depth=1
	s_or_b64 exec, exec, s[6:7]
	s_waitcnt lgkmcnt(0)
	s_barrier
.LBB141_132:                            ;   in Loop: Header=BB141_25 Depth=1
	s_and_b32 s8, s80, s41
	s_or_b32 s9, s27, s48
	s_mov_b64 s[6:7], 0
	s_mov_b32 s49, 8
.LBB141_133:                            ;   in Loop: Header=BB141_25 Depth=1
	s_andn2_b64 vcc, exec, s[6:7]
	s_cbranch_vccnz .LBB141_135
; %bb.134:                              ;   in Loop: Header=BB141_25 Depth=1
	s_sub_u32 s82, s82, s14
	s_subb_u32 s83, s83, s15
	s_mov_b64 s[6:7], -1
	s_mov_b32 s49, 0
	s_mov_b32 s8, s80
	;; [unrolled: 1-line block ×3, first 2 shown]
.LBB141_135:                            ;   in Loop: Header=BB141_25 Depth=1
	s_mov_b32 s27, s9
	s_mov_b32 s80, s8
	s_mov_b64 s[14:15], -1
	s_and_b64 vcc, exec, s[6:7]
	s_cbranch_vccnz .LBB141_138
.LBB141_136:                            ;   in Loop: Header=BB141_25 Depth=1
	s_mov_b64 s[8:9], -1
                                        ; implicit-def: $sgpr18_sgpr19
                                        ; implicit-def: $sgpr22_sgpr23
                                        ; implicit-def: $sgpr20_sgpr21
	s_and_saveexec_b64 s[6:7], s[8:9]
	s_xor_b64 s[6:7], exec, s[6:7]
	s_cbranch_execz .LBB141_23
	s_branch .LBB141_287
.LBB141_137:                            ;   in Loop: Header=BB141_25 Depth=1
	s_mov_b64 s[82:83], 1
	s_mov_b64 s[14:15], -1
	s_branch .LBB141_136
.LBB141_138:                            ;   in Loop: Header=BB141_25 Depth=1
	s_cmp_eq_u64 s[28:29], 1
	s_cselect_b64 s[6:7], -1, 0
	s_cmp_eq_u64 s[82:83], 1
	s_cselect_b64 s[8:9], -1, 0
	s_and_b64 s[30:31], s[6:7], s[8:9]
	s_mov_b64 s[6:7], -1
	s_and_b64 vcc, exec, s[30:31]
	s_cbranch_vccz .LBB141_153
; %bb.139:                              ;   in Loop: Header=BB141_25 Depth=1
	ds_read_b64 v[2:3], v11 offset:5120
	s_waitcnt lgkmcnt(0)
	s_barrier
	v_readfirstlane_b32 s8, v2
	v_readfirstlane_b32 s9, v3
	s_mov_b64 s[6:7], exec
	v_readlane_b32 s18, v44, 26
	v_readlane_b32 s19, v44, 27
	s_and_b64 s[18:19], s[6:7], s[18:19]
	s_mov_b64 exec, s[18:19]
	s_cbranch_execz .LBB141_141
; %bb.140:                              ;   in Loop: Header=BB141_25 Depth=1
	ds_write_b16 v24, v13
.LBB141_141:                            ;   in Loop: Header=BB141_25 Depth=1
	s_or_b64 exec, exec, s[6:7]
	s_lshl_b32 s6, 1, s40
	s_and_b32 s7, s80, s41
	s_or_b32 s80, s7, s6
	s_or_b32 s27, s27, s48
	s_cmp_eq_u64 s[8:9], 0
	s_waitcnt lgkmcnt(0)
	s_barrier
	s_cbranch_scc1 .LBB141_159
; %bb.142:                              ;   in Loop: Header=BB141_25 Depth=1
	v_readlane_b32 s6, v44, 32
	s_add_u32 s20, s6, s8
	v_readlane_b32 s6, v44, 33
	s_addc_u32 s7, s6, s9
	s_mov_b32 s6, s79
	s_cmp_lg_u64 s[6:7], 0
	s_cbranch_scc0 .LBB141_204
; %bb.143:                              ;   in Loop: Header=BB141_25 Depth=1
	v_cvt_f32_u32_e32 v2, s54
	s_sub_u32 s6, 0, s54
	s_subb_u32 s18, 0, 0
	v_mac_f32_e32 v2, 0, v32
	v_rcp_f32_e32 v2, v2
	v_mul_f32_e32 v2, 0x5f7ffffc, v2
	v_mul_f32_e32 v3, 0x2f800000, v2
	v_trunc_f32_e32 v3, v3
	v_mac_f32_e32 v2, 0xcf800000, v3
	v_cvt_u32_f32_e32 v3, v3
	v_cvt_u32_f32_e32 v2, v2
	v_readfirstlane_b32 s19, v3
	v_readfirstlane_b32 s21, v2
	s_mul_i32 s22, s6, s19
	s_mul_hi_u32 s24, s6, s21
	s_mul_i32 s23, s18, s21
	s_add_i32 s22, s24, s22
	s_mul_i32 s25, s6, s21
	s_add_i32 s22, s22, s23
	s_mul_hi_u32 s24, s21, s25
	s_mul_hi_u32 s23, s21, s22
	s_mul_i32 s21, s21, s22
	s_add_u32 s21, s24, s21
	s_addc_u32 s23, 0, s23
	s_mul_hi_u32 s34, s19, s25
	s_mul_i32 s25, s19, s25
	s_add_u32 s21, s21, s25
	s_mul_hi_u32 s24, s19, s22
	s_addc_u32 s21, s23, s34
	s_addc_u32 s23, s24, 0
	s_mul_i32 s22, s19, s22
	s_add_u32 s21, s21, s22
	s_addc_u32 s22, 0, s23
	v_add_co_u32_e32 v2, vcc, s21, v2
	s_cmp_lg_u64 vcc, 0
	s_addc_u32 s19, s19, s22
	v_readfirstlane_b32 s22, v2
	s_mul_i32 s21, s6, s19
	s_mul_hi_u32 s23, s6, s22
	s_add_i32 s21, s23, s21
	s_mul_i32 s18, s18, s22
	s_add_i32 s21, s21, s18
	s_mul_i32 s6, s6, s22
	s_mul_hi_u32 s23, s19, s6
	s_mul_i32 s24, s19, s6
	s_mul_i32 s34, s22, s21
	s_mul_hi_u32 s6, s22, s6
	s_mul_hi_u32 s25, s22, s21
	s_add_u32 s6, s6, s34
	s_addc_u32 s22, 0, s25
	s_add_u32 s6, s6, s24
	s_mul_hi_u32 s18, s19, s21
	s_addc_u32 s6, s22, s23
	s_addc_u32 s18, s18, 0
	s_mul_i32 s21, s19, s21
	s_add_u32 s6, s6, s21
	s_addc_u32 s18, 0, s18
	v_add_co_u32_e32 v2, vcc, s6, v2
	s_cmp_lg_u64 vcc, 0
	s_addc_u32 s6, s19, s18
	v_readfirstlane_b32 s21, v2
	s_mul_i32 s19, s20, s6
	s_mul_hi_u32 s22, s20, s21
	s_mul_hi_u32 s18, s20, s6
	s_add_u32 s19, s22, s19
	s_addc_u32 s18, 0, s18
	s_mul_hi_u32 s23, s7, s21
	s_mul_i32 s21, s7, s21
	s_add_u32 s19, s19, s21
	s_mul_hi_u32 s22, s7, s6
	s_addc_u32 s18, s18, s23
	s_addc_u32 s19, s22, 0
	s_mul_i32 s6, s7, s6
	s_add_u32 s6, s18, s6
	s_addc_u32 s18, 0, s19
	s_mul_hi_u32 s19, s54, s6
	s_mul_i32 s6, s54, s6
	s_mul_i32 s18, s54, s18
	v_mov_b32_e32 v2, s6
	s_add_i32 s19, s19, s18
	v_sub_co_u32_e32 v2, vcc, s20, v2
	s_cmp_lg_u64 vcc, 0
	s_subb_u32 s6, s7, s19
	v_subrev_co_u32_e32 v3, vcc, s54, v2
	s_cmp_lg_u64 vcc, 0
	s_subb_u32 s18, s6, 0
	v_subrev_co_u32_e32 v4, vcc, s54, v3
	s_cmp_lg_u64 vcc, 0
	s_subb_u32 s19, s18, 0
	v_cmp_le_u32_e32 vcc, s54, v3
	s_cmp_eq_u32 s18, 0
	v_cndmask_b32_e64 v5, 0, -1, vcc
	s_cselect_b64 vcc, -1, 0
	v_cndmask_b32_e32 v5, -1, v5, vcc
	v_mov_b32_e32 v6, s18
	v_mov_b32_e32 v7, s19
	v_cmp_ne_u32_e32 vcc, 0, v5
	v_cndmask_b32_e32 v5, v6, v7, vcc
	v_cndmask_b32_e32 v4, v3, v4, vcc
	v_cmp_le_u32_e32 vcc, s54, v2
	s_cmp_eq_u32 s6, 0
	v_cndmask_b32_e64 v3, 0, -1, vcc
	s_cselect_b64 vcc, -1, 0
	v_cndmask_b32_e32 v3, -1, v3, vcc
	v_mov_b32_e32 v6, s6
	v_cmp_ne_u32_e32 vcc, 0, v3
	v_cndmask_b32_e32 v3, v6, v5, vcc
	v_cndmask_b32_e32 v2, v2, v4, vcc
	s_cbranch_execnz .LBB141_145
.LBB141_144:                            ;   in Loop: Header=BB141_25 Depth=1
	v_cvt_f32_u32_e32 v2, s54
	s_sub_i32 s6, 0, s54
	v_rcp_iflag_f32_e32 v2, v2
	v_mul_f32_e32 v2, 0x4f7ffffe, v2
	v_cvt_u32_f32_e32 v2, v2
	v_mul_lo_u32 v3, s6, v2
	v_mul_hi_u32 v3, v2, v3
	v_add_u32_e32 v2, v2, v3
	v_mul_hi_u32 v2, s20, v2
	v_mul_lo_u32 v2, v2, s54
	v_sub_u32_e32 v2, s20, v2
	v_subrev_u32_e32 v3, s54, v2
	v_cmp_le_u32_e32 vcc, s54, v2
	v_cndmask_b32_e32 v2, v2, v3, vcc
	v_subrev_u32_e32 v3, s54, v2
	v_cmp_le_u32_e32 vcc, s54, v2
	v_cndmask_b32_e32 v10, v2, v3, vcc
	v_pk_mov_b32 v[2:3], v[10:11], v[10:11] op_sel:[0,1]
.LBB141_145:                            ;   in Loop: Header=BB141_25 Depth=1
	v_mov_b32_e32 v4, s7
	v_sub_co_u32_e32 v2, vcc, s20, v2
	v_subb_co_u32_e32 v3, vcc, v4, v3, vcc
	v_cmp_gt_u64_e32 vcc, v[2:3], v[0:1]
	s_mov_b64 s[6:7], 0
                                        ; implicit-def: $vgpr35
	s_and_saveexec_b64 s[18:19], vcc
	s_cbranch_execz .LBB141_161
; %bb.146:                              ;   in Loop: Header=BB141_25 Depth=1
	s_mov_b64 s[20:21], 0
	v_mov_b32_e32 v6, v23
	v_pk_mov_b32 v[4:5], v[0:1], v[0:1] op_sel:[0,1]
                                        ; implicit-def: $sgpr22_sgpr23
	s_branch .LBB141_148
.LBB141_147:                            ;   in Loop: Header=BB141_148 Depth=2
	s_or_b64 exec, exec, s[6:7]
	s_waitcnt lgkmcnt(0)
	s_barrier
	ds_read_b32 v7, v11 offset:3072
	v_add_co_u32_e64 v4, s[6:7], s54, v4
	v_add_u32_e32 v6, s2, v6
	s_waitcnt lgkmcnt(0)
	v_and_b32_e32 v8, 0x7fff, v7
	v_cmp_ne_u16_e32 vcc, 0, v8
	v_mov_b32_e32 v8, s84
	v_addc_co_u32_e64 v5, s[6:7], v5, v8, s[6:7]
	v_cmp_ge_u64_e64 s[6:7], v[4:5], v[2:3]
	s_or_b64 s[6:7], s[6:7], vcc
	s_and_b64 s[6:7], exec, s[6:7]
	s_or_b64 s[20:21], s[6:7], s[20:21]
	s_andn2_b64 s[6:7], s[22:23], exec
	s_and_b64 s[22:23], vcc, exec
	s_or_b64 s[22:23], s[6:7], s[22:23]
	s_barrier
	s_andn2_b64 exec, exec, s[20:21]
	s_cbranch_execz .LBB141_160
.LBB141_148:                            ;   Parent Loop BB141_25 Depth=1
                                        ; =>  This Inner Loop Header: Depth=2
	v_cmp_gt_u64_e32 vcc, s[8:9], v[4:5]
	v_mov_b32_e32 v7, 0
	s_and_saveexec_b64 s[6:7], vcc
	s_cbranch_execz .LBB141_150
; %bb.149:                              ;   in Loop: Header=BB141_148 Depth=2
	ds_read_u16 v7, v6
.LBB141_150:                            ;   in Loop: Header=BB141_148 Depth=2
	s_or_b64 exec, exec, s[6:7]
	s_and_saveexec_b64 s[6:7], vcc
	s_cbranch_execz .LBB141_147
; %bb.151:                              ;   in Loop: Header=BB141_148 Depth=2
	s_waitcnt lgkmcnt(0)
	v_cmp_lt_i16_e32 vcc, -1, v7
	v_cndmask_b32_e32 v8, v30, v31, vcc
	v_lshlrev_b32_e32 v9, 16, v7
	v_xor_b32_sdwa v8, v8, v7 dst_sel:DWORD dst_unused:UNUSED_PAD src0_sel:DWORD src1_sel:WORD_0
	v_cmp_o_f32_e32 vcc, v9, v9
	v_cndmask_b32_e32 v8, v30, v8, vcc
	v_and_b32_e32 v8, s27, v8
	v_cmp_eq_u32_e32 vcc, s80, v8
	s_and_b64 exec, exec, vcc
	s_cbranch_execz .LBB141_147
; %bb.152:                              ;   in Loop: Header=BB141_148 Depth=2
	v_perm_b32 v7, v7, s0, v34
	ds_write_b32 v11, v7 offset:3072
	s_branch .LBB141_147
.LBB141_153:                            ;   in Loop: Header=BB141_25 Depth=1
                                        ; implicit-def: $sgpr20_sgpr21
                                        ; implicit-def: $sgpr22_sgpr23
                                        ; implicit-def: $sgpr18_sgpr19
	s_branch .LBB141_175
.LBB141_154:                            ;   in Loop: Header=BB141_25 Depth=1
                                        ; implicit-def: $vgpr2_vgpr3
	s_branch .LBB141_99
.LBB141_155:                            ;   in Loop: Header=BB141_25 Depth=1
	s_or_b64 exec, exec, s[8:9]
	s_waitcnt lgkmcnt(0)
	s_barrier
	s_mov_b64 s[6:7], exec
	v_readlane_b32 s8, v44, 16
	v_readlane_b32 s9, v44, 17
	s_and_b64 s[8:9], s[6:7], s[8:9]
	s_mov_b64 exec, s[8:9]
	s_cbranch_execz .LBB141_157
; %bb.156:                              ;   in Loop: Header=BB141_25 Depth=1
	ds_read_b32 v2, v11 offset:5144
	s_waitcnt lgkmcnt(0)
	v_ashrrev_i32_e32 v3, 31, v2
	ds_write_b64 v11, v[2:3] offset:5120
.LBB141_157:                            ;   in Loop: Header=BB141_25 Depth=1
	s_or_b64 exec, exec, s[6:7]
	s_waitcnt lgkmcnt(0)
	s_barrier
	s_mov_b64 s[6:7], -1
	s_and_b64 vcc, exec, s[64:65]
	s_cbranch_vccnz .LBB141_40
	s_branch .LBB141_50
.LBB141_158:                            ;   in Loop: Header=BB141_25 Depth=1
                                        ; implicit-def: $vgpr2_vgpr3
	s_branch .LBB141_114
.LBB141_159:                            ;   in Loop: Header=BB141_25 Depth=1
	s_mov_b64 s[20:21], -1
	s_mov_b64 s[6:7], 0
                                        ; implicit-def: $sgpr18_sgpr19
                                        ; implicit-def: $vgpr35
	s_mov_b64 s[22:23], s[20:21]
	s_cbranch_execnz .LBB141_162
	s_branch .LBB141_175
.LBB141_160:                            ;   in Loop: Header=BB141_25 Depth=1
	s_or_b64 exec, exec, s[20:21]
	v_lshrrev_b32_e32 v35, 16, v7
	s_and_b64 s[6:7], s[22:23], exec
.LBB141_161:                            ;   in Loop: Header=BB141_25 Depth=1
	s_or_b64 exec, exec, s[18:19]
	s_mov_b64 s[18:19], -1
	s_mov_b64 s[20:21], 0
	s_mov_b64 s[22:23], s[20:21]
	s_branch .LBB141_175
.LBB141_162:                            ;   in Loop: Header=BB141_25 Depth=1
	s_mov_b32 s86, s79
	s_cmp_lg_u64 s[86:87], 0
	s_cbranch_scc0 .LBB141_205
; %bb.163:                              ;   in Loop: Header=BB141_25 Depth=1
	v_cvt_f32_u32_e32 v2, s54
	s_sub_u32 s6, 0, s54
	s_subb_u32 s7, 0, 0
	v_mac_f32_e32 v2, 0, v32
	v_rcp_f32_e32 v2, v2
	v_mul_f32_e32 v2, 0x5f7ffffc, v2
	v_mul_f32_e32 v3, 0x2f800000, v2
	v_trunc_f32_e32 v3, v3
	v_mac_f32_e32 v2, 0xcf800000, v3
	v_cvt_u32_f32_e32 v3, v3
	v_cvt_u32_f32_e32 v2, v2
	v_readfirstlane_b32 s8, v3
	v_readfirstlane_b32 s9, v2
	s_mul_i32 s18, s6, s8
	s_mul_hi_u32 s20, s6, s9
	s_mul_i32 s19, s7, s9
	s_add_i32 s18, s20, s18
	s_mul_i32 s21, s6, s9
	s_add_i32 s18, s18, s19
	s_mul_hi_u32 s20, s9, s21
	s_mul_hi_u32 s19, s9, s18
	s_mul_i32 s9, s9, s18
	s_add_u32 s9, s20, s9
	s_addc_u32 s19, 0, s19
	s_mul_hi_u32 s22, s8, s21
	s_mul_i32 s21, s8, s21
	s_add_u32 s9, s9, s21
	s_mul_hi_u32 s20, s8, s18
	s_addc_u32 s9, s19, s22
	s_addc_u32 s19, s20, 0
	s_mul_i32 s18, s8, s18
	s_add_u32 s9, s9, s18
	s_addc_u32 s18, 0, s19
	v_add_co_u32_e32 v2, vcc, s9, v2
	s_cmp_lg_u64 vcc, 0
	s_addc_u32 s8, s8, s18
	v_readfirstlane_b32 s18, v2
	s_mul_i32 s9, s6, s8
	s_mul_hi_u32 s19, s6, s18
	s_add_i32 s9, s19, s9
	s_mul_i32 s7, s7, s18
	s_add_i32 s9, s9, s7
	s_mul_i32 s6, s6, s18
	s_mul_hi_u32 s19, s8, s6
	s_mul_i32 s20, s8, s6
	s_mul_i32 s22, s18, s9
	s_mul_hi_u32 s6, s18, s6
	s_mul_hi_u32 s21, s18, s9
	s_add_u32 s6, s6, s22
	s_addc_u32 s18, 0, s21
	s_add_u32 s6, s6, s20
	s_mul_hi_u32 s7, s8, s9
	s_addc_u32 s6, s18, s19
	s_addc_u32 s7, s7, 0
	s_mul_i32 s9, s8, s9
	s_add_u32 s6, s6, s9
	s_addc_u32 s7, 0, s7
	v_add_co_u32_e32 v2, vcc, s6, v2
	s_cmp_lg_u64 vcc, 0
	s_addc_u32 s6, s8, s7
	v_readfirstlane_b32 s9, v2
	s_mul_i32 s8, s3, s6
	s_mul_hi_u32 s18, s3, s9
	s_mul_hi_u32 s7, s3, s6
	s_add_u32 s8, s18, s8
	s_addc_u32 s7, 0, s7
	s_mul_hi_u32 s19, s87, s9
	s_mul_i32 s9, s87, s9
	s_add_u32 s8, s8, s9
	s_mul_hi_u32 s18, s87, s6
	s_addc_u32 s7, s7, s19
	s_addc_u32 s8, s18, 0
	s_mul_i32 s6, s87, s6
	s_add_u32 s6, s7, s6
	s_addc_u32 s7, 0, s8
	s_mul_hi_u32 s8, s54, s6
	s_mul_i32 s6, s54, s6
	s_mul_i32 s7, s54, s7
	v_mov_b32_e32 v2, s6
	s_add_i32 s8, s8, s7
	v_sub_co_u32_e32 v2, vcc, s3, v2
	s_cmp_lg_u64 vcc, 0
	s_subb_u32 s6, s87, s8
	v_subrev_co_u32_e32 v3, vcc, s54, v2
	s_cmp_lg_u64 vcc, 0
	s_subb_u32 s7, s6, 0
	v_subrev_co_u32_e32 v4, vcc, s54, v3
	s_cmp_lg_u64 vcc, 0
	s_subb_u32 s8, s7, 0
	v_cmp_le_u32_e32 vcc, s54, v3
	s_cmp_eq_u32 s7, 0
	v_cndmask_b32_e64 v5, 0, -1, vcc
	s_cselect_b64 vcc, -1, 0
	v_cndmask_b32_e32 v5, -1, v5, vcc
	v_mov_b32_e32 v6, s7
	v_mov_b32_e32 v7, s8
	v_cmp_ne_u32_e32 vcc, 0, v5
	v_cndmask_b32_e32 v5, v6, v7, vcc
	v_cndmask_b32_e32 v4, v3, v4, vcc
	v_cmp_le_u32_e32 vcc, s54, v2
	s_cmp_eq_u32 s6, 0
	v_cndmask_b32_e64 v3, 0, -1, vcc
	s_cselect_b64 vcc, -1, 0
	v_cndmask_b32_e32 v3, -1, v3, vcc
	v_mov_b32_e32 v6, s6
	v_cmp_ne_u32_e32 vcc, 0, v3
	v_cndmask_b32_e32 v3, v6, v5, vcc
	v_cndmask_b32_e32 v2, v2, v4, vcc
	s_cbranch_execnz .LBB141_165
.LBB141_164:                            ;   in Loop: Header=BB141_25 Depth=1
	v_cvt_f32_u32_e32 v2, s54
	s_sub_i32 s6, 0, s54
	v_rcp_iflag_f32_e32 v2, v2
	v_mul_f32_e32 v2, 0x4f7ffffe, v2
	v_cvt_u32_f32_e32 v2, v2
	v_mul_lo_u32 v3, s6, v2
	v_mul_hi_u32 v3, v2, v3
	v_add_u32_e32 v2, v2, v3
	v_mul_hi_u32 v2, s3, v2
	v_mul_lo_u32 v2, v2, s54
	v_sub_u32_e32 v2, s3, v2
	v_subrev_u32_e32 v3, s54, v2
	v_cmp_le_u32_e32 vcc, s54, v2
	v_cndmask_b32_e32 v2, v2, v3, vcc
	v_subrev_u32_e32 v3, s54, v2
	v_cmp_le_u32_e32 vcc, s54, v2
	v_cndmask_b32_e32 v10, v2, v3, vcc
	v_pk_mov_b32 v[2:3], v[10:11], v[10:11] op_sel:[0,1]
.LBB141_165:                            ;   in Loop: Header=BB141_25 Depth=1
	v_mov_b32_e32 v4, s87
	v_sub_co_u32_e32 v2, vcc, s3, v2
	v_subb_co_u32_e32 v3, vcc, v4, v3, vcc
	v_cmp_gt_u64_e32 vcc, v[2:3], v[0:1]
	s_mov_b64 s[6:7], 0
                                        ; implicit-def: $vgpr35
	s_and_saveexec_b64 s[8:9], vcc
	s_cbranch_execz .LBB141_174
; %bb.166:                              ;   in Loop: Header=BB141_25 Depth=1
	s_mov_b64 s[18:19], 0
	v_pk_mov_b32 v[4:5], v[0:1], v[0:1] op_sel:[0,1]
                                        ; implicit-def: $sgpr20_sgpr21
	s_branch .LBB141_168
.LBB141_167:                            ;   in Loop: Header=BB141_168 Depth=2
	s_or_b64 exec, exec, s[6:7]
	s_waitcnt lgkmcnt(0)
	s_barrier
	s_waitcnt vmcnt(0)
	ds_read_b32 v6, v11 offset:3072
	v_add_co_u32_e64 v4, s[6:7], s54, v4
	s_waitcnt lgkmcnt(0)
	s_barrier
	v_and_b32_e32 v7, 0x7fff, v6
	v_cmp_ne_u16_e32 vcc, 0, v7
	v_mov_b32_e32 v7, s84
	v_addc_co_u32_e64 v5, s[6:7], v5, v7, s[6:7]
	v_cmp_ge_u64_e64 s[6:7], v[4:5], v[2:3]
	s_or_b64 s[6:7], s[6:7], vcc
	s_and_b64 s[6:7], exec, s[6:7]
	s_or_b64 s[18:19], s[6:7], s[18:19]
	s_andn2_b64 s[6:7], s[20:21], exec
	s_and_b64 s[20:21], vcc, exec
	s_or_b64 s[20:21], s[6:7], s[20:21]
	s_andn2_b64 exec, exec, s[18:19]
	s_cbranch_execz .LBB141_173
.LBB141_168:                            ;   Parent Loop BB141_25 Depth=1
                                        ; =>  This Inner Loop Header: Depth=2
	v_cmp_gt_u64_e32 vcc, s[52:53], v[4:5]
	v_mov_b32_e32 v6, 0
	s_and_saveexec_b64 s[22:23], vcc
	s_cbranch_execz .LBB141_170
; %bb.169:                              ;   in Loop: Header=BB141_168 Depth=2
	v_mul_lo_u32 v8, v5, s68
	v_mul_lo_u32 v9, v4, s69
	v_mad_u64_u32 v[6:7], s[6:7], v4, s68, 0
	v_add3_u32 v7, v7, v9, v8
	v_lshlrev_b64 v[6:7], 1, v[6:7]
	v_mov_b32_e32 v8, s55
	v_add_co_u32_e64 v6, s[6:7], s33, v6
	v_addc_co_u32_e64 v7, s[6:7], v8, v7, s[6:7]
	global_load_ushort v6, v[6:7], off
.LBB141_170:                            ;   in Loop: Header=BB141_168 Depth=2
	s_or_b64 exec, exec, s[22:23]
	s_and_saveexec_b64 s[6:7], vcc
	s_cbranch_execz .LBB141_167
; %bb.171:                              ;   in Loop: Header=BB141_168 Depth=2
	s_waitcnt vmcnt(0)
	v_cmp_lt_i16_e32 vcc, -1, v6
	v_cndmask_b32_e32 v7, v30, v31, vcc
	v_lshlrev_b32_e32 v8, 16, v6
	v_xor_b32_sdwa v7, v7, v6 dst_sel:DWORD dst_unused:UNUSED_PAD src0_sel:DWORD src1_sel:WORD_0
	v_cmp_o_f32_e32 vcc, v8, v8
	v_cndmask_b32_e32 v7, v30, v7, vcc
	v_and_b32_e32 v7, s27, v7
	v_cmp_eq_u32_e32 vcc, s80, v7
	s_and_b64 exec, exec, vcc
	s_cbranch_execz .LBB141_167
; %bb.172:                              ;   in Loop: Header=BB141_168 Depth=2
	v_perm_b32 v6, v6, s0, v34
	ds_write_b32 v11, v6 offset:3072
	s_branch .LBB141_167
.LBB141_173:                            ;   in Loop: Header=BB141_25 Depth=1
	s_or_b64 exec, exec, s[18:19]
	v_lshrrev_b32_e32 v35, 16, v6
	s_and_b64 s[6:7], s[20:21], exec
.LBB141_174:                            ;   in Loop: Header=BB141_25 Depth=1
	s_or_b64 exec, exec, s[8:9]
	s_mov_b64 s[22:23], -1
	s_mov_b64 s[20:21], 0
	s_mov_b64 s[18:19], 0
.LBB141_175:                            ;   in Loop: Header=BB141_25 Depth=1
	s_mov_b64 s[8:9], 0
                                        ; implicit-def: $sgpr49
	s_and_saveexec_b64 s[24:25], s[6:7]
	s_cbranch_execz .LBB141_286
; %bb.176:                              ;   in Loop: Header=BB141_25 Depth=1
	s_xor_b64 s[6:7], s[30:31], -1
	s_andn2_b64 vcc, exec, s[6:7]
	s_mov_b32 s49, 1
	s_cbranch_vccnz .LBB141_187
; %bb.177:                              ;   in Loop: Header=BB141_25 Depth=1
	v_pk_mov_b32 v[2:3], s[28:29], s[28:29] op_sel:[0,1]
	v_cmp_gt_u64_e32 vcc, s[82:83], v[2:3]
	s_mov_b64 s[6:7], -1
                                        ; implicit-def: $sgpr49
                                        ; implicit-def: $sgpr8
                                        ; implicit-def: $sgpr9
	s_cbranch_vccnz .LBB141_183
; %bb.178:                              ;   in Loop: Header=BB141_25 Depth=1
	ds_read_b64 v[2:3], v11 offset:5120
	s_waitcnt lgkmcnt(0)
	v_cmp_ne_u64_e32 vcc, 0, v[2:3]
	s_cbranch_vccnz .LBB141_182
; %bb.179:                              ;   in Loop: Header=BB141_25 Depth=1
	s_mov_b64 s[6:7], exec
	v_readlane_b32 s8, v44, 16
	v_readlane_b32 s9, v44, 17
	s_and_b64 s[8:9], s[6:7], s[8:9]
	s_mov_b64 exec, s[8:9]
	s_cbranch_execz .LBB141_181
; %bb.180:                              ;   in Loop: Header=BB141_25 Depth=1
	v_pk_mov_b32 v[2:3], s[28:29], s[28:29] op_sel:[0,1]
	ds_write_b64 v11, v[2:3] offset:5128
.LBB141_181:                            ;   in Loop: Header=BB141_25 Depth=1
	s_or_b64 exec, exec, s[6:7]
	s_waitcnt lgkmcnt(0)
	s_barrier
.LBB141_182:                            ;   in Loop: Header=BB141_25 Depth=1
	s_lshl_b32 s6, 1, s40
	s_and_b32 s7, s80, s41
	s_or_b32 s8, s7, s6
	s_or_b32 s9, s27, s48
	s_mov_b64 s[6:7], 0
	s_mov_b32 s49, 8
.LBB141_183:                            ;   in Loop: Header=BB141_25 Depth=1
	s_andn2_b64 vcc, exec, s[6:7]
	s_cbranch_vccnz .LBB141_185
; %bb.184:                              ;   in Loop: Header=BB141_25 Depth=1
	s_sub_u32 s82, s82, s28
	s_subb_u32 s83, s83, s29
	s_mov_b64 s[6:7], -1
	s_mov_b32 s49, 0
	s_mov_b32 s8, s80
	;; [unrolled: 1-line block ×3, first 2 shown]
.LBB141_185:                            ;   in Loop: Header=BB141_25 Depth=1
	s_mov_b32 s27, s9
	s_mov_b32 s80, s8
	s_andn2_b64 vcc, exec, s[6:7]
	s_mov_b64 s[8:9], -1
	s_cbranch_vccz .LBB141_188
.LBB141_186:                            ;   in Loop: Header=BB141_25 Depth=1
                                        ; implicit-def: $sgpr30_sgpr31
                                        ; implicit-def: $sgpr34_sgpr35
                                        ; implicit-def: $sgpr28_sgpr29
	s_branch .LBB141_285
.LBB141_187:                            ;   in Loop: Header=BB141_25 Depth=1
	s_mov_b64 s[82:83], 1
	s_mov_b64 s[8:9], -1
	s_cbranch_execnz .LBB141_186
.LBB141_188:                            ;   in Loop: Header=BB141_25 Depth=1
	s_cmp_eq_u64 s[16:17], 1
	s_cselect_b64 s[6:7], -1, 0
	s_cmp_eq_u64 s[82:83], 1
	s_cselect_b64 s[8:9], -1, 0
	s_and_b64 s[38:39], s[6:7], s[8:9]
	s_mov_b64 s[6:7], -1
	s_and_b64 vcc, exec, s[38:39]
	s_cbranch_vccz .LBB141_203
; %bb.189:                              ;   in Loop: Header=BB141_25 Depth=1
	ds_read_b64 v[2:3], v11 offset:5120
	s_waitcnt lgkmcnt(0)
	s_barrier
	v_readfirstlane_b32 s8, v2
	v_readfirstlane_b32 s9, v3
	s_mov_b64 s[6:7], exec
	v_readlane_b32 s28, v44, 26
	v_readlane_b32 s29, v44, 27
	s_and_b64 s[28:29], s[6:7], s[28:29]
	s_mov_b64 exec, s[28:29]
	s_cbranch_execz .LBB141_191
; %bb.190:                              ;   in Loop: Header=BB141_25 Depth=1
	ds_write_b16 v24, v13
.LBB141_191:                            ;   in Loop: Header=BB141_25 Depth=1
	s_or_b64 exec, exec, s[6:7]
	s_lshl_b32 s6, 2, s40
	s_and_b32 s7, s80, s41
	s_or_b32 s80, s7, s6
	s_or_b32 s27, s27, s48
	s_cmp_eq_u64 s[8:9], 0
	s_waitcnt lgkmcnt(0)
	s_barrier
	s_cbranch_scc1 .LBB141_206
; %bb.192:                              ;   in Loop: Header=BB141_25 Depth=1
	v_readlane_b32 s6, v44, 32
	s_add_u32 s30, s6, s8
	v_readlane_b32 s6, v44, 33
	s_addc_u32 s7, s6, s9
	s_mov_b32 s6, s79
	s_cmp_lg_u64 s[6:7], 0
	s_cbranch_scc0 .LBB141_251
; %bb.193:                              ;   in Loop: Header=BB141_25 Depth=1
	v_cvt_f32_u32_e32 v2, s54
	s_sub_u32 s6, 0, s54
	s_subb_u32 s28, 0, 0
	v_mac_f32_e32 v2, 0, v32
	v_rcp_f32_e32 v2, v2
	v_mul_f32_e32 v2, 0x5f7ffffc, v2
	v_mul_f32_e32 v3, 0x2f800000, v2
	v_trunc_f32_e32 v3, v3
	v_mac_f32_e32 v2, 0xcf800000, v3
	v_cvt_u32_f32_e32 v3, v3
	v_cvt_u32_f32_e32 v2, v2
	v_readfirstlane_b32 s29, v3
	v_readfirstlane_b32 s31, v2
	s_mul_i32 s34, s6, s29
	s_mul_hi_u32 s36, s6, s31
	s_mul_i32 s35, s28, s31
	s_add_i32 s34, s36, s34
	s_mul_i32 s37, s6, s31
	s_add_i32 s34, s34, s35
	s_mul_hi_u32 s36, s31, s37
	s_mul_hi_u32 s35, s31, s34
	s_mul_i32 s31, s31, s34
	s_add_u32 s31, s36, s31
	s_addc_u32 s35, 0, s35
	s_mul_hi_u32 s42, s29, s37
	s_mul_i32 s37, s29, s37
	s_add_u32 s31, s31, s37
	s_mul_hi_u32 s36, s29, s34
	s_addc_u32 s31, s35, s42
	s_addc_u32 s35, s36, 0
	s_mul_i32 s34, s29, s34
	s_add_u32 s31, s31, s34
	s_addc_u32 s34, 0, s35
	v_add_co_u32_e32 v2, vcc, s31, v2
	s_cmp_lg_u64 vcc, 0
	s_addc_u32 s29, s29, s34
	v_readfirstlane_b32 s34, v2
	s_mul_i32 s31, s6, s29
	s_mul_hi_u32 s35, s6, s34
	s_add_i32 s31, s35, s31
	s_mul_i32 s28, s28, s34
	s_add_i32 s31, s31, s28
	s_mul_i32 s6, s6, s34
	s_mul_hi_u32 s35, s29, s6
	s_mul_i32 s36, s29, s6
	s_mul_i32 s42, s34, s31
	s_mul_hi_u32 s6, s34, s6
	s_mul_hi_u32 s37, s34, s31
	s_add_u32 s6, s6, s42
	s_addc_u32 s34, 0, s37
	s_add_u32 s6, s6, s36
	s_mul_hi_u32 s28, s29, s31
	s_addc_u32 s6, s34, s35
	s_addc_u32 s28, s28, 0
	s_mul_i32 s31, s29, s31
	s_add_u32 s6, s6, s31
	s_addc_u32 s28, 0, s28
	v_add_co_u32_e32 v2, vcc, s6, v2
	s_cmp_lg_u64 vcc, 0
	s_addc_u32 s6, s29, s28
	v_readfirstlane_b32 s31, v2
	s_mul_i32 s29, s30, s6
	s_mul_hi_u32 s34, s30, s31
	s_mul_hi_u32 s28, s30, s6
	s_add_u32 s29, s34, s29
	s_addc_u32 s28, 0, s28
	s_mul_hi_u32 s35, s7, s31
	s_mul_i32 s31, s7, s31
	s_add_u32 s29, s29, s31
	s_mul_hi_u32 s34, s7, s6
	s_addc_u32 s28, s28, s35
	s_addc_u32 s29, s34, 0
	s_mul_i32 s6, s7, s6
	s_add_u32 s6, s28, s6
	s_addc_u32 s28, 0, s29
	s_mul_hi_u32 s29, s54, s6
	s_mul_i32 s6, s54, s6
	s_mul_i32 s28, s54, s28
	v_mov_b32_e32 v2, s6
	s_add_i32 s29, s29, s28
	v_sub_co_u32_e32 v2, vcc, s30, v2
	s_cmp_lg_u64 vcc, 0
	s_subb_u32 s6, s7, s29
	v_subrev_co_u32_e32 v3, vcc, s54, v2
	s_cmp_lg_u64 vcc, 0
	s_subb_u32 s28, s6, 0
	v_subrev_co_u32_e32 v4, vcc, s54, v3
	s_cmp_lg_u64 vcc, 0
	s_subb_u32 s29, s28, 0
	v_cmp_le_u32_e32 vcc, s54, v3
	s_cmp_eq_u32 s28, 0
	v_cndmask_b32_e64 v5, 0, -1, vcc
	s_cselect_b64 vcc, -1, 0
	v_cndmask_b32_e32 v5, -1, v5, vcc
	v_mov_b32_e32 v6, s28
	v_mov_b32_e32 v7, s29
	v_cmp_ne_u32_e32 vcc, 0, v5
	v_cndmask_b32_e32 v5, v6, v7, vcc
	v_cndmask_b32_e32 v4, v3, v4, vcc
	v_cmp_le_u32_e32 vcc, s54, v2
	s_cmp_eq_u32 s6, 0
	v_cndmask_b32_e64 v3, 0, -1, vcc
	s_cselect_b64 vcc, -1, 0
	v_cndmask_b32_e32 v3, -1, v3, vcc
	v_mov_b32_e32 v6, s6
	v_cmp_ne_u32_e32 vcc, 0, v3
	v_cndmask_b32_e32 v3, v6, v5, vcc
	v_cndmask_b32_e32 v2, v2, v4, vcc
	s_cbranch_execnz .LBB141_195
.LBB141_194:                            ;   in Loop: Header=BB141_25 Depth=1
	v_cvt_f32_u32_e32 v2, s54
	s_sub_i32 s6, 0, s54
	v_rcp_iflag_f32_e32 v2, v2
	v_mul_f32_e32 v2, 0x4f7ffffe, v2
	v_cvt_u32_f32_e32 v2, v2
	v_mul_lo_u32 v3, s6, v2
	v_mul_hi_u32 v3, v2, v3
	v_add_u32_e32 v2, v2, v3
	v_mul_hi_u32 v2, s30, v2
	v_mul_lo_u32 v2, v2, s54
	v_sub_u32_e32 v2, s30, v2
	v_subrev_u32_e32 v3, s54, v2
	v_cmp_le_u32_e32 vcc, s54, v2
	v_cndmask_b32_e32 v2, v2, v3, vcc
	v_subrev_u32_e32 v3, s54, v2
	v_cmp_le_u32_e32 vcc, s54, v2
	v_cndmask_b32_e32 v10, v2, v3, vcc
	v_pk_mov_b32 v[2:3], v[10:11], v[10:11] op_sel:[0,1]
.LBB141_195:                            ;   in Loop: Header=BB141_25 Depth=1
	v_mov_b32_e32 v4, s7
	v_sub_co_u32_e32 v2, vcc, s30, v2
	v_subb_co_u32_e32 v3, vcc, v4, v3, vcc
	v_cmp_gt_u64_e32 vcc, v[2:3], v[0:1]
	s_mov_b64 s[6:7], 0
                                        ; implicit-def: $vgpr35
	s_and_saveexec_b64 s[28:29], vcc
	s_cbranch_execz .LBB141_208
; %bb.196:                              ;   in Loop: Header=BB141_25 Depth=1
	s_mov_b64 s[30:31], 0
	v_mov_b32_e32 v6, v23
	v_pk_mov_b32 v[4:5], v[0:1], v[0:1] op_sel:[0,1]
                                        ; implicit-def: $sgpr34_sgpr35
	s_branch .LBB141_198
.LBB141_197:                            ;   in Loop: Header=BB141_198 Depth=2
	s_or_b64 exec, exec, s[6:7]
	s_waitcnt lgkmcnt(0)
	s_barrier
	ds_read_b32 v7, v11 offset:3072
	v_add_co_u32_e64 v4, s[6:7], s54, v4
	v_add_u32_e32 v6, s2, v6
	s_waitcnt lgkmcnt(0)
	v_and_b32_e32 v8, 0x7fff, v7
	v_cmp_ne_u16_e32 vcc, 0, v8
	v_mov_b32_e32 v8, s84
	v_addc_co_u32_e64 v5, s[6:7], v5, v8, s[6:7]
	v_cmp_ge_u64_e64 s[6:7], v[4:5], v[2:3]
	s_or_b64 s[6:7], s[6:7], vcc
	s_and_b64 s[6:7], exec, s[6:7]
	s_or_b64 s[30:31], s[6:7], s[30:31]
	s_andn2_b64 s[6:7], s[34:35], exec
	s_and_b64 s[34:35], vcc, exec
	s_or_b64 s[34:35], s[6:7], s[34:35]
	s_barrier
	s_andn2_b64 exec, exec, s[30:31]
	s_cbranch_execz .LBB141_207
.LBB141_198:                            ;   Parent Loop BB141_25 Depth=1
                                        ; =>  This Inner Loop Header: Depth=2
	v_cmp_gt_u64_e32 vcc, s[8:9], v[4:5]
	v_mov_b32_e32 v7, 0
	s_and_saveexec_b64 s[6:7], vcc
	s_cbranch_execz .LBB141_200
; %bb.199:                              ;   in Loop: Header=BB141_198 Depth=2
	ds_read_u16 v7, v6
.LBB141_200:                            ;   in Loop: Header=BB141_198 Depth=2
	s_or_b64 exec, exec, s[6:7]
	s_and_saveexec_b64 s[6:7], vcc
	s_cbranch_execz .LBB141_197
; %bb.201:                              ;   in Loop: Header=BB141_198 Depth=2
	s_waitcnt lgkmcnt(0)
	v_cmp_lt_i16_e32 vcc, -1, v7
	v_cndmask_b32_e32 v8, v30, v31, vcc
	v_lshlrev_b32_e32 v9, 16, v7
	v_xor_b32_sdwa v8, v8, v7 dst_sel:DWORD dst_unused:UNUSED_PAD src0_sel:DWORD src1_sel:WORD_0
	v_cmp_o_f32_e32 vcc, v9, v9
	v_cndmask_b32_e32 v8, v30, v8, vcc
	v_and_b32_e32 v8, s27, v8
	v_cmp_eq_u32_e32 vcc, s80, v8
	s_and_b64 exec, exec, vcc
	s_cbranch_execz .LBB141_197
; %bb.202:                              ;   in Loop: Header=BB141_198 Depth=2
	v_perm_b32 v7, v7, s0, v34
	ds_write_b32 v11, v7 offset:3072
	s_branch .LBB141_197
.LBB141_203:                            ;   in Loop: Header=BB141_25 Depth=1
                                        ; implicit-def: $sgpr28_sgpr29
                                        ; implicit-def: $sgpr34_sgpr35
                                        ; implicit-def: $sgpr30_sgpr31
	s_branch .LBB141_222
.LBB141_204:                            ;   in Loop: Header=BB141_25 Depth=1
                                        ; implicit-def: $vgpr2_vgpr3
	s_branch .LBB141_144
.LBB141_205:                            ;   in Loop: Header=BB141_25 Depth=1
                                        ; implicit-def: $vgpr2_vgpr3
	s_branch .LBB141_164
.LBB141_206:                            ;   in Loop: Header=BB141_25 Depth=1
	s_mov_b64 s[28:29], -1
	s_mov_b64 s[6:7], 0
                                        ; implicit-def: $sgpr30_sgpr31
                                        ; implicit-def: $vgpr35
	s_mov_b64 s[34:35], s[28:29]
	s_cbranch_execnz .LBB141_209
	s_branch .LBB141_222
.LBB141_207:                            ;   in Loop: Header=BB141_25 Depth=1
	s_or_b64 exec, exec, s[30:31]
	v_lshrrev_b32_e32 v35, 16, v7
	s_and_b64 s[6:7], s[34:35], exec
.LBB141_208:                            ;   in Loop: Header=BB141_25 Depth=1
	s_or_b64 exec, exec, s[28:29]
	s_mov_b64 s[30:31], -1
	s_mov_b64 s[28:29], 0
	s_mov_b64 s[34:35], s[28:29]
	s_branch .LBB141_222
.LBB141_209:                            ;   in Loop: Header=BB141_25 Depth=1
	s_mov_b32 s86, s79
	s_cmp_lg_u64 s[86:87], 0
	s_cbranch_scc0 .LBB141_252
; %bb.210:                              ;   in Loop: Header=BB141_25 Depth=1
	v_cvt_f32_u32_e32 v2, s54
	s_sub_u32 s6, 0, s54
	s_subb_u32 s7, 0, 0
	v_mac_f32_e32 v2, 0, v32
	v_rcp_f32_e32 v2, v2
	v_mul_f32_e32 v2, 0x5f7ffffc, v2
	v_mul_f32_e32 v3, 0x2f800000, v2
	v_trunc_f32_e32 v3, v3
	v_mac_f32_e32 v2, 0xcf800000, v3
	v_cvt_u32_f32_e32 v3, v3
	v_cvt_u32_f32_e32 v2, v2
	v_readfirstlane_b32 s8, v3
	v_readfirstlane_b32 s9, v2
	s_mul_i32 s28, s6, s8
	s_mul_hi_u32 s30, s6, s9
	s_mul_i32 s29, s7, s9
	s_add_i32 s28, s30, s28
	s_mul_i32 s31, s6, s9
	s_add_i32 s28, s28, s29
	s_mul_hi_u32 s30, s9, s31
	s_mul_hi_u32 s29, s9, s28
	s_mul_i32 s9, s9, s28
	s_add_u32 s9, s30, s9
	s_addc_u32 s29, 0, s29
	s_mul_hi_u32 s34, s8, s31
	s_mul_i32 s31, s8, s31
	s_add_u32 s9, s9, s31
	s_mul_hi_u32 s30, s8, s28
	s_addc_u32 s9, s29, s34
	s_addc_u32 s29, s30, 0
	s_mul_i32 s28, s8, s28
	s_add_u32 s9, s9, s28
	s_addc_u32 s28, 0, s29
	v_add_co_u32_e32 v2, vcc, s9, v2
	s_cmp_lg_u64 vcc, 0
	s_addc_u32 s8, s8, s28
	v_readfirstlane_b32 s28, v2
	s_mul_i32 s9, s6, s8
	s_mul_hi_u32 s29, s6, s28
	s_add_i32 s9, s29, s9
	s_mul_i32 s7, s7, s28
	s_add_i32 s9, s9, s7
	s_mul_i32 s6, s6, s28
	s_mul_hi_u32 s29, s8, s6
	s_mul_i32 s30, s8, s6
	s_mul_i32 s34, s28, s9
	s_mul_hi_u32 s6, s28, s6
	s_mul_hi_u32 s31, s28, s9
	s_add_u32 s6, s6, s34
	s_addc_u32 s28, 0, s31
	s_add_u32 s6, s6, s30
	s_mul_hi_u32 s7, s8, s9
	s_addc_u32 s6, s28, s29
	s_addc_u32 s7, s7, 0
	s_mul_i32 s9, s8, s9
	s_add_u32 s6, s6, s9
	s_addc_u32 s7, 0, s7
	v_add_co_u32_e32 v2, vcc, s6, v2
	s_cmp_lg_u64 vcc, 0
	s_addc_u32 s6, s8, s7
	v_readfirstlane_b32 s9, v2
	s_mul_i32 s8, s3, s6
	s_mul_hi_u32 s28, s3, s9
	s_mul_hi_u32 s7, s3, s6
	s_add_u32 s8, s28, s8
	s_addc_u32 s7, 0, s7
	s_mul_hi_u32 s29, s87, s9
	s_mul_i32 s9, s87, s9
	s_add_u32 s8, s8, s9
	s_mul_hi_u32 s28, s87, s6
	s_addc_u32 s7, s7, s29
	s_addc_u32 s8, s28, 0
	s_mul_i32 s6, s87, s6
	s_add_u32 s6, s7, s6
	s_addc_u32 s7, 0, s8
	s_mul_hi_u32 s8, s54, s6
	s_mul_i32 s6, s54, s6
	s_mul_i32 s7, s54, s7
	v_mov_b32_e32 v2, s6
	s_add_i32 s8, s8, s7
	v_sub_co_u32_e32 v2, vcc, s3, v2
	s_cmp_lg_u64 vcc, 0
	s_subb_u32 s6, s87, s8
	v_subrev_co_u32_e32 v3, vcc, s54, v2
	s_cmp_lg_u64 vcc, 0
	s_subb_u32 s7, s6, 0
	v_subrev_co_u32_e32 v4, vcc, s54, v3
	s_cmp_lg_u64 vcc, 0
	s_subb_u32 s8, s7, 0
	v_cmp_le_u32_e32 vcc, s54, v3
	s_cmp_eq_u32 s7, 0
	v_cndmask_b32_e64 v5, 0, -1, vcc
	s_cselect_b64 vcc, -1, 0
	v_cndmask_b32_e32 v5, -1, v5, vcc
	v_mov_b32_e32 v6, s7
	v_mov_b32_e32 v7, s8
	v_cmp_ne_u32_e32 vcc, 0, v5
	v_cndmask_b32_e32 v5, v6, v7, vcc
	v_cndmask_b32_e32 v4, v3, v4, vcc
	v_cmp_le_u32_e32 vcc, s54, v2
	s_cmp_eq_u32 s6, 0
	v_cndmask_b32_e64 v3, 0, -1, vcc
	s_cselect_b64 vcc, -1, 0
	v_cndmask_b32_e32 v3, -1, v3, vcc
	v_mov_b32_e32 v6, s6
	v_cmp_ne_u32_e32 vcc, 0, v3
	v_cndmask_b32_e32 v3, v6, v5, vcc
	v_cndmask_b32_e32 v2, v2, v4, vcc
	s_cbranch_execnz .LBB141_212
.LBB141_211:                            ;   in Loop: Header=BB141_25 Depth=1
	v_cvt_f32_u32_e32 v2, s54
	s_sub_i32 s6, 0, s54
	v_rcp_iflag_f32_e32 v2, v2
	v_mul_f32_e32 v2, 0x4f7ffffe, v2
	v_cvt_u32_f32_e32 v2, v2
	v_mul_lo_u32 v3, s6, v2
	v_mul_hi_u32 v3, v2, v3
	v_add_u32_e32 v2, v2, v3
	v_mul_hi_u32 v2, s3, v2
	v_mul_lo_u32 v2, v2, s54
	v_sub_u32_e32 v2, s3, v2
	v_subrev_u32_e32 v3, s54, v2
	v_cmp_le_u32_e32 vcc, s54, v2
	v_cndmask_b32_e32 v2, v2, v3, vcc
	v_subrev_u32_e32 v3, s54, v2
	v_cmp_le_u32_e32 vcc, s54, v2
	v_cndmask_b32_e32 v10, v2, v3, vcc
	v_pk_mov_b32 v[2:3], v[10:11], v[10:11] op_sel:[0,1]
.LBB141_212:                            ;   in Loop: Header=BB141_25 Depth=1
	v_mov_b32_e32 v4, s87
	v_sub_co_u32_e32 v2, vcc, s3, v2
	v_subb_co_u32_e32 v3, vcc, v4, v3, vcc
	v_cmp_gt_u64_e32 vcc, v[2:3], v[0:1]
	s_mov_b64 s[6:7], 0
                                        ; implicit-def: $vgpr35
	s_and_saveexec_b64 s[8:9], vcc
	s_cbranch_execz .LBB141_221
; %bb.213:                              ;   in Loop: Header=BB141_25 Depth=1
	s_mov_b64 s[28:29], 0
	v_pk_mov_b32 v[4:5], v[0:1], v[0:1] op_sel:[0,1]
                                        ; implicit-def: $sgpr30_sgpr31
	s_branch .LBB141_215
.LBB141_214:                            ;   in Loop: Header=BB141_215 Depth=2
	s_or_b64 exec, exec, s[6:7]
	s_waitcnt lgkmcnt(0)
	s_barrier
	s_waitcnt vmcnt(0)
	ds_read_b32 v6, v11 offset:3072
	v_add_co_u32_e64 v4, s[6:7], s54, v4
	s_waitcnt lgkmcnt(0)
	s_barrier
	v_and_b32_e32 v7, 0x7fff, v6
	v_cmp_ne_u16_e32 vcc, 0, v7
	v_mov_b32_e32 v7, s84
	v_addc_co_u32_e64 v5, s[6:7], v5, v7, s[6:7]
	v_cmp_ge_u64_e64 s[6:7], v[4:5], v[2:3]
	s_or_b64 s[6:7], s[6:7], vcc
	s_and_b64 s[6:7], exec, s[6:7]
	s_or_b64 s[28:29], s[6:7], s[28:29]
	s_andn2_b64 s[6:7], s[30:31], exec
	s_and_b64 s[30:31], vcc, exec
	s_or_b64 s[30:31], s[6:7], s[30:31]
	s_andn2_b64 exec, exec, s[28:29]
	s_cbranch_execz .LBB141_220
.LBB141_215:                            ;   Parent Loop BB141_25 Depth=1
                                        ; =>  This Inner Loop Header: Depth=2
	v_cmp_gt_u64_e32 vcc, s[52:53], v[4:5]
	v_mov_b32_e32 v6, 0
	s_and_saveexec_b64 s[34:35], vcc
	s_cbranch_execz .LBB141_217
; %bb.216:                              ;   in Loop: Header=BB141_215 Depth=2
	v_mul_lo_u32 v8, v5, s68
	v_mul_lo_u32 v9, v4, s69
	v_mad_u64_u32 v[6:7], s[6:7], v4, s68, 0
	v_add3_u32 v7, v7, v9, v8
	v_lshlrev_b64 v[6:7], 1, v[6:7]
	v_mov_b32_e32 v8, s55
	v_add_co_u32_e64 v6, s[6:7], s33, v6
	v_addc_co_u32_e64 v7, s[6:7], v8, v7, s[6:7]
	global_load_ushort v6, v[6:7], off
.LBB141_217:                            ;   in Loop: Header=BB141_215 Depth=2
	s_or_b64 exec, exec, s[34:35]
	s_and_saveexec_b64 s[6:7], vcc
	s_cbranch_execz .LBB141_214
; %bb.218:                              ;   in Loop: Header=BB141_215 Depth=2
	s_waitcnt vmcnt(0)
	v_cmp_lt_i16_e32 vcc, -1, v6
	v_cndmask_b32_e32 v7, v30, v31, vcc
	v_lshlrev_b32_e32 v8, 16, v6
	v_xor_b32_sdwa v7, v7, v6 dst_sel:DWORD dst_unused:UNUSED_PAD src0_sel:DWORD src1_sel:WORD_0
	v_cmp_o_f32_e32 vcc, v8, v8
	v_cndmask_b32_e32 v7, v30, v7, vcc
	v_and_b32_e32 v7, s27, v7
	v_cmp_eq_u32_e32 vcc, s80, v7
	s_and_b64 exec, exec, vcc
	s_cbranch_execz .LBB141_214
; %bb.219:                              ;   in Loop: Header=BB141_215 Depth=2
	v_perm_b32 v6, v6, s0, v34
	ds_write_b32 v11, v6 offset:3072
	s_branch .LBB141_214
.LBB141_220:                            ;   in Loop: Header=BB141_25 Depth=1
	s_or_b64 exec, exec, s[28:29]
	v_lshrrev_b32_e32 v35, 16, v6
	s_and_b64 s[6:7], s[30:31], exec
.LBB141_221:                            ;   in Loop: Header=BB141_25 Depth=1
	s_or_b64 exec, exec, s[8:9]
	s_mov_b64 s[34:35], -1
	s_mov_b64 s[28:29], 0
	s_mov_b64 s[30:31], 0
.LBB141_222:                            ;   in Loop: Header=BB141_25 Depth=1
	s_mov_b64 s[8:9], 0
                                        ; implicit-def: $sgpr49
	s_and_saveexec_b64 s[36:37], s[6:7]
	s_cbranch_execz .LBB141_284
; %bb.223:                              ;   in Loop: Header=BB141_25 Depth=1
	s_xor_b64 s[6:7], s[38:39], -1
	s_andn2_b64 vcc, exec, s[6:7]
	s_mov_b32 s49, 1
	s_cbranch_vccnz .LBB141_234
; %bb.224:                              ;   in Loop: Header=BB141_25 Depth=1
	v_pk_mov_b32 v[2:3], s[16:17], s[16:17] op_sel:[0,1]
	v_cmp_gt_u64_e32 vcc, s[82:83], v[2:3]
	s_mov_b64 s[6:7], -1
                                        ; implicit-def: $sgpr49
                                        ; implicit-def: $sgpr8
                                        ; implicit-def: $sgpr9
	s_cbranch_vccnz .LBB141_230
; %bb.225:                              ;   in Loop: Header=BB141_25 Depth=1
	ds_read_b64 v[2:3], v11 offset:5120
	s_waitcnt lgkmcnt(0)
	v_cmp_ne_u64_e32 vcc, 0, v[2:3]
	s_cbranch_vccnz .LBB141_229
; %bb.226:                              ;   in Loop: Header=BB141_25 Depth=1
	s_mov_b64 s[6:7], exec
	v_readlane_b32 s8, v44, 16
	v_readlane_b32 s9, v44, 17
	s_and_b64 s[8:9], s[6:7], s[8:9]
	s_mov_b64 exec, s[8:9]
	s_cbranch_execz .LBB141_228
; %bb.227:                              ;   in Loop: Header=BB141_25 Depth=1
	v_pk_mov_b32 v[2:3], s[16:17], s[16:17] op_sel:[0,1]
	ds_write_b64 v11, v[2:3] offset:5128
.LBB141_228:                            ;   in Loop: Header=BB141_25 Depth=1
	s_or_b64 exec, exec, s[6:7]
	s_waitcnt lgkmcnt(0)
	s_barrier
.LBB141_229:                            ;   in Loop: Header=BB141_25 Depth=1
	s_lshl_b32 s6, 2, s40
	s_and_b32 s7, s80, s41
	s_or_b32 s8, s7, s6
	s_or_b32 s9, s27, s48
	s_mov_b64 s[6:7], 0
	s_mov_b32 s49, 8
.LBB141_230:                            ;   in Loop: Header=BB141_25 Depth=1
	s_andn2_b64 vcc, exec, s[6:7]
	s_cbranch_vccnz .LBB141_232
; %bb.231:                              ;   in Loop: Header=BB141_25 Depth=1
	s_sub_u32 s82, s82, s16
	s_subb_u32 s83, s83, s17
	s_mov_b64 s[6:7], -1
	s_mov_b32 s49, 0
	s_mov_b32 s8, s80
	s_mov_b32 s9, s27
.LBB141_232:                            ;   in Loop: Header=BB141_25 Depth=1
	s_mov_b32 s27, s9
	s_mov_b32 s80, s8
	s_andn2_b64 vcc, exec, s[6:7]
	s_mov_b64 s[44:45], -1
	s_cbranch_vccz .LBB141_235
.LBB141_233:                            ;   in Loop: Header=BB141_25 Depth=1
                                        ; implicit-def: $sgpr6_sgpr7
                                        ; implicit-def: $sgpr38_sgpr39
                                        ; implicit-def: $sgpr8_sgpr9
	s_branch .LBB141_283
.LBB141_234:                            ;   in Loop: Header=BB141_25 Depth=1
	s_mov_b64 s[82:83], 1
	s_mov_b64 s[44:45], -1
	s_cbranch_execnz .LBB141_233
.LBB141_235:                            ;   in Loop: Header=BB141_25 Depth=1
	s_cmp_eq_u64 s[10:11], 1
	s_cselect_b64 s[6:7], -1, 0
	s_cmp_eq_u64 s[82:83], 1
	s_cselect_b64 s[8:9], -1, 0
	s_and_b64 s[16:17], s[6:7], s[8:9]
	s_mov_b64 s[40:41], -1
	s_and_b64 vcc, exec, s[16:17]
	s_cbranch_vccz .LBB141_250
; %bb.236:                              ;   in Loop: Header=BB141_25 Depth=1
	ds_read_b64 v[2:3], v11 offset:5120
	s_waitcnt lgkmcnt(0)
	s_barrier
	v_readfirstlane_b32 s8, v2
	v_readfirstlane_b32 s9, v3
	s_mov_b64 s[6:7], exec
	v_readlane_b32 s38, v44, 26
	v_readlane_b32 s39, v44, 27
	s_and_b64 s[38:39], s[6:7], s[38:39]
	s_mov_b64 exec, s[38:39]
	s_cbranch_execz .LBB141_238
; %bb.237:                              ;   in Loop: Header=BB141_25 Depth=1
	ds_write_b16 v24, v13
.LBB141_238:                            ;   in Loop: Header=BB141_25 Depth=1
	s_or_b64 exec, exec, s[6:7]
	s_or_b32 s80, s80, s48
	s_or_b32 s27, s27, s48
	s_cmp_eq_u64 s[8:9], 0
	s_waitcnt lgkmcnt(0)
	s_barrier
	s_cbranch_scc1 .LBB141_253
; %bb.239:                              ;   in Loop: Header=BB141_25 Depth=1
	v_readlane_b32 s6, v44, 32
	s_add_u32 s40, s6, s8
	v_readlane_b32 s6, v44, 33
	s_addc_u32 s7, s6, s9
	s_mov_b32 s6, s79
	s_cmp_lg_u64 s[6:7], 0
	s_cbranch_scc0 .LBB141_289
; %bb.240:                              ;   in Loop: Header=BB141_25 Depth=1
	v_cvt_f32_u32_e32 v2, s54
	s_sub_u32 s6, 0, s54
	s_subb_u32 s38, 0, 0
	v_mac_f32_e32 v2, 0, v32
	v_rcp_f32_e32 v2, v2
	v_mul_f32_e32 v2, 0x5f7ffffc, v2
	v_mul_f32_e32 v3, 0x2f800000, v2
	v_trunc_f32_e32 v3, v3
	v_mac_f32_e32 v2, 0xcf800000, v3
	v_cvt_u32_f32_e32 v3, v3
	v_cvt_u32_f32_e32 v2, v2
	v_readfirstlane_b32 s39, v3
	v_readfirstlane_b32 s41, v2
	s_mul_i32 s42, s6, s39
	s_mul_hi_u32 s44, s6, s41
	s_mul_i32 s43, s38, s41
	s_add_i32 s42, s44, s42
	s_mul_i32 s45, s6, s41
	s_add_i32 s42, s42, s43
	s_mul_hi_u32 s44, s41, s45
	s_mul_hi_u32 s43, s41, s42
	s_mul_i32 s41, s41, s42
	s_add_u32 s41, s44, s41
	s_addc_u32 s43, 0, s43
	s_mul_hi_u32 s46, s39, s45
	s_mul_i32 s45, s39, s45
	s_add_u32 s41, s41, s45
	s_mul_hi_u32 s44, s39, s42
	s_addc_u32 s41, s43, s46
	s_addc_u32 s43, s44, 0
	s_mul_i32 s42, s39, s42
	s_add_u32 s41, s41, s42
	s_addc_u32 s42, 0, s43
	v_add_co_u32_e32 v2, vcc, s41, v2
	s_cmp_lg_u64 vcc, 0
	s_addc_u32 s39, s39, s42
	v_readfirstlane_b32 s42, v2
	s_mul_i32 s41, s6, s39
	s_mul_hi_u32 s43, s6, s42
	s_add_i32 s41, s43, s41
	s_mul_i32 s38, s38, s42
	s_add_i32 s41, s41, s38
	s_mul_i32 s6, s6, s42
	s_mul_hi_u32 s43, s39, s6
	s_mul_i32 s44, s39, s6
	s_mul_i32 s46, s42, s41
	s_mul_hi_u32 s6, s42, s6
	s_mul_hi_u32 s45, s42, s41
	s_add_u32 s6, s6, s46
	s_addc_u32 s42, 0, s45
	s_add_u32 s6, s6, s44
	s_mul_hi_u32 s38, s39, s41
	s_addc_u32 s6, s42, s43
	s_addc_u32 s38, s38, 0
	s_mul_i32 s41, s39, s41
	s_add_u32 s6, s6, s41
	s_addc_u32 s38, 0, s38
	v_add_co_u32_e32 v2, vcc, s6, v2
	s_cmp_lg_u64 vcc, 0
	s_addc_u32 s6, s39, s38
	v_readfirstlane_b32 s41, v2
	s_mul_i32 s39, s40, s6
	s_mul_hi_u32 s42, s40, s41
	s_mul_hi_u32 s38, s40, s6
	s_add_u32 s39, s42, s39
	s_addc_u32 s38, 0, s38
	s_mul_hi_u32 s43, s7, s41
	s_mul_i32 s41, s7, s41
	s_add_u32 s39, s39, s41
	s_mul_hi_u32 s42, s7, s6
	s_addc_u32 s38, s38, s43
	s_addc_u32 s39, s42, 0
	s_mul_i32 s6, s7, s6
	s_add_u32 s6, s38, s6
	s_addc_u32 s38, 0, s39
	s_mul_hi_u32 s39, s54, s6
	s_mul_i32 s6, s54, s6
	s_mul_i32 s38, s54, s38
	v_mov_b32_e32 v2, s6
	s_add_i32 s39, s39, s38
	v_sub_co_u32_e32 v2, vcc, s40, v2
	s_cmp_lg_u64 vcc, 0
	s_subb_u32 s6, s7, s39
	v_subrev_co_u32_e32 v3, vcc, s54, v2
	s_cmp_lg_u64 vcc, 0
	s_subb_u32 s38, s6, 0
	v_subrev_co_u32_e32 v4, vcc, s54, v3
	s_cmp_lg_u64 vcc, 0
	s_subb_u32 s39, s38, 0
	v_cmp_le_u32_e32 vcc, s54, v3
	s_cmp_eq_u32 s38, 0
	v_cndmask_b32_e64 v5, 0, -1, vcc
	s_cselect_b64 vcc, -1, 0
	v_cndmask_b32_e32 v5, -1, v5, vcc
	v_mov_b32_e32 v6, s38
	v_mov_b32_e32 v7, s39
	v_cmp_ne_u32_e32 vcc, 0, v5
	v_cndmask_b32_e32 v5, v6, v7, vcc
	v_cndmask_b32_e32 v4, v3, v4, vcc
	v_cmp_le_u32_e32 vcc, s54, v2
	s_cmp_eq_u32 s6, 0
	v_cndmask_b32_e64 v3, 0, -1, vcc
	s_cselect_b64 vcc, -1, 0
	v_cndmask_b32_e32 v3, -1, v3, vcc
	v_mov_b32_e32 v6, s6
	v_cmp_ne_u32_e32 vcc, 0, v3
	v_cndmask_b32_e32 v3, v6, v5, vcc
	v_cndmask_b32_e32 v2, v2, v4, vcc
	s_cbranch_execnz .LBB141_242
.LBB141_241:                            ;   in Loop: Header=BB141_25 Depth=1
	v_cvt_f32_u32_e32 v2, s54
	s_sub_i32 s6, 0, s54
	v_rcp_iflag_f32_e32 v2, v2
	v_mul_f32_e32 v2, 0x4f7ffffe, v2
	v_cvt_u32_f32_e32 v2, v2
	v_mul_lo_u32 v3, s6, v2
	v_mul_hi_u32 v3, v2, v3
	v_add_u32_e32 v2, v2, v3
	v_mul_hi_u32 v2, s40, v2
	v_mul_lo_u32 v2, v2, s54
	v_sub_u32_e32 v2, s40, v2
	v_subrev_u32_e32 v3, s54, v2
	v_cmp_le_u32_e32 vcc, s54, v2
	v_cndmask_b32_e32 v2, v2, v3, vcc
	v_subrev_u32_e32 v3, s54, v2
	v_cmp_le_u32_e32 vcc, s54, v2
	v_cndmask_b32_e32 v10, v2, v3, vcc
	v_pk_mov_b32 v[2:3], v[10:11], v[10:11] op_sel:[0,1]
.LBB141_242:                            ;   in Loop: Header=BB141_25 Depth=1
	v_mov_b32_e32 v4, s7
	v_sub_co_u32_e32 v2, vcc, s40, v2
	v_subb_co_u32_e32 v3, vcc, v4, v3, vcc
	v_cmp_gt_u64_e32 vcc, v[2:3], v[0:1]
	s_mov_b64 s[40:41], 0
                                        ; implicit-def: $vgpr35
	s_and_saveexec_b64 s[38:39], vcc
	s_cbranch_execz .LBB141_255
; %bb.243:                              ;   in Loop: Header=BB141_25 Depth=1
	v_mov_b32_e32 v6, v23
	v_pk_mov_b32 v[4:5], v[0:1], v[0:1] op_sel:[0,1]
                                        ; implicit-def: $sgpr42_sgpr43
	s_branch .LBB141_245
.LBB141_244:                            ;   in Loop: Header=BB141_245 Depth=2
	s_or_b64 exec, exec, s[6:7]
	s_waitcnt lgkmcnt(0)
	s_barrier
	ds_read_b32 v7, v11 offset:3072
	v_add_co_u32_e64 v4, s[6:7], s54, v4
	v_add_u32_e32 v6, s2, v6
	s_waitcnt lgkmcnt(0)
	v_and_b32_e32 v8, 0x7fff, v7
	v_cmp_ne_u16_e32 vcc, 0, v8
	v_mov_b32_e32 v8, s84
	v_addc_co_u32_e64 v5, s[6:7], v5, v8, s[6:7]
	v_cmp_ge_u64_e64 s[6:7], v[4:5], v[2:3]
	s_or_b64 s[6:7], s[6:7], vcc
	s_and_b64 s[6:7], exec, s[6:7]
	s_or_b64 s[40:41], s[6:7], s[40:41]
	s_andn2_b64 s[6:7], s[42:43], exec
	s_and_b64 s[42:43], vcc, exec
	s_or_b64 s[42:43], s[6:7], s[42:43]
	s_barrier
	s_andn2_b64 exec, exec, s[40:41]
	s_cbranch_execz .LBB141_254
.LBB141_245:                            ;   Parent Loop BB141_25 Depth=1
                                        ; =>  This Inner Loop Header: Depth=2
	v_cmp_gt_u64_e32 vcc, s[8:9], v[4:5]
	v_mov_b32_e32 v7, 0
	s_and_saveexec_b64 s[6:7], vcc
	s_cbranch_execz .LBB141_247
; %bb.246:                              ;   in Loop: Header=BB141_245 Depth=2
	ds_read_u16 v7, v6
.LBB141_247:                            ;   in Loop: Header=BB141_245 Depth=2
	s_or_b64 exec, exec, s[6:7]
	s_and_saveexec_b64 s[6:7], vcc
	s_cbranch_execz .LBB141_244
; %bb.248:                              ;   in Loop: Header=BB141_245 Depth=2
	s_waitcnt lgkmcnt(0)
	v_cmp_lt_i16_e32 vcc, -1, v7
	v_cndmask_b32_e32 v8, v30, v31, vcc
	v_lshlrev_b32_e32 v9, 16, v7
	v_xor_b32_sdwa v8, v8, v7 dst_sel:DWORD dst_unused:UNUSED_PAD src0_sel:DWORD src1_sel:WORD_0
	v_cmp_o_f32_e32 vcc, v9, v9
	v_cndmask_b32_e32 v8, v30, v8, vcc
	v_and_b32_e32 v8, s27, v8
	v_cmp_eq_u32_e32 vcc, s80, v8
	s_and_b64 exec, exec, vcc
	s_cbranch_execz .LBB141_244
; %bb.249:                              ;   in Loop: Header=BB141_245 Depth=2
	v_perm_b32 v7, v7, s0, v34
	ds_write_b32 v11, v7 offset:3072
	s_branch .LBB141_244
.LBB141_250:                            ;   in Loop: Header=BB141_25 Depth=1
                                        ; implicit-def: $sgpr6_sgpr7
                                        ; implicit-def: $sgpr38_sgpr39
                                        ; implicit-def: $sgpr8_sgpr9
	s_branch .LBB141_269
.LBB141_251:                            ;   in Loop: Header=BB141_25 Depth=1
                                        ; implicit-def: $vgpr2_vgpr3
	s_branch .LBB141_194
.LBB141_252:                            ;   in Loop: Header=BB141_25 Depth=1
                                        ; implicit-def: $vgpr2_vgpr3
	s_branch .LBB141_211
.LBB141_253:                            ;   in Loop: Header=BB141_25 Depth=1
	s_mov_b64 s[6:7], -1
	s_mov_b64 s[40:41], 0
                                        ; implicit-def: $sgpr8_sgpr9
                                        ; implicit-def: $vgpr35
	s_mov_b64 s[38:39], s[6:7]
	s_cbranch_execnz .LBB141_256
	s_branch .LBB141_269
.LBB141_254:                            ;   in Loop: Header=BB141_25 Depth=1
	s_or_b64 exec, exec, s[40:41]
	v_lshrrev_b32_e32 v35, 16, v7
	s_and_b64 s[40:41], s[42:43], exec
.LBB141_255:                            ;   in Loop: Header=BB141_25 Depth=1
	s_or_b64 exec, exec, s[38:39]
	s_mov_b64 s[8:9], -1
	s_mov_b64 s[6:7], 0
	s_mov_b64 s[38:39], s[6:7]
	s_branch .LBB141_269
.LBB141_256:                            ;   in Loop: Header=BB141_25 Depth=1
	s_mov_b32 s86, s79
	s_cmp_lg_u64 s[86:87], 0
	s_cbranch_scc0 .LBB141_290
; %bb.257:                              ;   in Loop: Header=BB141_25 Depth=1
	v_cvt_f32_u32_e32 v2, s54
	s_sub_u32 s6, 0, s54
	s_subb_u32 s7, 0, 0
	v_mac_f32_e32 v2, 0, v32
	v_rcp_f32_e32 v2, v2
	v_mul_f32_e32 v2, 0x5f7ffffc, v2
	v_mul_f32_e32 v3, 0x2f800000, v2
	v_trunc_f32_e32 v3, v3
	v_mac_f32_e32 v2, 0xcf800000, v3
	v_cvt_u32_f32_e32 v3, v3
	v_cvt_u32_f32_e32 v2, v2
	v_readfirstlane_b32 s8, v3
	v_readfirstlane_b32 s9, v2
	s_mul_i32 s38, s6, s8
	s_mul_hi_u32 s40, s6, s9
	s_mul_i32 s39, s7, s9
	s_add_i32 s38, s40, s38
	s_mul_i32 s41, s6, s9
	s_add_i32 s38, s38, s39
	s_mul_hi_u32 s40, s9, s41
	s_mul_hi_u32 s39, s9, s38
	s_mul_i32 s9, s9, s38
	s_add_u32 s9, s40, s9
	s_addc_u32 s39, 0, s39
	s_mul_hi_u32 s42, s8, s41
	s_mul_i32 s41, s8, s41
	s_add_u32 s9, s9, s41
	s_mul_hi_u32 s40, s8, s38
	s_addc_u32 s9, s39, s42
	s_addc_u32 s39, s40, 0
	s_mul_i32 s38, s8, s38
	s_add_u32 s9, s9, s38
	s_addc_u32 s38, 0, s39
	v_add_co_u32_e32 v2, vcc, s9, v2
	s_cmp_lg_u64 vcc, 0
	s_addc_u32 s8, s8, s38
	v_readfirstlane_b32 s38, v2
	s_mul_i32 s9, s6, s8
	s_mul_hi_u32 s39, s6, s38
	s_add_i32 s9, s39, s9
	s_mul_i32 s7, s7, s38
	s_add_i32 s9, s9, s7
	s_mul_i32 s6, s6, s38
	s_mul_hi_u32 s39, s8, s6
	s_mul_i32 s40, s8, s6
	s_mul_i32 s42, s38, s9
	s_mul_hi_u32 s6, s38, s6
	s_mul_hi_u32 s41, s38, s9
	s_add_u32 s6, s6, s42
	s_addc_u32 s38, 0, s41
	s_add_u32 s6, s6, s40
	s_mul_hi_u32 s7, s8, s9
	s_addc_u32 s6, s38, s39
	s_addc_u32 s7, s7, 0
	s_mul_i32 s9, s8, s9
	s_add_u32 s6, s6, s9
	s_addc_u32 s7, 0, s7
	v_add_co_u32_e32 v2, vcc, s6, v2
	s_cmp_lg_u64 vcc, 0
	s_addc_u32 s6, s8, s7
	v_readfirstlane_b32 s9, v2
	s_mul_i32 s8, s3, s6
	s_mul_hi_u32 s38, s3, s9
	s_mul_hi_u32 s7, s3, s6
	s_add_u32 s8, s38, s8
	s_addc_u32 s7, 0, s7
	s_mul_hi_u32 s39, s87, s9
	s_mul_i32 s9, s87, s9
	s_add_u32 s8, s8, s9
	s_mul_hi_u32 s38, s87, s6
	s_addc_u32 s7, s7, s39
	s_addc_u32 s8, s38, 0
	s_mul_i32 s6, s87, s6
	s_add_u32 s6, s7, s6
	s_addc_u32 s7, 0, s8
	s_mul_hi_u32 s8, s54, s6
	s_mul_i32 s6, s54, s6
	s_mul_i32 s7, s54, s7
	v_mov_b32_e32 v2, s6
	s_add_i32 s8, s8, s7
	v_sub_co_u32_e32 v2, vcc, s3, v2
	s_cmp_lg_u64 vcc, 0
	s_subb_u32 s6, s87, s8
	v_subrev_co_u32_e32 v3, vcc, s54, v2
	s_cmp_lg_u64 vcc, 0
	s_subb_u32 s7, s6, 0
	v_subrev_co_u32_e32 v4, vcc, s54, v3
	s_cmp_lg_u64 vcc, 0
	s_subb_u32 s8, s7, 0
	v_cmp_le_u32_e32 vcc, s54, v3
	s_cmp_eq_u32 s7, 0
	v_cndmask_b32_e64 v5, 0, -1, vcc
	s_cselect_b64 vcc, -1, 0
	v_cndmask_b32_e32 v5, -1, v5, vcc
	v_mov_b32_e32 v6, s7
	v_mov_b32_e32 v7, s8
	v_cmp_ne_u32_e32 vcc, 0, v5
	v_cndmask_b32_e32 v5, v6, v7, vcc
	v_cndmask_b32_e32 v4, v3, v4, vcc
	v_cmp_le_u32_e32 vcc, s54, v2
	s_cmp_eq_u32 s6, 0
	v_cndmask_b32_e64 v3, 0, -1, vcc
	s_cselect_b64 vcc, -1, 0
	v_cndmask_b32_e32 v3, -1, v3, vcc
	v_mov_b32_e32 v6, s6
	v_cmp_ne_u32_e32 vcc, 0, v3
	v_cndmask_b32_e32 v3, v6, v5, vcc
	v_cndmask_b32_e32 v2, v2, v4, vcc
	s_cbranch_execnz .LBB141_259
.LBB141_258:                            ;   in Loop: Header=BB141_25 Depth=1
	v_cvt_f32_u32_e32 v2, s54
	s_sub_i32 s6, 0, s54
	v_rcp_iflag_f32_e32 v2, v2
	v_mul_f32_e32 v2, 0x4f7ffffe, v2
	v_cvt_u32_f32_e32 v2, v2
	v_mul_lo_u32 v3, s6, v2
	v_mul_hi_u32 v3, v2, v3
	v_add_u32_e32 v2, v2, v3
	v_mul_hi_u32 v2, s3, v2
	v_mul_lo_u32 v2, v2, s54
	v_sub_u32_e32 v2, s3, v2
	v_subrev_u32_e32 v3, s54, v2
	v_cmp_le_u32_e32 vcc, s54, v2
	v_cndmask_b32_e32 v2, v2, v3, vcc
	v_subrev_u32_e32 v3, s54, v2
	v_cmp_le_u32_e32 vcc, s54, v2
	v_cndmask_b32_e32 v10, v2, v3, vcc
	v_pk_mov_b32 v[2:3], v[10:11], v[10:11] op_sel:[0,1]
.LBB141_259:                            ;   in Loop: Header=BB141_25 Depth=1
	v_mov_b32_e32 v4, s87
	v_sub_co_u32_e32 v2, vcc, s3, v2
	v_subb_co_u32_e32 v3, vcc, v4, v3, vcc
	v_cmp_gt_u64_e32 vcc, v[2:3], v[0:1]
	s_mov_b64 s[40:41], 0
                                        ; implicit-def: $vgpr35
	s_and_saveexec_b64 s[8:9], vcc
	s_cbranch_execz .LBB141_268
; %bb.260:                              ;   in Loop: Header=BB141_25 Depth=1
	s_mov_b64 s[38:39], 0
	v_pk_mov_b32 v[4:5], v[0:1], v[0:1] op_sel:[0,1]
                                        ; implicit-def: $sgpr40_sgpr41
	s_branch .LBB141_262
.LBB141_261:                            ;   in Loop: Header=BB141_262 Depth=2
	s_or_b64 exec, exec, s[6:7]
	s_waitcnt lgkmcnt(0)
	s_barrier
	s_waitcnt vmcnt(0)
	ds_read_b32 v6, v11 offset:3072
	v_add_co_u32_e64 v4, s[6:7], s54, v4
	s_waitcnt lgkmcnt(0)
	s_barrier
	v_and_b32_e32 v7, 0x7fff, v6
	v_cmp_ne_u16_e32 vcc, 0, v7
	v_mov_b32_e32 v7, s84
	v_addc_co_u32_e64 v5, s[6:7], v5, v7, s[6:7]
	v_cmp_ge_u64_e64 s[6:7], v[4:5], v[2:3]
	s_or_b64 s[6:7], s[6:7], vcc
	s_and_b64 s[6:7], exec, s[6:7]
	s_or_b64 s[38:39], s[6:7], s[38:39]
	s_andn2_b64 s[6:7], s[40:41], exec
	s_and_b64 s[40:41], vcc, exec
	s_or_b64 s[40:41], s[6:7], s[40:41]
	s_andn2_b64 exec, exec, s[38:39]
	s_cbranch_execz .LBB141_267
.LBB141_262:                            ;   Parent Loop BB141_25 Depth=1
                                        ; =>  This Inner Loop Header: Depth=2
	v_cmp_gt_u64_e32 vcc, s[52:53], v[4:5]
	v_mov_b32_e32 v6, 0
	s_and_saveexec_b64 s[42:43], vcc
	s_cbranch_execz .LBB141_264
; %bb.263:                              ;   in Loop: Header=BB141_262 Depth=2
	v_mul_lo_u32 v8, v5, s68
	v_mul_lo_u32 v9, v4, s69
	v_mad_u64_u32 v[6:7], s[6:7], v4, s68, 0
	v_add3_u32 v7, v7, v9, v8
	v_lshlrev_b64 v[6:7], 1, v[6:7]
	v_mov_b32_e32 v8, s55
	v_add_co_u32_e64 v6, s[6:7], s33, v6
	v_addc_co_u32_e64 v7, s[6:7], v8, v7, s[6:7]
	global_load_ushort v6, v[6:7], off
.LBB141_264:                            ;   in Loop: Header=BB141_262 Depth=2
	s_or_b64 exec, exec, s[42:43]
	s_and_saveexec_b64 s[6:7], vcc
	s_cbranch_execz .LBB141_261
; %bb.265:                              ;   in Loop: Header=BB141_262 Depth=2
	s_waitcnt vmcnt(0)
	v_cmp_lt_i16_e32 vcc, -1, v6
	v_cndmask_b32_e32 v7, v30, v31, vcc
	v_lshlrev_b32_e32 v8, 16, v6
	v_xor_b32_sdwa v7, v7, v6 dst_sel:DWORD dst_unused:UNUSED_PAD src0_sel:DWORD src1_sel:WORD_0
	v_cmp_o_f32_e32 vcc, v8, v8
	v_cndmask_b32_e32 v7, v30, v7, vcc
	v_and_b32_e32 v7, s27, v7
	v_cmp_eq_u32_e32 vcc, s80, v7
	s_and_b64 exec, exec, vcc
	s_cbranch_execz .LBB141_261
; %bb.266:                              ;   in Loop: Header=BB141_262 Depth=2
	v_perm_b32 v6, v6, s0, v34
	ds_write_b32 v11, v6 offset:3072
	s_branch .LBB141_261
.LBB141_267:                            ;   in Loop: Header=BB141_25 Depth=1
	s_or_b64 exec, exec, s[38:39]
	v_lshrrev_b32_e32 v35, 16, v6
	s_and_b64 s[40:41], s[40:41], exec
.LBB141_268:                            ;   in Loop: Header=BB141_25 Depth=1
	s_or_b64 exec, exec, s[8:9]
	s_mov_b64 s[38:39], -1
	s_mov_b64 s[6:7], 0
	s_mov_b64 s[8:9], 0
.LBB141_269:                            ;   in Loop: Header=BB141_25 Depth=1
	s_mov_b64 s[44:45], 0
                                        ; implicit-def: $sgpr49
                                        ; implicit-def: $sgpr46_sgpr47
	s_and_saveexec_b64 s[42:43], s[40:41]
	s_cbranch_execz .LBB141_282
; %bb.270:                              ;   in Loop: Header=BB141_25 Depth=1
	s_xor_b64 s[16:17], s[16:17], -1
	s_mov_b64 s[46:47], 1
	s_andn2_b64 vcc, exec, s[16:17]
	s_mov_b32 s49, 1
	s_cbranch_vccnz .LBB141_281
; %bb.271:                              ;   in Loop: Header=BB141_25 Depth=1
	v_pk_mov_b32 v[2:3], s[10:11], s[10:11] op_sel:[0,1]
	v_cmp_gt_u64_e32 vcc, s[82:83], v[2:3]
	s_cbranch_vccnz .LBB141_277
; %bb.272:                              ;   in Loop: Header=BB141_25 Depth=1
	ds_read_b64 v[2:3], v11 offset:5120
	s_waitcnt lgkmcnt(0)
	v_cmp_ne_u64_e32 vcc, 0, v[2:3]
	s_cbranch_vccnz .LBB141_276
; %bb.273:                              ;   in Loop: Header=BB141_25 Depth=1
	s_mov_b64 s[16:17], exec
	v_readlane_b32 s40, v44, 16
	v_readlane_b32 s41, v44, 17
	s_and_b64 s[40:41], s[16:17], s[40:41]
	s_mov_b64 exec, s[40:41]
	s_cbranch_execz .LBB141_275
; %bb.274:                              ;   in Loop: Header=BB141_25 Depth=1
	v_pk_mov_b32 v[2:3], s[10:11], s[10:11] op_sel:[0,1]
	ds_write_b64 v11, v[2:3] offset:5128
.LBB141_275:                            ;   in Loop: Header=BB141_25 Depth=1
	s_or_b64 exec, exec, s[16:17]
	s_waitcnt lgkmcnt(0)
	s_barrier
.LBB141_276:                            ;   in Loop: Header=BB141_25 Depth=1
	s_or_b32 s40, s80, s48
	s_or_b32 s41, s27, s48
	s_mov_b64 s[16:17], 0
	s_mov_b32 s49, 8
	s_branch .LBB141_278
.LBB141_277:                            ;   in Loop: Header=BB141_25 Depth=1
	s_mov_b64 s[16:17], -1
                                        ; implicit-def: $sgpr49
                                        ; implicit-def: $sgpr40
                                        ; implicit-def: $sgpr41
.LBB141_278:                            ;   in Loop: Header=BB141_25 Depth=1
	s_andn2_b64 vcc, exec, s[16:17]
	s_cbranch_vccnz .LBB141_280
; %bb.279:                              ;   in Loop: Header=BB141_25 Depth=1
	s_sub_u32 s82, s82, s10
	s_subb_u32 s83, s83, s11
	s_mov_b32 s49, 8
	s_mov_b32 s40, s80
	;; [unrolled: 1-line block ×3, first 2 shown]
.LBB141_280:                            ;   in Loop: Header=BB141_25 Depth=1
	s_mov_b64 s[46:47], s[82:83]
	s_mov_b32 s80, s40
	s_mov_b32 s27, s41
.LBB141_281:                            ;   in Loop: Header=BB141_25 Depth=1
	s_mov_b64 s[44:45], exec
.LBB141_282:                            ;   in Loop: Header=BB141_25 Depth=1
	s_or_b64 exec, exec, s[42:43]
	s_mov_b64 s[82:83], s[46:47]
.LBB141_283:                            ;   in Loop: Header=BB141_25 Depth=1
	s_andn2_b64 s[10:11], s[28:29], exec
	s_and_b64 s[6:7], s[6:7], exec
	s_or_b64 s[28:29], s[10:11], s[6:7]
	s_andn2_b64 s[6:7], s[34:35], exec
	s_and_b64 s[10:11], s[38:39], exec
	s_or_b64 s[34:35], s[6:7], s[10:11]
	;; [unrolled: 3-line block ×3, first 2 shown]
	s_and_b64 s[8:9], s[44:45], exec
.LBB141_284:                            ;   in Loop: Header=BB141_25 Depth=1
	s_or_b64 exec, exec, s[36:37]
.LBB141_285:                            ;   in Loop: Header=BB141_25 Depth=1
	s_andn2_b64 s[6:7], s[20:21], exec
	s_and_b64 s[10:11], s[28:29], exec
	s_or_b64 s[20:21], s[6:7], s[10:11]
	s_andn2_b64 s[6:7], s[22:23], exec
	s_and_b64 s[10:11], s[34:35], exec
	s_or_b64 s[22:23], s[6:7], s[10:11]
	;; [unrolled: 3-line block ×3, first 2 shown]
	s_and_b64 s[8:9], s[8:9], exec
.LBB141_286:                            ;   in Loop: Header=BB141_25 Depth=1
	s_or_b64 exec, exec, s[24:25]
	s_and_saveexec_b64 s[6:7], s[8:9]
	s_xor_b64 s[6:7], exec, s[6:7]
	s_cbranch_execz .LBB141_23
.LBB141_287:                            ;   in Loop: Header=BB141_25 Depth=1
	s_and_b32 s8, s49, -9
	s_cmp_eq_u32 s8, 0
	s_cbranch_scc1 .LBB141_21
; %bb.288:                              ;   in Loop: Header=BB141_25 Depth=1
	s_mov_b64 s[8:9], -1
                                        ; implicit-def: $sgpr27
                                        ; implicit-def: $sgpr82_sgpr83
                                        ; implicit-def: $sgpr1
                                        ; implicit-def: $sgpr26
	s_mov_b64 s[10:11], -1
	s_branch .LBB141_22
.LBB141_289:                            ;   in Loop: Header=BB141_25 Depth=1
                                        ; implicit-def: $vgpr2_vgpr3
	s_branch .LBB141_241
.LBB141_290:                            ;   in Loop: Header=BB141_25 Depth=1
                                        ; implicit-def: $vgpr2_vgpr3
	s_branch .LBB141_258
.LBB141_291:
	s_or_b64 exec, exec, s[94:95]
	s_xor_b64 s[8:9], s[76:77], -1
	s_xor_b64 s[0:1], s[56:57], -1
	s_xor_b64 s[6:7], s[58:59], -1
	s_mov_b64 s[4:5], 0
	s_and_saveexec_b64 s[2:3], s[0:1]
	s_xor_b64 s[2:3], exec, s[2:3]
	s_cbranch_execnz .LBB141_296
; %bb.292:
	s_andn2_saveexec_b64 s[0:1], s[2:3]
	s_cbranch_execnz .LBB141_309
.LBB141_293:
	s_or_b64 exec, exec, s[0:1]
	s_and_saveexec_b64 s[0:1], s[4:5]
.LBB141_294:
	; divergent unreachable
.LBB141_295:
	s_endpgm
.LBB141_296:
	s_and_saveexec_b64 s[0:1], s[8:9]
	s_xor_b64 s[4:5], exec, s[0:1]
	s_cbranch_execz .LBB141_307
; %bb.297:
	s_and_saveexec_b64 s[0:1], s[6:7]
	s_xor_b64 s[6:7], exec, s[0:1]
; %bb.298:
	v_and_b32_e32 v3, 0x8000, v2
	v_mov_b32_e32 v4, 0x8000
	v_mov_b32_e32 v5, 0xffff
	v_cmp_eq_u32_e32 vcc, 0, v3
	v_cndmask_b32_e32 v3, v4, v5, vcc
	v_xor_b32_e32 v35, v3, v2
; %bb.299:
	s_or_b64 exec, exec, s[6:7]
	v_readlane_b32 s6, v44, 6
	v_readlane_b32 s0, v44, 4
	;; [unrolled: 1-line block ×4, first 2 shown]
	s_mov_b32 s8, s0
	s_mul_i32 s0, s0, s7
	s_mul_hi_u32 s1, s8, s6
	s_add_i32 s1, s1, s0
	s_mul_i32 s0, s8, s6
	v_readlane_b32 s6, v44, 12
	v_readlane_b32 s12, v44, 22
	;; [unrolled: 1-line block ×3, first 2 shown]
	s_sub_u32 s0, s6, s0
	v_readlane_b32 s14, v44, 24
	v_readlane_b32 s15, v44, 25
	s_subb_u32 s1, 0, s1
	s_mul_i32 s6, s0, s15
	s_mul_hi_u32 s7, s0, s14
	v_readlane_b32 s13, v44, 23
	s_add_i32 s6, s7, s6
	s_mul_i32 s1, s1, s14
	s_add_i32 s1, s6, s1
	s_mul_i32 s6, s8, s13
	s_mul_hi_u32 s7, s8, s12
	s_add_i32 s7, s7, s6
	s_mul_i32 s6, s8, s12
	s_lshl_b64 s[6:7], s[6:7], 1
	v_readlane_b32 s8, v44, 10
	s_mul_i32 s0, s0, s14
	v_readlane_b32 s9, v44, 11
	s_add_u32 s6, s8, s6
	s_addc_u32 s7, s9, s7
	s_lshl_b64 s[0:1], s[0:1], 1
	s_add_u32 s0, s6, s0
	s_addc_u32 s1, s7, s1
	v_mov_b32_e32 v2, 0
	global_store_short v2, v35, s[0:1]
	s_mov_b64 s[6:7], exec
	v_readlane_b32 s0, v44, 14
	v_readlane_b32 s1, v44, 15
	s_and_b64 s[0:1], s[6:7], s[0:1]
	s_mov_b64 exec, s[0:1]
	s_cbranch_execz .LBB141_306
; %bb.300:
	v_lshlrev_b32_e32 v4, 16, v35
	v_cmp_u_f32_e32 vcc, v4, v4
	s_mov_b64 s[8:9], 0
	v_mov_b32_e32 v5, s55
	s_xor_b64 s[12:13], vcc, -1
                                        ; implicit-def: $sgpr10_sgpr11
                                        ; implicit-def: $sgpr16_sgpr17
                                        ; implicit-def: $sgpr14_sgpr15
	s_branch .LBB141_302
.LBB141_301:                            ;   in Loop: Header=BB141_302 Depth=1
	s_or_b64 exec, exec, s[0:1]
	s_and_b64 s[0:1], exec, s[16:17]
	s_or_b64 s[8:9], s[0:1], s[8:9]
	s_andn2_b64 s[0:1], s[10:11], exec
	s_and_b64 s[10:11], s[14:15], exec
	s_or_b64 s[10:11], s[0:1], s[10:11]
	s_andn2_b64 exec, exec, s[8:9]
	s_cbranch_execz .LBB141_304
.LBB141_302:                            ; =>This Inner Loop Header: Depth=1
	v_pk_mov_b32 v[2:3], v[0:1], v[0:1] op_sel:[0,1]
	v_mul_lo_u32 v6, v3, s68
	v_mul_lo_u32 v7, v2, s69
	v_mad_u64_u32 v[0:1], s[0:1], v2, s68, 0
	v_add3_u32 v1, v1, v7, v6
	v_lshlrev_b64 v[0:1], 1, v[0:1]
	v_add_co_u32_e32 v0, vcc, s33, v0
	v_addc_co_u32_e32 v1, vcc, v5, v1, vcc
	global_load_ushort v0, v[0:1], off
	s_or_b64 s[14:15], s[14:15], exec
	s_or_b64 s[16:17], s[16:17], exec
	s_waitcnt vmcnt(0)
	v_lshlrev_b32_e32 v0, 16, v0
	v_cmp_o_f32_e64 s[0:1], v0, v0
	v_cmp_neq_f32_e32 vcc, v0, v4
	s_or_b64 s[0:1], s[12:13], s[0:1]
	s_and_b64 s[18:19], vcc, s[0:1]
                                        ; implicit-def: $vgpr0_vgpr1
	s_and_saveexec_b64 s[0:1], s[18:19]
	s_cbranch_execz .LBB141_301
; %bb.303:                              ;   in Loop: Header=BB141_302 Depth=1
	v_mov_b32_e32 v1, s84
	v_add_co_u32_e32 v0, vcc, s54, v2
	v_addc_co_u32_e32 v1, vcc, v3, v1, vcc
	v_cmp_le_u64_e32 vcc, s[52:53], v[0:1]
	s_andn2_b64 s[16:17], s[16:17], exec
	s_and_b64 s[18:19], vcc, exec
	s_andn2_b64 s[14:15], s[14:15], exec
	s_or_b64 s[16:17], s[16:17], s[18:19]
	s_branch .LBB141_301
.LBB141_304:
	s_or_b64 exec, exec, s[8:9]
	s_and_saveexec_b64 s[0:1], s[10:11]
	s_xor_b64 s[0:1], exec, s[0:1]
	s_cbranch_execz .LBB141_306
; %bb.305:
	v_readlane_b32 s8, v44, 0
	v_readlane_b32 s0, v44, 2
	;; [unrolled: 1-line block ×4, first 2 shown]
	s_mov_b32 s10, s0
	s_mul_i32 s0, s0, s9
	s_mul_hi_u32 s1, s10, s8
	s_add_i32 s1, s1, s0
	s_mul_i32 s0, s10, s8
	v_readlane_b32 s8, v44, 12
	v_readlane_b32 s12, v44, 18
	v_readlane_b32 s9, v44, 13
	s_sub_u32 s0, s8, s0
	v_readlane_b32 s14, v44, 20
	v_readlane_b32 s15, v44, 21
	s_subb_u32 s1, 0, s1
	s_mul_i32 s8, s0, s15
	s_mul_hi_u32 s9, s0, s14
	v_readlane_b32 s13, v44, 19
	s_add_i32 s8, s9, s8
	s_mul_i32 s1, s1, s14
	s_add_i32 s1, s8, s1
	s_mul_i32 s8, s10, s13
	s_mul_hi_u32 s9, s10, s12
	s_add_i32 s9, s9, s8
	s_mul_i32 s8, s10, s12
	s_lshl_b64 s[8:9], s[8:9], 3
	v_readlane_b32 s10, v44, 8
	s_mul_i32 s0, s0, s14
	v_readlane_b32 s11, v44, 9
	s_add_u32 s8, s10, s8
	s_addc_u32 s9, s11, s9
	s_lshl_b64 s[0:1], s[0:1], 3
	s_add_u32 s0, s8, s0
	s_addc_u32 s1, s9, s1
	v_mov_b32_e32 v0, 0
	global_store_dwordx2 v0, v[2:3], s[0:1]
.LBB141_306:
	s_or_b64 exec, exec, s[6:7]
.LBB141_307:
	s_or_saveexec_b64 s[0:1], s[4:5]
	s_mov_b64 s[4:5], 0
	s_xor_b64 exec, exec, s[0:1]
	s_cbranch_execnz .LBB141_310
.LBB141_308:
	s_or_b64 exec, exec, s[0:1]
	s_and_b64 s[4:5], s[4:5], exec
	s_andn2_saveexec_b64 s[0:1], s[2:3]
	s_cbranch_execz .LBB141_293
.LBB141_309:
	s_or_b64 s[4:5], s[4:5], exec
	s_trap 2
	s_or_b64 exec, exec, s[0:1]
	s_and_saveexec_b64 s[0:1], s[4:5]
	s_cbranch_execnz .LBB141_294
	s_branch .LBB141_295
.LBB141_310:
	s_mov_b64 s[4:5], exec
	s_trap 2
	s_branch .LBB141_308
	.section	.rodata,"a",@progbits
	.p2align	6, 0x0
	.amdhsa_kernel _ZN2at6native12_GLOBAL__N_112gatherMedianIN3c108BFloat16EmLi2EEEvNS_4cuda6detail10TensorInfoIT_T0_EENS7_IlS9_EENS7_IKS8_S9_EES9_S9_S9_b
		.amdhsa_group_segment_fixed_size 5152
		.amdhsa_private_segment_fixed_size 0
		.amdhsa_kernarg_size 1536
		.amdhsa_user_sgpr_count 6
		.amdhsa_user_sgpr_private_segment_buffer 1
		.amdhsa_user_sgpr_dispatch_ptr 0
		.amdhsa_user_sgpr_queue_ptr 0
		.amdhsa_user_sgpr_kernarg_segment_ptr 1
		.amdhsa_user_sgpr_dispatch_id 0
		.amdhsa_user_sgpr_flat_scratch_init 0
		.amdhsa_user_sgpr_kernarg_preload_length 0
		.amdhsa_user_sgpr_kernarg_preload_offset 0
		.amdhsa_user_sgpr_private_segment_size 0
		.amdhsa_uses_dynamic_stack 0
		.amdhsa_system_sgpr_private_segment_wavefront_offset 0
		.amdhsa_system_sgpr_workgroup_id_x 1
		.amdhsa_system_sgpr_workgroup_id_y 1
		.amdhsa_system_sgpr_workgroup_id_z 1
		.amdhsa_system_sgpr_workgroup_info 0
		.amdhsa_system_vgpr_workitem_id 0
		.amdhsa_next_free_vgpr 45
		.amdhsa_next_free_sgpr 96
		.amdhsa_accum_offset 48
		.amdhsa_reserve_vcc 1
		.amdhsa_reserve_flat_scratch 0
		.amdhsa_float_round_mode_32 0
		.amdhsa_float_round_mode_16_64 0
		.amdhsa_float_denorm_mode_32 3
		.amdhsa_float_denorm_mode_16_64 3
		.amdhsa_dx10_clamp 1
		.amdhsa_ieee_mode 1
		.amdhsa_fp16_overflow 0
		.amdhsa_tg_split 0
		.amdhsa_exception_fp_ieee_invalid_op 0
		.amdhsa_exception_fp_denorm_src 0
		.amdhsa_exception_fp_ieee_div_zero 0
		.amdhsa_exception_fp_ieee_overflow 0
		.amdhsa_exception_fp_ieee_underflow 0
		.amdhsa_exception_fp_ieee_inexact 0
		.amdhsa_exception_int_div_zero 0
	.end_amdhsa_kernel
	.section	.text._ZN2at6native12_GLOBAL__N_112gatherMedianIN3c108BFloat16EmLi2EEEvNS_4cuda6detail10TensorInfoIT_T0_EENS7_IlS9_EENS7_IKS8_S9_EES9_S9_S9_b,"axG",@progbits,_ZN2at6native12_GLOBAL__N_112gatherMedianIN3c108BFloat16EmLi2EEEvNS_4cuda6detail10TensorInfoIT_T0_EENS7_IlS9_EENS7_IKS8_S9_EES9_S9_S9_b,comdat
.Lfunc_end141:
	.size	_ZN2at6native12_GLOBAL__N_112gatherMedianIN3c108BFloat16EmLi2EEEvNS_4cuda6detail10TensorInfoIT_T0_EENS7_IlS9_EENS7_IKS8_S9_EES9_S9_S9_b, .Lfunc_end141-_ZN2at6native12_GLOBAL__N_112gatherMedianIN3c108BFloat16EmLi2EEEvNS_4cuda6detail10TensorInfoIT_T0_EENS7_IlS9_EENS7_IKS8_S9_EES9_S9_S9_b
                                        ; -- End function
	.section	.AMDGPU.csdata,"",@progbits
; Kernel info:
; codeLenInByte = 16988
; NumSgprs: 100
; NumVgprs: 45
; NumAgprs: 0
; TotalNumVgprs: 45
; ScratchSize: 0
; MemoryBound: 0
; FloatMode: 240
; IeeeMode: 1
; LDSByteSize: 5152 bytes/workgroup (compile time only)
; SGPRBlocks: 12
; VGPRBlocks: 5
; NumSGPRsForWavesPerEU: 100
; NumVGPRsForWavesPerEU: 45
; AccumOffset: 48
; Occupancy: 8
; WaveLimiterHint : 1
; COMPUTE_PGM_RSRC2:SCRATCH_EN: 0
; COMPUTE_PGM_RSRC2:USER_SGPR: 6
; COMPUTE_PGM_RSRC2:TRAP_HANDLER: 0
; COMPUTE_PGM_RSRC2:TGID_X_EN: 1
; COMPUTE_PGM_RSRC2:TGID_Y_EN: 1
; COMPUTE_PGM_RSRC2:TGID_Z_EN: 1
; COMPUTE_PGM_RSRC2:TIDIG_COMP_CNT: 0
; COMPUTE_PGM_RSRC3_GFX90A:ACCUM_OFFSET: 11
; COMPUTE_PGM_RSRC3_GFX90A:TG_SPLIT: 0
	.section	.text._ZN2at6native12_GLOBAL__N_112gatherMedianIN3c108BFloat16EmLi3EEEvNS_4cuda6detail10TensorInfoIT_T0_EENS7_IlS9_EENS7_IKS8_S9_EES9_S9_S9_b,"axG",@progbits,_ZN2at6native12_GLOBAL__N_112gatherMedianIN3c108BFloat16EmLi3EEEvNS_4cuda6detail10TensorInfoIT_T0_EENS7_IlS9_EENS7_IKS8_S9_EES9_S9_S9_b,comdat
	.globl	_ZN2at6native12_GLOBAL__N_112gatherMedianIN3c108BFloat16EmLi3EEEvNS_4cuda6detail10TensorInfoIT_T0_EENS7_IlS9_EENS7_IKS8_S9_EES9_S9_S9_b ; -- Begin function _ZN2at6native12_GLOBAL__N_112gatherMedianIN3c108BFloat16EmLi3EEEvNS_4cuda6detail10TensorInfoIT_T0_EENS7_IlS9_EENS7_IKS8_S9_EES9_S9_S9_b
	.p2align	8
	.type	_ZN2at6native12_GLOBAL__N_112gatherMedianIN3c108BFloat16EmLi3EEEvNS_4cuda6detail10TensorInfoIT_T0_EENS7_IlS9_EENS7_IKS8_S9_EES9_S9_S9_b,@function
_ZN2at6native12_GLOBAL__N_112gatherMedianIN3c108BFloat16EmLi3EEEvNS_4cuda6detail10TensorInfoIT_T0_EENS7_IlS9_EENS7_IKS8_S9_EES9_S9_S9_b: ; @_ZN2at6native12_GLOBAL__N_112gatherMedianIN3c108BFloat16EmLi3EEEvNS_4cuda6detail10TensorInfoIT_T0_EENS7_IlS9_EENS7_IKS8_S9_EES9_S9_S9_b
; %bb.0:
	s_load_dwordx4 s[52:55], s[4:5], 0x4e0
	s_load_dwordx2 s[12:13], s[4:5], 0x500
	s_add_u32 s14, s4, 0x500
	s_addc_u32 s15, s5, 0
	s_mov_b32 s25, 0
	s_waitcnt lgkmcnt(0)
	v_mov_b32_e32 v2, s54
	s_mul_i32 s0, s13, s8
	s_add_i32 s0, s0, s7
	s_mul_i32 s0, s0, s12
	v_mov_b32_e32 v3, s55
	s_add_i32 s24, s0, s6
	v_cmp_ge_u64_e32 vcc, s[24:25], v[2:3]
	s_cbranch_vccnz .LBB142_301
; %bb.1:
	s_load_dwordx4 s[8:11], s[4:5], 0x10
	s_mov_b64 s[28:29], 0
	s_mov_b64 s[26:27], 0
	s_waitcnt lgkmcnt(0)
	v_pk_mov_b32 v[2:3], s[10:11], s[10:11] op_sel:[0,1]
	v_cmp_lt_u64_e32 vcc, s[24:25], v[2:3]
	s_cbranch_vccnz .LBB142_3
; %bb.2:
	v_cvt_f32_u32_e32 v1, s10
	s_sub_i32 s0, 0, s10
	s_mov_b32 s27, 0
	v_rcp_iflag_f32_e32 v1, v1
	v_mul_f32_e32 v1, 0x4f7ffffe, v1
	v_cvt_u32_f32_e32 v1, v1
	v_readfirstlane_b32 s1, v1
	s_mul_i32 s0, s0, s1
	s_mul_hi_u32 s0, s1, s0
	s_add_i32 s1, s1, s0
	s_mul_hi_u32 s0, s24, s1
	s_mul_i32 s2, s0, s10
	s_sub_i32 s2, s24, s2
	s_add_i32 s1, s0, 1
	s_sub_i32 s3, s2, s10
	s_cmp_ge_u32 s2, s10
	s_cselect_b32 s0, s1, s0
	s_cselect_b32 s2, s3, s2
	s_add_i32 s1, s0, 1
	s_cmp_ge_u32 s2, s10
	s_cselect_b32 s26, s1, s0
.LBB142_3:
	s_load_dwordx4 s[20:23], s[4:5], 0x1b0
                                        ; implicit-def: $vgpr44 : SGPR spill to VGPR lane
	v_pk_mov_b32 v[2:3], s[8:9], s[8:9] op_sel:[0,1]
	v_cmp_lt_u64_e32 vcc, s[26:27], v[2:3]
	s_and_b64 vcc, exec, vcc
	s_waitcnt lgkmcnt(0)
	v_writelane_b32 v44, s20, 0
	v_writelane_b32 v44, s21, 1
	;; [unrolled: 1-line block ×4, first 2 shown]
	s_cbranch_vccnz .LBB142_5
; %bb.4:
	v_cvt_f32_u32_e32 v1, s8
	s_sub_i32 s0, 0, s8
	s_load_dwordx4 s[20:23], s[4:5], 0x1b0
	v_rcp_iflag_f32_e32 v1, v1
	v_mul_f32_e32 v1, 0x4f7ffffe, v1
	v_cvt_u32_f32_e32 v1, v1
	v_readfirstlane_b32 s1, v1
	s_mul_i32 s0, s0, s1
	s_mul_hi_u32 s0, s1, s0
	s_add_i32 s1, s1, s0
	s_mul_hi_u32 s0, s26, s1
	s_mul_i32 s2, s0, s8
	s_sub_i32 s2, s26, s2
	s_add_i32 s1, s0, 1
	s_sub_i32 s3, s2, s8
	s_cmp_ge_u32 s2, s8
	s_cselect_b32 s0, s1, s0
	s_cselect_b32 s2, s3, s2
	s_add_i32 s1, s0, 1
	s_cmp_ge_u32 s2, s8
	s_cselect_b32 s28, s1, s0
.LBB142_5:
	v_writelane_b32 v44, s8, 4
	v_writelane_b32 v44, s9, 5
	;; [unrolled: 1-line block ×4, first 2 shown]
	s_waitcnt lgkmcnt(0)
	v_pk_mov_b32 v[2:3], s[22:23], s[22:23] op_sel:[0,1]
	s_mov_b64 s[0:1], 0
	v_cmp_lt_u64_e32 vcc, s[24:25], v[2:3]
	v_writelane_b32 v44, s0, 8
	v_writelane_b32 v44, s1, 9
	s_mov_b64 s[0:1], 0
	s_cbranch_vccnz .LBB142_7
; %bb.6:
	v_cvt_f32_u32_e32 v1, s22
	s_sub_i32 s0, 0, s22
	s_mov_b32 s9, 0
	v_rcp_iflag_f32_e32 v1, v1
	v_mul_f32_e32 v1, 0x4f7ffffe, v1
	v_cvt_u32_f32_e32 v1, v1
	v_readfirstlane_b32 s1, v1
	s_mul_i32 s0, s0, s1
	s_mul_hi_u32 s0, s1, s0
	s_add_i32 s1, s1, s0
	s_mul_hi_u32 s0, s24, s1
	s_mul_i32 s2, s0, s22
	s_sub_i32 s2, s24, s2
	s_add_i32 s1, s0, 1
	s_sub_i32 s3, s2, s22
	s_cmp_ge_u32 s2, s22
	s_cselect_b32 s0, s1, s0
	s_cselect_b32 s2, s3, s2
	s_add_i32 s1, s0, 1
	s_cmp_ge_u32 s2, s22
	s_cselect_b32 s8, s1, s0
	s_mov_b64 s[0:1], s[8:9]
.LBB142_7:
	s_load_dwordx2 s[76:77], s[4:5], 0x4f0
	s_load_dwordx2 s[16:17], s[4:5], 0x420
	s_mov_b64 s[18:19], s[0:1]
	s_load_dwordx4 s[0:3], s[4:5], 0x410
	s_load_dwordx4 s[8:11], s[4:5], 0x350
	v_pk_mov_b32 v[2:3], s[20:21], s[20:21] op_sel:[0,1]
	v_writelane_b32 v44, s18, 10
	v_cmp_lt_u64_e32 vcc, s[18:19], v[2:3]
	v_writelane_b32 v44, s19, 11
	s_cbranch_vccnz .LBB142_9
; %bb.8:
	s_load_dwordx4 s[20:23], s[4:5], 0x1b0
	s_waitcnt lgkmcnt(0)
	v_readlane_b32 s22, v44, 10
	v_readlane_b32 s23, v44, 11
	v_cvt_f32_u32_e32 v1, s20
	s_sub_i32 s7, 0, s20
	v_rcp_iflag_f32_e32 v1, v1
	v_mul_f32_e32 v1, 0x4f7ffffe, v1
	v_cvt_u32_f32_e32 v1, v1
	v_readfirstlane_b32 s13, v1
	s_mul_i32 s7, s7, s13
	s_mul_hi_u32 s7, s13, s7
	s_add_i32 s13, s13, s7
	s_mul_hi_u32 s7, s22, s13
	s_mul_i32 s18, s7, s20
	s_sub_i32 s18, s22, s18
	s_add_i32 s13, s7, 1
	s_sub_i32 s19, s18, s20
	s_cmp_ge_u32 s18, s20
	s_cselect_b32 s7, s13, s7
	s_cselect_b32 s18, s19, s18
	s_add_i32 s13, s7, 1
	s_cmp_ge_u32 s18, s20
	s_cselect_b32 s18, s13, s7
	v_writelane_b32 v44, s18, 8
	v_writelane_b32 v44, s19, 9
.LBB142_9:
	s_load_dwordx2 s[18:19], s[4:5], 0x340
	s_waitcnt lgkmcnt(0)
	v_pk_mov_b32 v[2:3], s[10:11], s[10:11] op_sel:[0,1]
	v_cmp_lt_u64_e32 vcc, s[24:25], v[2:3]
	s_mov_b64 s[20:21], 0
	s_mov_b64 s[22:23], 0
	s_cbranch_vccnz .LBB142_11
; %bb.10:
	v_cvt_f32_u32_e32 v1, s10
	s_sub_i32 s7, 0, s10
	s_mov_b32 s23, 0
	v_rcp_iflag_f32_e32 v1, v1
	v_mul_f32_e32 v1, 0x4f7ffffe, v1
	v_cvt_u32_f32_e32 v1, v1
	v_readfirstlane_b32 s13, v1
	s_mul_i32 s7, s7, s13
	s_mul_hi_u32 s7, s13, s7
	s_add_i32 s13, s13, s7
	s_mul_hi_u32 s7, s24, s13
	s_mul_i32 s21, s7, s10
	s_sub_i32 s21, s24, s21
	s_add_i32 s13, s7, 1
	s_sub_i32 s22, s21, s10
	s_cmp_ge_u32 s21, s10
	s_cselect_b32 s7, s13, s7
	s_cselect_b32 s21, s22, s21
	s_add_i32 s13, s7, 1
	s_cmp_ge_u32 s21, s10
	s_cselect_b32 s22, s13, s7
.LBB142_11:
	v_writelane_b32 v44, s28, 12
	v_writelane_b32 v44, s29, 13
	;; [unrolled: 1-line block ×4, first 2 shown]
	s_load_dwordx2 s[26:27], s[4:5], 0x280
	s_load_dwordx4 s[28:31], s[4:5], 0x270
	v_pk_mov_b32 v[2:3], s[8:9], s[8:9] op_sel:[0,1]
	v_cmp_lt_u64_e32 vcc, s[22:23], v[2:3]
	s_and_b64 vcc, exec, vcc
	s_waitcnt lgkmcnt(0)
	v_writelane_b32 v44, s26, 16
	v_writelane_b32 v44, s27, 17
	v_writelane_b32 v44, s28, 18
	v_writelane_b32 v44, s29, 19
	s_load_dwordx2 s[26:27], s[4:5], 0xe0
	v_writelane_b32 v44, s30, 20
	v_writelane_b32 v44, s31, 21
	s_load_dwordx4 s[28:31], s[4:5], 0xd0
	s_waitcnt lgkmcnt(0)
	v_writelane_b32 v44, s26, 22
	v_writelane_b32 v44, s27, 23
	;; [unrolled: 1-line block ×6, first 2 shown]
	s_cbranch_vccnz .LBB142_13
; %bb.12:
	v_cvt_f32_u32_e32 v1, s8
	s_sub_i32 s7, 0, s8
	v_rcp_iflag_f32_e32 v1, v1
	v_mul_f32_e32 v1, 0x4f7ffffe, v1
	v_cvt_u32_f32_e32 v1, v1
	v_readfirstlane_b32 s13, v1
	s_mul_i32 s7, s7, s13
	s_mul_hi_u32 s7, s13, s7
	s_add_i32 s13, s13, s7
	s_mul_hi_u32 s7, s22, s13
	s_mul_i32 s20, s7, s8
	s_sub_i32 s20, s22, s20
	s_add_i32 s13, s7, 1
	s_sub_i32 s21, s20, s8
	s_cmp_ge_u32 s20, s8
	s_cselect_b32 s7, s13, s7
	s_cselect_b32 s20, s21, s20
	s_add_i32 s13, s7, 1
	s_cmp_ge_u32 s20, s8
	s_cselect_b32 s20, s13, s7
.LBB142_13:
	s_load_dwordx2 s[26:27], s[4:5], 0x1a0
	s_mul_i32 s7, s22, s11
	s_mul_hi_u32 s11, s22, s10
	s_add_i32 s11, s11, s7
	s_mul_i32 s7, s22, s10
	s_waitcnt lgkmcnt(0)
	v_writelane_b32 v44, s26, 28
	v_writelane_b32 v44, s27, 29
	s_load_dwordx2 s[26:27], s[4:5], 0x0
	s_mov_b32 s10, s24
	s_sub_u32 s7, s24, s7
	s_mul_hi_u32 s13, s7, s16
	s_mul_i32 s1, s20, s1
	s_waitcnt lgkmcnt(0)
	v_writelane_b32 v44, s26, 30
	v_writelane_b32 v44, s27, 31
	;; [unrolled: 1-line block ×4, first 2 shown]
	s_subb_u32 s10, 0, s11
	s_mul_i32 s11, s7, s17
	s_add_i32 s11, s13, s11
	s_mul_i32 s10, s10, s16
	s_add_i32 s11, s11, s10
	s_mul_i32 s10, s7, s16
	s_mul_i32 s7, s20, s9
	s_mul_hi_u32 s9, s20, s8
	s_add_i32 s9, s9, s7
	s_mul_i32 s7, s20, s8
	s_sub_u32 s7, s22, s7
	s_subb_u32 s8, s23, s9
	s_mul_i32 s3, s7, s3
	s_mul_hi_u32 s9, s7, s2
	s_mul_i32 s8, s8, s2
	s_mul_i32 s2, s7, s2
	s_mul_hi_u32 s7, s20, s0
	s_add_i32 s3, s9, s3
	s_add_i32 s1, s7, s1
	s_mul_i32 s0, s20, s0
	s_add_i32 s3, s3, s8
	s_lshl_b64 s[0:1], s[0:1], 1
	s_add_u32 s7, s18, s0
	s_addc_u32 s8, s19, s1
	s_lshl_b64 s[0:1], s[2:3], 1
	s_add_u32 s2, s7, s0
	s_addc_u32 s3, s8, s1
	;; [unrolled: 3-line block ×3, first 2 shown]
	v_mov_b32_e32 v1, 0
	v_pk_mov_b32 v[2:3], 0, 0
	v_cmp_gt_u64_e64 s[0:1], s[52:53], v[0:1]
	s_mov_b64 s[2:3], exec
	v_writelane_b32 v44, s0, 34
	v_writelane_b32 v44, s1, 35
	s_and_b64 s[0:1], s[2:3], s[0:1]
	s_mov_b64 exec, s[0:1]
	s_cbranch_execz .LBB142_17
; %bb.14:
	s_load_dword s0, s[14:15], 0xc
	s_mov_b32 s1, 0
	s_mov_b64 s[8:9], 0
	v_pk_mov_b32 v[2:3], 0, 0
	v_mov_b32_e32 v6, s55
	s_waitcnt lgkmcnt(0)
	s_and_b32 s0, s0, 0xffff
	v_mov_b32_e32 v7, s1
	v_pk_mov_b32 v[4:5], v[0:1], v[0:1] op_sel:[0,1]
.LBB142_15:                             ; =>This Inner Loop Header: Depth=1
	v_mul_lo_u32 v10, v5, s76
	v_mul_lo_u32 v11, v4, s77
	v_mad_u64_u32 v[8:9], s[10:11], v4, s76, 0
	v_add3_u32 v9, v9, v11, v10
	v_lshlrev_b64 v[8:9], 1, v[8:9]
	v_add_co_u32_e32 v8, vcc, s33, v8
	v_addc_co_u32_e32 v9, vcc, v6, v9, vcc
	global_load_ushort v8, v[8:9], off
	v_add_co_u32_e32 v4, vcc, s0, v4
	v_addc_co_u32_e32 v5, vcc, v5, v7, vcc
	v_cmp_le_u64_e32 vcc, s[52:53], v[4:5]
	s_or_b64 s[8:9], vcc, s[8:9]
	s_waitcnt vmcnt(0)
	v_lshlrev_b32_e32 v8, 16, v8
	v_cmp_u_f32_e32 vcc, v8, v8
	v_cndmask_b32_e64 v8, 0, 1, vcc
	v_add_co_u32_e32 v2, vcc, v2, v8
	v_addc_co_u32_e32 v3, vcc, 0, v3, vcc
	s_andn2_b64 exec, exec, s[8:9]
	s_cbranch_execnz .LBB142_15
; %bb.16:
	s_or_b64 exec, exec, s[8:9]
.LBB142_17:
	s_or_b64 exec, exec, s[2:3]
	v_cmp_eq_u32_e64 s[0:1], 0, v0
	s_mov_b64 s[8:9], exec
	v_writelane_b32 v44, s0, 36
	v_writelane_b32 v44, s1, 37
	s_and_b64 s[0:1], s[8:9], s[0:1]
	s_mov_b64 exec, s[0:1]
	s_cbranch_execz .LBB142_19
; %bb.18:
	v_mov_b32_e32 v4, 0
	v_mov_b32_e32 v5, v4
	ds_write_b64 v4, v[4:5] offset:5136
.LBB142_19:
	s_or_b64 exec, exec, s[8:9]
	s_mov_b64 s[10:11], 0
	v_cmp_ne_u64_e32 vcc, 0, v[2:3]
	s_waitcnt lgkmcnt(0)
	s_barrier
	s_and_saveexec_b64 s[8:9], vcc
	s_cbranch_execz .LBB142_24
; %bb.20:
	s_mov_b64 s[16:17], exec
.LBB142_21:                             ; =>This Inner Loop Header: Depth=1
	s_ff1_i32_b64 s0, s[16:17]
	v_readlane_b32 s2, v2, s0
	v_readlane_b32 s1, v3, s0
	s_add_u32 s10, s10, s2
	s_addc_u32 s11, s11, s1
	s_lshl_b64 s[0:1], 1, s0
	s_andn2_b64 s[16:17], s[16:17], s[0:1]
	s_cmp_lg_u64 s[16:17], 0
	s_cbranch_scc1 .LBB142_21
; %bb.22:
	v_mbcnt_lo_u32_b32 v2, exec_lo, 0
	v_mbcnt_hi_u32_b32 v2, exec_hi, v2
	v_cmp_eq_u32_e32 vcc, 0, v2
	s_and_saveexec_b64 s[0:1], vcc
	s_xor_b64 s[0:1], exec, s[0:1]
	s_cbranch_execz .LBB142_24
; %bb.23:
	v_mov_b32_e32 v4, 0
	v_pk_mov_b32 v[2:3], s[10:11], s[10:11] op_sel:[0,1]
	ds_add_u64 v4, v[2:3] offset:5136
.LBB142_24:
	s_or_b64 exec, exec, s[8:9]
	v_mov_b32_e32 v11, 0
	s_waitcnt lgkmcnt(0)
	s_barrier
	ds_read_b64 v[2:3], v11 offset:5136
	s_waitcnt lgkmcnt(0)
	v_readfirstlane_b32 s8, v2
	v_readfirstlane_b32 s9, v3
	s_mov_b64 s[10:11], exec
	v_readlane_b32 s0, v44, 36
	v_readlane_b32 s1, v44, 37
	s_and_b64 s[0:1], s[10:11], s[0:1]
	s_mov_b64 exec, s[0:1]
	s_cbranch_execz .LBB142_26
; %bb.25:
	v_mov_b32_e32 v2, 0
	v_mov_b32_e32 v4, s52
	;; [unrolled: 1-line block ×4, first 2 shown]
	ds_write_b32 v2, v2 offset:5144
	ds_write_b128 v2, v[2:5] offset:5120
.LBB142_26:
	s_or_b64 exec, exec, s[10:11]
	s_load_dword s2, s[4:5], 0x4f8
	v_cmp_lt_i64_e64 s[0:1], s[8:9], 1
	v_mbcnt_lo_u32_b32 v2, -1, 0
	v_mbcnt_hi_u32_b32 v22, -1, v2
	v_mov_b32_e32 v2, 0x600
	s_waitcnt lgkmcnt(0)
	s_bitcmp1_b32 s2, 0
	s_cselect_b64 s[2:3], -1, 0
	s_not_b64 s[4:5], s[8:9]
	s_or_b64 s[0:1], s[2:3], s[0:1]
	s_add_u32 s2, s4, s52
	s_addc_u32 s3, s5, s53
	s_lshr_b64 s[2:3], s[2:3], 1
	s_add_u32 s2, s2, 1
	s_addc_u32 s3, s3, 0
	s_and_b64 s[0:1], s[0:1], exec
	v_cmp_gt_u32_e64 s[0:1], 2, v0
	v_writelane_b32 v44, s0, 38
	v_mov_b32_e32 v3, 0
	v_writelane_b32 v44, s1, 39
	v_cmp_gt_u64_e64 s[0:1], s[52:53], v[2:3]
	v_writelane_b32 v44, s0, 40
	v_writelane_b32 v44, s1, 41
	v_mad_u64_u32 v[2:3], s[0:1], v0, s76, 0
	v_mov_b32_e32 v4, v3
	v_mad_u64_u32 v[4:5], s[0:1], v0, s77, v[4:5]
	s_barrier
	s_load_dword s0, s[14:15], 0xc
	v_cmp_gt_u32_e32 vcc, 64, v0
	v_cmp_gt_i32_e64 s[8:9], 4, v22
	s_cselect_b32 s95, s3, s53
	s_cselect_b32 s94, s2, s52
	s_and_b64 s[66:67], vcc, s[8:9]
	s_waitcnt lgkmcnt(0)
	s_and_b32 s54, s0, 0xffff
	s_bfe_u32 s1, s0, 0xa0006
	v_cmp_gt_u16_e64 s[2:3], s0, 63
	s_add_u32 s93, s54, -1
	v_writelane_b32 v44, s2, 42
	s_addc_u32 s0, 0, -1
	v_writelane_b32 v44, s3, 43
	s_add_u32 s3, s93, s52
	s_addc_u32 s83, s0, s53
	s_cmp_lt_u32 s6, s12
	v_writelane_b32 v44, s0, 44
	s_cselect_b32 s0, 12, 18
	s_add_u32 s64, s14, s0
	s_addc_u32 s65, s15, 0
	s_add_i32 s0, s1, -1
	s_bfe_u32 s2, s54, 0x30006
	s_cmp_gt_u32 s0, 6
	v_mov_b32_e32 v3, v4
	s_cselect_b64 s[6:7], -1, 0
	v_lshlrev_b64 v[2:3], 1, v[2:3]
	v_writelane_b32 v44, s6, 45
	s_and_b32 s85, s1, 0x3f8
	v_add_co_u32_e32 v14, vcc, s33, v2
	v_lshrrev_b32_e32 v2, 4, v0
	v_writelane_b32 v44, s7, 46
	s_cmp_lg_u32 s2, 0
	v_mov_b32_e32 v25, s55
	v_and_b32_e32 v26, 60, v2
	v_lshlrev_b32_e32 v2, 2, v22
	v_writelane_b32 v44, s2, 47
	s_cselect_b64 s[0:1], -1, 0
	v_addc_co_u32_e32 v15, vcc, v25, v3, vcc
	v_and_b32_e32 v27, 0x100, v2
	v_lshlrev_b64 v[2:3], v22, -1
	v_writelane_b32 v44, s0, 48
	s_mov_b32 s91, 0
	v_lshlrev_b32_e32 v23, 1, v0
	v_not_b32_e32 v16, v2
	v_writelane_b32 v44, s1, 49
	v_mov_b32_e32 v2, 0xc00
	v_mov_b32_e32 v13, 0
	v_cmp_eq_u32_e64 s[4:5], 0, v22
	v_add_u32_e32 v24, 0xc00, v23
	v_lshlrev_b32_e32 v12, 2, v0
	v_not_b32_e32 v17, v3
	s_mov_b32 s84, s91
	v_lshlrev_b32_e32 v28, 3, v0
	v_lshl_or_b32 v29, v22, 3, v2
	s_lshl_b32 s2, s54, 1
	s_mov_b32 s1, 14
	s_mov_b64 s[86:87], 0
	s_movk_i32 s0, 0x3f80
	v_mov_b32_e32 v30, 0xffff
	v_mov_b32_e32 v31, 0x8000
	;; [unrolled: 1-line block ×3, first 2 shown]
	v_mov_b32_e32 v33, -1
	v_mov_b32_e32 v34, 0x5040100
	v_mov_b32_e32 v35, 0
	s_mov_b32 s26, 0
	s_mov_b32 s92, 0
	;; [unrolled: 1-line block ×3, first 2 shown]
	v_writelane_b32 v44, s66, 50
                                        ; implicit-def: $sgpr70_sgpr71
                                        ; implicit-def: $sgpr80_sgpr81
                                        ; implicit-def: $sgpr74_sgpr75
                                        ; implicit-def: $sgpr68_sgpr69
                                        ; implicit-def: $sgpr56_sgpr57
                                        ; implicit-def: $sgpr58_sgpr59
	v_writelane_b32 v44, s67, 51
	s_branch .LBB142_31
.LBB142_27:                             ;   in Loop: Header=BB142_31 Depth=1
	s_xor_b32 s26, s26, 1
	s_add_i32 s14, s1, -2
	s_cmp_eq_u32 s1, 0
	s_mov_b64 s[8:9], 0
	s_cselect_b64 s[10:11], -1, 0
	s_mov_b32 s1, s14
.LBB142_28:                             ;   in Loop: Header=BB142_31 Depth=1
	s_andn2_b64 s[14:15], s[20:21], exec
	s_and_b64 s[8:9], s[8:9], exec
	s_or_b64 s[20:21], s[14:15], s[8:9]
	s_andn2_b64 s[22:23], s[22:23], exec
	s_andn2_b64 s[18:19], s[18:19], exec
	s_orn2_b64 s[14:15], s[10:11], exec
.LBB142_29:                             ;   in Loop: Header=BB142_31 Depth=1
	s_or_b64 exec, exec, s[6:7]
	s_andn2_b64 s[6:7], s[58:59], exec
	s_and_b64 s[8:9], s[20:21], exec
	s_or_b64 s[58:59], s[6:7], s[8:9]
	s_andn2_b64 s[6:7], s[56:57], exec
	s_and_b64 s[8:9], s[22:23], exec
	s_or_b64 s[56:57], s[6:7], s[8:9]
	;; [unrolled: 3-line block ×3, first 2 shown]
	s_orn2_b64 s[18:19], s[14:15], exec
.LBB142_30:                             ;   in Loop: Header=BB142_31 Depth=1
	s_or_b64 exec, exec, s[12:13]
	s_and_b64 s[6:7], exec, s[18:19]
	s_or_b64 s[86:87], s[6:7], s[86:87]
	s_andn2_b64 s[6:7], s[74:75], exec
	s_and_b64 s[8:9], s[58:59], exec
	s_or_b64 s[74:75], s[6:7], s[8:9]
	s_andn2_b64 s[6:7], s[80:81], exec
	s_and_b64 s[8:9], s[56:57], exec
	;; [unrolled: 3-line block ×3, first 2 shown]
	v_mov_b32_e32 v2, s92
	s_or_b64 s[70:71], s[6:7], s[8:9]
	s_andn2_b64 exec, exec, s[86:87]
	s_cbranch_execz .LBB142_297
.LBB142_31:                             ; =>This Loop Header: Depth=1
                                        ;     Child Loop BB142_36 Depth 2
                                        ;     Child Loop BB142_51 Depth 2
	;; [unrolled: 1-line block ×16, first 2 shown]
	ds_read_b128 v[2:5], v11 offset:5120
	s_waitcnt lgkmcnt(0)
	v_readfirstlane_b32 s73, v3
	v_readfirstlane_b32 s72, v2
	s_cmp_lg_u64 s[72:73], 0
	s_cbranch_scc1 .LBB142_58
; %bb.32:                               ;   in Loop: Header=BB142_31 Depth=1
	v_readlane_b32 s6, v44, 40
	v_readlane_b32 s7, v44, 41
	s_and_b64 vcc, exec, s[6:7]
	s_cbranch_vccz .LBB142_44
; %bb.33:                               ;   in Loop: Header=BB142_31 Depth=1
	s_mov_b64 s[6:7], 0x601
	v_cmp_gt_u64_e32 vcc, s[6:7], v[4:5]
	s_mov_b64 s[72:73], 0
	s_mov_b64 s[6:7], 0
	s_cbranch_vccz .LBB142_45
; %bb.34:                               ;   in Loop: Header=BB142_31 Depth=1
	global_load_ushort v5, v[14:15], off
	global_load_ushort v4, v11, s[64:65]
	s_mov_b64 s[8:9], 0
	v_pk_mov_b32 v[2:3], v[0:1], v[0:1] op_sel:[0,1]
	s_branch .LBB142_36
.LBB142_35:                             ;   in Loop: Header=BB142_36 Depth=2
	s_or_b64 exec, exec, s[6:7]
	s_waitcnt vmcnt(0)
	v_mov_b32_e32 v5, v6
	s_andn2_b64 exec, exec, s[8:9]
	s_cbranch_execz .LBB142_161
.LBB142_36:                             ;   Parent Loop BB142_31 Depth=1
                                        ; =>  This Inner Loop Header: Depth=2
	s_waitcnt vmcnt(0)
	v_add_co_u32_sdwa v2, vcc, v2, v4 dst_sel:DWORD dst_unused:UNUSED_PAD src0_sel:DWORD src1_sel:WORD_0
	v_addc_co_u32_e32 v3, vcc, 0, v3, vcc
	v_cmp_gt_u64_e64 s[6:7], s[52:53], v[2:3]
	v_cmp_le_u64_e32 vcc, s[52:53], v[2:3]
	s_waitcnt lgkmcnt(0)
	v_mov_b32_e32 v7, 0
	v_mov_b32_e32 v6, 0
	s_and_saveexec_b64 s[10:11], s[6:7]
	s_cbranch_execz .LBB142_38
; %bb.37:                               ;   in Loop: Header=BB142_36 Depth=2
	v_mul_lo_u32 v6, v3, s76
	v_mul_lo_u32 v10, v2, s77
	v_mad_u64_u32 v[8:9], s[6:7], v2, s76, 0
	v_add3_u32 v9, v9, v10, v6
	v_lshlrev_b64 v[8:9], 1, v[8:9]
	v_add_co_u32_e64 v8, s[6:7], s33, v8
	v_addc_co_u32_e64 v9, s[6:7], v25, v9, s[6:7]
	global_load_ushort v6, v[8:9], off
.LBB142_38:                             ;   in Loop: Header=BB142_36 Depth=2
	s_or_b64 exec, exec, s[10:11]
	v_cmp_lt_i16_e64 s[6:7], -1, v5
	v_cndmask_b32_e64 v8, v30, v31, s[6:7]
	v_lshlrev_b32_e32 v9, 16, v5
	v_xor_b32_sdwa v8, v8, v5 dst_sel:DWORD dst_unused:UNUSED_PAD src0_sel:DWORD src1_sel:WORD_0
	v_cmp_o_f32_e64 s[6:7], v9, v9
	v_cndmask_b32_e64 v8, v30, v8, s[6:7]
	v_and_b32_e32 v8, s27, v8
	v_cmp_eq_u32_e64 s[10:11], s92, v8
	s_cmp_lg_u64 s[10:11], 0
	s_cselect_b64 s[6:7], -1, 0
	s_and_b64 s[6:7], s[4:5], s[6:7]
	s_and_saveexec_b64 s[12:13], s[6:7]
	s_cbranch_execz .LBB142_42
; %bb.39:                               ;   in Loop: Header=BB142_36 Depth=2
	s_mov_b64 s[16:17], exec
	v_mbcnt_lo_u32_b32 v7, s16, 0
	v_mbcnt_hi_u32_b32 v7, s17, v7
	s_bcnt1_i32_b64 s18, s[10:11]
	v_cmp_eq_u32_e64 s[6:7], 0, v7
                                        ; implicit-def: $vgpr8
	s_and_saveexec_b64 s[14:15], s[6:7]
	s_cbranch_execz .LBB142_41
; %bb.40:                               ;   in Loop: Header=BB142_36 Depth=2
	s_bcnt1_i32_b64 s6, s[16:17]
	s_mul_i32 s6, s18, s6
	v_mov_b32_e32 v8, s6
	ds_add_rtn_u32 v8, v11, v8 offset:5144
.LBB142_41:                             ;   in Loop: Header=BB142_36 Depth=2
	s_or_b64 exec, exec, s[14:15]
	s_waitcnt lgkmcnt(0)
	v_readfirstlane_b32 s6, v8
	v_mov_b32_e32 v8, s6
	v_mad_u32_u24 v7, s18, v7, v8
.LBB142_42:                             ;   in Loop: Header=BB142_36 Depth=2
	s_or_b64 exec, exec, s[12:13]
	ds_bpermute_b32 v7, v27, v7
	s_and_b64 s[6:7], exec, vcc
	s_or_b64 s[8:9], s[6:7], s[8:9]
	s_and_saveexec_b64 s[6:7], s[10:11]
	s_cbranch_execz .LBB142_35
; %bb.43:                               ;   in Loop: Header=BB142_36 Depth=2
	v_and_b32_e32 v9, s10, v16
	v_and_b32_e32 v8, s11, v17
	v_bcnt_u32_b32 v9, v9, 0
	v_bcnt_u32_b32 v8, v8, v9
	v_lshlrev_b32_e32 v8, 1, v8
	s_waitcnt lgkmcnt(0)
	v_lshl_add_u32 v7, v7, 1, v8
	ds_write_b16 v7, v5
	s_branch .LBB142_35
.LBB142_44:                             ;   in Loop: Header=BB142_31 Depth=1
	s_mov_b64 s[72:73], -1
	s_mov_b64 s[6:7], 0
.LBB142_45:                             ;   in Loop: Header=BB142_31 Depth=1
	s_and_b64 vcc, exec, s[72:73]
	s_cbranch_vccz .LBB142_56
.LBB142_46:                             ;   in Loop: Header=BB142_31 Depth=1
	v_mov_b32_e32 v4, 0
	s_mov_b64 s[6:7], exec
	v_readlane_b32 s8, v44, 34
	v_readlane_b32 s9, v44, 35
	s_and_b64 s[8:9], s[6:7], s[8:9]
	s_mov_b64 exec, s[8:9]
	s_cbranch_execz .LBB142_48
; %bb.47:                               ;   in Loop: Header=BB142_31 Depth=1
	global_load_ushort v4, v[14:15], off
.LBB142_48:                             ;   in Loop: Header=BB142_31 Depth=1
	s_or_b64 exec, exec, s[6:7]
	s_mov_b64 s[8:9], exec
	v_readlane_b32 s6, v44, 34
	v_readlane_b32 s7, v44, 35
	s_and_b64 s[6:7], s[8:9], s[6:7]
	s_mov_b64 exec, s[6:7]
	s_cbranch_execz .LBB142_53
; %bb.49:                               ;   in Loop: Header=BB142_31 Depth=1
	global_load_ushort v2, v11, s[64:65]
	s_mov_b64 s[10:11], 0
	v_mov_b32_e32 v5, v23
	s_waitcnt vmcnt(0)
	v_and_b32_e32 v6, 0xffff, v2
	v_lshlrev_b32_e32 v7, 1, v6
	v_pk_mov_b32 v[2:3], v[0:1], v[0:1] op_sel:[0,1]
	s_branch .LBB142_51
.LBB142_50:                             ;   in Loop: Header=BB142_51 Depth=2
	s_or_b64 exec, exec, s[12:13]
	s_and_b64 s[6:7], exec, vcc
	s_or_b64 s[10:11], s[6:7], s[10:11]
	ds_write_b16 v5, v4
	v_add_u32_e32 v5, v5, v7
	s_waitcnt vmcnt(0)
	v_mov_b32_e32 v4, v8
	s_andn2_b64 exec, exec, s[10:11]
	s_cbranch_execz .LBB142_53
.LBB142_51:                             ;   Parent Loop BB142_31 Depth=1
                                        ; =>  This Inner Loop Header: Depth=2
	v_add_co_u32_e32 v2, vcc, v2, v6
	v_addc_co_u32_e32 v3, vcc, 0, v3, vcc
	v_cmp_gt_u64_e64 s[6:7], s[52:53], v[2:3]
	v_cmp_le_u64_e32 vcc, s[52:53], v[2:3]
	v_mov_b32_e32 v8, 0
	s_and_saveexec_b64 s[12:13], s[6:7]
	s_cbranch_execz .LBB142_50
; %bb.52:                               ;   in Loop: Header=BB142_51 Depth=2
	v_mul_lo_u32 v10, v3, s76
	v_mul_lo_u32 v18, v2, s77
	v_mad_u64_u32 v[8:9], s[6:7], v2, s76, 0
	v_add3_u32 v9, v9, v18, v10
	v_lshlrev_b64 v[8:9], 1, v[8:9]
	v_mov_b32_e32 v10, s55
	v_add_co_u32_e64 v8, s[6:7], s33, v8
	v_addc_co_u32_e64 v9, s[6:7], v10, v9, s[6:7]
	global_load_ushort v8, v[8:9], off
	s_branch .LBB142_50
.LBB142_53:                             ;   in Loop: Header=BB142_31 Depth=1
	s_or_b64 exec, exec, s[8:9]
	s_waitcnt lgkmcnt(0)
	s_barrier
	s_mov_b64 s[6:7], exec
	v_readlane_b32 s8, v44, 36
	v_readlane_b32 s9, v44, 37
	s_and_b64 s[8:9], s[6:7], s[8:9]
	s_mov_b64 exec, s[8:9]
	s_cbranch_execz .LBB142_55
; %bb.54:                               ;   in Loop: Header=BB142_31 Depth=1
	v_pk_mov_b32 v[2:3], s[52:53], s[52:53] op_sel:[0,1]
	ds_write_b64 v11, v[2:3] offset:5120
.LBB142_55:                             ;   in Loop: Header=BB142_31 Depth=1
	s_or_b64 exec, exec, s[6:7]
	s_mov_b64 s[6:7], -1
	s_waitcnt lgkmcnt(0)
	s_barrier
                                        ; implicit-def: $sgpr72_sgpr73
.LBB142_56:                             ;   in Loop: Header=BB142_31 Depth=1
	s_and_b64 vcc, exec, s[6:7]
	s_cbranch_vccz .LBB142_58
; %bb.57:                               ;   in Loop: Header=BB142_31 Depth=1
	ds_read_b64 v[2:3], v11 offset:5120
	s_waitcnt lgkmcnt(0)
	v_readfirstlane_b32 s72, v2
.LBB142_58:                             ;   in Loop: Header=BB142_31 Depth=1
	s_cmp_lt_i32 s72, 1
	s_cbranch_scc0 .LBB142_73
; %bb.59:                               ;   in Loop: Header=BB142_31 Depth=1
	global_load_ushort v36, v11, s[64:65]
	s_mov_b32 s6, s91
	s_waitcnt vmcnt(0)
	v_readfirstlane_b32 s7, v36
	s_and_b32 s7, 0xffff, s7
	s_lshl_b32 s73, s7, 2
	s_mov_b32 s7, s53
	s_cmp_lg_u64 s[6:7], 0
	s_cbranch_scc0 .LBB142_93
; %bb.60:                               ;   in Loop: Header=BB142_31 Depth=1
	v_cvt_f32_u32_e32 v2, s73
	s_sub_u32 s6, 0, s73
	s_subb_u32 s7, 0, 0
	v_mac_f32_e32 v2, 0, v32
	v_rcp_f32_e32 v2, v2
	v_mul_f32_e32 v2, 0x5f7ffffc, v2
	v_mul_f32_e32 v3, 0x2f800000, v2
	v_trunc_f32_e32 v3, v3
	v_mac_f32_e32 v2, 0xcf800000, v3
	v_cvt_u32_f32_e32 v3, v3
	v_cvt_u32_f32_e32 v2, v2
	v_readfirstlane_b32 s8, v3
	v_readfirstlane_b32 s9, v2
	s_mul_i32 s10, s6, s8
	s_mul_hi_u32 s12, s6, s9
	s_mul_i32 s11, s7, s9
	s_add_i32 s10, s12, s10
	s_mul_i32 s13, s6, s9
	s_add_i32 s10, s10, s11
	s_mul_hi_u32 s12, s9, s13
	s_mul_hi_u32 s11, s9, s10
	s_mul_i32 s9, s9, s10
	s_add_u32 s9, s12, s9
	s_addc_u32 s11, 0, s11
	s_mul_hi_u32 s14, s8, s13
	s_mul_i32 s13, s8, s13
	s_add_u32 s9, s9, s13
	s_mul_hi_u32 s12, s8, s10
	s_addc_u32 s9, s11, s14
	s_addc_u32 s11, s12, 0
	s_mul_i32 s10, s8, s10
	s_add_u32 s9, s9, s10
	s_addc_u32 s10, 0, s11
	v_add_co_u32_e32 v2, vcc, s9, v2
	s_cmp_lg_u64 vcc, 0
	s_addc_u32 s8, s8, s10
	v_readfirstlane_b32 s10, v2
	s_mul_i32 s9, s6, s8
	s_mul_hi_u32 s11, s6, s10
	s_add_i32 s9, s11, s9
	s_mul_i32 s7, s7, s10
	s_add_i32 s9, s9, s7
	s_mul_i32 s6, s6, s10
	s_mul_hi_u32 s11, s8, s6
	s_mul_i32 s12, s8, s6
	s_mul_i32 s14, s10, s9
	s_mul_hi_u32 s6, s10, s6
	s_mul_hi_u32 s13, s10, s9
	s_add_u32 s6, s6, s14
	s_addc_u32 s10, 0, s13
	s_add_u32 s6, s6, s12
	s_mul_hi_u32 s7, s8, s9
	s_addc_u32 s6, s10, s11
	s_addc_u32 s7, s7, 0
	s_mul_i32 s9, s8, s9
	s_add_u32 s6, s6, s9
	s_addc_u32 s7, 0, s7
	v_add_co_u32_e32 v2, vcc, s6, v2
	s_cmp_lg_u64 vcc, 0
	s_addc_u32 s6, s8, s7
	v_readfirstlane_b32 s9, v2
	s_mul_i32 s8, s52, s6
	s_mul_hi_u32 s10, s52, s9
	s_mul_hi_u32 s7, s52, s6
	s_add_u32 s8, s10, s8
	s_addc_u32 s7, 0, s7
	s_mul_hi_u32 s11, s53, s9
	s_mul_i32 s9, s53, s9
	s_add_u32 s8, s8, s9
	s_mul_hi_u32 s10, s53, s6
	s_addc_u32 s7, s7, s11
	s_addc_u32 s8, s10, 0
	s_mul_i32 s6, s53, s6
	s_add_u32 s6, s7, s6
	s_addc_u32 s7, 0, s8
	s_mul_hi_u32 s8, s73, s6
	s_mul_i32 s6, s73, s6
	s_mul_i32 s7, s73, s7
	v_mov_b32_e32 v2, s6
	s_add_i32 s8, s8, s7
	v_sub_co_u32_e32 v2, vcc, s52, v2
	s_cmp_lg_u64 vcc, 0
	s_subb_u32 s6, s53, s8
	v_subrev_co_u32_e32 v3, vcc, s73, v2
	s_cmp_lg_u64 vcc, 0
	s_subb_u32 s7, s6, 0
	v_subrev_co_u32_e32 v4, vcc, s73, v3
	s_cmp_lg_u64 vcc, 0
	s_subb_u32 s8, s7, 0
	v_cmp_le_u32_e32 vcc, s73, v3
	s_cmp_eq_u32 s7, 0
	v_cndmask_b32_e64 v5, 0, -1, vcc
	s_cselect_b64 vcc, -1, 0
	v_cndmask_b32_e32 v5, -1, v5, vcc
	v_mov_b32_e32 v6, s7
	v_mov_b32_e32 v7, s8
	v_cmp_ne_u32_e32 vcc, 0, v5
	v_cndmask_b32_e32 v5, v6, v7, vcc
	v_cndmask_b32_e32 v4, v3, v4, vcc
	v_cmp_le_u32_e32 vcc, s73, v2
	s_cmp_eq_u32 s6, 0
	v_cndmask_b32_e64 v3, 0, -1, vcc
	s_cselect_b64 vcc, -1, 0
	v_cndmask_b32_e32 v3, -1, v3, vcc
	v_mov_b32_e32 v6, s6
	v_cmp_ne_u32_e32 vcc, 0, v3
	v_cndmask_b32_e32 v3, v6, v5, vcc
	v_cndmask_b32_e32 v2, v2, v4, vcc
	s_cbranch_execnz .LBB142_62
.LBB142_61:                             ;   in Loop: Header=BB142_31 Depth=1
	v_cvt_f32_u32_e32 v2, s73
	s_sub_i32 s6, 0, s73
	v_rcp_iflag_f32_e32 v2, v2
	v_mul_f32_e32 v2, 0x4f7ffffe, v2
	v_cvt_u32_f32_e32 v2, v2
	v_mul_lo_u32 v3, s6, v2
	v_mul_hi_u32 v3, v2, v3
	v_add_u32_e32 v2, v2, v3
	v_mul_hi_u32 v2, s52, v2
	v_mul_lo_u32 v2, v2, s73
	v_sub_u32_e32 v2, s52, v2
	v_subrev_u32_e32 v3, s73, v2
	v_cmp_le_u32_e32 vcc, s73, v2
	v_cndmask_b32_e32 v2, v2, v3, vcc
	v_subrev_u32_e32 v3, s73, v2
	v_cmp_le_u32_e32 vcc, s73, v2
	v_cndmask_b32_e32 v10, v2, v3, vcc
	v_pk_mov_b32 v[2:3], v[10:11], v[10:11] op_sel:[0,1]
.LBB142_62:                             ;   in Loop: Header=BB142_31 Depth=1
	v_mov_b32_e32 v4, s53
	v_sub_co_u32_e32 v18, vcc, s52, v2
	v_subb_co_u32_e32 v19, vcc, v4, v3, vcc
	v_pk_mov_b32 v[2:3], 0, 0
	v_cmp_gt_u64_e32 vcc, v[18:19], v[12:13]
	s_mov_b64 s[60:61], 0
	v_pk_mov_b32 v[4:5], v[2:3], v[2:3] op_sel:[0,1]
	v_pk_mov_b32 v[6:7], v[2:3], v[2:3] op_sel:[0,1]
	;; [unrolled: 1-line block ×3, first 2 shown]
	s_and_saveexec_b64 s[50:51], vcc
	s_cbranch_execz .LBB142_66
; %bb.63:                               ;   in Loop: Header=BB142_31 Depth=1
	s_and_b32 s82, s1, 0xfe
	s_mov_b64 s[62:63], 0
	s_mov_b64 s[78:79], 0
	;; [unrolled: 1-line block ×4, first 2 shown]
	v_pk_mov_b32 v[20:21], v[12:13], v[12:13] op_sel:[0,1]
.LBB142_64:                             ;   Parent Loop BB142_31 Depth=1
                                        ; =>  This Inner Loop Header: Depth=2
	v_mul_lo_u32 v4, v21, s76
	v_mul_lo_u32 v5, v20, s77
	v_mad_u64_u32 v[2:3], s[6:7], v20, s76, 0
	v_add3_u32 v3, v3, v5, v4
	v_lshlrev_b64 v[2:3], 1, v[2:3]
	v_mov_b32_e32 v6, s55
	v_add_co_u32_e64 v2, s[6:7], s33, v2
	s_lshl_b64 s[8:9], s[76:77], 1
	v_addc_co_u32_e64 v3, s[6:7], v6, v3, s[6:7]
	v_mov_b32_e32 v4, s9
	global_load_ushort v5, v[2:3], off
	v_add_co_u32_e64 v2, s[6:7], s8, v2
	v_addc_co_u32_e64 v3, s[6:7], v3, v4, s[6:7]
	global_load_ushort v6, v[2:3], off
	v_add_co_u32_e64 v2, s[6:7], s8, v2
	v_addc_co_u32_e64 v3, s[6:7], v3, v4, s[6:7]
	;; [unrolled: 3-line block ×3, first 2 shown]
	global_load_ushort v2, v[2:3], off
	v_add_co_u32_e32 v20, vcc, s73, v20
	v_addc_co_u32_e32 v21, vcc, 0, v21, vcc
	v_cmp_ge_u64_e32 vcc, v[20:21], v[18:19]
	s_waitcnt vmcnt(3)
	v_cmp_lt_i16_e64 s[6:7], -1, v5
	v_lshlrev_b32_e32 v3, 16, v5
	v_cndmask_b32_e64 v4, v30, v31, s[6:7]
	v_xor_b32_sdwa v4, v4, v5 dst_sel:DWORD dst_unused:UNUSED_PAD src0_sel:DWORD src1_sel:WORD_0
	s_waitcnt vmcnt(2)
	v_cmp_lt_i16_e64 s[6:7], -1, v6
	v_cndmask_b32_e64 v5, v30, v31, s[6:7]
	v_cmp_o_f32_e64 s[6:7], v3, v3
	v_lshlrev_b32_e32 v8, 16, v6
	v_cndmask_b32_e64 v4, v30, v4, s[6:7]
	s_waitcnt vmcnt(1)
	v_cmp_lt_i16_e64 s[6:7], -1, v7
	v_xor_b32_sdwa v5, v5, v6 dst_sel:DWORD dst_unused:UNUSED_PAD src0_sel:DWORD src1_sel:WORD_0
	v_cndmask_b32_e64 v6, v30, v31, s[6:7]
	v_cmp_o_f32_e64 s[6:7], v8, v8
	v_lshlrev_b32_e32 v3, 16, v7
	v_cndmask_b32_e64 v5, v30, v5, s[6:7]
	s_waitcnt vmcnt(0)
	v_cmp_lt_i16_e64 s[6:7], -1, v2
	v_lshlrev_b32_e32 v8, 16, v2
	v_xor_b32_sdwa v6, v6, v7 dst_sel:DWORD dst_unused:UNUSED_PAD src0_sel:DWORD src1_sel:WORD_0
	v_cndmask_b32_e64 v7, v30, v31, s[6:7]
	v_and_b32_e32 v9, s27, v4
	v_bfe_u32 v4, v4, s82, 2
	v_cmp_o_f32_e64 s[6:7], v3, v3
	v_cndmask_b32_e64 v3, v30, v6, s[6:7]
	v_xor_b32_sdwa v2, v7, v2 dst_sel:DWORD dst_unused:UNUSED_PAD src0_sel:DWORD src1_sel:WORD_0
	v_cmp_eq_u32_e64 s[10:11], s92, v9
	v_cmp_eq_u32_e64 s[6:7], 0, v4
	v_cmp_o_f32_e64 s[12:13], v8, v8
	v_and_b32_e32 v6, s27, v5
	v_bfe_u32 v5, v5, s82, 2
	v_cmp_eq_u32_e64 s[28:29], 1, v4
	v_cmp_eq_u32_e64 s[30:31], 2, v4
	;; [unrolled: 1-line block ×3, first 2 shown]
	v_cndmask_b32_e64 v2, v30, v2, s[12:13]
	v_and_b32_e32 v4, s27, v3
	v_bfe_u32 v3, v3, s82, 2
	s_and_b64 s[6:7], s[10:11], s[6:7]
	v_cmp_eq_u32_e64 s[12:13], s92, v6
	v_cmp_eq_u32_e64 s[22:23], 0, v5
	;; [unrolled: 1-line block ×5, first 2 shown]
	v_cndmask_b32_e64 v5, 0, 1, s[6:7]
	v_cmp_eq_u32_e64 s[18:19], s92, v4
	v_and_b32_e32 v4, s27, v2
	v_bfe_u32 v2, v2, s82, 2
	v_cmp_eq_u32_e64 s[6:7], 0, v3
	s_and_b64 s[8:9], s[12:13], s[22:23]
	v_cmp_eq_u32_e64 s[22:23], s92, v4
	v_cmp_eq_u32_e64 s[44:45], 0, v2
	s_and_b64 s[6:7], s[18:19], s[6:7]
	v_cmp_eq_u32_e64 s[38:39], 1, v3
	v_cmp_eq_u32_e64 s[40:41], 2, v3
	v_cmp_eq_u32_e64 s[20:21], 3, v3
	v_cndmask_b32_e64 v3, 0, 1, s[8:9]
	v_cmp_eq_u32_e64 s[46:47], 1, v2
	v_cmp_eq_u32_e64 s[48:49], 2, v2
	;; [unrolled: 1-line block ×3, first 2 shown]
	v_cndmask_b32_e64 v2, 0, 1, s[6:7]
	s_and_b64 s[8:9], s[22:23], s[44:45]
	v_cmp_ne_u32_e64 s[42:43], 0, v5
	v_cmp_ne_u32_e64 s[6:7], 0, v2
	v_cndmask_b32_e64 v2, 0, 1, s[8:9]
	s_bcnt1_i32_b64 s90, s[42:43]
	v_cmp_ne_u32_e64 s[42:43], 0, v3
	s_bcnt1_i32_b64 s8, s[6:7]
	v_cmp_ne_u32_e64 s[6:7], 0, v2
	s_bcnt1_i32_b64 s42, s[42:43]
	s_bcnt1_i32_b64 s6, s[6:7]
	s_add_u32 s7, s90, s88
	s_addc_u32 s9, 0, s89
	s_add_u32 s7, s7, s42
	s_addc_u32 s9, s9, 0
	s_add_u32 s7, s7, s8
	s_addc_u32 s8, s9, 0
	s_add_u32 s88, s7, s6
	s_addc_u32 s89, s8, 0
	s_and_b64 s[6:7], s[10:11], s[28:29]
	v_cndmask_b32_e64 v4, 0, 1, s[6:7]
	s_and_b64 s[6:7], s[12:13], s[34:35]
	v_cndmask_b32_e64 v5, 0, 1, s[6:7]
	s_and_b64 s[6:7], s[18:19], s[38:39]
	v_cndmask_b32_e64 v6, 0, 1, s[6:7]
	s_and_b64 s[6:7], s[22:23], s[46:47]
	v_cndmask_b32_e64 v7, 0, 1, s[6:7]
	v_cmp_ne_u32_e64 s[6:7], 0, v4
	v_cmp_ne_u32_e64 s[28:29], 0, v5
	v_cmp_ne_u32_e64 s[34:35], 0, v6
	v_cmp_ne_u32_e64 s[38:39], 0, v7
	s_bcnt1_i32_b64 s6, s[6:7]
	s_bcnt1_i32_b64 s7, s[28:29]
	s_bcnt1_i32_b64 s8, s[34:35]
	s_bcnt1_i32_b64 s9, s[38:39]
	s_add_u32 s6, s6, s66
	s_addc_u32 s28, 0, s67
	s_add_u32 s6, s6, s7
	s_addc_u32 s7, s28, 0
	s_add_u32 s6, s6, s8
	s_addc_u32 s7, s7, 0
	s_add_u32 s66, s6, s9
	s_addc_u32 s67, s7, 0
	s_and_b64 s[6:7], s[10:11], s[30:31]
	v_cndmask_b32_e64 v6, 0, 1, s[6:7]
	s_and_b64 s[6:7], s[12:13], s[36:37]
	v_cndmask_b32_e64 v7, 0, 1, s[6:7]
	s_and_b64 s[6:7], s[18:19], s[40:41]
	v_cndmask_b32_e64 v8, 0, 1, s[6:7]
	s_and_b64 s[6:7], s[22:23], s[48:49]
	v_cndmask_b32_e64 v9, 0, 1, s[6:7]
	v_cmp_ne_u32_e64 s[6:7], 0, v6
	v_cmp_ne_u32_e64 s[28:29], 0, v7
	v_cmp_ne_u32_e64 s[30:31], 0, v8
	v_cmp_ne_u32_e64 s[34:35], 0, v9
	s_bcnt1_i32_b64 s6, s[6:7]
	s_bcnt1_i32_b64 s7, s[28:29]
	;; [unrolled: 24-line block ×3, first 2 shown]
	s_bcnt1_i32_b64 s8, s[12:13]
	s_bcnt1_i32_b64 s9, s[14:15]
	s_add_u32 s6, s6, s62
	s_addc_u32 s10, 0, s63
	s_add_u32 s6, s6, s7
	s_addc_u32 s7, s10, 0
	;; [unrolled: 2-line block ×4, first 2 shown]
	v_pk_mov_b32 v[2:3], s[88:89], s[88:89] op_sel:[0,1]
	v_pk_mov_b32 v[4:5], s[66:67], s[66:67] op_sel:[0,1]
	;; [unrolled: 1-line block ×3, first 2 shown]
	s_or_b64 s[60:61], vcc, s[60:61]
	v_pk_mov_b32 v[8:9], s[62:63], s[62:63] op_sel:[0,1]
	s_andn2_b64 exec, exec, s[60:61]
	s_cbranch_execnz .LBB142_64
; %bb.65:                               ;   in Loop: Header=BB142_31 Depth=1
	s_or_b64 exec, exec, s[60:61]
	v_readlane_b32 s66, v44, 50
	v_readlane_b32 s67, v44, 51
.LBB142_66:                             ;   in Loop: Header=BB142_31 Depth=1
	s_or_b64 exec, exec, s[50:51]
	v_add_co_u32_e32 v18, vcc, v18, v0
	v_addc_co_u32_e32 v19, vcc, 0, v19, vcc
	v_cmp_gt_u64_e32 vcc, s[52:53], v[18:19]
	v_mov_b32_e32 v10, 0
	s_and_saveexec_b64 s[8:9], vcc
	s_cbranch_execz .LBB142_68
; %bb.67:                               ;   in Loop: Header=BB142_31 Depth=1
	v_mul_lo_u32 v10, v19, s76
	v_mul_lo_u32 v37, v18, s77
	v_mad_u64_u32 v[20:21], s[6:7], v18, s76, 0
	v_add3_u32 v21, v21, v37, v10
	v_lshlrev_b64 v[20:21], 1, v[20:21]
	v_mov_b32_e32 v10, s55
	v_add_co_u32_e64 v20, s[6:7], s33, v20
	v_addc_co_u32_e64 v21, s[6:7], v10, v21, s[6:7]
	global_load_ushort v10, v[20:21], off
.LBB142_68:                             ;   in Loop: Header=BB142_31 Depth=1
	s_or_b64 exec, exec, s[8:9]
	s_and_saveexec_b64 s[8:9], vcc
	s_cbranch_execz .LBB142_75
; %bb.69:                               ;   in Loop: Header=BB142_31 Depth=1
	s_and_b32 s14, s1, 0xfe
	s_mov_b64 s[10:11], 0
	s_branch .LBB142_71
.LBB142_70:                             ;   in Loop: Header=BB142_71 Depth=2
	s_or_b64 exec, exec, s[12:13]
	s_and_b64 s[6:7], exec, vcc
	s_waitcnt vmcnt(0)
	v_cmp_lt_i16_e32 vcc, -1, v10
	v_cndmask_b32_e32 v21, v30, v31, vcc
	v_lshlrev_b32_e32 v37, 16, v10
	v_xor_b32_sdwa v10, v21, v10 dst_sel:DWORD dst_unused:UNUSED_PAD src0_sel:DWORD src1_sel:WORD_0
	v_cmp_o_f32_e32 vcc, v37, v37
	v_cndmask_b32_e32 v10, v30, v10, vcc
	v_and_b32_e32 v21, s27, v10
	v_bfe_u32 v10, v10, s14, 2
	s_or_b64 s[10:11], s[6:7], s[10:11]
	v_cmp_eq_u32_e32 vcc, s92, v21
	v_cmp_eq_u32_e64 s[6:7], 0, v10
	s_and_b64 s[6:7], vcc, s[6:7]
	v_cndmask_b32_e64 v21, 0, 1, s[6:7]
	v_cmp_ne_u32_e64 s[6:7], 0, v21
	s_bcnt1_i32_b64 s6, s[6:7]
	v_add_co_u32_e64 v2, s[6:7], s6, v2
	v_addc_co_u32_e64 v3, s[6:7], 0, v3, s[6:7]
	v_cmp_eq_u32_e64 s[6:7], 1, v10
	s_and_b64 s[6:7], vcc, s[6:7]
	v_cndmask_b32_e64 v21, 0, 1, s[6:7]
	v_cmp_ne_u32_e64 s[6:7], 0, v21
	s_bcnt1_i32_b64 s6, s[6:7]
	v_add_co_u32_e64 v4, s[6:7], s6, v4
	v_addc_co_u32_e64 v5, s[6:7], 0, v5, s[6:7]
	;; [unrolled: 7-line block ×3, first 2 shown]
	v_cmp_eq_u32_e64 s[6:7], 3, v10
	s_and_b64 s[6:7], vcc, s[6:7]
	v_cndmask_b32_e64 v10, 0, 1, s[6:7]
	v_cmp_ne_u32_e32 vcc, 0, v10
	s_bcnt1_i32_b64 s6, vcc
	v_add_co_u32_e32 v8, vcc, s6, v8
	v_addc_co_u32_e32 v9, vcc, 0, v9, vcc
	v_mov_b32_e32 v10, v20
	s_andn2_b64 exec, exec, s[10:11]
	s_cbranch_execz .LBB142_74
.LBB142_71:                             ;   Parent Loop BB142_31 Depth=1
                                        ; =>  This Inner Loop Header: Depth=2
	v_add_co_u32_sdwa v18, vcc, v18, v36 dst_sel:DWORD dst_unused:UNUSED_PAD src0_sel:DWORD src1_sel:WORD_0
	v_addc_co_u32_e32 v19, vcc, 0, v19, vcc
	v_cmp_gt_u64_e64 s[6:7], s[52:53], v[18:19]
	v_cmp_le_u64_e32 vcc, s[52:53], v[18:19]
	v_mov_b32_e32 v20, 0
	s_and_saveexec_b64 s[12:13], s[6:7]
	s_cbranch_execz .LBB142_70
; %bb.72:                               ;   in Loop: Header=BB142_71 Depth=2
	v_mul_lo_u32 v37, v19, s76
	v_mul_lo_u32 v38, v18, s77
	v_mad_u64_u32 v[20:21], s[6:7], v18, s76, 0
	v_add3_u32 v21, v21, v38, v37
	v_lshlrev_b64 v[20:21], 1, v[20:21]
	v_mov_b32_e32 v37, s55
	v_add_co_u32_e64 v20, s[6:7], s33, v20
	v_addc_co_u32_e64 v21, s[6:7], v37, v21, s[6:7]
	global_load_ushort v20, v[20:21], off
	s_branch .LBB142_70
.LBB142_73:                             ;   in Loop: Header=BB142_31 Depth=1
                                        ; implicit-def: $vgpr8_vgpr9
                                        ; implicit-def: $vgpr4_vgpr5
	s_cbranch_execnz .LBB142_76
	s_branch .LBB142_85
.LBB142_74:                             ;   in Loop: Header=BB142_31 Depth=1
	s_or_b64 exec, exec, s[10:11]
.LBB142_75:                             ;   in Loop: Header=BB142_31 Depth=1
	s_or_b64 exec, exec, s[8:9]
	s_branch .LBB142_85
.LBB142_76:                             ;   in Loop: Header=BB142_31 Depth=1
	global_load_ushort v8, v11, s[64:65]
	s_mov_b64 s[60:61], 0
	s_waitcnt vmcnt(0)
	v_readfirstlane_b32 s6, v8
	s_and_b32 s6, 0xffff, s6
	s_lshl_b32 s73, s6, 2
	v_cvt_f32_u32_e32 v2, s73
	s_sub_i32 s6, 0, s73
	v_and_b32_e32 v20, 0xffff, v8
	v_rcp_iflag_f32_e32 v6, v2
	v_pk_mov_b32 v[2:3], 0, 0
	v_pk_mov_b32 v[4:5], v[2:3], v[2:3] op_sel:[0,1]
	v_mul_f32_e32 v6, 0x4f7ffffe, v6
	v_cvt_u32_f32_e32 v9, v6
	v_pk_mov_b32 v[6:7], v[2:3], v[2:3] op_sel:[0,1]
	v_readfirstlane_b32 s7, v9
	s_mul_i32 s6, s6, s7
	s_mul_hi_u32 s6, s7, s6
	s_add_i32 s7, s7, s6
	s_mul_hi_u32 s6, s72, s7
	s_mul_i32 s6, s6, s73
	s_sub_i32 s6, s72, s6
	s_sub_i32 s7, s6, s73
	s_cmp_ge_u32 s6, s73
	s_cselect_b32 s6, s7, s6
	s_sub_i32 s7, s6, s73
	s_cmp_ge_u32 s6, s73
	s_cselect_b32 s6, s7, s6
	s_sub_i32 s90, s72, s6
	v_cmp_gt_u32_e32 vcc, s90, v12
	v_pk_mov_b32 v[8:9], v[2:3], v[2:3] op_sel:[0,1]
	s_and_saveexec_b64 s[62:63], vcc
	s_cbranch_execz .LBB142_80
; %bb.77:                               ;   in Loop: Header=BB142_31 Depth=1
	s_and_b32 s82, s1, 0xfe
	v_lshlrev_b32_e32 v10, 3, v20
	v_mov_b32_e32 v21, v28
	s_mov_b64 s[66:67], 0
	s_mov_b64 s[78:79], 0
	;; [unrolled: 1-line block ×4, first 2 shown]
	v_pk_mov_b32 v[18:19], v[12:13], v[12:13] op_sel:[0,1]
.LBB142_78:                             ;   Parent Loop BB142_31 Depth=1
                                        ; =>  This Inner Loop Header: Depth=2
	ds_read_b64 v[2:3], v21
	v_add_co_u32_e32 v18, vcc, s73, v18
	v_addc_co_u32_e32 v19, vcc, 0, v19, vcc
	s_waitcnt lgkmcnt(0)
	v_cmp_lt_i16_e64 s[6:7], -1, v2
	v_cndmask_b32_e64 v8, v30, v31, s[6:7]
	v_cmp_gt_i16_sdwa s[6:7], v2, v33 src0_sel:WORD_1 src1_sel:DWORD
	v_lshlrev_b32_e32 v4, 16, v2
	v_cndmask_b32_e64 v9, v30, v31, s[6:7]
	v_cmp_lt_i16_e64 s[6:7], -1, v3
	v_and_b32_e32 v5, 0xffff0000, v2
	v_cndmask_b32_e64 v36, v30, v31, s[6:7]
	v_cmp_gt_i16_sdwa s[6:7], v3, v33 src0_sel:WORD_1 src1_sel:DWORD
	v_xor_b32_sdwa v9, v9, v2 dst_sel:DWORD dst_unused:UNUSED_PAD src0_sel:DWORD src1_sel:WORD_1
	v_xor_b32_sdwa v2, v8, v2 dst_sel:DWORD dst_unused:UNUSED_PAD src0_sel:DWORD src1_sel:WORD_0
	v_cmp_o_f32_e64 s[14:15], v4, v4
	v_lshlrev_b32_e32 v6, 16, v3
	v_cndmask_b32_e64 v37, v30, v31, s[6:7]
	v_cmp_o_f32_e64 s[6:7], v5, v5
	v_cndmask_b32_e64 v2, v30, v2, s[14:15]
	v_and_b32_e32 v7, 0xffff0000, v3
	v_xor_b32_sdwa v5, v36, v3 dst_sel:DWORD dst_unused:UNUSED_PAD src0_sel:DWORD src1_sel:WORD_0
	v_cmp_o_f32_e64 s[10:11], v6, v6
	v_cndmask_b32_e64 v4, v30, v9, s[6:7]
	v_and_b32_e32 v6, s27, v2
	v_bfe_u32 v2, v2, s82, 2
	v_xor_b32_sdwa v3, v37, v3 dst_sel:DWORD dst_unused:UNUSED_PAD src0_sel:DWORD src1_sel:WORD_1
	v_cmp_o_f32_e64 s[12:13], v7, v7
	v_cndmask_b32_e64 v5, v30, v5, s[10:11]
	v_and_b32_e32 v7, s27, v4
	v_bfe_u32 v4, v4, s82, 2
	v_cmp_eq_u32_e64 s[16:17], s92, v6
	v_cmp_eq_u32_e64 s[6:7], 0, v2
	v_cndmask_b32_e64 v3, v30, v3, s[12:13]
	v_and_b32_e32 v8, s27, v5
	v_bfe_u32 v5, v5, s82, 2
	v_cmp_eq_u32_e64 s[14:15], s92, v7
	v_cmp_eq_u32_e64 s[28:29], 0, v4
	s_and_b64 s[6:7], s[16:17], s[6:7]
	v_and_b32_e32 v9, s27, v3
	v_bfe_u32 v3, v3, s82, 2
	v_cmp_eq_u32_e64 s[12:13], s92, v8
	v_cmp_eq_u32_e64 s[30:31], 0, v5
	v_cmp_eq_u32_e64 s[36:37], 1, v2
	v_cmp_eq_u32_e64 s[44:45], 2, v2
	v_cmp_eq_u32_e64 s[24:25], 3, v2
	v_cndmask_b32_e64 v2, 0, 1, s[6:7]
	s_and_b64 s[6:7], s[14:15], s[28:29]
	v_cmp_eq_u32_e64 s[10:11], s92, v9
	v_cmp_eq_u32_e64 s[34:35], 0, v3
	;; [unrolled: 1-line block ×5, first 2 shown]
	v_cndmask_b32_e64 v3, 0, 1, s[6:7]
	s_and_b64 s[6:7], s[12:13], s[30:31]
	v_cmp_eq_u32_e64 s[38:39], 1, v4
	v_cmp_eq_u32_e64 s[46:47], 2, v4
	;; [unrolled: 1-line block ×3, first 2 shown]
	v_cndmask_b32_e64 v4, 0, 1, s[6:7]
	s_and_b64 s[6:7], s[10:11], s[34:35]
	v_cmp_eq_u32_e64 s[40:41], 1, v5
	v_cmp_eq_u32_e64 s[48:49], 2, v5
	;; [unrolled: 1-line block ×3, first 2 shown]
	v_cndmask_b32_e64 v5, 0, 1, s[6:7]
	v_cmp_ne_u32_e64 s[6:7], 0, v2
	v_cmp_ne_u32_e64 s[28:29], 0, v3
	v_cmp_ne_u32_e64 s[30:31], 0, v4
	v_cmp_ne_u32_e64 s[34:35], 0, v5
	s_bcnt1_i32_b64 s6, s[6:7]
	s_bcnt1_i32_b64 s7, s[28:29]
	s_bcnt1_i32_b64 s28, s[30:31]
	s_bcnt1_i32_b64 s29, s[34:35]
	s_add_u32 s6, s6, s8
	s_addc_u32 s8, 0, s9
	s_add_u32 s6, s6, s7
	s_addc_u32 s7, s8, 0
	s_add_u32 s6, s6, s28
	s_addc_u32 s7, s7, 0
	s_add_u32 s8, s6, s29
	s_addc_u32 s9, s7, 0
	s_and_b64 s[6:7], s[16:17], s[36:37]
	v_cndmask_b32_e64 v4, 0, 1, s[6:7]
	s_and_b64 s[6:7], s[14:15], s[38:39]
	v_cndmask_b32_e64 v5, 0, 1, s[6:7]
	s_and_b64 s[6:7], s[12:13], s[40:41]
	v_cndmask_b32_e64 v6, 0, 1, s[6:7]
	s_and_b64 s[6:7], s[10:11], s[42:43]
	v_cndmask_b32_e64 v7, 0, 1, s[6:7]
	v_cmp_ne_u32_e64 s[6:7], 0, v4
	v_cmp_ne_u32_e64 s[28:29], 0, v5
	v_cmp_ne_u32_e64 s[30:31], 0, v6
	v_cmp_ne_u32_e64 s[34:35], 0, v7
	s_bcnt1_i32_b64 s6, s[6:7]
	s_bcnt1_i32_b64 s7, s[28:29]
	s_bcnt1_i32_b64 s28, s[30:31]
	s_bcnt1_i32_b64 s29, s[34:35]
	s_add_u32 s6, s6, s88
	s_addc_u32 s30, 0, s89
	s_add_u32 s6, s6, s7
	s_addc_u32 s7, s30, 0
	s_add_u32 s6, s6, s28
	s_addc_u32 s7, s7, 0
	s_add_u32 s88, s6, s29
	s_addc_u32 s89, s7, 0
	s_and_b64 s[6:7], s[16:17], s[44:45]
	v_cndmask_b32_e64 v6, 0, 1, s[6:7]
	s_and_b64 s[6:7], s[14:15], s[46:47]
	v_cndmask_b32_e64 v7, 0, 1, s[6:7]
	s_and_b64 s[6:7], s[12:13], s[48:49]
	v_cndmask_b32_e64 v8, 0, 1, s[6:7]
	s_and_b64 s[6:7], s[10:11], s[50:51]
	v_cndmask_b32_e64 v9, 0, 1, s[6:7]
	v_cmp_ne_u32_e64 s[6:7], 0, v6
	v_cmp_ne_u32_e64 s[28:29], 0, v7
	v_cmp_ne_u32_e64 s[30:31], 0, v8
	v_cmp_ne_u32_e64 s[34:35], 0, v9
	s_bcnt1_i32_b64 s6, s[6:7]
	s_bcnt1_i32_b64 s7, s[28:29]
	s_bcnt1_i32_b64 s28, s[30:31]
	s_bcnt1_i32_b64 s29, s[34:35]
	s_add_u32 s6, s6, s78
	s_addc_u32 s30, 0, s79
	s_add_u32 s6, s6, s7
	s_addc_u32 s7, s30, 0
	s_add_u32 s6, s6, s28
	s_addc_u32 s7, s7, 0
	s_add_u32 s78, s6, s29
	s_addc_u32 s79, s7, 0
	s_and_b64 s[6:7], s[16:17], s[24:25]
	v_cndmask_b32_e64 v8, 0, 1, s[6:7]
	s_and_b64 s[6:7], s[14:15], s[22:23]
	v_cndmask_b32_e64 v9, 0, 1, s[6:7]
	s_and_b64 s[6:7], s[12:13], s[20:21]
	v_cndmask_b32_e64 v36, 0, 1, s[6:7]
	s_and_b64 s[6:7], s[10:11], s[18:19]
	v_cndmask_b32_e64 v37, 0, 1, s[6:7]
	v_cmp_ne_u32_e64 s[6:7], 0, v8
	v_cmp_ne_u32_e64 s[10:11], 0, v9
	;; [unrolled: 1-line block ×4, first 2 shown]
	s_bcnt1_i32_b64 s6, s[6:7]
	s_bcnt1_i32_b64 s7, s[10:11]
	s_bcnt1_i32_b64 s10, s[12:13]
	s_bcnt1_i32_b64 s11, s[14:15]
	s_add_u32 s6, s6, s66
	s_addc_u32 s12, 0, s67
	s_add_u32 s6, s6, s7
	s_addc_u32 s7, s12, 0
	;; [unrolled: 2-line block ×3, first 2 shown]
	s_add_u32 s66, s6, s11
	v_cmp_le_u64_e32 vcc, s[90:91], v[18:19]
	s_addc_u32 s67, s7, 0
	v_add_u32_e32 v21, v21, v10
	v_pk_mov_b32 v[2:3], s[8:9], s[8:9] op_sel:[0,1]
	v_pk_mov_b32 v[4:5], s[88:89], s[88:89] op_sel:[0,1]
	;; [unrolled: 1-line block ×3, first 2 shown]
	s_or_b64 s[60:61], vcc, s[60:61]
	v_pk_mov_b32 v[8:9], s[66:67], s[66:67] op_sel:[0,1]
	s_andn2_b64 exec, exec, s[60:61]
	s_cbranch_execnz .LBB142_78
; %bb.79:                               ;   in Loop: Header=BB142_31 Depth=1
	s_or_b64 exec, exec, s[60:61]
	v_readlane_b32 s66, v44, 50
	v_readlane_b32 s67, v44, 51
.LBB142_80:                             ;   in Loop: Header=BB142_31 Depth=1
	s_or_b64 exec, exec, s[62:63]
	v_add_u32_e32 v10, s90, v0
	v_cmp_gt_u32_e32 vcc, s72, v10
	s_and_saveexec_b64 s[8:9], vcc
	s_cbranch_execz .LBB142_84
; %bb.81:                               ;   in Loop: Header=BB142_31 Depth=1
	s_and_b32 s90, s72, 0x7fffffff
	s_and_b32 s20, s1, 0xfe
	v_lshlrev_b32_e32 v21, 1, v10
	v_lshlrev_b32_e32 v36, 1, v20
	s_mov_b64 s[18:19], 0
	v_pk_mov_b32 v[18:19], v[10:11], v[10:11] op_sel:[0,1]
.LBB142_82:                             ;   Parent Loop BB142_31 Depth=1
                                        ; =>  This Inner Loop Header: Depth=2
	ds_read_u16 v10, v21
	v_add_co_u32_e32 v18, vcc, v18, v20
	v_addc_co_u32_e32 v19, vcc, 0, v19, vcc
	s_waitcnt lgkmcnt(0)
	v_cmp_lt_i16_e64 s[6:7], -1, v10
	v_lshlrev_b32_e32 v37, 16, v10
	v_cndmask_b32_e64 v38, v30, v31, s[6:7]
	v_xor_b32_sdwa v10, v38, v10 dst_sel:DWORD dst_unused:UNUSED_PAD src0_sel:DWORD src1_sel:WORD_0
	v_cmp_o_f32_e64 s[6:7], v37, v37
	v_cndmask_b32_e64 v10, v30, v10, s[6:7]
	v_and_b32_e32 v37, s27, v10
	v_bfe_u32 v10, v10, s20, 2
	v_cmp_eq_u32_e64 s[6:7], s92, v37
	v_cmp_eq_u32_e64 s[10:11], 0, v10
	;; [unrolled: 1-line block ×3, first 2 shown]
	s_and_b64 s[10:11], s[6:7], s[10:11]
	v_cmp_eq_u32_e64 s[14:15], 2, v10
	v_cmp_eq_u32_e64 s[16:17], 3, v10
	v_cndmask_b32_e64 v10, 0, 1, s[10:11]
	s_and_b64 s[10:11], s[6:7], s[12:13]
	v_cndmask_b32_e64 v37, 0, 1, s[10:11]
	s_and_b64 s[10:11], s[6:7], s[14:15]
	s_and_b64 s[6:7], s[6:7], s[16:17]
	v_cndmask_b32_e64 v38, 0, 1, s[10:11]
	v_cndmask_b32_e64 v39, 0, 1, s[6:7]
	v_cmp_ne_u32_e64 s[6:7], 0, v10
	v_cmp_ne_u32_e64 s[10:11], 0, v37
	;; [unrolled: 1-line block ×4, first 2 shown]
	v_cmp_le_u64_e32 vcc, s[90:91], v[18:19]
	s_bcnt1_i32_b64 s6, s[6:7]
	s_bcnt1_i32_b64 s7, s[10:11]
	;; [unrolled: 1-line block ×4, first 2 shown]
	s_or_b64 s[18:19], vcc, s[18:19]
	v_add_co_u32_e32 v2, vcc, s6, v2
	v_addc_co_u32_e32 v3, vcc, 0, v3, vcc
	v_add_co_u32_e32 v4, vcc, s7, v4
	v_addc_co_u32_e32 v5, vcc, 0, v5, vcc
	;; [unrolled: 2-line block ×3, first 2 shown]
	v_add_co_u32_e32 v8, vcc, s11, v8
	v_add_u32_e32 v21, v21, v36
	v_addc_co_u32_e32 v9, vcc, 0, v9, vcc
	s_andn2_b64 exec, exec, s[18:19]
	s_cbranch_execnz .LBB142_82
; %bb.83:                               ;   in Loop: Header=BB142_31 Depth=1
	s_or_b64 exec, exec, s[18:19]
.LBB142_84:                             ;   in Loop: Header=BB142_31 Depth=1
	s_or_b64 exec, exec, s[8:9]
.LBB142_85:                             ;   in Loop: Header=BB142_31 Depth=1
	s_lshl_b32 s8, s26, 6
	s_and_saveexec_b64 s[6:7], s[4:5]
	s_cbranch_execz .LBB142_87
; %bb.86:                               ;   in Loop: Header=BB142_31 Depth=1
	s_waitcnt vmcnt(0)
	v_or_b32_e32 v10, s8, v26
	v_lshlrev_b32_e32 v10, 3, v10
	ds_write_b128 v10, v[2:5] offset:3072
	ds_write_b128 v10, v[6:9] offset:3088
.LBB142_87:                             ;   in Loop: Header=BB142_31 Depth=1
	s_or_b64 exec, exec, s[6:7]
	s_waitcnt lgkmcnt(0)
	s_barrier
	s_and_saveexec_b64 s[6:7], s[66:67]
	s_cbranch_execz .LBB142_99
; %bb.88:                               ;   in Loop: Header=BB142_31 Depth=1
	v_readlane_b32 s10, v44, 42
	v_readlane_b32 s11, v44, 43
	s_andn2_b64 vcc, exec, s[10:11]
	v_pk_mov_b32 v[2:3], 0, 0
	s_cbranch_vccnz .LBB142_98
; %bb.89:                               ;   in Loop: Header=BB142_31 Depth=1
	v_readlane_b32 s10, v44, 45
	v_readlane_b32 s11, v44, 46
	s_andn2_b64 vcc, exec, s[10:11]
	s_cbranch_vccnz .LBB142_94
; %bb.90:                               ;   in Loop: Header=BB142_31 Depth=1
	s_waitcnt vmcnt(0)
	v_lshl_add_u32 v4, s26, 9, v29
	s_mov_b32 s9, 0
	v_pk_mov_b32 v[2:3], 0, 0
.LBB142_91:                             ;   Parent Loop BB142_31 Depth=1
                                        ; =>  This Inner Loop Header: Depth=2
	ds_read2_b64 v[6:9], v4 offset1:4
	ds_read2_b64 v[18:21], v4 offset0:8 offset1:12
	ds_read2_b64 v[36:39], v4 offset0:16 offset1:20
	;; [unrolled: 1-line block ×3, first 2 shown]
	s_add_i32 s9, s9, 8
	s_waitcnt lgkmcnt(3)
	v_add_co_u32_e32 v2, vcc, v6, v2
	v_addc_co_u32_e32 v3, vcc, v7, v3, vcc
	v_add_co_u32_e32 v2, vcc, v8, v2
	v_addc_co_u32_e32 v3, vcc, v9, v3, vcc
	s_waitcnt lgkmcnt(2)
	v_add_co_u32_e32 v2, vcc, v18, v2
	v_addc_co_u32_e32 v3, vcc, v19, v3, vcc
	v_add_co_u32_e32 v2, vcc, v20, v2
	v_addc_co_u32_e32 v3, vcc, v21, v3, vcc
	;; [unrolled: 5-line block ×3, first 2 shown]
	s_waitcnt lgkmcnt(0)
	v_add_co_u32_e32 v2, vcc, v40, v2
	v_addc_co_u32_e32 v3, vcc, v41, v3, vcc
	v_add_co_u32_e32 v2, vcc, v42, v2
	v_add_u32_e32 v4, 0x100, v4
	s_cmp_eq_u32 s85, s9
	v_addc_co_u32_e32 v3, vcc, v43, v3, vcc
	s_cbranch_scc0 .LBB142_91
; %bb.92:                               ;   in Loop: Header=BB142_31 Depth=1
	s_mov_b32 s9, s85
	s_branch .LBB142_95
.LBB142_93:                             ;   in Loop: Header=BB142_31 Depth=1
                                        ; implicit-def: $vgpr2_vgpr3
	s_branch .LBB142_61
.LBB142_94:                             ;   in Loop: Header=BB142_31 Depth=1
	s_mov_b32 s9, 0
	v_pk_mov_b32 v[2:3], 0, 0
.LBB142_95:                             ;   in Loop: Header=BB142_31 Depth=1
	v_readlane_b32 s10, v44, 48
	v_readlane_b32 s11, v44, 49
	s_andn2_b64 vcc, exec, s[10:11]
	s_cbranch_vccnz .LBB142_98
; %bb.96:                               ;   in Loop: Header=BB142_31 Depth=1
	s_lshl_b32 s10, s26, 9
	s_lshl_b32 s9, s9, 5
	s_add_i32 s10, s10, s9
	s_waitcnt vmcnt(0)
	v_add_u32_e32 v4, s10, v29
	v_readlane_b32 s9, v44, 47
.LBB142_97:                             ;   Parent Loop BB142_31 Depth=1
                                        ; =>  This Inner Loop Header: Depth=2
	ds_read_b64 v[6:7], v4
	s_add_i32 s9, s9, -1
	v_add_u32_e32 v4, 32, v4
	s_cmp_lg_u32 s9, 0
	s_waitcnt lgkmcnt(0)
	v_add_co_u32_e32 v2, vcc, v6, v2
	v_addc_co_u32_e32 v3, vcc, v7, v3, vcc
	s_cbranch_scc1 .LBB142_97
.LBB142_98:                             ;   in Loop: Header=BB142_31 Depth=1
	s_waitcnt vmcnt(0)
	v_add_lshl_u32 v4, s8, v22, 3
	ds_write_b64 v4, v[2:3] offset:3072
.LBB142_99:                             ;   in Loop: Header=BB142_31 Depth=1
	s_or_b64 exec, exec, s[6:7]
	s_lshl_b32 s6, s8, 3
	v_mov_b32_e32 v6, s6
	s_waitcnt lgkmcnt(0)
	s_barrier
	s_waitcnt vmcnt(0)
	ds_read_b128 v[2:5], v6 offset:3072
	ds_read_b128 v[6:9], v6 offset:3088
	s_and_b32 s40, s1, 0xfe
	s_lshl_b32 s48, 3, s40
	s_not_b32 s41, s48
	s_waitcnt lgkmcnt(1)
	v_readfirstlane_b32 s15, v3
	v_readfirstlane_b32 s14, v2
	s_cmp_eq_u64 s[14:15], 1
	s_cselect_b64 s[6:7], -1, 0
	s_cmp_eq_u64 s[94:95], 1
	s_cselect_b64 s[8:9], -1, 0
	s_and_b64 s[20:21], s[6:7], s[8:9]
	v_readfirstlane_b32 s28, v4
	v_readfirstlane_b32 s29, v5
	s_waitcnt lgkmcnt(0)
	v_readfirstlane_b32 s16, v6
	v_readfirstlane_b32 s17, v7
	;; [unrolled: 1-line block ×4, first 2 shown]
	s_mov_b64 s[18:19], -1
	s_and_b64 vcc, exec, s[20:21]
	s_cbranch_vccz .LBB142_114
; %bb.100:                              ;   in Loop: Header=BB142_31 Depth=1
	ds_read_b64 v[2:3], v11 offset:5120
	s_waitcnt lgkmcnt(0)
	s_barrier
	v_readfirstlane_b32 s8, v2
	v_readfirstlane_b32 s9, v3
	s_mov_b64 s[6:7], exec
	v_readlane_b32 s12, v44, 38
	v_readlane_b32 s13, v44, 39
	s_and_b64 s[12:13], s[6:7], s[12:13]
	s_mov_b64 exec, s[12:13]
	s_cbranch_execz .LBB142_102
; %bb.101:                              ;   in Loop: Header=BB142_31 Depth=1
	ds_write_b16 v24, v13
.LBB142_102:                            ;   in Loop: Header=BB142_31 Depth=1
	s_or_b64 exec, exec, s[6:7]
	s_and_b32 s92, s92, s41
	s_or_b32 s27, s27, s48
	s_cmp_eq_u64 s[8:9], 0
	s_waitcnt lgkmcnt(0)
	s_barrier
	s_cbranch_scc1 .LBB142_115
; %bb.103:                              ;   in Loop: Header=BB142_31 Depth=1
	s_add_u32 s22, s93, s8
	v_readlane_b32 s6, v44, 44
	s_addc_u32 s7, s6, s9
	s_mov_b32 s6, s91
	s_cmp_lg_u64 s[6:7], 0
	s_cbranch_scc0 .LBB142_160
; %bb.104:                              ;   in Loop: Header=BB142_31 Depth=1
	v_cvt_f32_u32_e32 v2, s54
	s_sub_u32 s6, 0, s54
	s_subb_u32 s12, 0, 0
	v_mac_f32_e32 v2, 0, v32
	v_rcp_f32_e32 v2, v2
	v_mul_f32_e32 v2, 0x5f7ffffc, v2
	v_mul_f32_e32 v3, 0x2f800000, v2
	v_trunc_f32_e32 v3, v3
	v_mac_f32_e32 v2, 0xcf800000, v3
	v_cvt_u32_f32_e32 v3, v3
	v_cvt_u32_f32_e32 v2, v2
	v_readfirstlane_b32 s13, v3
	v_readfirstlane_b32 s23, v2
	s_mul_i32 s24, s6, s13
	s_mul_hi_u32 s30, s6, s23
	s_mul_i32 s25, s12, s23
	s_add_i32 s24, s30, s24
	s_mul_i32 s31, s6, s23
	s_add_i32 s24, s24, s25
	s_mul_hi_u32 s30, s23, s31
	s_mul_hi_u32 s25, s23, s24
	s_mul_i32 s23, s23, s24
	s_add_u32 s23, s30, s23
	s_addc_u32 s25, 0, s25
	s_mul_hi_u32 s34, s13, s31
	s_mul_i32 s31, s13, s31
	s_add_u32 s23, s23, s31
	s_mul_hi_u32 s30, s13, s24
	s_addc_u32 s23, s25, s34
	s_addc_u32 s25, s30, 0
	s_mul_i32 s24, s13, s24
	s_add_u32 s23, s23, s24
	s_addc_u32 s24, 0, s25
	v_add_co_u32_e32 v2, vcc, s23, v2
	s_cmp_lg_u64 vcc, 0
	s_addc_u32 s13, s13, s24
	v_readfirstlane_b32 s24, v2
	s_mul_i32 s23, s6, s13
	s_mul_hi_u32 s25, s6, s24
	s_add_i32 s23, s25, s23
	s_mul_i32 s12, s12, s24
	s_add_i32 s23, s23, s12
	s_mul_i32 s6, s6, s24
	s_mul_hi_u32 s25, s13, s6
	s_mul_i32 s30, s13, s6
	s_mul_i32 s34, s24, s23
	s_mul_hi_u32 s6, s24, s6
	s_mul_hi_u32 s31, s24, s23
	s_add_u32 s6, s6, s34
	s_addc_u32 s24, 0, s31
	s_add_u32 s6, s6, s30
	s_mul_hi_u32 s12, s13, s23
	s_addc_u32 s6, s24, s25
	s_addc_u32 s12, s12, 0
	s_mul_i32 s23, s13, s23
	s_add_u32 s6, s6, s23
	s_addc_u32 s12, 0, s12
	v_add_co_u32_e32 v2, vcc, s6, v2
	s_cmp_lg_u64 vcc, 0
	s_addc_u32 s6, s13, s12
	v_readfirstlane_b32 s23, v2
	s_mul_i32 s13, s22, s6
	s_mul_hi_u32 s24, s22, s23
	s_mul_hi_u32 s12, s22, s6
	s_add_u32 s13, s24, s13
	s_addc_u32 s12, 0, s12
	s_mul_hi_u32 s25, s7, s23
	s_mul_i32 s23, s7, s23
	s_add_u32 s13, s13, s23
	s_mul_hi_u32 s24, s7, s6
	s_addc_u32 s12, s12, s25
	s_addc_u32 s13, s24, 0
	s_mul_i32 s6, s7, s6
	s_add_u32 s6, s12, s6
	s_addc_u32 s12, 0, s13
	s_mul_hi_u32 s13, s54, s6
	s_mul_i32 s6, s54, s6
	s_mul_i32 s12, s54, s12
	v_mov_b32_e32 v2, s6
	s_add_i32 s13, s13, s12
	v_sub_co_u32_e32 v2, vcc, s22, v2
	s_cmp_lg_u64 vcc, 0
	s_subb_u32 s6, s7, s13
	v_subrev_co_u32_e32 v3, vcc, s54, v2
	s_cmp_lg_u64 vcc, 0
	s_subb_u32 s12, s6, 0
	v_subrev_co_u32_e32 v4, vcc, s54, v3
	s_cmp_lg_u64 vcc, 0
	s_subb_u32 s13, s12, 0
	v_cmp_le_u32_e32 vcc, s54, v3
	s_cmp_eq_u32 s12, 0
	v_cndmask_b32_e64 v5, 0, -1, vcc
	s_cselect_b64 vcc, -1, 0
	v_cndmask_b32_e32 v5, -1, v5, vcc
	v_mov_b32_e32 v6, s12
	v_mov_b32_e32 v7, s13
	v_cmp_ne_u32_e32 vcc, 0, v5
	v_cndmask_b32_e32 v5, v6, v7, vcc
	v_cndmask_b32_e32 v4, v3, v4, vcc
	v_cmp_le_u32_e32 vcc, s54, v2
	s_cmp_eq_u32 s6, 0
	v_cndmask_b32_e64 v3, 0, -1, vcc
	s_cselect_b64 vcc, -1, 0
	v_cndmask_b32_e32 v3, -1, v3, vcc
	v_mov_b32_e32 v6, s6
	v_cmp_ne_u32_e32 vcc, 0, v3
	v_cndmask_b32_e32 v3, v6, v5, vcc
	v_cndmask_b32_e32 v2, v2, v4, vcc
	s_cbranch_execnz .LBB142_106
.LBB142_105:                            ;   in Loop: Header=BB142_31 Depth=1
	v_cvt_f32_u32_e32 v2, s54
	s_sub_i32 s6, 0, s54
	v_rcp_iflag_f32_e32 v2, v2
	v_mul_f32_e32 v2, 0x4f7ffffe, v2
	v_cvt_u32_f32_e32 v2, v2
	v_mul_lo_u32 v3, s6, v2
	v_mul_hi_u32 v3, v2, v3
	v_add_u32_e32 v2, v2, v3
	v_mul_hi_u32 v2, s22, v2
	v_mul_lo_u32 v2, v2, s54
	v_sub_u32_e32 v2, s22, v2
	v_subrev_u32_e32 v3, s54, v2
	v_cmp_le_u32_e32 vcc, s54, v2
	v_cndmask_b32_e32 v2, v2, v3, vcc
	v_subrev_u32_e32 v3, s54, v2
	v_cmp_le_u32_e32 vcc, s54, v2
	v_cndmask_b32_e32 v10, v2, v3, vcc
	v_pk_mov_b32 v[2:3], v[10:11], v[10:11] op_sel:[0,1]
.LBB142_106:                            ;   in Loop: Header=BB142_31 Depth=1
	v_mov_b32_e32 v4, s7
	v_sub_co_u32_e32 v2, vcc, s22, v2
	v_subb_co_u32_e32 v3, vcc, v4, v3, vcc
	v_cmp_gt_u64_e32 vcc, v[2:3], v[0:1]
	s_mov_b64 s[6:7], 0
                                        ; implicit-def: $vgpr35
	s_and_saveexec_b64 s[12:13], vcc
	s_cbranch_execz .LBB142_117
; %bb.107:                              ;   in Loop: Header=BB142_31 Depth=1
	s_mov_b64 s[22:23], 0
	v_mov_b32_e32 v6, v23
	v_pk_mov_b32 v[4:5], v[0:1], v[0:1] op_sel:[0,1]
                                        ; implicit-def: $sgpr24_sgpr25
	s_branch .LBB142_109
.LBB142_108:                            ;   in Loop: Header=BB142_109 Depth=2
	s_or_b64 exec, exec, s[6:7]
	s_waitcnt lgkmcnt(0)
	s_barrier
	ds_read_b32 v7, v11 offset:3072
	v_add_co_u32_e64 v4, s[6:7], s54, v4
	v_add_u32_e32 v6, s2, v6
	s_waitcnt lgkmcnt(0)
	v_and_b32_e32 v8, 0x7fff, v7
	v_cmp_ne_u16_e32 vcc, 0, v8
	v_mov_b32_e32 v8, s84
	v_addc_co_u32_e64 v5, s[6:7], v5, v8, s[6:7]
	v_cmp_ge_u64_e64 s[6:7], v[4:5], v[2:3]
	s_or_b64 s[6:7], s[6:7], vcc
	s_and_b64 s[6:7], exec, s[6:7]
	s_or_b64 s[22:23], s[6:7], s[22:23]
	s_andn2_b64 s[6:7], s[24:25], exec
	s_and_b64 s[24:25], vcc, exec
	s_or_b64 s[24:25], s[6:7], s[24:25]
	s_barrier
	s_andn2_b64 exec, exec, s[22:23]
	s_cbranch_execz .LBB142_116
.LBB142_109:                            ;   Parent Loop BB142_31 Depth=1
                                        ; =>  This Inner Loop Header: Depth=2
	v_cmp_gt_u64_e32 vcc, s[8:9], v[4:5]
	v_mov_b32_e32 v7, 0
	s_and_saveexec_b64 s[6:7], vcc
	s_cbranch_execz .LBB142_111
; %bb.110:                              ;   in Loop: Header=BB142_109 Depth=2
	ds_read_u16 v7, v6
.LBB142_111:                            ;   in Loop: Header=BB142_109 Depth=2
	s_or_b64 exec, exec, s[6:7]
	s_and_saveexec_b64 s[6:7], vcc
	s_cbranch_execz .LBB142_108
; %bb.112:                              ;   in Loop: Header=BB142_109 Depth=2
	s_waitcnt lgkmcnt(0)
	v_cmp_lt_i16_e32 vcc, -1, v7
	v_cndmask_b32_e32 v8, v30, v31, vcc
	v_lshlrev_b32_e32 v9, 16, v7
	v_xor_b32_sdwa v8, v8, v7 dst_sel:DWORD dst_unused:UNUSED_PAD src0_sel:DWORD src1_sel:WORD_0
	v_cmp_o_f32_e32 vcc, v9, v9
	v_cndmask_b32_e32 v8, v30, v8, vcc
	v_and_b32_e32 v8, s27, v8
	v_cmp_eq_u32_e32 vcc, s92, v8
	s_and_b64 exec, exec, vcc
	s_cbranch_execz .LBB142_108
; %bb.113:                              ;   in Loop: Header=BB142_109 Depth=2
	v_perm_b32 v7, v7, s0, v34
	ds_write_b32 v11, v7 offset:3072
	s_branch .LBB142_108
.LBB142_114:                            ;   in Loop: Header=BB142_31 Depth=1
	s_mov_b64 s[6:7], -1
                                        ; implicit-def: $sgpr8_sgpr9
                                        ; implicit-def: $sgpr22_sgpr23
                                        ; implicit-def: $sgpr12_sgpr13
	s_branch .LBB142_131
.LBB142_115:                            ;   in Loop: Header=BB142_31 Depth=1
	s_mov_b64 s[8:9], -1
	s_mov_b64 s[6:7], 0
                                        ; implicit-def: $sgpr12_sgpr13
                                        ; implicit-def: $vgpr35
	s_mov_b64 s[22:23], s[8:9]
	s_cbranch_execnz .LBB142_118
	s_branch .LBB142_131
.LBB142_116:                            ;   in Loop: Header=BB142_31 Depth=1
	s_or_b64 exec, exec, s[22:23]
	v_lshrrev_b32_e32 v35, 16, v7
	s_and_b64 s[6:7], s[24:25], exec
.LBB142_117:                            ;   in Loop: Header=BB142_31 Depth=1
	s_or_b64 exec, exec, s[12:13]
	s_mov_b64 s[12:13], -1
	s_mov_b64 s[8:9], 0
	s_mov_b64 s[22:23], s[8:9]
	s_branch .LBB142_131
.LBB142_118:                            ;   in Loop: Header=BB142_31 Depth=1
	s_mov_b32 s82, s91
	s_cmp_lg_u64 s[82:83], 0
	s_cbranch_scc0 .LBB142_164
; %bb.119:                              ;   in Loop: Header=BB142_31 Depth=1
	v_cvt_f32_u32_e32 v2, s54
	s_sub_u32 s6, 0, s54
	s_subb_u32 s7, 0, 0
	v_mac_f32_e32 v2, 0, v32
	v_rcp_f32_e32 v2, v2
	v_mul_f32_e32 v2, 0x5f7ffffc, v2
	v_mul_f32_e32 v3, 0x2f800000, v2
	v_trunc_f32_e32 v3, v3
	v_mac_f32_e32 v2, 0xcf800000, v3
	v_cvt_u32_f32_e32 v3, v3
	v_cvt_u32_f32_e32 v2, v2
	v_readfirstlane_b32 s8, v3
	v_readfirstlane_b32 s9, v2
	s_mul_i32 s12, s6, s8
	s_mul_hi_u32 s22, s6, s9
	s_mul_i32 s13, s7, s9
	s_add_i32 s12, s22, s12
	s_mul_i32 s23, s6, s9
	s_add_i32 s12, s12, s13
	s_mul_hi_u32 s22, s9, s23
	s_mul_hi_u32 s13, s9, s12
	s_mul_i32 s9, s9, s12
	s_add_u32 s9, s22, s9
	s_addc_u32 s13, 0, s13
	s_mul_hi_u32 s24, s8, s23
	s_mul_i32 s23, s8, s23
	s_add_u32 s9, s9, s23
	s_mul_hi_u32 s22, s8, s12
	s_addc_u32 s9, s13, s24
	s_addc_u32 s13, s22, 0
	s_mul_i32 s12, s8, s12
	s_add_u32 s9, s9, s12
	s_addc_u32 s12, 0, s13
	v_add_co_u32_e32 v2, vcc, s9, v2
	s_cmp_lg_u64 vcc, 0
	s_addc_u32 s8, s8, s12
	v_readfirstlane_b32 s12, v2
	s_mul_i32 s9, s6, s8
	s_mul_hi_u32 s13, s6, s12
	s_add_i32 s9, s13, s9
	s_mul_i32 s7, s7, s12
	s_add_i32 s9, s9, s7
	s_mul_i32 s6, s6, s12
	s_mul_hi_u32 s13, s8, s6
	s_mul_i32 s22, s8, s6
	s_mul_i32 s24, s12, s9
	s_mul_hi_u32 s6, s12, s6
	s_mul_hi_u32 s23, s12, s9
	s_add_u32 s6, s6, s24
	s_addc_u32 s12, 0, s23
	s_add_u32 s6, s6, s22
	s_mul_hi_u32 s7, s8, s9
	s_addc_u32 s6, s12, s13
	s_addc_u32 s7, s7, 0
	s_mul_i32 s9, s8, s9
	s_add_u32 s6, s6, s9
	s_addc_u32 s7, 0, s7
	v_add_co_u32_e32 v2, vcc, s6, v2
	s_cmp_lg_u64 vcc, 0
	s_addc_u32 s6, s8, s7
	v_readfirstlane_b32 s9, v2
	s_mul_i32 s8, s3, s6
	s_mul_hi_u32 s12, s3, s9
	s_mul_hi_u32 s7, s3, s6
	s_add_u32 s8, s12, s8
	s_addc_u32 s7, 0, s7
	s_mul_hi_u32 s13, s83, s9
	s_mul_i32 s9, s83, s9
	s_add_u32 s8, s8, s9
	s_mul_hi_u32 s12, s83, s6
	s_addc_u32 s7, s7, s13
	s_addc_u32 s8, s12, 0
	s_mul_i32 s6, s83, s6
	s_add_u32 s6, s7, s6
	s_addc_u32 s7, 0, s8
	s_mul_hi_u32 s8, s54, s6
	s_mul_i32 s6, s54, s6
	s_mul_i32 s7, s54, s7
	v_mov_b32_e32 v2, s6
	s_add_i32 s8, s8, s7
	v_sub_co_u32_e32 v2, vcc, s3, v2
	s_cmp_lg_u64 vcc, 0
	s_subb_u32 s6, s83, s8
	v_subrev_co_u32_e32 v3, vcc, s54, v2
	s_cmp_lg_u64 vcc, 0
	s_subb_u32 s7, s6, 0
	v_subrev_co_u32_e32 v4, vcc, s54, v3
	s_cmp_lg_u64 vcc, 0
	s_subb_u32 s8, s7, 0
	v_cmp_le_u32_e32 vcc, s54, v3
	s_cmp_eq_u32 s7, 0
	v_cndmask_b32_e64 v5, 0, -1, vcc
	s_cselect_b64 vcc, -1, 0
	v_cndmask_b32_e32 v5, -1, v5, vcc
	v_mov_b32_e32 v6, s7
	v_mov_b32_e32 v7, s8
	v_cmp_ne_u32_e32 vcc, 0, v5
	v_cndmask_b32_e32 v5, v6, v7, vcc
	v_cndmask_b32_e32 v4, v3, v4, vcc
	v_cmp_le_u32_e32 vcc, s54, v2
	s_cmp_eq_u32 s6, 0
	v_cndmask_b32_e64 v3, 0, -1, vcc
	s_cselect_b64 vcc, -1, 0
	v_cndmask_b32_e32 v3, -1, v3, vcc
	v_mov_b32_e32 v6, s6
	v_cmp_ne_u32_e32 vcc, 0, v3
	v_cndmask_b32_e32 v3, v6, v5, vcc
	v_cndmask_b32_e32 v2, v2, v4, vcc
	s_cbranch_execnz .LBB142_121
.LBB142_120:                            ;   in Loop: Header=BB142_31 Depth=1
	v_cvt_f32_u32_e32 v2, s54
	s_sub_i32 s6, 0, s54
	v_rcp_iflag_f32_e32 v2, v2
	v_mul_f32_e32 v2, 0x4f7ffffe, v2
	v_cvt_u32_f32_e32 v2, v2
	v_mul_lo_u32 v3, s6, v2
	v_mul_hi_u32 v3, v2, v3
	v_add_u32_e32 v2, v2, v3
	v_mul_hi_u32 v2, s3, v2
	v_mul_lo_u32 v2, v2, s54
	v_sub_u32_e32 v2, s3, v2
	v_subrev_u32_e32 v3, s54, v2
	v_cmp_le_u32_e32 vcc, s54, v2
	v_cndmask_b32_e32 v2, v2, v3, vcc
	v_subrev_u32_e32 v3, s54, v2
	v_cmp_le_u32_e32 vcc, s54, v2
	v_cndmask_b32_e32 v10, v2, v3, vcc
	v_pk_mov_b32 v[2:3], v[10:11], v[10:11] op_sel:[0,1]
.LBB142_121:                            ;   in Loop: Header=BB142_31 Depth=1
	v_mov_b32_e32 v4, s83
	v_sub_co_u32_e32 v2, vcc, s3, v2
	v_subb_co_u32_e32 v3, vcc, v4, v3, vcc
	v_cmp_gt_u64_e32 vcc, v[2:3], v[0:1]
	s_mov_b64 s[6:7], 0
                                        ; implicit-def: $vgpr35
	s_and_saveexec_b64 s[8:9], vcc
	s_cbranch_execz .LBB142_130
; %bb.122:                              ;   in Loop: Header=BB142_31 Depth=1
	s_mov_b64 s[12:13], 0
	v_pk_mov_b32 v[4:5], v[0:1], v[0:1] op_sel:[0,1]
                                        ; implicit-def: $sgpr22_sgpr23
	s_branch .LBB142_124
.LBB142_123:                            ;   in Loop: Header=BB142_124 Depth=2
	s_or_b64 exec, exec, s[6:7]
	s_waitcnt lgkmcnt(0)
	s_barrier
	s_waitcnt vmcnt(0)
	ds_read_b32 v6, v11 offset:3072
	v_add_co_u32_e64 v4, s[6:7], s54, v4
	s_waitcnt lgkmcnt(0)
	s_barrier
	v_and_b32_e32 v7, 0x7fff, v6
	v_cmp_ne_u16_e32 vcc, 0, v7
	v_mov_b32_e32 v7, s84
	v_addc_co_u32_e64 v5, s[6:7], v5, v7, s[6:7]
	v_cmp_ge_u64_e64 s[6:7], v[4:5], v[2:3]
	s_or_b64 s[6:7], s[6:7], vcc
	s_and_b64 s[6:7], exec, s[6:7]
	s_or_b64 s[12:13], s[6:7], s[12:13]
	s_andn2_b64 s[6:7], s[22:23], exec
	s_and_b64 s[22:23], vcc, exec
	s_or_b64 s[22:23], s[6:7], s[22:23]
	s_andn2_b64 exec, exec, s[12:13]
	s_cbranch_execz .LBB142_129
.LBB142_124:                            ;   Parent Loop BB142_31 Depth=1
                                        ; =>  This Inner Loop Header: Depth=2
	v_cmp_gt_u64_e32 vcc, s[52:53], v[4:5]
	v_mov_b32_e32 v6, 0
	s_and_saveexec_b64 s[24:25], vcc
	s_cbranch_execz .LBB142_126
; %bb.125:                              ;   in Loop: Header=BB142_124 Depth=2
	v_mul_lo_u32 v8, v5, s76
	v_mul_lo_u32 v9, v4, s77
	v_mad_u64_u32 v[6:7], s[6:7], v4, s76, 0
	v_add3_u32 v7, v7, v9, v8
	v_lshlrev_b64 v[6:7], 1, v[6:7]
	v_mov_b32_e32 v8, s55
	v_add_co_u32_e64 v6, s[6:7], s33, v6
	v_addc_co_u32_e64 v7, s[6:7], v8, v7, s[6:7]
	global_load_ushort v6, v[6:7], off
.LBB142_126:                            ;   in Loop: Header=BB142_124 Depth=2
	s_or_b64 exec, exec, s[24:25]
	s_and_saveexec_b64 s[6:7], vcc
	s_cbranch_execz .LBB142_123
; %bb.127:                              ;   in Loop: Header=BB142_124 Depth=2
	s_waitcnt vmcnt(0)
	v_cmp_lt_i16_e32 vcc, -1, v6
	v_cndmask_b32_e32 v7, v30, v31, vcc
	v_lshlrev_b32_e32 v8, 16, v6
	v_xor_b32_sdwa v7, v7, v6 dst_sel:DWORD dst_unused:UNUSED_PAD src0_sel:DWORD src1_sel:WORD_0
	v_cmp_o_f32_e32 vcc, v8, v8
	v_cndmask_b32_e32 v7, v30, v7, vcc
	v_and_b32_e32 v7, s27, v7
	v_cmp_eq_u32_e32 vcc, s92, v7
	s_and_b64 exec, exec, vcc
	s_cbranch_execz .LBB142_123
; %bb.128:                              ;   in Loop: Header=BB142_124 Depth=2
	v_perm_b32 v6, v6, s0, v34
	ds_write_b32 v11, v6 offset:3072
	s_branch .LBB142_123
.LBB142_129:                            ;   in Loop: Header=BB142_31 Depth=1
	s_or_b64 exec, exec, s[12:13]
	v_lshrrev_b32_e32 v35, 16, v6
	s_and_b64 s[6:7], s[22:23], exec
.LBB142_130:                            ;   in Loop: Header=BB142_31 Depth=1
	s_or_b64 exec, exec, s[8:9]
	s_mov_b64 s[22:23], -1
	s_mov_b64 s[8:9], 0
	s_mov_b64 s[12:13], 0
.LBB142_131:                            ;   in Loop: Header=BB142_31 Depth=1
	s_andn2_b64 s[24:25], s[58:59], exec
	s_and_b64 s[8:9], s[8:9], exec
	s_or_b64 s[58:59], s[24:25], s[8:9]
	s_andn2_b64 s[8:9], s[56:57], exec
	s_and_b64 s[22:23], s[22:23], exec
	s_or_b64 s[56:57], s[8:9], s[22:23]
	s_andn2_b64 s[8:9], s[68:69], exec
	s_and_b64 s[12:13], s[12:13], exec
	s_or_b64 s[68:69], s[8:9], s[12:13]
	s_and_saveexec_b64 s[12:13], s[6:7]
	s_cbranch_execz .LBB142_30
; %bb.132:                              ;   in Loop: Header=BB142_31 Depth=1
	s_xor_b64 s[6:7], s[20:21], -1
	s_andn2_b64 vcc, exec, s[6:7]
	s_mov_b32 s49, 1
	s_cbranch_vccnz .LBB142_143
; %bb.133:                              ;   in Loop: Header=BB142_31 Depth=1
	v_pk_mov_b32 v[2:3], s[14:15], s[14:15] op_sel:[0,1]
	v_cmp_gt_u64_e32 vcc, s[94:95], v[2:3]
	s_mov_b64 s[6:7], -1
                                        ; implicit-def: $sgpr49
                                        ; implicit-def: $sgpr8
                                        ; implicit-def: $sgpr9
	s_cbranch_vccnz .LBB142_139
; %bb.134:                              ;   in Loop: Header=BB142_31 Depth=1
	ds_read_b64 v[2:3], v11 offset:5120
	s_waitcnt lgkmcnt(0)
	v_cmp_ne_u64_e32 vcc, 0, v[2:3]
	s_cbranch_vccnz .LBB142_138
; %bb.135:                              ;   in Loop: Header=BB142_31 Depth=1
	s_mov_b64 s[6:7], exec
	v_readlane_b32 s8, v44, 36
	v_readlane_b32 s9, v44, 37
	s_and_b64 s[8:9], s[6:7], s[8:9]
	s_mov_b64 exec, s[8:9]
	s_cbranch_execz .LBB142_137
; %bb.136:                              ;   in Loop: Header=BB142_31 Depth=1
	v_pk_mov_b32 v[2:3], s[14:15], s[14:15] op_sel:[0,1]
	ds_write_b64 v11, v[2:3] offset:5128
.LBB142_137:                            ;   in Loop: Header=BB142_31 Depth=1
	s_or_b64 exec, exec, s[6:7]
	s_waitcnt lgkmcnt(0)
	s_barrier
.LBB142_138:                            ;   in Loop: Header=BB142_31 Depth=1
	s_and_b32 s8, s92, s41
	s_or_b32 s9, s27, s48
	s_mov_b64 s[6:7], 0
	s_mov_b32 s49, 8
.LBB142_139:                            ;   in Loop: Header=BB142_31 Depth=1
	s_andn2_b64 vcc, exec, s[6:7]
	s_cbranch_vccnz .LBB142_141
; %bb.140:                              ;   in Loop: Header=BB142_31 Depth=1
	s_sub_u32 s94, s94, s14
	s_subb_u32 s95, s95, s15
	s_mov_b64 s[6:7], -1
	s_mov_b32 s49, 0
	s_mov_b32 s8, s92
	;; [unrolled: 1-line block ×3, first 2 shown]
.LBB142_141:                            ;   in Loop: Header=BB142_31 Depth=1
	s_mov_b32 s27, s9
	s_mov_b32 s92, s8
	s_mov_b64 s[14:15], -1
	s_and_b64 vcc, exec, s[6:7]
	s_cbranch_vccnz .LBB142_144
.LBB142_142:                            ;   in Loop: Header=BB142_31 Depth=1
	s_mov_b64 s[8:9], -1
                                        ; implicit-def: $sgpr18_sgpr19
                                        ; implicit-def: $sgpr22_sgpr23
                                        ; implicit-def: $sgpr20_sgpr21
	s_and_saveexec_b64 s[6:7], s[8:9]
	s_xor_b64 s[6:7], exec, s[6:7]
	s_cbranch_execz .LBB142_29
	s_branch .LBB142_293
.LBB142_143:                            ;   in Loop: Header=BB142_31 Depth=1
	s_mov_b64 s[94:95], 1
	s_mov_b64 s[14:15], -1
	s_branch .LBB142_142
.LBB142_144:                            ;   in Loop: Header=BB142_31 Depth=1
	s_cmp_eq_u64 s[28:29], 1
	s_cselect_b64 s[6:7], -1, 0
	s_cmp_eq_u64 s[94:95], 1
	s_cselect_b64 s[8:9], -1, 0
	s_and_b64 s[30:31], s[6:7], s[8:9]
	s_mov_b64 s[6:7], -1
	s_and_b64 vcc, exec, s[30:31]
	s_cbranch_vccz .LBB142_159
; %bb.145:                              ;   in Loop: Header=BB142_31 Depth=1
	ds_read_b64 v[2:3], v11 offset:5120
	s_waitcnt lgkmcnt(0)
	s_barrier
	v_readfirstlane_b32 s8, v2
	v_readfirstlane_b32 s9, v3
	s_mov_b64 s[6:7], exec
	v_readlane_b32 s18, v44, 38
	v_readlane_b32 s19, v44, 39
	s_and_b64 s[18:19], s[6:7], s[18:19]
	s_mov_b64 exec, s[18:19]
	s_cbranch_execz .LBB142_147
; %bb.146:                              ;   in Loop: Header=BB142_31 Depth=1
	ds_write_b16 v24, v13
.LBB142_147:                            ;   in Loop: Header=BB142_31 Depth=1
	s_or_b64 exec, exec, s[6:7]
	s_lshl_b32 s6, 1, s40
	s_and_b32 s7, s92, s41
	s_or_b32 s92, s7, s6
	s_or_b32 s27, s27, s48
	s_cmp_eq_u64 s[8:9], 0
	s_waitcnt lgkmcnt(0)
	s_barrier
	s_cbranch_scc1 .LBB142_165
; %bb.148:                              ;   in Loop: Header=BB142_31 Depth=1
	s_add_u32 s20, s93, s8
	v_readlane_b32 s6, v44, 44
	s_addc_u32 s7, s6, s9
	s_mov_b32 s6, s91
	s_cmp_lg_u64 s[6:7], 0
	s_cbranch_scc0 .LBB142_210
; %bb.149:                              ;   in Loop: Header=BB142_31 Depth=1
	v_cvt_f32_u32_e32 v2, s54
	s_sub_u32 s6, 0, s54
	s_subb_u32 s18, 0, 0
	v_mac_f32_e32 v2, 0, v32
	v_rcp_f32_e32 v2, v2
	v_mul_f32_e32 v2, 0x5f7ffffc, v2
	v_mul_f32_e32 v3, 0x2f800000, v2
	v_trunc_f32_e32 v3, v3
	v_mac_f32_e32 v2, 0xcf800000, v3
	v_cvt_u32_f32_e32 v3, v3
	v_cvt_u32_f32_e32 v2, v2
	v_readfirstlane_b32 s19, v3
	v_readfirstlane_b32 s21, v2
	s_mul_i32 s22, s6, s19
	s_mul_hi_u32 s24, s6, s21
	s_mul_i32 s23, s18, s21
	s_add_i32 s22, s24, s22
	s_mul_i32 s25, s6, s21
	s_add_i32 s22, s22, s23
	s_mul_hi_u32 s24, s21, s25
	s_mul_hi_u32 s23, s21, s22
	s_mul_i32 s21, s21, s22
	s_add_u32 s21, s24, s21
	s_addc_u32 s23, 0, s23
	s_mul_hi_u32 s34, s19, s25
	s_mul_i32 s25, s19, s25
	s_add_u32 s21, s21, s25
	s_mul_hi_u32 s24, s19, s22
	s_addc_u32 s21, s23, s34
	s_addc_u32 s23, s24, 0
	s_mul_i32 s22, s19, s22
	s_add_u32 s21, s21, s22
	s_addc_u32 s22, 0, s23
	v_add_co_u32_e32 v2, vcc, s21, v2
	s_cmp_lg_u64 vcc, 0
	s_addc_u32 s19, s19, s22
	v_readfirstlane_b32 s22, v2
	s_mul_i32 s21, s6, s19
	s_mul_hi_u32 s23, s6, s22
	s_add_i32 s21, s23, s21
	s_mul_i32 s18, s18, s22
	s_add_i32 s21, s21, s18
	s_mul_i32 s6, s6, s22
	s_mul_hi_u32 s23, s19, s6
	s_mul_i32 s24, s19, s6
	s_mul_i32 s34, s22, s21
	s_mul_hi_u32 s6, s22, s6
	s_mul_hi_u32 s25, s22, s21
	s_add_u32 s6, s6, s34
	s_addc_u32 s22, 0, s25
	s_add_u32 s6, s6, s24
	s_mul_hi_u32 s18, s19, s21
	s_addc_u32 s6, s22, s23
	s_addc_u32 s18, s18, 0
	s_mul_i32 s21, s19, s21
	s_add_u32 s6, s6, s21
	s_addc_u32 s18, 0, s18
	v_add_co_u32_e32 v2, vcc, s6, v2
	s_cmp_lg_u64 vcc, 0
	s_addc_u32 s6, s19, s18
	v_readfirstlane_b32 s21, v2
	s_mul_i32 s19, s20, s6
	s_mul_hi_u32 s22, s20, s21
	s_mul_hi_u32 s18, s20, s6
	s_add_u32 s19, s22, s19
	s_addc_u32 s18, 0, s18
	s_mul_hi_u32 s23, s7, s21
	s_mul_i32 s21, s7, s21
	s_add_u32 s19, s19, s21
	s_mul_hi_u32 s22, s7, s6
	s_addc_u32 s18, s18, s23
	s_addc_u32 s19, s22, 0
	s_mul_i32 s6, s7, s6
	s_add_u32 s6, s18, s6
	s_addc_u32 s18, 0, s19
	s_mul_hi_u32 s19, s54, s6
	s_mul_i32 s6, s54, s6
	s_mul_i32 s18, s54, s18
	v_mov_b32_e32 v2, s6
	s_add_i32 s19, s19, s18
	v_sub_co_u32_e32 v2, vcc, s20, v2
	s_cmp_lg_u64 vcc, 0
	s_subb_u32 s6, s7, s19
	v_subrev_co_u32_e32 v3, vcc, s54, v2
	s_cmp_lg_u64 vcc, 0
	s_subb_u32 s18, s6, 0
	v_subrev_co_u32_e32 v4, vcc, s54, v3
	s_cmp_lg_u64 vcc, 0
	s_subb_u32 s19, s18, 0
	v_cmp_le_u32_e32 vcc, s54, v3
	s_cmp_eq_u32 s18, 0
	v_cndmask_b32_e64 v5, 0, -1, vcc
	s_cselect_b64 vcc, -1, 0
	v_cndmask_b32_e32 v5, -1, v5, vcc
	v_mov_b32_e32 v6, s18
	v_mov_b32_e32 v7, s19
	v_cmp_ne_u32_e32 vcc, 0, v5
	v_cndmask_b32_e32 v5, v6, v7, vcc
	v_cndmask_b32_e32 v4, v3, v4, vcc
	v_cmp_le_u32_e32 vcc, s54, v2
	s_cmp_eq_u32 s6, 0
	v_cndmask_b32_e64 v3, 0, -1, vcc
	s_cselect_b64 vcc, -1, 0
	v_cndmask_b32_e32 v3, -1, v3, vcc
	v_mov_b32_e32 v6, s6
	v_cmp_ne_u32_e32 vcc, 0, v3
	v_cndmask_b32_e32 v3, v6, v5, vcc
	v_cndmask_b32_e32 v2, v2, v4, vcc
	s_cbranch_execnz .LBB142_151
.LBB142_150:                            ;   in Loop: Header=BB142_31 Depth=1
	v_cvt_f32_u32_e32 v2, s54
	s_sub_i32 s6, 0, s54
	v_rcp_iflag_f32_e32 v2, v2
	v_mul_f32_e32 v2, 0x4f7ffffe, v2
	v_cvt_u32_f32_e32 v2, v2
	v_mul_lo_u32 v3, s6, v2
	v_mul_hi_u32 v3, v2, v3
	v_add_u32_e32 v2, v2, v3
	v_mul_hi_u32 v2, s20, v2
	v_mul_lo_u32 v2, v2, s54
	v_sub_u32_e32 v2, s20, v2
	v_subrev_u32_e32 v3, s54, v2
	v_cmp_le_u32_e32 vcc, s54, v2
	v_cndmask_b32_e32 v2, v2, v3, vcc
	v_subrev_u32_e32 v3, s54, v2
	v_cmp_le_u32_e32 vcc, s54, v2
	v_cndmask_b32_e32 v10, v2, v3, vcc
	v_pk_mov_b32 v[2:3], v[10:11], v[10:11] op_sel:[0,1]
.LBB142_151:                            ;   in Loop: Header=BB142_31 Depth=1
	v_mov_b32_e32 v4, s7
	v_sub_co_u32_e32 v2, vcc, s20, v2
	v_subb_co_u32_e32 v3, vcc, v4, v3, vcc
	v_cmp_gt_u64_e32 vcc, v[2:3], v[0:1]
	s_mov_b64 s[6:7], 0
                                        ; implicit-def: $vgpr35
	s_and_saveexec_b64 s[18:19], vcc
	s_cbranch_execz .LBB142_167
; %bb.152:                              ;   in Loop: Header=BB142_31 Depth=1
	s_mov_b64 s[20:21], 0
	v_mov_b32_e32 v6, v23
	v_pk_mov_b32 v[4:5], v[0:1], v[0:1] op_sel:[0,1]
                                        ; implicit-def: $sgpr22_sgpr23
	s_branch .LBB142_154
.LBB142_153:                            ;   in Loop: Header=BB142_154 Depth=2
	s_or_b64 exec, exec, s[6:7]
	s_waitcnt lgkmcnt(0)
	s_barrier
	ds_read_b32 v7, v11 offset:3072
	v_add_co_u32_e64 v4, s[6:7], s54, v4
	v_add_u32_e32 v6, s2, v6
	s_waitcnt lgkmcnt(0)
	v_and_b32_e32 v8, 0x7fff, v7
	v_cmp_ne_u16_e32 vcc, 0, v8
	v_mov_b32_e32 v8, s84
	v_addc_co_u32_e64 v5, s[6:7], v5, v8, s[6:7]
	v_cmp_ge_u64_e64 s[6:7], v[4:5], v[2:3]
	s_or_b64 s[6:7], s[6:7], vcc
	s_and_b64 s[6:7], exec, s[6:7]
	s_or_b64 s[20:21], s[6:7], s[20:21]
	s_andn2_b64 s[6:7], s[22:23], exec
	s_and_b64 s[22:23], vcc, exec
	s_or_b64 s[22:23], s[6:7], s[22:23]
	s_barrier
	s_andn2_b64 exec, exec, s[20:21]
	s_cbranch_execz .LBB142_166
.LBB142_154:                            ;   Parent Loop BB142_31 Depth=1
                                        ; =>  This Inner Loop Header: Depth=2
	v_cmp_gt_u64_e32 vcc, s[8:9], v[4:5]
	v_mov_b32_e32 v7, 0
	s_and_saveexec_b64 s[6:7], vcc
	s_cbranch_execz .LBB142_156
; %bb.155:                              ;   in Loop: Header=BB142_154 Depth=2
	ds_read_u16 v7, v6
.LBB142_156:                            ;   in Loop: Header=BB142_154 Depth=2
	s_or_b64 exec, exec, s[6:7]
	s_and_saveexec_b64 s[6:7], vcc
	s_cbranch_execz .LBB142_153
; %bb.157:                              ;   in Loop: Header=BB142_154 Depth=2
	s_waitcnt lgkmcnt(0)
	v_cmp_lt_i16_e32 vcc, -1, v7
	v_cndmask_b32_e32 v8, v30, v31, vcc
	v_lshlrev_b32_e32 v9, 16, v7
	v_xor_b32_sdwa v8, v8, v7 dst_sel:DWORD dst_unused:UNUSED_PAD src0_sel:DWORD src1_sel:WORD_0
	v_cmp_o_f32_e32 vcc, v9, v9
	v_cndmask_b32_e32 v8, v30, v8, vcc
	v_and_b32_e32 v8, s27, v8
	v_cmp_eq_u32_e32 vcc, s92, v8
	s_and_b64 exec, exec, vcc
	s_cbranch_execz .LBB142_153
; %bb.158:                              ;   in Loop: Header=BB142_154 Depth=2
	v_perm_b32 v7, v7, s0, v34
	ds_write_b32 v11, v7 offset:3072
	s_branch .LBB142_153
.LBB142_159:                            ;   in Loop: Header=BB142_31 Depth=1
                                        ; implicit-def: $sgpr20_sgpr21
                                        ; implicit-def: $sgpr22_sgpr23
                                        ; implicit-def: $sgpr18_sgpr19
	s_branch .LBB142_181
.LBB142_160:                            ;   in Loop: Header=BB142_31 Depth=1
                                        ; implicit-def: $vgpr2_vgpr3
	s_branch .LBB142_105
.LBB142_161:                            ;   in Loop: Header=BB142_31 Depth=1
	s_or_b64 exec, exec, s[8:9]
	s_waitcnt lgkmcnt(0)
	s_barrier
	s_mov_b64 s[6:7], exec
	v_readlane_b32 s8, v44, 36
	v_readlane_b32 s9, v44, 37
	s_and_b64 s[8:9], s[6:7], s[8:9]
	s_mov_b64 exec, s[8:9]
	s_cbranch_execz .LBB142_163
; %bb.162:                              ;   in Loop: Header=BB142_31 Depth=1
	ds_read_b32 v2, v11 offset:5144
	s_waitcnt lgkmcnt(0)
	v_ashrrev_i32_e32 v3, 31, v2
	ds_write_b64 v11, v[2:3] offset:5120
.LBB142_163:                            ;   in Loop: Header=BB142_31 Depth=1
	s_or_b64 exec, exec, s[6:7]
	s_waitcnt lgkmcnt(0)
	s_barrier
	s_mov_b64 s[6:7], -1
	s_and_b64 vcc, exec, s[72:73]
	s_cbranch_vccnz .LBB142_46
	s_branch .LBB142_56
.LBB142_164:                            ;   in Loop: Header=BB142_31 Depth=1
                                        ; implicit-def: $vgpr2_vgpr3
	s_branch .LBB142_120
.LBB142_165:                            ;   in Loop: Header=BB142_31 Depth=1
	s_mov_b64 s[20:21], -1
	s_mov_b64 s[6:7], 0
                                        ; implicit-def: $sgpr18_sgpr19
                                        ; implicit-def: $vgpr35
	s_mov_b64 s[22:23], s[20:21]
	s_cbranch_execnz .LBB142_168
	s_branch .LBB142_181
.LBB142_166:                            ;   in Loop: Header=BB142_31 Depth=1
	s_or_b64 exec, exec, s[20:21]
	v_lshrrev_b32_e32 v35, 16, v7
	s_and_b64 s[6:7], s[22:23], exec
.LBB142_167:                            ;   in Loop: Header=BB142_31 Depth=1
	s_or_b64 exec, exec, s[18:19]
	s_mov_b64 s[18:19], -1
	s_mov_b64 s[20:21], 0
	s_mov_b64 s[22:23], s[20:21]
	s_branch .LBB142_181
.LBB142_168:                            ;   in Loop: Header=BB142_31 Depth=1
	s_mov_b32 s82, s91
	s_cmp_lg_u64 s[82:83], 0
	s_cbranch_scc0 .LBB142_211
; %bb.169:                              ;   in Loop: Header=BB142_31 Depth=1
	v_cvt_f32_u32_e32 v2, s54
	s_sub_u32 s6, 0, s54
	s_subb_u32 s7, 0, 0
	v_mac_f32_e32 v2, 0, v32
	v_rcp_f32_e32 v2, v2
	v_mul_f32_e32 v2, 0x5f7ffffc, v2
	v_mul_f32_e32 v3, 0x2f800000, v2
	v_trunc_f32_e32 v3, v3
	v_mac_f32_e32 v2, 0xcf800000, v3
	v_cvt_u32_f32_e32 v3, v3
	v_cvt_u32_f32_e32 v2, v2
	v_readfirstlane_b32 s8, v3
	v_readfirstlane_b32 s9, v2
	s_mul_i32 s18, s6, s8
	s_mul_hi_u32 s20, s6, s9
	s_mul_i32 s19, s7, s9
	s_add_i32 s18, s20, s18
	s_mul_i32 s21, s6, s9
	s_add_i32 s18, s18, s19
	s_mul_hi_u32 s20, s9, s21
	s_mul_hi_u32 s19, s9, s18
	s_mul_i32 s9, s9, s18
	s_add_u32 s9, s20, s9
	s_addc_u32 s19, 0, s19
	s_mul_hi_u32 s22, s8, s21
	s_mul_i32 s21, s8, s21
	s_add_u32 s9, s9, s21
	s_mul_hi_u32 s20, s8, s18
	s_addc_u32 s9, s19, s22
	s_addc_u32 s19, s20, 0
	s_mul_i32 s18, s8, s18
	s_add_u32 s9, s9, s18
	s_addc_u32 s18, 0, s19
	v_add_co_u32_e32 v2, vcc, s9, v2
	s_cmp_lg_u64 vcc, 0
	s_addc_u32 s8, s8, s18
	v_readfirstlane_b32 s18, v2
	s_mul_i32 s9, s6, s8
	s_mul_hi_u32 s19, s6, s18
	s_add_i32 s9, s19, s9
	s_mul_i32 s7, s7, s18
	s_add_i32 s9, s9, s7
	s_mul_i32 s6, s6, s18
	s_mul_hi_u32 s19, s8, s6
	s_mul_i32 s20, s8, s6
	s_mul_i32 s22, s18, s9
	s_mul_hi_u32 s6, s18, s6
	s_mul_hi_u32 s21, s18, s9
	s_add_u32 s6, s6, s22
	s_addc_u32 s18, 0, s21
	s_add_u32 s6, s6, s20
	s_mul_hi_u32 s7, s8, s9
	s_addc_u32 s6, s18, s19
	s_addc_u32 s7, s7, 0
	s_mul_i32 s9, s8, s9
	s_add_u32 s6, s6, s9
	s_addc_u32 s7, 0, s7
	v_add_co_u32_e32 v2, vcc, s6, v2
	s_cmp_lg_u64 vcc, 0
	s_addc_u32 s6, s8, s7
	v_readfirstlane_b32 s9, v2
	s_mul_i32 s8, s3, s6
	s_mul_hi_u32 s18, s3, s9
	s_mul_hi_u32 s7, s3, s6
	s_add_u32 s8, s18, s8
	s_addc_u32 s7, 0, s7
	s_mul_hi_u32 s19, s83, s9
	s_mul_i32 s9, s83, s9
	s_add_u32 s8, s8, s9
	s_mul_hi_u32 s18, s83, s6
	s_addc_u32 s7, s7, s19
	s_addc_u32 s8, s18, 0
	s_mul_i32 s6, s83, s6
	s_add_u32 s6, s7, s6
	s_addc_u32 s7, 0, s8
	s_mul_hi_u32 s8, s54, s6
	s_mul_i32 s6, s54, s6
	s_mul_i32 s7, s54, s7
	v_mov_b32_e32 v2, s6
	s_add_i32 s8, s8, s7
	v_sub_co_u32_e32 v2, vcc, s3, v2
	s_cmp_lg_u64 vcc, 0
	s_subb_u32 s6, s83, s8
	v_subrev_co_u32_e32 v3, vcc, s54, v2
	s_cmp_lg_u64 vcc, 0
	s_subb_u32 s7, s6, 0
	v_subrev_co_u32_e32 v4, vcc, s54, v3
	s_cmp_lg_u64 vcc, 0
	s_subb_u32 s8, s7, 0
	v_cmp_le_u32_e32 vcc, s54, v3
	s_cmp_eq_u32 s7, 0
	v_cndmask_b32_e64 v5, 0, -1, vcc
	s_cselect_b64 vcc, -1, 0
	v_cndmask_b32_e32 v5, -1, v5, vcc
	v_mov_b32_e32 v6, s7
	v_mov_b32_e32 v7, s8
	v_cmp_ne_u32_e32 vcc, 0, v5
	v_cndmask_b32_e32 v5, v6, v7, vcc
	v_cndmask_b32_e32 v4, v3, v4, vcc
	v_cmp_le_u32_e32 vcc, s54, v2
	s_cmp_eq_u32 s6, 0
	v_cndmask_b32_e64 v3, 0, -1, vcc
	s_cselect_b64 vcc, -1, 0
	v_cndmask_b32_e32 v3, -1, v3, vcc
	v_mov_b32_e32 v6, s6
	v_cmp_ne_u32_e32 vcc, 0, v3
	v_cndmask_b32_e32 v3, v6, v5, vcc
	v_cndmask_b32_e32 v2, v2, v4, vcc
	s_cbranch_execnz .LBB142_171
.LBB142_170:                            ;   in Loop: Header=BB142_31 Depth=1
	v_cvt_f32_u32_e32 v2, s54
	s_sub_i32 s6, 0, s54
	v_rcp_iflag_f32_e32 v2, v2
	v_mul_f32_e32 v2, 0x4f7ffffe, v2
	v_cvt_u32_f32_e32 v2, v2
	v_mul_lo_u32 v3, s6, v2
	v_mul_hi_u32 v3, v2, v3
	v_add_u32_e32 v2, v2, v3
	v_mul_hi_u32 v2, s3, v2
	v_mul_lo_u32 v2, v2, s54
	v_sub_u32_e32 v2, s3, v2
	v_subrev_u32_e32 v3, s54, v2
	v_cmp_le_u32_e32 vcc, s54, v2
	v_cndmask_b32_e32 v2, v2, v3, vcc
	v_subrev_u32_e32 v3, s54, v2
	v_cmp_le_u32_e32 vcc, s54, v2
	v_cndmask_b32_e32 v10, v2, v3, vcc
	v_pk_mov_b32 v[2:3], v[10:11], v[10:11] op_sel:[0,1]
.LBB142_171:                            ;   in Loop: Header=BB142_31 Depth=1
	v_mov_b32_e32 v4, s83
	v_sub_co_u32_e32 v2, vcc, s3, v2
	v_subb_co_u32_e32 v3, vcc, v4, v3, vcc
	v_cmp_gt_u64_e32 vcc, v[2:3], v[0:1]
	s_mov_b64 s[6:7], 0
                                        ; implicit-def: $vgpr35
	s_and_saveexec_b64 s[8:9], vcc
	s_cbranch_execz .LBB142_180
; %bb.172:                              ;   in Loop: Header=BB142_31 Depth=1
	s_mov_b64 s[18:19], 0
	v_pk_mov_b32 v[4:5], v[0:1], v[0:1] op_sel:[0,1]
                                        ; implicit-def: $sgpr20_sgpr21
	s_branch .LBB142_174
.LBB142_173:                            ;   in Loop: Header=BB142_174 Depth=2
	s_or_b64 exec, exec, s[6:7]
	s_waitcnt lgkmcnt(0)
	s_barrier
	s_waitcnt vmcnt(0)
	ds_read_b32 v6, v11 offset:3072
	v_add_co_u32_e64 v4, s[6:7], s54, v4
	s_waitcnt lgkmcnt(0)
	s_barrier
	v_and_b32_e32 v7, 0x7fff, v6
	v_cmp_ne_u16_e32 vcc, 0, v7
	v_mov_b32_e32 v7, s84
	v_addc_co_u32_e64 v5, s[6:7], v5, v7, s[6:7]
	v_cmp_ge_u64_e64 s[6:7], v[4:5], v[2:3]
	s_or_b64 s[6:7], s[6:7], vcc
	s_and_b64 s[6:7], exec, s[6:7]
	s_or_b64 s[18:19], s[6:7], s[18:19]
	s_andn2_b64 s[6:7], s[20:21], exec
	s_and_b64 s[20:21], vcc, exec
	s_or_b64 s[20:21], s[6:7], s[20:21]
	s_andn2_b64 exec, exec, s[18:19]
	s_cbranch_execz .LBB142_179
.LBB142_174:                            ;   Parent Loop BB142_31 Depth=1
                                        ; =>  This Inner Loop Header: Depth=2
	v_cmp_gt_u64_e32 vcc, s[52:53], v[4:5]
	v_mov_b32_e32 v6, 0
	s_and_saveexec_b64 s[22:23], vcc
	s_cbranch_execz .LBB142_176
; %bb.175:                              ;   in Loop: Header=BB142_174 Depth=2
	v_mul_lo_u32 v8, v5, s76
	v_mul_lo_u32 v9, v4, s77
	v_mad_u64_u32 v[6:7], s[6:7], v4, s76, 0
	v_add3_u32 v7, v7, v9, v8
	v_lshlrev_b64 v[6:7], 1, v[6:7]
	v_mov_b32_e32 v8, s55
	v_add_co_u32_e64 v6, s[6:7], s33, v6
	v_addc_co_u32_e64 v7, s[6:7], v8, v7, s[6:7]
	global_load_ushort v6, v[6:7], off
.LBB142_176:                            ;   in Loop: Header=BB142_174 Depth=2
	s_or_b64 exec, exec, s[22:23]
	s_and_saveexec_b64 s[6:7], vcc
	s_cbranch_execz .LBB142_173
; %bb.177:                              ;   in Loop: Header=BB142_174 Depth=2
	s_waitcnt vmcnt(0)
	v_cmp_lt_i16_e32 vcc, -1, v6
	v_cndmask_b32_e32 v7, v30, v31, vcc
	v_lshlrev_b32_e32 v8, 16, v6
	v_xor_b32_sdwa v7, v7, v6 dst_sel:DWORD dst_unused:UNUSED_PAD src0_sel:DWORD src1_sel:WORD_0
	v_cmp_o_f32_e32 vcc, v8, v8
	v_cndmask_b32_e32 v7, v30, v7, vcc
	v_and_b32_e32 v7, s27, v7
	v_cmp_eq_u32_e32 vcc, s92, v7
	s_and_b64 exec, exec, vcc
	s_cbranch_execz .LBB142_173
; %bb.178:                              ;   in Loop: Header=BB142_174 Depth=2
	v_perm_b32 v6, v6, s0, v34
	ds_write_b32 v11, v6 offset:3072
	s_branch .LBB142_173
.LBB142_179:                            ;   in Loop: Header=BB142_31 Depth=1
	s_or_b64 exec, exec, s[18:19]
	v_lshrrev_b32_e32 v35, 16, v6
	s_and_b64 s[6:7], s[20:21], exec
.LBB142_180:                            ;   in Loop: Header=BB142_31 Depth=1
	s_or_b64 exec, exec, s[8:9]
	s_mov_b64 s[22:23], -1
	s_mov_b64 s[20:21], 0
	s_mov_b64 s[18:19], 0
.LBB142_181:                            ;   in Loop: Header=BB142_31 Depth=1
	s_mov_b64 s[8:9], 0
                                        ; implicit-def: $sgpr49
	s_and_saveexec_b64 s[24:25], s[6:7]
	s_cbranch_execz .LBB142_292
; %bb.182:                              ;   in Loop: Header=BB142_31 Depth=1
	s_xor_b64 s[6:7], s[30:31], -1
	s_andn2_b64 vcc, exec, s[6:7]
	s_mov_b32 s49, 1
	s_cbranch_vccnz .LBB142_193
; %bb.183:                              ;   in Loop: Header=BB142_31 Depth=1
	v_pk_mov_b32 v[2:3], s[28:29], s[28:29] op_sel:[0,1]
	v_cmp_gt_u64_e32 vcc, s[94:95], v[2:3]
	s_mov_b64 s[6:7], -1
                                        ; implicit-def: $sgpr49
                                        ; implicit-def: $sgpr8
                                        ; implicit-def: $sgpr9
	s_cbranch_vccnz .LBB142_189
; %bb.184:                              ;   in Loop: Header=BB142_31 Depth=1
	ds_read_b64 v[2:3], v11 offset:5120
	s_waitcnt lgkmcnt(0)
	v_cmp_ne_u64_e32 vcc, 0, v[2:3]
	s_cbranch_vccnz .LBB142_188
; %bb.185:                              ;   in Loop: Header=BB142_31 Depth=1
	s_mov_b64 s[6:7], exec
	v_readlane_b32 s8, v44, 36
	v_readlane_b32 s9, v44, 37
	s_and_b64 s[8:9], s[6:7], s[8:9]
	s_mov_b64 exec, s[8:9]
	s_cbranch_execz .LBB142_187
; %bb.186:                              ;   in Loop: Header=BB142_31 Depth=1
	v_pk_mov_b32 v[2:3], s[28:29], s[28:29] op_sel:[0,1]
	ds_write_b64 v11, v[2:3] offset:5128
.LBB142_187:                            ;   in Loop: Header=BB142_31 Depth=1
	s_or_b64 exec, exec, s[6:7]
	s_waitcnt lgkmcnt(0)
	s_barrier
.LBB142_188:                            ;   in Loop: Header=BB142_31 Depth=1
	s_lshl_b32 s6, 1, s40
	s_and_b32 s7, s92, s41
	s_or_b32 s8, s7, s6
	s_or_b32 s9, s27, s48
	s_mov_b64 s[6:7], 0
	s_mov_b32 s49, 8
.LBB142_189:                            ;   in Loop: Header=BB142_31 Depth=1
	s_andn2_b64 vcc, exec, s[6:7]
	s_cbranch_vccnz .LBB142_191
; %bb.190:                              ;   in Loop: Header=BB142_31 Depth=1
	s_sub_u32 s94, s94, s28
	s_subb_u32 s95, s95, s29
	s_mov_b64 s[6:7], -1
	s_mov_b32 s49, 0
	s_mov_b32 s8, s92
	;; [unrolled: 1-line block ×3, first 2 shown]
.LBB142_191:                            ;   in Loop: Header=BB142_31 Depth=1
	s_mov_b32 s27, s9
	s_mov_b32 s92, s8
	s_andn2_b64 vcc, exec, s[6:7]
	s_mov_b64 s[8:9], -1
	s_cbranch_vccz .LBB142_194
.LBB142_192:                            ;   in Loop: Header=BB142_31 Depth=1
                                        ; implicit-def: $sgpr30_sgpr31
                                        ; implicit-def: $sgpr34_sgpr35
                                        ; implicit-def: $sgpr28_sgpr29
	s_branch .LBB142_291
.LBB142_193:                            ;   in Loop: Header=BB142_31 Depth=1
	s_mov_b64 s[94:95], 1
	s_mov_b64 s[8:9], -1
	s_cbranch_execnz .LBB142_192
.LBB142_194:                            ;   in Loop: Header=BB142_31 Depth=1
	s_cmp_eq_u64 s[16:17], 1
	s_cselect_b64 s[6:7], -1, 0
	s_cmp_eq_u64 s[94:95], 1
	s_cselect_b64 s[8:9], -1, 0
	s_and_b64 s[38:39], s[6:7], s[8:9]
	s_mov_b64 s[6:7], -1
	s_and_b64 vcc, exec, s[38:39]
	s_cbranch_vccz .LBB142_209
; %bb.195:                              ;   in Loop: Header=BB142_31 Depth=1
	ds_read_b64 v[2:3], v11 offset:5120
	s_waitcnt lgkmcnt(0)
	s_barrier
	v_readfirstlane_b32 s8, v2
	v_readfirstlane_b32 s9, v3
	s_mov_b64 s[6:7], exec
	v_readlane_b32 s28, v44, 38
	v_readlane_b32 s29, v44, 39
	s_and_b64 s[28:29], s[6:7], s[28:29]
	s_mov_b64 exec, s[28:29]
	s_cbranch_execz .LBB142_197
; %bb.196:                              ;   in Loop: Header=BB142_31 Depth=1
	ds_write_b16 v24, v13
.LBB142_197:                            ;   in Loop: Header=BB142_31 Depth=1
	s_or_b64 exec, exec, s[6:7]
	s_lshl_b32 s6, 2, s40
	s_and_b32 s7, s92, s41
	s_or_b32 s92, s7, s6
	s_or_b32 s27, s27, s48
	s_cmp_eq_u64 s[8:9], 0
	s_waitcnt lgkmcnt(0)
	s_barrier
	s_cbranch_scc1 .LBB142_212
; %bb.198:                              ;   in Loop: Header=BB142_31 Depth=1
	s_add_u32 s30, s93, s8
	v_readlane_b32 s6, v44, 44
	s_addc_u32 s7, s6, s9
	s_mov_b32 s6, s91
	s_cmp_lg_u64 s[6:7], 0
	s_cbranch_scc0 .LBB142_257
; %bb.199:                              ;   in Loop: Header=BB142_31 Depth=1
	v_cvt_f32_u32_e32 v2, s54
	s_sub_u32 s6, 0, s54
	s_subb_u32 s28, 0, 0
	v_mac_f32_e32 v2, 0, v32
	v_rcp_f32_e32 v2, v2
	v_mul_f32_e32 v2, 0x5f7ffffc, v2
	v_mul_f32_e32 v3, 0x2f800000, v2
	v_trunc_f32_e32 v3, v3
	v_mac_f32_e32 v2, 0xcf800000, v3
	v_cvt_u32_f32_e32 v3, v3
	v_cvt_u32_f32_e32 v2, v2
	v_readfirstlane_b32 s29, v3
	v_readfirstlane_b32 s31, v2
	s_mul_i32 s34, s6, s29
	s_mul_hi_u32 s36, s6, s31
	s_mul_i32 s35, s28, s31
	s_add_i32 s34, s36, s34
	s_mul_i32 s37, s6, s31
	s_add_i32 s34, s34, s35
	s_mul_hi_u32 s36, s31, s37
	s_mul_hi_u32 s35, s31, s34
	s_mul_i32 s31, s31, s34
	s_add_u32 s31, s36, s31
	s_addc_u32 s35, 0, s35
	s_mul_hi_u32 s42, s29, s37
	s_mul_i32 s37, s29, s37
	s_add_u32 s31, s31, s37
	s_mul_hi_u32 s36, s29, s34
	s_addc_u32 s31, s35, s42
	s_addc_u32 s35, s36, 0
	s_mul_i32 s34, s29, s34
	s_add_u32 s31, s31, s34
	s_addc_u32 s34, 0, s35
	v_add_co_u32_e32 v2, vcc, s31, v2
	s_cmp_lg_u64 vcc, 0
	s_addc_u32 s29, s29, s34
	v_readfirstlane_b32 s34, v2
	s_mul_i32 s31, s6, s29
	s_mul_hi_u32 s35, s6, s34
	s_add_i32 s31, s35, s31
	s_mul_i32 s28, s28, s34
	s_add_i32 s31, s31, s28
	s_mul_i32 s6, s6, s34
	s_mul_hi_u32 s35, s29, s6
	s_mul_i32 s36, s29, s6
	s_mul_i32 s42, s34, s31
	s_mul_hi_u32 s6, s34, s6
	s_mul_hi_u32 s37, s34, s31
	s_add_u32 s6, s6, s42
	s_addc_u32 s34, 0, s37
	s_add_u32 s6, s6, s36
	s_mul_hi_u32 s28, s29, s31
	s_addc_u32 s6, s34, s35
	s_addc_u32 s28, s28, 0
	s_mul_i32 s31, s29, s31
	s_add_u32 s6, s6, s31
	s_addc_u32 s28, 0, s28
	v_add_co_u32_e32 v2, vcc, s6, v2
	s_cmp_lg_u64 vcc, 0
	s_addc_u32 s6, s29, s28
	v_readfirstlane_b32 s31, v2
	s_mul_i32 s29, s30, s6
	s_mul_hi_u32 s34, s30, s31
	s_mul_hi_u32 s28, s30, s6
	s_add_u32 s29, s34, s29
	s_addc_u32 s28, 0, s28
	s_mul_hi_u32 s35, s7, s31
	s_mul_i32 s31, s7, s31
	s_add_u32 s29, s29, s31
	s_mul_hi_u32 s34, s7, s6
	s_addc_u32 s28, s28, s35
	s_addc_u32 s29, s34, 0
	s_mul_i32 s6, s7, s6
	s_add_u32 s6, s28, s6
	s_addc_u32 s28, 0, s29
	s_mul_hi_u32 s29, s54, s6
	s_mul_i32 s6, s54, s6
	s_mul_i32 s28, s54, s28
	v_mov_b32_e32 v2, s6
	s_add_i32 s29, s29, s28
	v_sub_co_u32_e32 v2, vcc, s30, v2
	s_cmp_lg_u64 vcc, 0
	s_subb_u32 s6, s7, s29
	v_subrev_co_u32_e32 v3, vcc, s54, v2
	s_cmp_lg_u64 vcc, 0
	s_subb_u32 s28, s6, 0
	v_subrev_co_u32_e32 v4, vcc, s54, v3
	s_cmp_lg_u64 vcc, 0
	s_subb_u32 s29, s28, 0
	v_cmp_le_u32_e32 vcc, s54, v3
	s_cmp_eq_u32 s28, 0
	v_cndmask_b32_e64 v5, 0, -1, vcc
	s_cselect_b64 vcc, -1, 0
	v_cndmask_b32_e32 v5, -1, v5, vcc
	v_mov_b32_e32 v6, s28
	v_mov_b32_e32 v7, s29
	v_cmp_ne_u32_e32 vcc, 0, v5
	v_cndmask_b32_e32 v5, v6, v7, vcc
	v_cndmask_b32_e32 v4, v3, v4, vcc
	v_cmp_le_u32_e32 vcc, s54, v2
	s_cmp_eq_u32 s6, 0
	v_cndmask_b32_e64 v3, 0, -1, vcc
	s_cselect_b64 vcc, -1, 0
	v_cndmask_b32_e32 v3, -1, v3, vcc
	v_mov_b32_e32 v6, s6
	v_cmp_ne_u32_e32 vcc, 0, v3
	v_cndmask_b32_e32 v3, v6, v5, vcc
	v_cndmask_b32_e32 v2, v2, v4, vcc
	s_cbranch_execnz .LBB142_201
.LBB142_200:                            ;   in Loop: Header=BB142_31 Depth=1
	v_cvt_f32_u32_e32 v2, s54
	s_sub_i32 s6, 0, s54
	v_rcp_iflag_f32_e32 v2, v2
	v_mul_f32_e32 v2, 0x4f7ffffe, v2
	v_cvt_u32_f32_e32 v2, v2
	v_mul_lo_u32 v3, s6, v2
	v_mul_hi_u32 v3, v2, v3
	v_add_u32_e32 v2, v2, v3
	v_mul_hi_u32 v2, s30, v2
	v_mul_lo_u32 v2, v2, s54
	v_sub_u32_e32 v2, s30, v2
	v_subrev_u32_e32 v3, s54, v2
	v_cmp_le_u32_e32 vcc, s54, v2
	v_cndmask_b32_e32 v2, v2, v3, vcc
	v_subrev_u32_e32 v3, s54, v2
	v_cmp_le_u32_e32 vcc, s54, v2
	v_cndmask_b32_e32 v10, v2, v3, vcc
	v_pk_mov_b32 v[2:3], v[10:11], v[10:11] op_sel:[0,1]
.LBB142_201:                            ;   in Loop: Header=BB142_31 Depth=1
	v_mov_b32_e32 v4, s7
	v_sub_co_u32_e32 v2, vcc, s30, v2
	v_subb_co_u32_e32 v3, vcc, v4, v3, vcc
	v_cmp_gt_u64_e32 vcc, v[2:3], v[0:1]
	s_mov_b64 s[6:7], 0
                                        ; implicit-def: $vgpr35
	s_and_saveexec_b64 s[28:29], vcc
	s_cbranch_execz .LBB142_214
; %bb.202:                              ;   in Loop: Header=BB142_31 Depth=1
	s_mov_b64 s[30:31], 0
	v_mov_b32_e32 v6, v23
	v_pk_mov_b32 v[4:5], v[0:1], v[0:1] op_sel:[0,1]
                                        ; implicit-def: $sgpr34_sgpr35
	s_branch .LBB142_204
.LBB142_203:                            ;   in Loop: Header=BB142_204 Depth=2
	s_or_b64 exec, exec, s[6:7]
	s_waitcnt lgkmcnt(0)
	s_barrier
	ds_read_b32 v7, v11 offset:3072
	v_add_co_u32_e64 v4, s[6:7], s54, v4
	v_add_u32_e32 v6, s2, v6
	s_waitcnt lgkmcnt(0)
	v_and_b32_e32 v8, 0x7fff, v7
	v_cmp_ne_u16_e32 vcc, 0, v8
	v_mov_b32_e32 v8, s84
	v_addc_co_u32_e64 v5, s[6:7], v5, v8, s[6:7]
	v_cmp_ge_u64_e64 s[6:7], v[4:5], v[2:3]
	s_or_b64 s[6:7], s[6:7], vcc
	s_and_b64 s[6:7], exec, s[6:7]
	s_or_b64 s[30:31], s[6:7], s[30:31]
	s_andn2_b64 s[6:7], s[34:35], exec
	s_and_b64 s[34:35], vcc, exec
	s_or_b64 s[34:35], s[6:7], s[34:35]
	s_barrier
	s_andn2_b64 exec, exec, s[30:31]
	s_cbranch_execz .LBB142_213
.LBB142_204:                            ;   Parent Loop BB142_31 Depth=1
                                        ; =>  This Inner Loop Header: Depth=2
	v_cmp_gt_u64_e32 vcc, s[8:9], v[4:5]
	v_mov_b32_e32 v7, 0
	s_and_saveexec_b64 s[6:7], vcc
	s_cbranch_execz .LBB142_206
; %bb.205:                              ;   in Loop: Header=BB142_204 Depth=2
	ds_read_u16 v7, v6
.LBB142_206:                            ;   in Loop: Header=BB142_204 Depth=2
	s_or_b64 exec, exec, s[6:7]
	s_and_saveexec_b64 s[6:7], vcc
	s_cbranch_execz .LBB142_203
; %bb.207:                              ;   in Loop: Header=BB142_204 Depth=2
	s_waitcnt lgkmcnt(0)
	v_cmp_lt_i16_e32 vcc, -1, v7
	v_cndmask_b32_e32 v8, v30, v31, vcc
	v_lshlrev_b32_e32 v9, 16, v7
	v_xor_b32_sdwa v8, v8, v7 dst_sel:DWORD dst_unused:UNUSED_PAD src0_sel:DWORD src1_sel:WORD_0
	v_cmp_o_f32_e32 vcc, v9, v9
	v_cndmask_b32_e32 v8, v30, v8, vcc
	v_and_b32_e32 v8, s27, v8
	v_cmp_eq_u32_e32 vcc, s92, v8
	s_and_b64 exec, exec, vcc
	s_cbranch_execz .LBB142_203
; %bb.208:                              ;   in Loop: Header=BB142_204 Depth=2
	v_perm_b32 v7, v7, s0, v34
	ds_write_b32 v11, v7 offset:3072
	s_branch .LBB142_203
.LBB142_209:                            ;   in Loop: Header=BB142_31 Depth=1
                                        ; implicit-def: $sgpr28_sgpr29
                                        ; implicit-def: $sgpr34_sgpr35
                                        ; implicit-def: $sgpr30_sgpr31
	s_branch .LBB142_228
.LBB142_210:                            ;   in Loop: Header=BB142_31 Depth=1
                                        ; implicit-def: $vgpr2_vgpr3
	s_branch .LBB142_150
.LBB142_211:                            ;   in Loop: Header=BB142_31 Depth=1
                                        ; implicit-def: $vgpr2_vgpr3
	s_branch .LBB142_170
.LBB142_212:                            ;   in Loop: Header=BB142_31 Depth=1
	s_mov_b64 s[28:29], -1
	s_mov_b64 s[6:7], 0
                                        ; implicit-def: $sgpr30_sgpr31
                                        ; implicit-def: $vgpr35
	s_mov_b64 s[34:35], s[28:29]
	s_cbranch_execnz .LBB142_215
	s_branch .LBB142_228
.LBB142_213:                            ;   in Loop: Header=BB142_31 Depth=1
	s_or_b64 exec, exec, s[30:31]
	v_lshrrev_b32_e32 v35, 16, v7
	s_and_b64 s[6:7], s[34:35], exec
.LBB142_214:                            ;   in Loop: Header=BB142_31 Depth=1
	s_or_b64 exec, exec, s[28:29]
	s_mov_b64 s[30:31], -1
	s_mov_b64 s[28:29], 0
	s_mov_b64 s[34:35], s[28:29]
	s_branch .LBB142_228
.LBB142_215:                            ;   in Loop: Header=BB142_31 Depth=1
	s_mov_b32 s82, s91
	s_cmp_lg_u64 s[82:83], 0
	s_cbranch_scc0 .LBB142_258
; %bb.216:                              ;   in Loop: Header=BB142_31 Depth=1
	v_cvt_f32_u32_e32 v2, s54
	s_sub_u32 s6, 0, s54
	s_subb_u32 s7, 0, 0
	v_mac_f32_e32 v2, 0, v32
	v_rcp_f32_e32 v2, v2
	v_mul_f32_e32 v2, 0x5f7ffffc, v2
	v_mul_f32_e32 v3, 0x2f800000, v2
	v_trunc_f32_e32 v3, v3
	v_mac_f32_e32 v2, 0xcf800000, v3
	v_cvt_u32_f32_e32 v3, v3
	v_cvt_u32_f32_e32 v2, v2
	v_readfirstlane_b32 s8, v3
	v_readfirstlane_b32 s9, v2
	s_mul_i32 s28, s6, s8
	s_mul_hi_u32 s30, s6, s9
	s_mul_i32 s29, s7, s9
	s_add_i32 s28, s30, s28
	s_mul_i32 s31, s6, s9
	s_add_i32 s28, s28, s29
	s_mul_hi_u32 s30, s9, s31
	s_mul_hi_u32 s29, s9, s28
	s_mul_i32 s9, s9, s28
	s_add_u32 s9, s30, s9
	s_addc_u32 s29, 0, s29
	s_mul_hi_u32 s34, s8, s31
	s_mul_i32 s31, s8, s31
	s_add_u32 s9, s9, s31
	s_mul_hi_u32 s30, s8, s28
	s_addc_u32 s9, s29, s34
	s_addc_u32 s29, s30, 0
	s_mul_i32 s28, s8, s28
	s_add_u32 s9, s9, s28
	s_addc_u32 s28, 0, s29
	v_add_co_u32_e32 v2, vcc, s9, v2
	s_cmp_lg_u64 vcc, 0
	s_addc_u32 s8, s8, s28
	v_readfirstlane_b32 s28, v2
	s_mul_i32 s9, s6, s8
	s_mul_hi_u32 s29, s6, s28
	s_add_i32 s9, s29, s9
	s_mul_i32 s7, s7, s28
	s_add_i32 s9, s9, s7
	s_mul_i32 s6, s6, s28
	s_mul_hi_u32 s29, s8, s6
	s_mul_i32 s30, s8, s6
	s_mul_i32 s34, s28, s9
	s_mul_hi_u32 s6, s28, s6
	s_mul_hi_u32 s31, s28, s9
	s_add_u32 s6, s6, s34
	s_addc_u32 s28, 0, s31
	s_add_u32 s6, s6, s30
	s_mul_hi_u32 s7, s8, s9
	s_addc_u32 s6, s28, s29
	s_addc_u32 s7, s7, 0
	s_mul_i32 s9, s8, s9
	s_add_u32 s6, s6, s9
	s_addc_u32 s7, 0, s7
	v_add_co_u32_e32 v2, vcc, s6, v2
	s_cmp_lg_u64 vcc, 0
	s_addc_u32 s6, s8, s7
	v_readfirstlane_b32 s9, v2
	s_mul_i32 s8, s3, s6
	s_mul_hi_u32 s28, s3, s9
	s_mul_hi_u32 s7, s3, s6
	s_add_u32 s8, s28, s8
	s_addc_u32 s7, 0, s7
	s_mul_hi_u32 s29, s83, s9
	s_mul_i32 s9, s83, s9
	s_add_u32 s8, s8, s9
	s_mul_hi_u32 s28, s83, s6
	s_addc_u32 s7, s7, s29
	s_addc_u32 s8, s28, 0
	s_mul_i32 s6, s83, s6
	s_add_u32 s6, s7, s6
	s_addc_u32 s7, 0, s8
	s_mul_hi_u32 s8, s54, s6
	s_mul_i32 s6, s54, s6
	s_mul_i32 s7, s54, s7
	v_mov_b32_e32 v2, s6
	s_add_i32 s8, s8, s7
	v_sub_co_u32_e32 v2, vcc, s3, v2
	s_cmp_lg_u64 vcc, 0
	s_subb_u32 s6, s83, s8
	v_subrev_co_u32_e32 v3, vcc, s54, v2
	s_cmp_lg_u64 vcc, 0
	s_subb_u32 s7, s6, 0
	v_subrev_co_u32_e32 v4, vcc, s54, v3
	s_cmp_lg_u64 vcc, 0
	s_subb_u32 s8, s7, 0
	v_cmp_le_u32_e32 vcc, s54, v3
	s_cmp_eq_u32 s7, 0
	v_cndmask_b32_e64 v5, 0, -1, vcc
	s_cselect_b64 vcc, -1, 0
	v_cndmask_b32_e32 v5, -1, v5, vcc
	v_mov_b32_e32 v6, s7
	v_mov_b32_e32 v7, s8
	v_cmp_ne_u32_e32 vcc, 0, v5
	v_cndmask_b32_e32 v5, v6, v7, vcc
	v_cndmask_b32_e32 v4, v3, v4, vcc
	v_cmp_le_u32_e32 vcc, s54, v2
	s_cmp_eq_u32 s6, 0
	v_cndmask_b32_e64 v3, 0, -1, vcc
	s_cselect_b64 vcc, -1, 0
	v_cndmask_b32_e32 v3, -1, v3, vcc
	v_mov_b32_e32 v6, s6
	v_cmp_ne_u32_e32 vcc, 0, v3
	v_cndmask_b32_e32 v3, v6, v5, vcc
	v_cndmask_b32_e32 v2, v2, v4, vcc
	s_cbranch_execnz .LBB142_218
.LBB142_217:                            ;   in Loop: Header=BB142_31 Depth=1
	v_cvt_f32_u32_e32 v2, s54
	s_sub_i32 s6, 0, s54
	v_rcp_iflag_f32_e32 v2, v2
	v_mul_f32_e32 v2, 0x4f7ffffe, v2
	v_cvt_u32_f32_e32 v2, v2
	v_mul_lo_u32 v3, s6, v2
	v_mul_hi_u32 v3, v2, v3
	v_add_u32_e32 v2, v2, v3
	v_mul_hi_u32 v2, s3, v2
	v_mul_lo_u32 v2, v2, s54
	v_sub_u32_e32 v2, s3, v2
	v_subrev_u32_e32 v3, s54, v2
	v_cmp_le_u32_e32 vcc, s54, v2
	v_cndmask_b32_e32 v2, v2, v3, vcc
	v_subrev_u32_e32 v3, s54, v2
	v_cmp_le_u32_e32 vcc, s54, v2
	v_cndmask_b32_e32 v10, v2, v3, vcc
	v_pk_mov_b32 v[2:3], v[10:11], v[10:11] op_sel:[0,1]
.LBB142_218:                            ;   in Loop: Header=BB142_31 Depth=1
	v_mov_b32_e32 v4, s83
	v_sub_co_u32_e32 v2, vcc, s3, v2
	v_subb_co_u32_e32 v3, vcc, v4, v3, vcc
	v_cmp_gt_u64_e32 vcc, v[2:3], v[0:1]
	s_mov_b64 s[6:7], 0
                                        ; implicit-def: $vgpr35
	s_and_saveexec_b64 s[8:9], vcc
	s_cbranch_execz .LBB142_227
; %bb.219:                              ;   in Loop: Header=BB142_31 Depth=1
	s_mov_b64 s[28:29], 0
	v_pk_mov_b32 v[4:5], v[0:1], v[0:1] op_sel:[0,1]
                                        ; implicit-def: $sgpr30_sgpr31
	s_branch .LBB142_221
.LBB142_220:                            ;   in Loop: Header=BB142_221 Depth=2
	s_or_b64 exec, exec, s[6:7]
	s_waitcnt lgkmcnt(0)
	s_barrier
	s_waitcnt vmcnt(0)
	ds_read_b32 v6, v11 offset:3072
	v_add_co_u32_e64 v4, s[6:7], s54, v4
	s_waitcnt lgkmcnt(0)
	s_barrier
	v_and_b32_e32 v7, 0x7fff, v6
	v_cmp_ne_u16_e32 vcc, 0, v7
	v_mov_b32_e32 v7, s84
	v_addc_co_u32_e64 v5, s[6:7], v5, v7, s[6:7]
	v_cmp_ge_u64_e64 s[6:7], v[4:5], v[2:3]
	s_or_b64 s[6:7], s[6:7], vcc
	s_and_b64 s[6:7], exec, s[6:7]
	s_or_b64 s[28:29], s[6:7], s[28:29]
	s_andn2_b64 s[6:7], s[30:31], exec
	s_and_b64 s[30:31], vcc, exec
	s_or_b64 s[30:31], s[6:7], s[30:31]
	s_andn2_b64 exec, exec, s[28:29]
	s_cbranch_execz .LBB142_226
.LBB142_221:                            ;   Parent Loop BB142_31 Depth=1
                                        ; =>  This Inner Loop Header: Depth=2
	v_cmp_gt_u64_e32 vcc, s[52:53], v[4:5]
	v_mov_b32_e32 v6, 0
	s_and_saveexec_b64 s[34:35], vcc
	s_cbranch_execz .LBB142_223
; %bb.222:                              ;   in Loop: Header=BB142_221 Depth=2
	v_mul_lo_u32 v8, v5, s76
	v_mul_lo_u32 v9, v4, s77
	v_mad_u64_u32 v[6:7], s[6:7], v4, s76, 0
	v_add3_u32 v7, v7, v9, v8
	v_lshlrev_b64 v[6:7], 1, v[6:7]
	v_mov_b32_e32 v8, s55
	v_add_co_u32_e64 v6, s[6:7], s33, v6
	v_addc_co_u32_e64 v7, s[6:7], v8, v7, s[6:7]
	global_load_ushort v6, v[6:7], off
.LBB142_223:                            ;   in Loop: Header=BB142_221 Depth=2
	s_or_b64 exec, exec, s[34:35]
	s_and_saveexec_b64 s[6:7], vcc
	s_cbranch_execz .LBB142_220
; %bb.224:                              ;   in Loop: Header=BB142_221 Depth=2
	s_waitcnt vmcnt(0)
	v_cmp_lt_i16_e32 vcc, -1, v6
	v_cndmask_b32_e32 v7, v30, v31, vcc
	v_lshlrev_b32_e32 v8, 16, v6
	v_xor_b32_sdwa v7, v7, v6 dst_sel:DWORD dst_unused:UNUSED_PAD src0_sel:DWORD src1_sel:WORD_0
	v_cmp_o_f32_e32 vcc, v8, v8
	v_cndmask_b32_e32 v7, v30, v7, vcc
	v_and_b32_e32 v7, s27, v7
	v_cmp_eq_u32_e32 vcc, s92, v7
	s_and_b64 exec, exec, vcc
	s_cbranch_execz .LBB142_220
; %bb.225:                              ;   in Loop: Header=BB142_221 Depth=2
	v_perm_b32 v6, v6, s0, v34
	ds_write_b32 v11, v6 offset:3072
	s_branch .LBB142_220
.LBB142_226:                            ;   in Loop: Header=BB142_31 Depth=1
	s_or_b64 exec, exec, s[28:29]
	v_lshrrev_b32_e32 v35, 16, v6
	s_and_b64 s[6:7], s[30:31], exec
.LBB142_227:                            ;   in Loop: Header=BB142_31 Depth=1
	s_or_b64 exec, exec, s[8:9]
	s_mov_b64 s[34:35], -1
	s_mov_b64 s[28:29], 0
	s_mov_b64 s[30:31], 0
.LBB142_228:                            ;   in Loop: Header=BB142_31 Depth=1
	s_mov_b64 s[8:9], 0
                                        ; implicit-def: $sgpr49
	s_and_saveexec_b64 s[36:37], s[6:7]
	s_cbranch_execz .LBB142_290
; %bb.229:                              ;   in Loop: Header=BB142_31 Depth=1
	s_xor_b64 s[6:7], s[38:39], -1
	s_andn2_b64 vcc, exec, s[6:7]
	s_mov_b32 s49, 1
	s_cbranch_vccnz .LBB142_240
; %bb.230:                              ;   in Loop: Header=BB142_31 Depth=1
	v_pk_mov_b32 v[2:3], s[16:17], s[16:17] op_sel:[0,1]
	v_cmp_gt_u64_e32 vcc, s[94:95], v[2:3]
	s_mov_b64 s[6:7], -1
                                        ; implicit-def: $sgpr49
                                        ; implicit-def: $sgpr8
                                        ; implicit-def: $sgpr9
	s_cbranch_vccnz .LBB142_236
; %bb.231:                              ;   in Loop: Header=BB142_31 Depth=1
	ds_read_b64 v[2:3], v11 offset:5120
	s_waitcnt lgkmcnt(0)
	v_cmp_ne_u64_e32 vcc, 0, v[2:3]
	s_cbranch_vccnz .LBB142_235
; %bb.232:                              ;   in Loop: Header=BB142_31 Depth=1
	s_mov_b64 s[6:7], exec
	v_readlane_b32 s8, v44, 36
	v_readlane_b32 s9, v44, 37
	s_and_b64 s[8:9], s[6:7], s[8:9]
	s_mov_b64 exec, s[8:9]
	s_cbranch_execz .LBB142_234
; %bb.233:                              ;   in Loop: Header=BB142_31 Depth=1
	v_pk_mov_b32 v[2:3], s[16:17], s[16:17] op_sel:[0,1]
	ds_write_b64 v11, v[2:3] offset:5128
.LBB142_234:                            ;   in Loop: Header=BB142_31 Depth=1
	s_or_b64 exec, exec, s[6:7]
	s_waitcnt lgkmcnt(0)
	s_barrier
.LBB142_235:                            ;   in Loop: Header=BB142_31 Depth=1
	s_lshl_b32 s6, 2, s40
	s_and_b32 s7, s92, s41
	s_or_b32 s8, s7, s6
	s_or_b32 s9, s27, s48
	s_mov_b64 s[6:7], 0
	s_mov_b32 s49, 8
.LBB142_236:                            ;   in Loop: Header=BB142_31 Depth=1
	s_andn2_b64 vcc, exec, s[6:7]
	s_cbranch_vccnz .LBB142_238
; %bb.237:                              ;   in Loop: Header=BB142_31 Depth=1
	s_sub_u32 s94, s94, s16
	s_subb_u32 s95, s95, s17
	s_mov_b64 s[6:7], -1
	s_mov_b32 s49, 0
	s_mov_b32 s8, s92
	;; [unrolled: 1-line block ×3, first 2 shown]
.LBB142_238:                            ;   in Loop: Header=BB142_31 Depth=1
	s_mov_b32 s27, s9
	s_mov_b32 s92, s8
	s_andn2_b64 vcc, exec, s[6:7]
	s_mov_b64 s[44:45], -1
	s_cbranch_vccz .LBB142_241
.LBB142_239:                            ;   in Loop: Header=BB142_31 Depth=1
                                        ; implicit-def: $sgpr6_sgpr7
                                        ; implicit-def: $sgpr38_sgpr39
                                        ; implicit-def: $sgpr8_sgpr9
	s_branch .LBB142_289
.LBB142_240:                            ;   in Loop: Header=BB142_31 Depth=1
	s_mov_b64 s[94:95], 1
	s_mov_b64 s[44:45], -1
	s_cbranch_execnz .LBB142_239
.LBB142_241:                            ;   in Loop: Header=BB142_31 Depth=1
	s_cmp_eq_u64 s[10:11], 1
	s_cselect_b64 s[6:7], -1, 0
	s_cmp_eq_u64 s[94:95], 1
	s_cselect_b64 s[8:9], -1, 0
	s_and_b64 s[16:17], s[6:7], s[8:9]
	s_mov_b64 s[40:41], -1
	s_and_b64 vcc, exec, s[16:17]
	s_cbranch_vccz .LBB142_256
; %bb.242:                              ;   in Loop: Header=BB142_31 Depth=1
	ds_read_b64 v[2:3], v11 offset:5120
	s_waitcnt lgkmcnt(0)
	s_barrier
	v_readfirstlane_b32 s8, v2
	v_readfirstlane_b32 s9, v3
	s_mov_b64 s[6:7], exec
	v_readlane_b32 s38, v44, 38
	v_readlane_b32 s39, v44, 39
	s_and_b64 s[38:39], s[6:7], s[38:39]
	s_mov_b64 exec, s[38:39]
	s_cbranch_execz .LBB142_244
; %bb.243:                              ;   in Loop: Header=BB142_31 Depth=1
	ds_write_b16 v24, v13
.LBB142_244:                            ;   in Loop: Header=BB142_31 Depth=1
	s_or_b64 exec, exec, s[6:7]
	s_or_b32 s92, s92, s48
	s_or_b32 s27, s27, s48
	s_cmp_eq_u64 s[8:9], 0
	s_waitcnt lgkmcnt(0)
	s_barrier
	s_cbranch_scc1 .LBB142_259
; %bb.245:                              ;   in Loop: Header=BB142_31 Depth=1
	s_add_u32 s40, s93, s8
	v_readlane_b32 s6, v44, 44
	s_addc_u32 s7, s6, s9
	s_mov_b32 s6, s91
	s_cmp_lg_u64 s[6:7], 0
	s_cbranch_scc0 .LBB142_295
; %bb.246:                              ;   in Loop: Header=BB142_31 Depth=1
	v_cvt_f32_u32_e32 v2, s54
	s_sub_u32 s6, 0, s54
	s_subb_u32 s38, 0, 0
	v_mac_f32_e32 v2, 0, v32
	v_rcp_f32_e32 v2, v2
	v_mul_f32_e32 v2, 0x5f7ffffc, v2
	v_mul_f32_e32 v3, 0x2f800000, v2
	v_trunc_f32_e32 v3, v3
	v_mac_f32_e32 v2, 0xcf800000, v3
	v_cvt_u32_f32_e32 v3, v3
	v_cvt_u32_f32_e32 v2, v2
	v_readfirstlane_b32 s39, v3
	v_readfirstlane_b32 s41, v2
	s_mul_i32 s42, s6, s39
	s_mul_hi_u32 s44, s6, s41
	s_mul_i32 s43, s38, s41
	s_add_i32 s42, s44, s42
	s_mul_i32 s45, s6, s41
	s_add_i32 s42, s42, s43
	s_mul_hi_u32 s44, s41, s45
	s_mul_hi_u32 s43, s41, s42
	s_mul_i32 s41, s41, s42
	s_add_u32 s41, s44, s41
	s_addc_u32 s43, 0, s43
	s_mul_hi_u32 s46, s39, s45
	s_mul_i32 s45, s39, s45
	s_add_u32 s41, s41, s45
	s_mul_hi_u32 s44, s39, s42
	s_addc_u32 s41, s43, s46
	s_addc_u32 s43, s44, 0
	s_mul_i32 s42, s39, s42
	s_add_u32 s41, s41, s42
	s_addc_u32 s42, 0, s43
	v_add_co_u32_e32 v2, vcc, s41, v2
	s_cmp_lg_u64 vcc, 0
	s_addc_u32 s39, s39, s42
	v_readfirstlane_b32 s42, v2
	s_mul_i32 s41, s6, s39
	s_mul_hi_u32 s43, s6, s42
	s_add_i32 s41, s43, s41
	s_mul_i32 s38, s38, s42
	s_add_i32 s41, s41, s38
	s_mul_i32 s6, s6, s42
	s_mul_hi_u32 s43, s39, s6
	s_mul_i32 s44, s39, s6
	s_mul_i32 s46, s42, s41
	s_mul_hi_u32 s6, s42, s6
	s_mul_hi_u32 s45, s42, s41
	s_add_u32 s6, s6, s46
	s_addc_u32 s42, 0, s45
	s_add_u32 s6, s6, s44
	s_mul_hi_u32 s38, s39, s41
	s_addc_u32 s6, s42, s43
	s_addc_u32 s38, s38, 0
	s_mul_i32 s41, s39, s41
	s_add_u32 s6, s6, s41
	s_addc_u32 s38, 0, s38
	v_add_co_u32_e32 v2, vcc, s6, v2
	s_cmp_lg_u64 vcc, 0
	s_addc_u32 s6, s39, s38
	v_readfirstlane_b32 s41, v2
	s_mul_i32 s39, s40, s6
	s_mul_hi_u32 s42, s40, s41
	s_mul_hi_u32 s38, s40, s6
	s_add_u32 s39, s42, s39
	s_addc_u32 s38, 0, s38
	s_mul_hi_u32 s43, s7, s41
	s_mul_i32 s41, s7, s41
	s_add_u32 s39, s39, s41
	s_mul_hi_u32 s42, s7, s6
	s_addc_u32 s38, s38, s43
	s_addc_u32 s39, s42, 0
	s_mul_i32 s6, s7, s6
	s_add_u32 s6, s38, s6
	s_addc_u32 s38, 0, s39
	s_mul_hi_u32 s39, s54, s6
	s_mul_i32 s6, s54, s6
	s_mul_i32 s38, s54, s38
	v_mov_b32_e32 v2, s6
	s_add_i32 s39, s39, s38
	v_sub_co_u32_e32 v2, vcc, s40, v2
	s_cmp_lg_u64 vcc, 0
	s_subb_u32 s6, s7, s39
	v_subrev_co_u32_e32 v3, vcc, s54, v2
	s_cmp_lg_u64 vcc, 0
	s_subb_u32 s38, s6, 0
	v_subrev_co_u32_e32 v4, vcc, s54, v3
	s_cmp_lg_u64 vcc, 0
	s_subb_u32 s39, s38, 0
	v_cmp_le_u32_e32 vcc, s54, v3
	s_cmp_eq_u32 s38, 0
	v_cndmask_b32_e64 v5, 0, -1, vcc
	s_cselect_b64 vcc, -1, 0
	v_cndmask_b32_e32 v5, -1, v5, vcc
	v_mov_b32_e32 v6, s38
	v_mov_b32_e32 v7, s39
	v_cmp_ne_u32_e32 vcc, 0, v5
	v_cndmask_b32_e32 v5, v6, v7, vcc
	v_cndmask_b32_e32 v4, v3, v4, vcc
	v_cmp_le_u32_e32 vcc, s54, v2
	s_cmp_eq_u32 s6, 0
	v_cndmask_b32_e64 v3, 0, -1, vcc
	s_cselect_b64 vcc, -1, 0
	v_cndmask_b32_e32 v3, -1, v3, vcc
	v_mov_b32_e32 v6, s6
	v_cmp_ne_u32_e32 vcc, 0, v3
	v_cndmask_b32_e32 v3, v6, v5, vcc
	v_cndmask_b32_e32 v2, v2, v4, vcc
	s_cbranch_execnz .LBB142_248
.LBB142_247:                            ;   in Loop: Header=BB142_31 Depth=1
	v_cvt_f32_u32_e32 v2, s54
	s_sub_i32 s6, 0, s54
	v_rcp_iflag_f32_e32 v2, v2
	v_mul_f32_e32 v2, 0x4f7ffffe, v2
	v_cvt_u32_f32_e32 v2, v2
	v_mul_lo_u32 v3, s6, v2
	v_mul_hi_u32 v3, v2, v3
	v_add_u32_e32 v2, v2, v3
	v_mul_hi_u32 v2, s40, v2
	v_mul_lo_u32 v2, v2, s54
	v_sub_u32_e32 v2, s40, v2
	v_subrev_u32_e32 v3, s54, v2
	v_cmp_le_u32_e32 vcc, s54, v2
	v_cndmask_b32_e32 v2, v2, v3, vcc
	v_subrev_u32_e32 v3, s54, v2
	v_cmp_le_u32_e32 vcc, s54, v2
	v_cndmask_b32_e32 v10, v2, v3, vcc
	v_pk_mov_b32 v[2:3], v[10:11], v[10:11] op_sel:[0,1]
.LBB142_248:                            ;   in Loop: Header=BB142_31 Depth=1
	v_mov_b32_e32 v4, s7
	v_sub_co_u32_e32 v2, vcc, s40, v2
	v_subb_co_u32_e32 v3, vcc, v4, v3, vcc
	v_cmp_gt_u64_e32 vcc, v[2:3], v[0:1]
	s_mov_b64 s[40:41], 0
                                        ; implicit-def: $vgpr35
	s_and_saveexec_b64 s[38:39], vcc
	s_cbranch_execz .LBB142_261
; %bb.249:                              ;   in Loop: Header=BB142_31 Depth=1
	v_mov_b32_e32 v6, v23
	v_pk_mov_b32 v[4:5], v[0:1], v[0:1] op_sel:[0,1]
                                        ; implicit-def: $sgpr42_sgpr43
	s_branch .LBB142_251
.LBB142_250:                            ;   in Loop: Header=BB142_251 Depth=2
	s_or_b64 exec, exec, s[6:7]
	s_waitcnt lgkmcnt(0)
	s_barrier
	ds_read_b32 v7, v11 offset:3072
	v_add_co_u32_e64 v4, s[6:7], s54, v4
	v_add_u32_e32 v6, s2, v6
	s_waitcnt lgkmcnt(0)
	v_and_b32_e32 v8, 0x7fff, v7
	v_cmp_ne_u16_e32 vcc, 0, v8
	v_mov_b32_e32 v8, s84
	v_addc_co_u32_e64 v5, s[6:7], v5, v8, s[6:7]
	v_cmp_ge_u64_e64 s[6:7], v[4:5], v[2:3]
	s_or_b64 s[6:7], s[6:7], vcc
	s_and_b64 s[6:7], exec, s[6:7]
	s_or_b64 s[40:41], s[6:7], s[40:41]
	s_andn2_b64 s[6:7], s[42:43], exec
	s_and_b64 s[42:43], vcc, exec
	s_or_b64 s[42:43], s[6:7], s[42:43]
	s_barrier
	s_andn2_b64 exec, exec, s[40:41]
	s_cbranch_execz .LBB142_260
.LBB142_251:                            ;   Parent Loop BB142_31 Depth=1
                                        ; =>  This Inner Loop Header: Depth=2
	v_cmp_gt_u64_e32 vcc, s[8:9], v[4:5]
	v_mov_b32_e32 v7, 0
	s_and_saveexec_b64 s[6:7], vcc
	s_cbranch_execz .LBB142_253
; %bb.252:                              ;   in Loop: Header=BB142_251 Depth=2
	ds_read_u16 v7, v6
.LBB142_253:                            ;   in Loop: Header=BB142_251 Depth=2
	s_or_b64 exec, exec, s[6:7]
	s_and_saveexec_b64 s[6:7], vcc
	s_cbranch_execz .LBB142_250
; %bb.254:                              ;   in Loop: Header=BB142_251 Depth=2
	s_waitcnt lgkmcnt(0)
	v_cmp_lt_i16_e32 vcc, -1, v7
	v_cndmask_b32_e32 v8, v30, v31, vcc
	v_lshlrev_b32_e32 v9, 16, v7
	v_xor_b32_sdwa v8, v8, v7 dst_sel:DWORD dst_unused:UNUSED_PAD src0_sel:DWORD src1_sel:WORD_0
	v_cmp_o_f32_e32 vcc, v9, v9
	v_cndmask_b32_e32 v8, v30, v8, vcc
	v_and_b32_e32 v8, s27, v8
	v_cmp_eq_u32_e32 vcc, s92, v8
	s_and_b64 exec, exec, vcc
	s_cbranch_execz .LBB142_250
; %bb.255:                              ;   in Loop: Header=BB142_251 Depth=2
	v_perm_b32 v7, v7, s0, v34
	ds_write_b32 v11, v7 offset:3072
	s_branch .LBB142_250
.LBB142_256:                            ;   in Loop: Header=BB142_31 Depth=1
                                        ; implicit-def: $sgpr6_sgpr7
                                        ; implicit-def: $sgpr38_sgpr39
                                        ; implicit-def: $sgpr8_sgpr9
	s_branch .LBB142_275
.LBB142_257:                            ;   in Loop: Header=BB142_31 Depth=1
                                        ; implicit-def: $vgpr2_vgpr3
	s_branch .LBB142_200
.LBB142_258:                            ;   in Loop: Header=BB142_31 Depth=1
                                        ; implicit-def: $vgpr2_vgpr3
	s_branch .LBB142_217
.LBB142_259:                            ;   in Loop: Header=BB142_31 Depth=1
	s_mov_b64 s[6:7], -1
	s_mov_b64 s[40:41], 0
                                        ; implicit-def: $sgpr8_sgpr9
                                        ; implicit-def: $vgpr35
	s_mov_b64 s[38:39], s[6:7]
	s_cbranch_execnz .LBB142_262
	s_branch .LBB142_275
.LBB142_260:                            ;   in Loop: Header=BB142_31 Depth=1
	s_or_b64 exec, exec, s[40:41]
	v_lshrrev_b32_e32 v35, 16, v7
	s_and_b64 s[40:41], s[42:43], exec
.LBB142_261:                            ;   in Loop: Header=BB142_31 Depth=1
	s_or_b64 exec, exec, s[38:39]
	s_mov_b64 s[8:9], -1
	s_mov_b64 s[6:7], 0
	s_mov_b64 s[38:39], s[6:7]
	s_branch .LBB142_275
.LBB142_262:                            ;   in Loop: Header=BB142_31 Depth=1
	s_mov_b32 s82, s91
	s_cmp_lg_u64 s[82:83], 0
	s_cbranch_scc0 .LBB142_296
; %bb.263:                              ;   in Loop: Header=BB142_31 Depth=1
	v_cvt_f32_u32_e32 v2, s54
	s_sub_u32 s6, 0, s54
	s_subb_u32 s7, 0, 0
	v_mac_f32_e32 v2, 0, v32
	v_rcp_f32_e32 v2, v2
	v_mul_f32_e32 v2, 0x5f7ffffc, v2
	v_mul_f32_e32 v3, 0x2f800000, v2
	v_trunc_f32_e32 v3, v3
	v_mac_f32_e32 v2, 0xcf800000, v3
	v_cvt_u32_f32_e32 v3, v3
	v_cvt_u32_f32_e32 v2, v2
	v_readfirstlane_b32 s8, v3
	v_readfirstlane_b32 s9, v2
	s_mul_i32 s38, s6, s8
	s_mul_hi_u32 s40, s6, s9
	s_mul_i32 s39, s7, s9
	s_add_i32 s38, s40, s38
	s_mul_i32 s41, s6, s9
	s_add_i32 s38, s38, s39
	s_mul_hi_u32 s40, s9, s41
	s_mul_hi_u32 s39, s9, s38
	s_mul_i32 s9, s9, s38
	s_add_u32 s9, s40, s9
	s_addc_u32 s39, 0, s39
	s_mul_hi_u32 s42, s8, s41
	s_mul_i32 s41, s8, s41
	s_add_u32 s9, s9, s41
	s_mul_hi_u32 s40, s8, s38
	s_addc_u32 s9, s39, s42
	s_addc_u32 s39, s40, 0
	s_mul_i32 s38, s8, s38
	s_add_u32 s9, s9, s38
	s_addc_u32 s38, 0, s39
	v_add_co_u32_e32 v2, vcc, s9, v2
	s_cmp_lg_u64 vcc, 0
	s_addc_u32 s8, s8, s38
	v_readfirstlane_b32 s38, v2
	s_mul_i32 s9, s6, s8
	s_mul_hi_u32 s39, s6, s38
	s_add_i32 s9, s39, s9
	s_mul_i32 s7, s7, s38
	s_add_i32 s9, s9, s7
	s_mul_i32 s6, s6, s38
	s_mul_hi_u32 s39, s8, s6
	s_mul_i32 s40, s8, s6
	s_mul_i32 s42, s38, s9
	s_mul_hi_u32 s6, s38, s6
	s_mul_hi_u32 s41, s38, s9
	s_add_u32 s6, s6, s42
	s_addc_u32 s38, 0, s41
	s_add_u32 s6, s6, s40
	s_mul_hi_u32 s7, s8, s9
	s_addc_u32 s6, s38, s39
	s_addc_u32 s7, s7, 0
	s_mul_i32 s9, s8, s9
	s_add_u32 s6, s6, s9
	s_addc_u32 s7, 0, s7
	v_add_co_u32_e32 v2, vcc, s6, v2
	s_cmp_lg_u64 vcc, 0
	s_addc_u32 s6, s8, s7
	v_readfirstlane_b32 s9, v2
	s_mul_i32 s8, s3, s6
	s_mul_hi_u32 s38, s3, s9
	s_mul_hi_u32 s7, s3, s6
	s_add_u32 s8, s38, s8
	s_addc_u32 s7, 0, s7
	s_mul_hi_u32 s39, s83, s9
	s_mul_i32 s9, s83, s9
	s_add_u32 s8, s8, s9
	s_mul_hi_u32 s38, s83, s6
	s_addc_u32 s7, s7, s39
	s_addc_u32 s8, s38, 0
	s_mul_i32 s6, s83, s6
	s_add_u32 s6, s7, s6
	s_addc_u32 s7, 0, s8
	s_mul_hi_u32 s8, s54, s6
	s_mul_i32 s6, s54, s6
	s_mul_i32 s7, s54, s7
	v_mov_b32_e32 v2, s6
	s_add_i32 s8, s8, s7
	v_sub_co_u32_e32 v2, vcc, s3, v2
	s_cmp_lg_u64 vcc, 0
	s_subb_u32 s6, s83, s8
	v_subrev_co_u32_e32 v3, vcc, s54, v2
	s_cmp_lg_u64 vcc, 0
	s_subb_u32 s7, s6, 0
	v_subrev_co_u32_e32 v4, vcc, s54, v3
	s_cmp_lg_u64 vcc, 0
	s_subb_u32 s8, s7, 0
	v_cmp_le_u32_e32 vcc, s54, v3
	s_cmp_eq_u32 s7, 0
	v_cndmask_b32_e64 v5, 0, -1, vcc
	s_cselect_b64 vcc, -1, 0
	v_cndmask_b32_e32 v5, -1, v5, vcc
	v_mov_b32_e32 v6, s7
	v_mov_b32_e32 v7, s8
	v_cmp_ne_u32_e32 vcc, 0, v5
	v_cndmask_b32_e32 v5, v6, v7, vcc
	v_cndmask_b32_e32 v4, v3, v4, vcc
	v_cmp_le_u32_e32 vcc, s54, v2
	s_cmp_eq_u32 s6, 0
	v_cndmask_b32_e64 v3, 0, -1, vcc
	s_cselect_b64 vcc, -1, 0
	v_cndmask_b32_e32 v3, -1, v3, vcc
	v_mov_b32_e32 v6, s6
	v_cmp_ne_u32_e32 vcc, 0, v3
	v_cndmask_b32_e32 v3, v6, v5, vcc
	v_cndmask_b32_e32 v2, v2, v4, vcc
	s_cbranch_execnz .LBB142_265
.LBB142_264:                            ;   in Loop: Header=BB142_31 Depth=1
	v_cvt_f32_u32_e32 v2, s54
	s_sub_i32 s6, 0, s54
	v_rcp_iflag_f32_e32 v2, v2
	v_mul_f32_e32 v2, 0x4f7ffffe, v2
	v_cvt_u32_f32_e32 v2, v2
	v_mul_lo_u32 v3, s6, v2
	v_mul_hi_u32 v3, v2, v3
	v_add_u32_e32 v2, v2, v3
	v_mul_hi_u32 v2, s3, v2
	v_mul_lo_u32 v2, v2, s54
	v_sub_u32_e32 v2, s3, v2
	v_subrev_u32_e32 v3, s54, v2
	v_cmp_le_u32_e32 vcc, s54, v2
	v_cndmask_b32_e32 v2, v2, v3, vcc
	v_subrev_u32_e32 v3, s54, v2
	v_cmp_le_u32_e32 vcc, s54, v2
	v_cndmask_b32_e32 v10, v2, v3, vcc
	v_pk_mov_b32 v[2:3], v[10:11], v[10:11] op_sel:[0,1]
.LBB142_265:                            ;   in Loop: Header=BB142_31 Depth=1
	v_mov_b32_e32 v4, s83
	v_sub_co_u32_e32 v2, vcc, s3, v2
	v_subb_co_u32_e32 v3, vcc, v4, v3, vcc
	v_cmp_gt_u64_e32 vcc, v[2:3], v[0:1]
	s_mov_b64 s[40:41], 0
                                        ; implicit-def: $vgpr35
	s_and_saveexec_b64 s[8:9], vcc
	s_cbranch_execz .LBB142_274
; %bb.266:                              ;   in Loop: Header=BB142_31 Depth=1
	s_mov_b64 s[38:39], 0
	v_pk_mov_b32 v[4:5], v[0:1], v[0:1] op_sel:[0,1]
                                        ; implicit-def: $sgpr40_sgpr41
	s_branch .LBB142_268
.LBB142_267:                            ;   in Loop: Header=BB142_268 Depth=2
	s_or_b64 exec, exec, s[6:7]
	s_waitcnt lgkmcnt(0)
	s_barrier
	s_waitcnt vmcnt(0)
	ds_read_b32 v6, v11 offset:3072
	v_add_co_u32_e64 v4, s[6:7], s54, v4
	s_waitcnt lgkmcnt(0)
	s_barrier
	v_and_b32_e32 v7, 0x7fff, v6
	v_cmp_ne_u16_e32 vcc, 0, v7
	v_mov_b32_e32 v7, s84
	v_addc_co_u32_e64 v5, s[6:7], v5, v7, s[6:7]
	v_cmp_ge_u64_e64 s[6:7], v[4:5], v[2:3]
	s_or_b64 s[6:7], s[6:7], vcc
	s_and_b64 s[6:7], exec, s[6:7]
	s_or_b64 s[38:39], s[6:7], s[38:39]
	s_andn2_b64 s[6:7], s[40:41], exec
	s_and_b64 s[40:41], vcc, exec
	s_or_b64 s[40:41], s[6:7], s[40:41]
	s_andn2_b64 exec, exec, s[38:39]
	s_cbranch_execz .LBB142_273
.LBB142_268:                            ;   Parent Loop BB142_31 Depth=1
                                        ; =>  This Inner Loop Header: Depth=2
	v_cmp_gt_u64_e32 vcc, s[52:53], v[4:5]
	v_mov_b32_e32 v6, 0
	s_and_saveexec_b64 s[42:43], vcc
	s_cbranch_execz .LBB142_270
; %bb.269:                              ;   in Loop: Header=BB142_268 Depth=2
	v_mul_lo_u32 v8, v5, s76
	v_mul_lo_u32 v9, v4, s77
	v_mad_u64_u32 v[6:7], s[6:7], v4, s76, 0
	v_add3_u32 v7, v7, v9, v8
	v_lshlrev_b64 v[6:7], 1, v[6:7]
	v_mov_b32_e32 v8, s55
	v_add_co_u32_e64 v6, s[6:7], s33, v6
	v_addc_co_u32_e64 v7, s[6:7], v8, v7, s[6:7]
	global_load_ushort v6, v[6:7], off
.LBB142_270:                            ;   in Loop: Header=BB142_268 Depth=2
	s_or_b64 exec, exec, s[42:43]
	s_and_saveexec_b64 s[6:7], vcc
	s_cbranch_execz .LBB142_267
; %bb.271:                              ;   in Loop: Header=BB142_268 Depth=2
	s_waitcnt vmcnt(0)
	v_cmp_lt_i16_e32 vcc, -1, v6
	v_cndmask_b32_e32 v7, v30, v31, vcc
	v_lshlrev_b32_e32 v8, 16, v6
	v_xor_b32_sdwa v7, v7, v6 dst_sel:DWORD dst_unused:UNUSED_PAD src0_sel:DWORD src1_sel:WORD_0
	v_cmp_o_f32_e32 vcc, v8, v8
	v_cndmask_b32_e32 v7, v30, v7, vcc
	v_and_b32_e32 v7, s27, v7
	v_cmp_eq_u32_e32 vcc, s92, v7
	s_and_b64 exec, exec, vcc
	s_cbranch_execz .LBB142_267
; %bb.272:                              ;   in Loop: Header=BB142_268 Depth=2
	v_perm_b32 v6, v6, s0, v34
	ds_write_b32 v11, v6 offset:3072
	s_branch .LBB142_267
.LBB142_273:                            ;   in Loop: Header=BB142_31 Depth=1
	s_or_b64 exec, exec, s[38:39]
	v_lshrrev_b32_e32 v35, 16, v6
	s_and_b64 s[40:41], s[40:41], exec
.LBB142_274:                            ;   in Loop: Header=BB142_31 Depth=1
	s_or_b64 exec, exec, s[8:9]
	s_mov_b64 s[38:39], -1
	s_mov_b64 s[6:7], 0
	s_mov_b64 s[8:9], 0
.LBB142_275:                            ;   in Loop: Header=BB142_31 Depth=1
	s_mov_b64 s[44:45], 0
                                        ; implicit-def: $sgpr49
                                        ; implicit-def: $sgpr46_sgpr47
	s_and_saveexec_b64 s[42:43], s[40:41]
	s_cbranch_execz .LBB142_288
; %bb.276:                              ;   in Loop: Header=BB142_31 Depth=1
	s_xor_b64 s[16:17], s[16:17], -1
	s_mov_b64 s[46:47], 1
	s_andn2_b64 vcc, exec, s[16:17]
	s_mov_b32 s49, 1
	s_cbranch_vccnz .LBB142_287
; %bb.277:                              ;   in Loop: Header=BB142_31 Depth=1
	v_pk_mov_b32 v[2:3], s[10:11], s[10:11] op_sel:[0,1]
	v_cmp_gt_u64_e32 vcc, s[94:95], v[2:3]
	s_cbranch_vccnz .LBB142_283
; %bb.278:                              ;   in Loop: Header=BB142_31 Depth=1
	ds_read_b64 v[2:3], v11 offset:5120
	s_waitcnt lgkmcnt(0)
	v_cmp_ne_u64_e32 vcc, 0, v[2:3]
	s_cbranch_vccnz .LBB142_282
; %bb.279:                              ;   in Loop: Header=BB142_31 Depth=1
	s_mov_b64 s[16:17], exec
	v_readlane_b32 s40, v44, 36
	v_readlane_b32 s41, v44, 37
	s_and_b64 s[40:41], s[16:17], s[40:41]
	s_mov_b64 exec, s[40:41]
	s_cbranch_execz .LBB142_281
; %bb.280:                              ;   in Loop: Header=BB142_31 Depth=1
	v_pk_mov_b32 v[2:3], s[10:11], s[10:11] op_sel:[0,1]
	ds_write_b64 v11, v[2:3] offset:5128
.LBB142_281:                            ;   in Loop: Header=BB142_31 Depth=1
	s_or_b64 exec, exec, s[16:17]
	s_waitcnt lgkmcnt(0)
	s_barrier
.LBB142_282:                            ;   in Loop: Header=BB142_31 Depth=1
	s_or_b32 s40, s92, s48
	s_or_b32 s41, s27, s48
	s_mov_b64 s[16:17], 0
	s_mov_b32 s49, 8
	s_branch .LBB142_284
.LBB142_283:                            ;   in Loop: Header=BB142_31 Depth=1
	s_mov_b64 s[16:17], -1
                                        ; implicit-def: $sgpr49
                                        ; implicit-def: $sgpr40
                                        ; implicit-def: $sgpr41
.LBB142_284:                            ;   in Loop: Header=BB142_31 Depth=1
	s_andn2_b64 vcc, exec, s[16:17]
	s_cbranch_vccnz .LBB142_286
; %bb.285:                              ;   in Loop: Header=BB142_31 Depth=1
	s_sub_u32 s94, s94, s10
	s_subb_u32 s95, s95, s11
	s_mov_b32 s49, 8
	s_mov_b32 s40, s92
	;; [unrolled: 1-line block ×3, first 2 shown]
.LBB142_286:                            ;   in Loop: Header=BB142_31 Depth=1
	s_mov_b64 s[46:47], s[94:95]
	s_mov_b32 s92, s40
	s_mov_b32 s27, s41
.LBB142_287:                            ;   in Loop: Header=BB142_31 Depth=1
	s_mov_b64 s[44:45], exec
.LBB142_288:                            ;   in Loop: Header=BB142_31 Depth=1
	s_or_b64 exec, exec, s[42:43]
	s_mov_b64 s[94:95], s[46:47]
.LBB142_289:                            ;   in Loop: Header=BB142_31 Depth=1
	s_andn2_b64 s[10:11], s[28:29], exec
	s_and_b64 s[6:7], s[6:7], exec
	s_or_b64 s[28:29], s[10:11], s[6:7]
	s_andn2_b64 s[6:7], s[34:35], exec
	s_and_b64 s[10:11], s[38:39], exec
	s_or_b64 s[34:35], s[6:7], s[10:11]
	;; [unrolled: 3-line block ×3, first 2 shown]
	s_and_b64 s[8:9], s[44:45], exec
.LBB142_290:                            ;   in Loop: Header=BB142_31 Depth=1
	s_or_b64 exec, exec, s[36:37]
.LBB142_291:                            ;   in Loop: Header=BB142_31 Depth=1
	s_andn2_b64 s[6:7], s[20:21], exec
	s_and_b64 s[10:11], s[28:29], exec
	s_or_b64 s[20:21], s[6:7], s[10:11]
	s_andn2_b64 s[6:7], s[22:23], exec
	s_and_b64 s[10:11], s[34:35], exec
	s_or_b64 s[22:23], s[6:7], s[10:11]
	;; [unrolled: 3-line block ×3, first 2 shown]
	s_and_b64 s[8:9], s[8:9], exec
.LBB142_292:                            ;   in Loop: Header=BB142_31 Depth=1
	s_or_b64 exec, exec, s[24:25]
	s_and_saveexec_b64 s[6:7], s[8:9]
	s_xor_b64 s[6:7], exec, s[6:7]
	s_cbranch_execz .LBB142_29
.LBB142_293:                            ;   in Loop: Header=BB142_31 Depth=1
	s_and_b32 s8, s49, -9
	s_cmp_eq_u32 s8, 0
	s_cbranch_scc1 .LBB142_27
; %bb.294:                              ;   in Loop: Header=BB142_31 Depth=1
	s_mov_b64 s[8:9], -1
                                        ; implicit-def: $sgpr27
                                        ; implicit-def: $sgpr94_sgpr95
                                        ; implicit-def: $sgpr1
                                        ; implicit-def: $sgpr26
	s_mov_b64 s[10:11], -1
	s_branch .LBB142_28
.LBB142_295:                            ;   in Loop: Header=BB142_31 Depth=1
                                        ; implicit-def: $vgpr2_vgpr3
	s_branch .LBB142_247
.LBB142_296:                            ;   in Loop: Header=BB142_31 Depth=1
                                        ; implicit-def: $vgpr2_vgpr3
	s_branch .LBB142_264
.LBB142_297:
	s_or_b64 exec, exec, s[86:87]
	s_xor_b64 s[8:9], s[80:81], -1
	s_xor_b64 s[0:1], s[70:71], -1
	;; [unrolled: 1-line block ×3, first 2 shown]
	s_mov_b64 s[4:5], 0
	s_and_saveexec_b64 s[2:3], s[0:1]
	s_xor_b64 s[2:3], exec, s[2:3]
	s_cbranch_execnz .LBB142_302
; %bb.298:
	s_andn2_saveexec_b64 s[0:1], s[2:3]
	s_cbranch_execnz .LBB142_315
.LBB142_299:
	s_or_b64 exec, exec, s[0:1]
	s_and_saveexec_b64 s[0:1], s[4:5]
.LBB142_300:
	; divergent unreachable
.LBB142_301:
	s_endpgm
.LBB142_302:
	s_and_saveexec_b64 s[0:1], s[8:9]
	s_xor_b64 s[4:5], exec, s[0:1]
	s_cbranch_execz .LBB142_313
; %bb.303:
	s_and_saveexec_b64 s[0:1], s[6:7]
	s_xor_b64 s[6:7], exec, s[0:1]
; %bb.304:
	v_and_b32_e32 v3, 0x8000, v2
	v_mov_b32_e32 v4, 0x8000
	v_mov_b32_e32 v5, 0xffff
	v_cmp_eq_u32_e32 vcc, 0, v3
	v_cndmask_b32_e32 v3, v4, v5, vcc
	v_xor_b32_e32 v35, v3, v2
; %bb.305:
	s_or_b64 exec, exec, s[6:7]
	v_readlane_b32 s8, v44, 4
	v_readlane_b32 s0, v44, 12
	;; [unrolled: 1-line block ×4, first 2 shown]
	s_mov_b32 s14, s0
	s_mul_i32 s0, s0, s9
	s_mul_hi_u32 s1, s14, s8
	s_add_i32 s1, s1, s0
	s_mul_i32 s0, s14, s8
	v_readlane_b32 s12, v44, 14
	v_readlane_b32 s16, v44, 24
	;; [unrolled: 1-line block ×3, first 2 shown]
	s_sub_u32 s0, s12, s0
	v_readlane_b32 s18, v44, 26
	v_readlane_b32 s19, v44, 27
	s_subb_u32 s1, s13, s1
	s_mul_i32 s6, s0, s19
	s_mul_hi_u32 s7, s0, s18
	v_readlane_b32 s10, v44, 6
	v_readlane_b32 s11, v44, 7
	;; [unrolled: 1-line block ×3, first 2 shown]
	s_add_i32 s6, s7, s6
	s_mul_i32 s1, s1, s18
	s_add_i32 s1, s6, s1
	s_mul_i32 s6, s14, s17
	s_mul_hi_u32 s7, s14, s16
	s_mul_i32 s8, s12, s11
	s_mul_hi_u32 s9, s12, s10
	s_add_i32 s7, s7, s6
	s_add_i32 s9, s9, s8
	s_mul_i32 s8, s12, s10
	v_readlane_b32 s10, v44, 32
	v_readlane_b32 s12, v44, 22
	;; [unrolled: 1-line block ×3, first 2 shown]
	s_sub_u32 s8, s10, s8
	v_readlane_b32 s13, v44, 23
	s_subb_u32 s9, 0, s9
	s_mul_i32 s10, s8, s13
	s_mul_hi_u32 s11, s8, s12
	s_mul_i32 s6, s14, s16
	s_add_i32 s10, s11, s10
	s_mul_i32 s9, s9, s12
	s_add_i32 s9, s10, s9
	s_lshl_b64 s[6:7], s[6:7], 1
	v_readlane_b32 s10, v44, 30
	s_mul_i32 s0, s0, s18
	v_readlane_b32 s11, v44, 31
	s_add_u32 s6, s10, s6
	s_addc_u32 s7, s11, s7
	s_lshl_b64 s[0:1], s[0:1], 1
	s_mul_i32 s8, s8, s12
	s_add_u32 s6, s6, s0
	s_addc_u32 s7, s7, s1
	s_lshl_b64 s[0:1], s[8:9], 1
	s_add_u32 s0, s6, s0
	s_addc_u32 s1, s7, s1
	v_mov_b32_e32 v2, 0
	global_store_short v2, v35, s[0:1]
	s_mov_b64 s[6:7], exec
	v_readlane_b32 s0, v44, 34
	v_readlane_b32 s1, v44, 35
	s_and_b64 s[0:1], s[6:7], s[0:1]
	s_mov_b64 exec, s[0:1]
	s_cbranch_execz .LBB142_312
; %bb.306:
	v_lshlrev_b32_e32 v4, 16, v35
	v_cmp_u_f32_e32 vcc, v4, v4
	s_mov_b64 s[8:9], 0
	v_mov_b32_e32 v5, s55
	s_xor_b64 s[12:13], vcc, -1
                                        ; implicit-def: $sgpr10_sgpr11
                                        ; implicit-def: $sgpr16_sgpr17
                                        ; implicit-def: $sgpr14_sgpr15
	s_branch .LBB142_308
.LBB142_307:                            ;   in Loop: Header=BB142_308 Depth=1
	s_or_b64 exec, exec, s[0:1]
	s_and_b64 s[0:1], exec, s[16:17]
	s_or_b64 s[8:9], s[0:1], s[8:9]
	s_andn2_b64 s[0:1], s[10:11], exec
	s_and_b64 s[10:11], s[14:15], exec
	s_or_b64 s[10:11], s[0:1], s[10:11]
	s_andn2_b64 exec, exec, s[8:9]
	s_cbranch_execz .LBB142_310
.LBB142_308:                            ; =>This Inner Loop Header: Depth=1
	v_pk_mov_b32 v[2:3], v[0:1], v[0:1] op_sel:[0,1]
	v_mul_lo_u32 v6, v3, s76
	v_mul_lo_u32 v7, v2, s77
	v_mad_u64_u32 v[0:1], s[0:1], v2, s76, 0
	v_add3_u32 v1, v1, v7, v6
	v_lshlrev_b64 v[0:1], 1, v[0:1]
	v_add_co_u32_e32 v0, vcc, s33, v0
	v_addc_co_u32_e32 v1, vcc, v5, v1, vcc
	global_load_ushort v0, v[0:1], off
	s_or_b64 s[14:15], s[14:15], exec
	s_or_b64 s[16:17], s[16:17], exec
	s_waitcnt vmcnt(0)
	v_lshlrev_b32_e32 v0, 16, v0
	v_cmp_o_f32_e64 s[0:1], v0, v0
	v_cmp_neq_f32_e32 vcc, v0, v4
	s_or_b64 s[0:1], s[12:13], s[0:1]
	s_and_b64 s[18:19], vcc, s[0:1]
                                        ; implicit-def: $vgpr0_vgpr1
	s_and_saveexec_b64 s[0:1], s[18:19]
	s_cbranch_execz .LBB142_307
; %bb.309:                              ;   in Loop: Header=BB142_308 Depth=1
	v_mov_b32_e32 v1, s84
	v_add_co_u32_e32 v0, vcc, s54, v2
	v_addc_co_u32_e32 v1, vcc, v3, v1, vcc
	v_cmp_le_u64_e32 vcc, s[52:53], v[0:1]
	s_andn2_b64 s[16:17], s[16:17], exec
	s_and_b64 s[18:19], vcc, exec
	s_andn2_b64 s[14:15], s[14:15], exec
	s_or_b64 s[16:17], s[16:17], s[18:19]
	s_branch .LBB142_307
.LBB142_310:
	s_or_b64 exec, exec, s[8:9]
	s_and_saveexec_b64 s[0:1], s[10:11]
	s_xor_b64 s[0:1], exec, s[0:1]
	s_cbranch_execz .LBB142_312
; %bb.311:
	v_readlane_b32 s12, v44, 0
	v_readlane_b32 s0, v44, 8
	;; [unrolled: 1-line block ×4, first 2 shown]
	s_mov_b32 s10, s0
	s_mul_i32 s0, s0, s13
	s_mul_hi_u32 s1, s10, s12
	s_add_i32 s1, s1, s0
	s_mul_i32 s0, s10, s12
	v_readlane_b32 s12, v44, 10
	v_readlane_b32 s16, v44, 18
	;; [unrolled: 1-line block ×3, first 2 shown]
	s_sub_u32 s0, s12, s0
	v_readlane_b32 s18, v44, 20
	v_readlane_b32 s19, v44, 21
	s_subb_u32 s1, s13, s1
	s_mul_i32 s8, s0, s19
	s_mul_hi_u32 s9, s0, s18
	v_readlane_b32 s17, v44, 19
	s_add_i32 s8, s9, s8
	s_mul_i32 s1, s1, s18
	v_readlane_b32 s14, v44, 2
	v_readlane_b32 s15, v44, 3
	s_add_i32 s1, s8, s1
	s_mul_i32 s8, s10, s17
	s_mul_hi_u32 s9, s10, s16
	s_add_i32 s9, s9, s8
	s_mul_i32 s8, s10, s16
	s_mul_i32 s10, s12, s15
	s_mul_hi_u32 s11, s12, s14
	s_add_i32 s11, s11, s10
	s_mul_i32 s10, s12, s14
	v_readlane_b32 s12, v44, 32
	v_readlane_b32 s14, v44, 16
	;; [unrolled: 1-line block ×3, first 2 shown]
	s_sub_u32 s10, s12, s10
	v_readlane_b32 s15, v44, 17
	s_subb_u32 s11, 0, s11
	s_mul_i32 s12, s10, s15
	s_mul_hi_u32 s13, s10, s14
	s_add_i32 s12, s13, s12
	s_mul_i32 s11, s11, s14
	s_add_i32 s11, s12, s11
	s_lshl_b64 s[8:9], s[8:9], 3
	v_readlane_b32 s12, v44, 28
	s_mul_i32 s0, s0, s18
	v_readlane_b32 s13, v44, 29
	s_add_u32 s8, s12, s8
	s_addc_u32 s9, s13, s9
	s_lshl_b64 s[0:1], s[0:1], 3
	s_mul_i32 s10, s10, s14
	s_add_u32 s8, s8, s0
	s_addc_u32 s9, s9, s1
	s_lshl_b64 s[0:1], s[10:11], 3
	s_add_u32 s0, s8, s0
	s_addc_u32 s1, s9, s1
	v_mov_b32_e32 v0, 0
	global_store_dwordx2 v0, v[2:3], s[0:1]
.LBB142_312:
	s_or_b64 exec, exec, s[6:7]
.LBB142_313:
	s_or_saveexec_b64 s[0:1], s[4:5]
	s_mov_b64 s[4:5], 0
	s_xor_b64 exec, exec, s[0:1]
	s_cbranch_execnz .LBB142_316
.LBB142_314:
	s_or_b64 exec, exec, s[0:1]
	s_and_b64 s[4:5], s[4:5], exec
	s_andn2_saveexec_b64 s[0:1], s[2:3]
	s_cbranch_execz .LBB142_299
.LBB142_315:
	s_or_b64 s[4:5], s[4:5], exec
	s_trap 2
	s_or_b64 exec, exec, s[0:1]
	s_and_saveexec_b64 s[0:1], s[4:5]
	s_cbranch_execnz .LBB142_300
	s_branch .LBB142_301
.LBB142_316:
	s_mov_b64 s[4:5], exec
	s_trap 2
	s_branch .LBB142_314
	.section	.rodata,"a",@progbits
	.p2align	6, 0x0
	.amdhsa_kernel _ZN2at6native12_GLOBAL__N_112gatherMedianIN3c108BFloat16EmLi3EEEvNS_4cuda6detail10TensorInfoIT_T0_EENS7_IlS9_EENS7_IKS8_S9_EES9_S9_S9_b
		.amdhsa_group_segment_fixed_size 5152
		.amdhsa_private_segment_fixed_size 0
		.amdhsa_kernarg_size 1536
		.amdhsa_user_sgpr_count 6
		.amdhsa_user_sgpr_private_segment_buffer 1
		.amdhsa_user_sgpr_dispatch_ptr 0
		.amdhsa_user_sgpr_queue_ptr 0
		.amdhsa_user_sgpr_kernarg_segment_ptr 1
		.amdhsa_user_sgpr_dispatch_id 0
		.amdhsa_user_sgpr_flat_scratch_init 0
		.amdhsa_user_sgpr_kernarg_preload_length 0
		.amdhsa_user_sgpr_kernarg_preload_offset 0
		.amdhsa_user_sgpr_private_segment_size 0
		.amdhsa_uses_dynamic_stack 0
		.amdhsa_system_sgpr_private_segment_wavefront_offset 0
		.amdhsa_system_sgpr_workgroup_id_x 1
		.amdhsa_system_sgpr_workgroup_id_y 1
		.amdhsa_system_sgpr_workgroup_id_z 1
		.amdhsa_system_sgpr_workgroup_info 0
		.amdhsa_system_vgpr_workitem_id 0
		.amdhsa_next_free_vgpr 45
		.amdhsa_next_free_sgpr 96
		.amdhsa_accum_offset 48
		.amdhsa_reserve_vcc 1
		.amdhsa_reserve_flat_scratch 0
		.amdhsa_float_round_mode_32 0
		.amdhsa_float_round_mode_16_64 0
		.amdhsa_float_denorm_mode_32 3
		.amdhsa_float_denorm_mode_16_64 3
		.amdhsa_dx10_clamp 1
		.amdhsa_ieee_mode 1
		.amdhsa_fp16_overflow 0
		.amdhsa_tg_split 0
		.amdhsa_exception_fp_ieee_invalid_op 0
		.amdhsa_exception_fp_denorm_src 0
		.amdhsa_exception_fp_ieee_div_zero 0
		.amdhsa_exception_fp_ieee_overflow 0
		.amdhsa_exception_fp_ieee_underflow 0
		.amdhsa_exception_fp_ieee_inexact 0
		.amdhsa_exception_int_div_zero 0
	.end_amdhsa_kernel
	.section	.text._ZN2at6native12_GLOBAL__N_112gatherMedianIN3c108BFloat16EmLi3EEEvNS_4cuda6detail10TensorInfoIT_T0_EENS7_IlS9_EENS7_IKS8_S9_EES9_S9_S9_b,"axG",@progbits,_ZN2at6native12_GLOBAL__N_112gatherMedianIN3c108BFloat16EmLi3EEEvNS_4cuda6detail10TensorInfoIT_T0_EENS7_IlS9_EENS7_IKS8_S9_EES9_S9_S9_b,comdat
.Lfunc_end142:
	.size	_ZN2at6native12_GLOBAL__N_112gatherMedianIN3c108BFloat16EmLi3EEEvNS_4cuda6detail10TensorInfoIT_T0_EENS7_IlS9_EENS7_IKS8_S9_EES9_S9_S9_b, .Lfunc_end142-_ZN2at6native12_GLOBAL__N_112gatherMedianIN3c108BFloat16EmLi3EEEvNS_4cuda6detail10TensorInfoIT_T0_EENS7_IlS9_EENS7_IKS8_S9_EES9_S9_S9_b
                                        ; -- End function
	.section	.AMDGPU.csdata,"",@progbits
; Kernel info:
; codeLenInByte = 17680
; NumSgprs: 100
; NumVgprs: 45
; NumAgprs: 0
; TotalNumVgprs: 45
; ScratchSize: 0
; MemoryBound: 0
; FloatMode: 240
; IeeeMode: 1
; LDSByteSize: 5152 bytes/workgroup (compile time only)
; SGPRBlocks: 12
; VGPRBlocks: 5
; NumSGPRsForWavesPerEU: 100
; NumVGPRsForWavesPerEU: 45
; AccumOffset: 48
; Occupancy: 8
; WaveLimiterHint : 1
; COMPUTE_PGM_RSRC2:SCRATCH_EN: 0
; COMPUTE_PGM_RSRC2:USER_SGPR: 6
; COMPUTE_PGM_RSRC2:TRAP_HANDLER: 0
; COMPUTE_PGM_RSRC2:TGID_X_EN: 1
; COMPUTE_PGM_RSRC2:TGID_Y_EN: 1
; COMPUTE_PGM_RSRC2:TGID_Z_EN: 1
; COMPUTE_PGM_RSRC2:TIDIG_COMP_CNT: 0
; COMPUTE_PGM_RSRC3_GFX90A:ACCUM_OFFSET: 11
; COMPUTE_PGM_RSRC3_GFX90A:TG_SPLIT: 0
	.section	.text._ZN2at6native12_GLOBAL__N_112gatherMedianIN3c108BFloat16EmLin1EEEvNS_4cuda6detail10TensorInfoIT_T0_EENS7_IlS9_EENS7_IKS8_S9_EES9_S9_S9_b,"axG",@progbits,_ZN2at6native12_GLOBAL__N_112gatherMedianIN3c108BFloat16EmLin1EEEvNS_4cuda6detail10TensorInfoIT_T0_EENS7_IlS9_EENS7_IKS8_S9_EES9_S9_S9_b,comdat
	.globl	_ZN2at6native12_GLOBAL__N_112gatherMedianIN3c108BFloat16EmLin1EEEvNS_4cuda6detail10TensorInfoIT_T0_EENS7_IlS9_EENS7_IKS8_S9_EES9_S9_S9_b ; -- Begin function _ZN2at6native12_GLOBAL__N_112gatherMedianIN3c108BFloat16EmLin1EEEvNS_4cuda6detail10TensorInfoIT_T0_EENS7_IlS9_EENS7_IKS8_S9_EES9_S9_S9_b
	.p2align	8
	.type	_ZN2at6native12_GLOBAL__N_112gatherMedianIN3c108BFloat16EmLin1EEEvNS_4cuda6detail10TensorInfoIT_T0_EENS7_IlS9_EENS7_IKS8_S9_EES9_S9_S9_b,@function
_ZN2at6native12_GLOBAL__N_112gatherMedianIN3c108BFloat16EmLin1EEEvNS_4cuda6detail10TensorInfoIT_T0_EENS7_IlS9_EENS7_IKS8_S9_EES9_S9_S9_b: ; @_ZN2at6native12_GLOBAL__N_112gatherMedianIN3c108BFloat16EmLin1EEEvNS_4cuda6detail10TensorInfoIT_T0_EENS7_IlS9_EENS7_IKS8_S9_EES9_S9_S9_b
; %bb.0:
	s_load_dwordx4 s[52:55], s[4:5], 0x4e0
	s_load_dwordx2 s[10:11], s[4:5], 0x500
	s_add_u32 s12, s4, 0x500
	s_addc_u32 s13, s5, 0
	s_mov_b32 s3, 0
	s_waitcnt lgkmcnt(0)
	v_mov_b32_e32 v2, s54
	s_mul_i32 s0, s11, s8
	s_add_i32 s0, s0, s7
	s_mul_i32 s0, s0, s10
	v_mov_b32_e32 v3, s55
	s_add_i32 s2, s0, s6
	v_cmp_ge_u64_e32 vcc, s[2:3], v[2:3]
	s_cbranch_vccnz .LBB143_314
; %bb.1:
	s_load_dword s0, s[4:5], 0x198
	s_load_dwordx2 s[56:57], s[4:5], 0x4f0
	s_mov_b64 s[26:27], 0
	s_mov_b64 s[20:21], s[2:3]
	s_waitcnt lgkmcnt(0)
	s_cmp_lt_i32 s0, 2
	s_cbranch_scc1 .LBB143_9
; %bb.2:
	s_mov_b32 s8, 0
	s_add_i32 s7, s0, 1
	s_add_i32 s0, s0, -1
	s_mov_b32 s1, s8
	s_lshl_b64 s[0:1], s[0:1], 3
	s_add_u32 s0, s0, s4
	s_addc_u32 s1, s1, s5
	s_add_u32 s14, s0, 8
	s_addc_u32 s15, s1, 0
	s_mov_b64 s[16:17], s[2:3]
.LBB143_3:                              ; =>This Inner Loop Header: Depth=1
	s_load_dwordx2 s[18:19], s[14:15], 0x0
	s_waitcnt lgkmcnt(0)
	s_or_b64 s[0:1], s[16:17], s[18:19]
	s_mov_b32 s9, s1
	s_cmp_lg_u64 s[8:9], 0
	s_cbranch_scc0 .LBB143_8
; %bb.4:                                ;   in Loop: Header=BB143_3 Depth=1
	v_cvt_f32_u32_e32 v1, s18
	v_cvt_f32_u32_e32 v2, s19
	s_sub_u32 s0, 0, s18
	s_subb_u32 s1, 0, s19
	v_mac_f32_e32 v1, 0x4f800000, v2
	v_rcp_f32_e32 v1, v1
	v_mul_f32_e32 v1, 0x5f7ffffc, v1
	v_mul_f32_e32 v2, 0x2f800000, v1
	v_trunc_f32_e32 v2, v2
	v_mac_f32_e32 v1, 0xcf800000, v2
	v_cvt_u32_f32_e32 v2, v2
	v_cvt_u32_f32_e32 v1, v1
	v_readfirstlane_b32 s9, v2
	v_readfirstlane_b32 s11, v1
	s_mul_i32 s20, s0, s9
	s_mul_hi_u32 s22, s0, s11
	s_mul_i32 s21, s1, s11
	s_add_i32 s20, s22, s20
	s_mul_i32 s23, s0, s11
	s_add_i32 s20, s20, s21
	s_mul_hi_u32 s21, s11, s20
	s_mul_i32 s22, s11, s20
	s_mul_hi_u32 s11, s11, s23
	s_add_u32 s11, s11, s22
	s_addc_u32 s21, 0, s21
	s_mul_hi_u32 s24, s9, s23
	s_mul_i32 s23, s9, s23
	s_add_u32 s11, s11, s23
	s_mul_hi_u32 s22, s9, s20
	s_addc_u32 s11, s21, s24
	s_addc_u32 s21, s22, 0
	s_mul_i32 s20, s9, s20
	s_add_u32 s11, s11, s20
	s_addc_u32 s20, 0, s21
	v_add_co_u32_e32 v1, vcc, s11, v1
	s_cmp_lg_u64 vcc, 0
	s_addc_u32 s9, s9, s20
	v_readfirstlane_b32 s20, v1
	s_mul_i32 s11, s0, s9
	s_mul_hi_u32 s21, s0, s20
	s_add_i32 s11, s21, s11
	s_mul_i32 s1, s1, s20
	s_add_i32 s11, s11, s1
	s_mul_i32 s0, s0, s20
	s_mul_hi_u32 s21, s9, s0
	s_mul_i32 s22, s9, s0
	s_mul_i32 s24, s20, s11
	s_mul_hi_u32 s0, s20, s0
	s_mul_hi_u32 s23, s20, s11
	s_add_u32 s0, s0, s24
	s_addc_u32 s20, 0, s23
	s_add_u32 s0, s0, s22
	s_mul_hi_u32 s1, s9, s11
	s_addc_u32 s0, s20, s21
	s_addc_u32 s1, s1, 0
	s_mul_i32 s11, s9, s11
	s_add_u32 s0, s0, s11
	s_addc_u32 s1, 0, s1
	v_add_co_u32_e32 v1, vcc, s0, v1
	s_cmp_lg_u64 vcc, 0
	s_addc_u32 s0, s9, s1
	v_readfirstlane_b32 s11, v1
	s_mul_i32 s9, s16, s0
	s_mul_hi_u32 s20, s16, s11
	s_mul_hi_u32 s1, s16, s0
	s_add_u32 s9, s20, s9
	s_addc_u32 s1, 0, s1
	s_mul_hi_u32 s21, s17, s11
	s_mul_i32 s11, s17, s11
	s_add_u32 s9, s9, s11
	s_mul_hi_u32 s20, s17, s0
	s_addc_u32 s1, s1, s21
	s_addc_u32 s9, s20, 0
	s_mul_i32 s0, s17, s0
	s_add_u32 s11, s1, s0
	s_addc_u32 s9, 0, s9
	s_mul_i32 s0, s18, s9
	s_mul_hi_u32 s1, s18, s11
	s_add_i32 s0, s1, s0
	s_mul_i32 s1, s19, s11
	s_add_i32 s20, s0, s1
	s_mul_i32 s1, s18, s11
	v_mov_b32_e32 v1, s1
	s_sub_i32 s0, s17, s20
	v_sub_co_u32_e32 v1, vcc, s16, v1
	s_cmp_lg_u64 vcc, 0
	s_subb_u32 s21, s0, s19
	v_subrev_co_u32_e64 v2, s[0:1], s18, v1
	s_cmp_lg_u64 s[0:1], 0
	s_subb_u32 s0, s21, 0
	s_cmp_ge_u32 s0, s19
	v_readfirstlane_b32 s21, v2
	s_cselect_b32 s1, -1, 0
	s_cmp_ge_u32 s21, s18
	s_cselect_b32 s21, -1, 0
	s_cmp_eq_u32 s0, s19
	s_cselect_b32 s0, s21, s1
	s_add_u32 s1, s11, 1
	s_addc_u32 s21, s9, 0
	s_add_u32 s22, s11, 2
	s_addc_u32 s23, s9, 0
	s_cmp_lg_u32 s0, 0
	s_cselect_b32 s0, s22, s1
	s_cselect_b32 s1, s23, s21
	s_cmp_lg_u64 vcc, 0
	s_subb_u32 s20, s17, s20
	s_cmp_ge_u32 s20, s19
	v_readfirstlane_b32 s22, v1
	s_cselect_b32 s21, -1, 0
	s_cmp_ge_u32 s22, s18
	s_cselect_b32 s22, -1, 0
	s_cmp_eq_u32 s20, s19
	s_cselect_b32 s20, s22, s21
	s_cmp_lg_u32 s20, 0
	s_cselect_b32 s21, s1, s9
	s_cselect_b32 s20, s0, s11
	s_cbranch_execnz .LBB143_6
.LBB143_5:                              ;   in Loop: Header=BB143_3 Depth=1
	v_cvt_f32_u32_e32 v1, s18
	s_sub_i32 s0, 0, s18
	s_mov_b32 s21, s8
	v_rcp_iflag_f32_e32 v1, v1
	v_mul_f32_e32 v1, 0x4f7ffffe, v1
	v_cvt_u32_f32_e32 v1, v1
	v_readfirstlane_b32 s1, v1
	s_mul_i32 s0, s0, s1
	s_mul_hi_u32 s0, s1, s0
	s_add_i32 s1, s1, s0
	s_mul_hi_u32 s0, s16, s1
	s_mul_i32 s9, s0, s18
	s_sub_i32 s9, s16, s9
	s_add_i32 s1, s0, 1
	s_sub_i32 s11, s9, s18
	s_cmp_ge_u32 s9, s18
	s_cselect_b32 s0, s1, s0
	s_cselect_b32 s9, s11, s9
	s_add_i32 s1, s0, 1
	s_cmp_ge_u32 s9, s18
	s_cselect_b32 s20, s1, s0
.LBB143_6:                              ;   in Loop: Header=BB143_3 Depth=1
	s_mul_i32 s0, s20, s19
	s_mul_hi_u32 s1, s20, s18
	s_add_i32 s9, s1, s0
	s_load_dwordx2 s[0:1], s[14:15], 0xc8
	s_mul_i32 s11, s21, s18
	s_add_i32 s9, s9, s11
	s_mul_i32 s11, s20, s18
	s_sub_u32 s11, s16, s11
	s_subb_u32 s9, s17, s9
	s_waitcnt lgkmcnt(0)
	s_mul_i32 s9, s0, s9
	s_mul_hi_u32 s16, s0, s11
	s_add_i32 s9, s16, s9
	s_mul_i32 s1, s1, s11
	s_add_i32 s9, s9, s1
	s_mul_i32 s0, s0, s11
	s_add_u32 s26, s0, s26
	s_addc_u32 s27, s9, s27
	s_add_i32 s7, s7, -1
	s_add_u32 s14, s14, -8
	s_addc_u32 s15, s15, -1
	s_cmp_gt_u32 s7, 2
	s_cbranch_scc0 .LBB143_9
; %bb.7:                                ;   in Loop: Header=BB143_3 Depth=1
	s_mov_b64 s[16:17], s[20:21]
	s_branch .LBB143_3
.LBB143_8:                              ;   in Loop: Header=BB143_3 Depth=1
                                        ; implicit-def: $sgpr20_sgpr21
	s_branch .LBB143_5
.LBB143_9:
                                        ; implicit-def: $vgpr56 : SGPR spill to VGPR lane
	s_load_dword s0, s[4:5], 0x338
	s_load_dwordx2 s[8:9], s[4:5], 0xd0
	v_writelane_b32 v56, s26, 0
	v_writelane_b32 v56, s27, 1
	;; [unrolled: 1-line block ×4, first 2 shown]
	s_waitcnt lgkmcnt(0)
	v_writelane_b32 v56, s8, 4
	v_writelane_b32 v56, s9, 5
	s_add_u32 s8, s4, 0x1a0
	s_addc_u32 s9, s5, 0
	s_mov_b64 s[58:59], 0
	s_cmp_lt_i32 s0, 2
	s_mov_b64 s[64:65], s[2:3]
	s_cbranch_scc1 .LBB143_17
; %bb.10:
	s_mov_b32 s14, 0
	s_add_i32 s7, s0, 1
	s_add_i32 s0, s0, -1
	s_mov_b32 s1, s14
	s_lshl_b64 s[0:1], s[0:1], 3
	s_add_u32 s0, s0, s8
	s_addc_u32 s1, s1, s9
	s_add_u32 s16, s0, 8
	s_addc_u32 s17, s1, 0
	s_mov_b64 s[18:19], s[2:3]
.LBB143_11:                             ; =>This Inner Loop Header: Depth=1
	s_load_dwordx2 s[20:21], s[16:17], 0x0
	s_waitcnt lgkmcnt(0)
	s_or_b64 s[0:1], s[18:19], s[20:21]
	s_mov_b32 s15, s1
	s_cmp_lg_u64 s[14:15], 0
	s_cbranch_scc0 .LBB143_16
; %bb.12:                               ;   in Loop: Header=BB143_11 Depth=1
	v_cvt_f32_u32_e32 v1, s20
	v_cvt_f32_u32_e32 v2, s21
	s_sub_u32 s0, 0, s20
	s_subb_u32 s1, 0, s21
	v_mac_f32_e32 v1, 0x4f800000, v2
	v_rcp_f32_e32 v1, v1
	v_mul_f32_e32 v1, 0x5f7ffffc, v1
	v_mul_f32_e32 v2, 0x2f800000, v1
	v_trunc_f32_e32 v2, v2
	v_mac_f32_e32 v1, 0xcf800000, v2
	v_cvt_u32_f32_e32 v2, v2
	v_cvt_u32_f32_e32 v1, v1
	v_readfirstlane_b32 s11, v2
	v_readfirstlane_b32 s15, v1
	s_mul_i32 s22, s0, s11
	s_mul_hi_u32 s24, s0, s15
	s_mul_i32 s23, s1, s15
	s_add_i32 s22, s24, s22
	s_mul_i32 s25, s0, s15
	s_add_i32 s22, s22, s23
	s_mul_hi_u32 s23, s15, s22
	s_mul_i32 s24, s15, s22
	s_mul_hi_u32 s15, s15, s25
	s_add_u32 s15, s15, s24
	s_addc_u32 s23, 0, s23
	s_mul_hi_u32 s26, s11, s25
	s_mul_i32 s25, s11, s25
	s_add_u32 s15, s15, s25
	s_mul_hi_u32 s24, s11, s22
	s_addc_u32 s15, s23, s26
	s_addc_u32 s23, s24, 0
	s_mul_i32 s22, s11, s22
	s_add_u32 s15, s15, s22
	s_addc_u32 s22, 0, s23
	v_add_co_u32_e32 v1, vcc, s15, v1
	s_cmp_lg_u64 vcc, 0
	s_addc_u32 s11, s11, s22
	v_readfirstlane_b32 s22, v1
	s_mul_i32 s15, s0, s11
	s_mul_hi_u32 s23, s0, s22
	s_add_i32 s15, s23, s15
	s_mul_i32 s1, s1, s22
	s_add_i32 s15, s15, s1
	s_mul_i32 s0, s0, s22
	s_mul_hi_u32 s23, s11, s0
	s_mul_i32 s24, s11, s0
	s_mul_i32 s26, s22, s15
	s_mul_hi_u32 s0, s22, s0
	s_mul_hi_u32 s25, s22, s15
	s_add_u32 s0, s0, s26
	s_addc_u32 s22, 0, s25
	s_add_u32 s0, s0, s24
	s_mul_hi_u32 s1, s11, s15
	s_addc_u32 s0, s22, s23
	s_addc_u32 s1, s1, 0
	s_mul_i32 s15, s11, s15
	s_add_u32 s0, s0, s15
	s_addc_u32 s1, 0, s1
	v_add_co_u32_e32 v1, vcc, s0, v1
	s_cmp_lg_u64 vcc, 0
	s_addc_u32 s0, s11, s1
	v_readfirstlane_b32 s15, v1
	s_mul_i32 s11, s18, s0
	s_mul_hi_u32 s22, s18, s15
	s_mul_hi_u32 s1, s18, s0
	s_add_u32 s11, s22, s11
	s_addc_u32 s1, 0, s1
	s_mul_hi_u32 s23, s19, s15
	s_mul_i32 s15, s19, s15
	s_add_u32 s11, s11, s15
	s_mul_hi_u32 s22, s19, s0
	s_addc_u32 s1, s1, s23
	s_addc_u32 s11, s22, 0
	s_mul_i32 s0, s19, s0
	s_add_u32 s15, s1, s0
	s_addc_u32 s11, 0, s11
	s_mul_i32 s0, s20, s11
	s_mul_hi_u32 s1, s20, s15
	s_add_i32 s0, s1, s0
	s_mul_i32 s1, s21, s15
	s_add_i32 s22, s0, s1
	s_mul_i32 s1, s20, s15
	v_mov_b32_e32 v1, s1
	s_sub_i32 s0, s19, s22
	v_sub_co_u32_e32 v1, vcc, s18, v1
	s_cmp_lg_u64 vcc, 0
	s_subb_u32 s23, s0, s21
	v_subrev_co_u32_e64 v2, s[0:1], s20, v1
	s_cmp_lg_u64 s[0:1], 0
	s_subb_u32 s0, s23, 0
	s_cmp_ge_u32 s0, s21
	v_readfirstlane_b32 s23, v2
	s_cselect_b32 s1, -1, 0
	s_cmp_ge_u32 s23, s20
	s_cselect_b32 s23, -1, 0
	s_cmp_eq_u32 s0, s21
	s_cselect_b32 s0, s23, s1
	s_add_u32 s1, s15, 1
	s_addc_u32 s23, s11, 0
	s_add_u32 s24, s15, 2
	s_addc_u32 s25, s11, 0
	s_cmp_lg_u32 s0, 0
	s_cselect_b32 s0, s24, s1
	s_cselect_b32 s1, s25, s23
	s_cmp_lg_u64 vcc, 0
	s_subb_u32 s22, s19, s22
	s_cmp_ge_u32 s22, s21
	v_readfirstlane_b32 s24, v1
	s_cselect_b32 s23, -1, 0
	s_cmp_ge_u32 s24, s20
	s_cselect_b32 s24, -1, 0
	s_cmp_eq_u32 s22, s21
	s_cselect_b32 s22, s24, s23
	s_cmp_lg_u32 s22, 0
	s_cselect_b32 s65, s1, s11
	s_cselect_b32 s64, s0, s15
	s_cbranch_execnz .LBB143_14
.LBB143_13:                             ;   in Loop: Header=BB143_11 Depth=1
	v_cvt_f32_u32_e32 v1, s20
	s_sub_i32 s0, 0, s20
	s_mov_b32 s65, s14
	v_rcp_iflag_f32_e32 v1, v1
	v_mul_f32_e32 v1, 0x4f7ffffe, v1
	v_cvt_u32_f32_e32 v1, v1
	v_readfirstlane_b32 s1, v1
	s_mul_i32 s0, s0, s1
	s_mul_hi_u32 s0, s1, s0
	s_add_i32 s1, s1, s0
	s_mul_hi_u32 s0, s18, s1
	s_mul_i32 s11, s0, s20
	s_sub_i32 s11, s18, s11
	s_add_i32 s1, s0, 1
	s_sub_i32 s15, s11, s20
	s_cmp_ge_u32 s11, s20
	s_cselect_b32 s0, s1, s0
	s_cselect_b32 s11, s15, s11
	s_add_i32 s1, s0, 1
	s_cmp_ge_u32 s11, s20
	s_cselect_b32 s64, s1, s0
.LBB143_14:                             ;   in Loop: Header=BB143_11 Depth=1
	s_mul_i32 s0, s64, s21
	s_mul_hi_u32 s1, s64, s20
	s_add_i32 s11, s1, s0
	s_load_dwordx2 s[0:1], s[16:17], 0xc8
	s_mul_i32 s15, s65, s20
	s_add_i32 s11, s11, s15
	s_mul_i32 s15, s64, s20
	s_sub_u32 s15, s18, s15
	s_subb_u32 s11, s19, s11
	s_waitcnt lgkmcnt(0)
	s_mul_i32 s11, s0, s11
	s_mul_hi_u32 s18, s0, s15
	s_add_i32 s11, s18, s11
	s_mul_i32 s1, s1, s15
	s_add_i32 s11, s11, s1
	s_mul_i32 s0, s0, s15
	s_add_u32 s58, s0, s58
	s_addc_u32 s59, s11, s59
	s_add_i32 s7, s7, -1
	s_add_u32 s16, s16, -8
	s_addc_u32 s17, s17, -1
	s_cmp_gt_u32 s7, 2
	s_cbranch_scc0 .LBB143_17
; %bb.15:                               ;   in Loop: Header=BB143_11 Depth=1
	s_mov_b64 s[18:19], s[64:65]
	s_branch .LBB143_11
.LBB143_16:                             ;   in Loop: Header=BB143_11 Depth=1
                                        ; implicit-def: $sgpr64_sgpr65
	s_branch .LBB143_13
.LBB143_17:
	s_load_dword s11, s[4:5], 0x4d8
	s_load_dwordx2 s[0:1], s[8:9], 0xd0
                                        ; kill: killed $sgpr8 killed $sgpr9
	s_mov_b64 s[8:9], 0
	s_waitcnt lgkmcnt(0)
	v_writelane_b32 v56, s0, 6
	v_writelane_b32 v56, s1, 7
	s_add_u32 s0, s4, 0x340
	s_addc_u32 s1, s5, 0
	s_cmp_lt_i32 s11, 2
	s_cbranch_scc1 .LBB143_25
; %bb.18:
	s_mov_b32 s14, 0
	s_add_i32 s8, s11, -1
	s_mov_b32 s9, s14
	s_add_i32 s7, s11, 1
	s_lshl_b64 s[8:9], s[8:9], 3
	s_add_u32 s0, s8, s0
	s_addc_u32 s1, s9, s1
	s_add_u32 s16, s0, 8
	s_addc_u32 s17, s1, 0
	s_mov_b64 s[8:9], 0
.LBB143_19:                             ; =>This Inner Loop Header: Depth=1
	s_load_dwordx2 s[18:19], s[16:17], 0x0
	s_waitcnt lgkmcnt(0)
	s_or_b64 s[0:1], s[2:3], s[18:19]
	s_mov_b32 s15, s1
	s_cmp_lg_u64 s[14:15], 0
	s_cbranch_scc0 .LBB143_24
; %bb.20:                               ;   in Loop: Header=BB143_19 Depth=1
	v_cvt_f32_u32_e32 v1, s18
	v_cvt_f32_u32_e32 v2, s19
	s_sub_u32 s0, 0, s18
	s_subb_u32 s1, 0, s19
	v_mac_f32_e32 v1, 0x4f800000, v2
	v_rcp_f32_e32 v1, v1
	v_mul_f32_e32 v1, 0x5f7ffffc, v1
	v_mul_f32_e32 v2, 0x2f800000, v1
	v_trunc_f32_e32 v2, v2
	v_mac_f32_e32 v1, 0xcf800000, v2
	v_cvt_u32_f32_e32 v2, v2
	v_cvt_u32_f32_e32 v1, v1
	v_readfirstlane_b32 s11, v2
	v_readfirstlane_b32 s15, v1
	s_mul_i32 s20, s0, s11
	s_mul_hi_u32 s22, s0, s15
	s_mul_i32 s21, s1, s15
	s_add_i32 s20, s22, s20
	s_mul_i32 s23, s0, s15
	s_add_i32 s20, s20, s21
	s_mul_hi_u32 s21, s15, s20
	s_mul_i32 s22, s15, s20
	s_mul_hi_u32 s15, s15, s23
	s_add_u32 s15, s15, s22
	s_addc_u32 s21, 0, s21
	s_mul_hi_u32 s24, s11, s23
	s_mul_i32 s23, s11, s23
	s_add_u32 s15, s15, s23
	s_mul_hi_u32 s22, s11, s20
	s_addc_u32 s15, s21, s24
	s_addc_u32 s21, s22, 0
	s_mul_i32 s20, s11, s20
	s_add_u32 s15, s15, s20
	s_addc_u32 s20, 0, s21
	v_add_co_u32_e32 v1, vcc, s15, v1
	s_cmp_lg_u64 vcc, 0
	s_addc_u32 s11, s11, s20
	v_readfirstlane_b32 s20, v1
	s_mul_i32 s15, s0, s11
	s_mul_hi_u32 s21, s0, s20
	s_add_i32 s15, s21, s15
	s_mul_i32 s1, s1, s20
	s_add_i32 s15, s15, s1
	s_mul_i32 s0, s0, s20
	s_mul_hi_u32 s21, s11, s0
	s_mul_i32 s22, s11, s0
	s_mul_i32 s24, s20, s15
	s_mul_hi_u32 s0, s20, s0
	s_mul_hi_u32 s23, s20, s15
	s_add_u32 s0, s0, s24
	s_addc_u32 s20, 0, s23
	s_add_u32 s0, s0, s22
	s_mul_hi_u32 s1, s11, s15
	s_addc_u32 s0, s20, s21
	s_addc_u32 s1, s1, 0
	s_mul_i32 s15, s11, s15
	s_add_u32 s0, s0, s15
	s_addc_u32 s1, 0, s1
	v_add_co_u32_e32 v1, vcc, s0, v1
	s_cmp_lg_u64 vcc, 0
	s_addc_u32 s0, s11, s1
	v_readfirstlane_b32 s15, v1
	s_mul_i32 s11, s2, s0
	s_mul_hi_u32 s20, s2, s15
	s_mul_hi_u32 s1, s2, s0
	s_add_u32 s11, s20, s11
	s_addc_u32 s1, 0, s1
	s_mul_hi_u32 s21, s3, s15
	s_mul_i32 s15, s3, s15
	s_add_u32 s11, s11, s15
	s_mul_hi_u32 s20, s3, s0
	s_addc_u32 s1, s1, s21
	s_addc_u32 s11, s20, 0
	s_mul_i32 s0, s3, s0
	s_add_u32 s15, s1, s0
	s_addc_u32 s11, 0, s11
	s_mul_i32 s0, s18, s11
	s_mul_hi_u32 s1, s18, s15
	s_add_i32 s0, s1, s0
	s_mul_i32 s1, s19, s15
	s_add_i32 s20, s0, s1
	s_mul_i32 s1, s18, s15
	v_mov_b32_e32 v1, s1
	s_sub_i32 s0, s3, s20
	v_sub_co_u32_e32 v1, vcc, s2, v1
	s_cmp_lg_u64 vcc, 0
	s_subb_u32 s21, s0, s19
	v_subrev_co_u32_e64 v2, s[0:1], s18, v1
	s_cmp_lg_u64 s[0:1], 0
	s_subb_u32 s0, s21, 0
	s_cmp_ge_u32 s0, s19
	v_readfirstlane_b32 s21, v2
	s_cselect_b32 s1, -1, 0
	s_cmp_ge_u32 s21, s18
	s_cselect_b32 s21, -1, 0
	s_cmp_eq_u32 s0, s19
	s_cselect_b32 s0, s21, s1
	s_add_u32 s1, s15, 1
	s_addc_u32 s21, s11, 0
	s_add_u32 s22, s15, 2
	s_addc_u32 s23, s11, 0
	s_cmp_lg_u32 s0, 0
	s_cselect_b32 s0, s22, s1
	s_cselect_b32 s1, s23, s21
	s_cmp_lg_u64 vcc, 0
	s_subb_u32 s20, s3, s20
	s_cmp_ge_u32 s20, s19
	v_readfirstlane_b32 s22, v1
	s_cselect_b32 s21, -1, 0
	s_cmp_ge_u32 s22, s18
	s_cselect_b32 s22, -1, 0
	s_cmp_eq_u32 s20, s19
	s_cselect_b32 s20, s22, s21
	s_cmp_lg_u32 s20, 0
	s_cselect_b32 s21, s1, s11
	s_cselect_b32 s20, s0, s15
	s_cbranch_execnz .LBB143_22
.LBB143_21:                             ;   in Loop: Header=BB143_19 Depth=1
	v_cvt_f32_u32_e32 v1, s18
	s_sub_i32 s0, 0, s18
	s_mov_b32 s21, s14
	v_rcp_iflag_f32_e32 v1, v1
	v_mul_f32_e32 v1, 0x4f7ffffe, v1
	v_cvt_u32_f32_e32 v1, v1
	v_readfirstlane_b32 s1, v1
	s_mul_i32 s0, s0, s1
	s_mul_hi_u32 s0, s1, s0
	s_add_i32 s1, s1, s0
	s_mul_hi_u32 s0, s2, s1
	s_mul_i32 s11, s0, s18
	s_sub_i32 s11, s2, s11
	s_add_i32 s1, s0, 1
	s_sub_i32 s15, s11, s18
	s_cmp_ge_u32 s11, s18
	s_cselect_b32 s0, s1, s0
	s_cselect_b32 s11, s15, s11
	s_add_i32 s1, s0, 1
	s_cmp_ge_u32 s11, s18
	s_cselect_b32 s20, s1, s0
.LBB143_22:                             ;   in Loop: Header=BB143_19 Depth=1
	s_mul_i32 s0, s20, s19
	s_mul_hi_u32 s1, s20, s18
	s_add_i32 s11, s1, s0
	s_load_dwordx2 s[0:1], s[16:17], 0xc8
	s_mul_i32 s15, s21, s18
	s_add_i32 s11, s11, s15
	s_mul_i32 s15, s20, s18
	s_sub_u32 s2, s2, s15
	s_subb_u32 s3, s3, s11
	s_waitcnt lgkmcnt(0)
	s_mul_i32 s3, s0, s3
	s_mul_hi_u32 s11, s0, s2
	s_add_i32 s3, s11, s3
	s_mul_i32 s1, s1, s2
	s_add_i32 s3, s3, s1
	s_mul_i32 s0, s0, s2
	s_add_u32 s8, s0, s8
	s_addc_u32 s9, s3, s9
	s_add_i32 s7, s7, -1
	s_add_u32 s16, s16, -8
	s_addc_u32 s17, s17, -1
	s_cmp_gt_u32 s7, 2
	s_cbranch_scc0 .LBB143_26
; %bb.23:                               ;   in Loop: Header=BB143_19 Depth=1
	s_mov_b64 s[2:3], s[20:21]
	s_branch .LBB143_19
.LBB143_24:                             ;   in Loop: Header=BB143_19 Depth=1
                                        ; implicit-def: $sgpr20_sgpr21
	s_branch .LBB143_21
.LBB143_25:
	s_mov_b64 s[20:21], s[2:3]
.LBB143_26:
	s_load_dwordx2 s[2:3], s[4:5], 0x410
	s_load_dwordx2 s[0:1], s[4:5], 0x0
	v_mov_b32_e32 v1, 0
	v_pk_mov_b32 v[2:3], 0, 0
	v_cmp_gt_u64_e64 s[16:17], s[52:53], v[0:1]
	s_waitcnt lgkmcnt(0)
	s_mul_i32 s7, s2, s21
	v_writelane_b32 v56, s0, 8
	v_writelane_b32 v56, s1, 9
	s_load_dwordx2 s[0:1], s[4:5], 0x1a0
	s_mul_hi_u32 s11, s2, s20
	s_add_i32 s7, s11, s7
	s_mul_i32 s3, s3, s20
	s_add_i32 s3, s7, s3
	s_waitcnt lgkmcnt(0)
	v_writelane_b32 v56, s0, 10
	v_writelane_b32 v56, s1, 11
	s_load_dwordx2 s[0:1], s[4:5], 0x340
	s_mul_i32 s2, s2, s20
	s_mov_b64 s[14:15], exec
	v_writelane_b32 v56, s16, 12
	v_writelane_b32 v56, s17, 13
	s_and_b64 s[16:17], s[14:15], s[16:17]
	s_mov_b64 exec, s[16:17]
	s_cbranch_execz .LBB143_30
; %bb.27:
	s_load_dword s7, s[12:13], 0xc
	v_mad_u64_u32 v[2:3], s[18:19], s56, v0, 0
	v_mov_b32_e32 v4, v3
	v_mad_u64_u32 v[4:5], s[18:19], s57, v0, v[4:5]
	s_lshl_b64 s[16:17], s[2:3], 1
	s_waitcnt lgkmcnt(0)
	s_and_b32 s7, s7, 0xffff
	s_lshl_b64 s[18:19], s[8:9], 1
	s_add_u32 s18, s0, s18
	s_addc_u32 s19, s1, s19
	v_mov_b32_e32 v3, v4
	s_add_u32 s16, s18, s16
	v_lshlrev_b64 v[2:3], 1, v[2:3]
	s_addc_u32 s17, s19, s17
	v_mov_b32_e32 v5, s17
	v_add_co_u32_e32 v4, vcc, s16, v2
	s_mul_i32 s16, s57, s7
	s_mul_hi_u32 s17, s56, s7
	s_add_i32 s17, s17, s16
	s_mul_i32 s16, s56, s7
	s_mov_b32 s11, 0
	s_lshl_b64 s[18:19], s[16:17], 1
	v_addc_co_u32_e32 v5, vcc, v5, v3, vcc
	s_mov_b64 s[16:17], 0
	v_pk_mov_b32 v[2:3], 0, 0
	v_mov_b32_e32 v8, s11
	v_mov_b32_e32 v9, s19
	v_pk_mov_b32 v[6:7], v[0:1], v[0:1] op_sel:[0,1]
.LBB143_28:                             ; =>This Inner Loop Header: Depth=1
	global_load_ushort v10, v[4:5], off
	v_add_co_u32_e32 v6, vcc, s7, v6
	v_addc_co_u32_e32 v7, vcc, v7, v8, vcc
	v_add_co_u32_e32 v4, vcc, s18, v4
	v_addc_co_u32_e32 v5, vcc, v5, v9, vcc
	v_cmp_le_u64_e32 vcc, s[52:53], v[6:7]
	s_or_b64 s[16:17], vcc, s[16:17]
	s_waitcnt vmcnt(0)
	v_lshlrev_b32_e32 v10, 16, v10
	v_cmp_u_f32_e32 vcc, v10, v10
	v_cndmask_b32_e64 v10, 0, 1, vcc
	v_add_co_u32_e32 v2, vcc, v2, v10
	v_addc_co_u32_e32 v3, vcc, 0, v3, vcc
	s_andn2_b64 exec, exec, s[16:17]
	s_cbranch_execnz .LBB143_28
; %bb.29:
	s_or_b64 exec, exec, s[16:17]
.LBB143_30:
	s_or_b64 exec, exec, s[14:15]
	v_cmp_eq_u32_e64 s[16:17], 0, v0
	s_mov_b64 s[14:15], exec
	v_writelane_b32 v56, s16, 14
	v_writelane_b32 v56, s17, 15
	s_and_b64 s[16:17], s[14:15], s[16:17]
	s_mov_b64 exec, s[16:17]
	s_cbranch_execz .LBB143_32
; %bb.31:
	v_mov_b32_e32 v4, 0
	v_mov_b32_e32 v5, v4
	ds_write_b64 v4, v[4:5] offset:5136
.LBB143_32:
	s_or_b64 exec, exec, s[14:15]
	s_mov_b64 s[16:17], 0
	v_cmp_ne_u64_e32 vcc, 0, v[2:3]
	s_waitcnt lgkmcnt(0)
	s_barrier
	s_and_saveexec_b64 s[14:15], vcc
	s_cbranch_execz .LBB143_37
; %bb.33:
	s_mov_b64 s[18:19], exec
.LBB143_34:                             ; =>This Inner Loop Header: Depth=1
	s_ff1_i32_b64 s7, s[18:19]
	v_readlane_b32 s20, v2, s7
	v_readlane_b32 s11, v3, s7
	s_add_u32 s16, s16, s20
	s_addc_u32 s17, s17, s11
	s_lshl_b64 s[20:21], 1, s7
	s_andn2_b64 s[18:19], s[18:19], s[20:21]
	s_cmp_lg_u64 s[18:19], 0
	s_cbranch_scc1 .LBB143_34
; %bb.35:
	v_mbcnt_lo_u32_b32 v2, exec_lo, 0
	v_mbcnt_hi_u32_b32 v2, exec_hi, v2
	v_cmp_eq_u32_e32 vcc, 0, v2
	s_and_saveexec_b64 s[18:19], vcc
	s_xor_b64 s[18:19], exec, s[18:19]
	s_cbranch_execz .LBB143_37
; %bb.36:
	v_mov_b32_e32 v4, 0
	v_pk_mov_b32 v[2:3], s[16:17], s[16:17] op_sel:[0,1]
	ds_add_u64 v4, v[2:3] offset:5136
.LBB143_37:
	s_or_b64 exec, exec, s[14:15]
	v_mov_b32_e32 v11, 0
	s_waitcnt lgkmcnt(0)
	s_barrier
	ds_read_b64 v[2:3], v11 offset:5136
	s_waitcnt lgkmcnt(0)
	v_readfirstlane_b32 s14, v2
	v_readfirstlane_b32 s15, v3
	s_mov_b64 s[16:17], exec
	v_readlane_b32 s18, v56, 14
	v_readlane_b32 s19, v56, 15
	s_and_b64 s[18:19], s[16:17], s[18:19]
	s_mov_b64 exec, s[18:19]
	s_cbranch_execz .LBB143_39
; %bb.38:
	v_mov_b32_e32 v2, 0
	v_mov_b32_e32 v4, s52
	v_mov_b32_e32 v5, s53
	v_mov_b32_e32 v3, v2
	ds_write_b32 v2, v2 offset:5144
	ds_write_b128 v2, v[2:5] offset:5120
.LBB143_39:
	s_or_b64 exec, exec, s[16:17]
	s_load_dword s7, s[4:5], 0x4f8
	v_cmp_lt_i64_e64 s[4:5], s[14:15], 1
	s_waitcnt lgkmcnt(0)
	s_barrier
	s_bitcmp1_b32 s7, 0
	s_cselect_b64 s[16:17], -1, 0
	s_not_b64 s[14:15], s[14:15]
	s_or_b64 s[4:5], s[16:17], s[4:5]
	s_add_u32 s14, s14, s52
	s_addc_u32 s15, s15, s53
	s_lshr_b64 s[14:15], s[14:15], 1
	s_add_u32 s7, s14, 1
	s_addc_u32 s11, s15, 0
	s_and_b64 s[4:5], s[4:5], exec
	s_cselect_b32 s51, s11, s53
	s_cselect_b32 s50, s7, s52
	s_lshl_b64 s[2:3], s[2:3], 1
	s_lshl_b64 s[74:75], s[8:9], 1
	s_add_u32 s14, s0, s2
	v_mbcnt_lo_u32_b32 v2, -1, 0
	s_load_dword s7, s[12:13], 0xc
	s_addc_u32 s15, s1, s3
	v_mbcnt_hi_u32_b32 v40, -1, v2
	v_cmp_gt_u32_e64 s[4:5], 2, v0
	v_mov_b32_e32 v2, 0x600
	s_add_u32 s91, s14, s74
	v_cmp_gt_u32_e32 vcc, 64, v0
	v_cmp_gt_i32_e64 s[8:9], 4, v40
	v_writelane_b32 v56, s4, 16
	v_mov_b32_e32 v3, 0
	s_addc_u32 s87, s15, s75
	s_and_b64 s[48:49], vcc, s[8:9]
	v_writelane_b32 v56, s5, 17
	v_cmp_gt_u64_e64 s[4:5], s[52:53], v[2:3]
	v_mad_u64_u32 v[2:3], s[8:9], v0, s56, 0
	v_writelane_b32 v56, s4, 18
	v_mov_b32_e32 v4, v3
	v_writelane_b32 v56, s5, 19
	v_mad_u64_u32 v[4:5], s[8:9], v0, s57, v[4:5]
	s_waitcnt lgkmcnt(0)
	v_cmp_gt_u16_e64 s[4:5], s7, 63
	s_and_b32 s33, s7, 0xffff
	s_bfe_u32 s8, s7, 0xa0006
	v_writelane_b32 v56, s4, 20
	v_writelane_b32 v56, s5, 21
	s_add_u32 s4, s33, -1
	s_addc_u32 s5, 0, -1
	v_writelane_b32 v56, s4, 22
	s_add_u32 s4, s4, s52
	s_addc_u32 s69, s5, s53
	s_cmp_lt_u32 s6, s10
	s_cselect_b32 s6, 12, 18
	s_add_u32 s78, s12, s6
	s_addc_u32 s79, s13, 0
	s_add_i32 s6, s8, -1
	s_bfe_u32 s7, s33, 0x30006
	v_mov_b32_e32 v3, v4
	v_writelane_b32 v56, s4, 23
	s_cmp_gt_u32 s6, 6
	v_lshlrev_b64 v[4:5], 1, v[2:3]
	v_writelane_b32 v56, s5, 24
	s_cselect_b64 s[4:5], -1, 0
	v_mov_b32_e32 v6, s87
	v_add_co_u32_e32 v16, vcc, s91, v4
	v_writelane_b32 v56, s4, 25
	s_and_b32 s92, s8, 0x3f8
	v_addc_co_u32_e32 v17, vcc, v6, v5, vcc
	v_lshrrev_b32_e32 v6, 4, v0
	v_writelane_b32 v56, s5, 26
	s_cmp_lg_u32 s7, 0
	v_and_b32_e32 v43, 60, v6
	v_lshlrev_b32_e32 v6, 2, v40
	v_writelane_b32 v56, s7, 27
	s_cselect_b64 s[4:5], -1, 0
	s_add_u32 s6, s2, s74
	v_and_b32_e32 v44, 0x100, v6
	v_lshlrev_b64 v[6:7], v40, -1
	v_writelane_b32 v56, s4, 28
	s_addc_u32 s7, s3, s75
	v_lshlrev_b32_e32 v45, 3, v0
	v_not_b32_e32 v19, v7
	v_not_b32_e32 v18, v6
	v_writelane_b32 v56, s5, 29
	s_add_u32 s4, s0, s6
	v_or_b32_e32 v9, 6, v45
	v_pk_mov_b32 v[6:7], s[14:15], s[14:15] op_sel:[0,1]
	s_addc_u32 s5, s1, s7
	v_mad_u64_u32 v[20:21], s[6:7], s56, v9, v[6:7]
	v_mov_b32_e32 v8, v21
	v_writelane_b32 v56, s4, 30
	v_mad_u64_u32 v[8:9], s[6:7], s57, v9, v[8:9]
	v_writelane_b32 v56, s5, 31
	s_lshl_b64 s[4:5], s[56:57], 1
	v_or_b32_e32 v9, 4, v45
	v_writelane_b32 v56, s4, 32
	v_mad_u64_u32 v[22:23], s[6:7], s56, v9, v[6:7]
	v_writelane_b32 v56, s5, 33
	v_mov_b32_e32 v21, v8
	s_lshl_b64 s[4:5], s[56:57], 3
	v_mov_b32_e32 v8, v23
	v_writelane_b32 v56, s4, 34
	v_mad_u64_u32 v[8:9], s[6:7], s57, v9, v[8:9]
	v_cmp_eq_u32_e64 s[46:47], 0, v40
	v_writelane_b32 v56, s5, 35
	v_mov_b32_e32 v23, v8
	v_or_b32_e32 v8, 2, v45
	v_mad_u64_u32 v[24:25], s[6:7], s56, v8, v[6:7]
	s_lshl_b32 s80, s33, 1
	v_writelane_b32 v56, s46, 36
	v_mov_b32_e32 v6, v25
	s_add_u32 s0, s0, s74
	v_writelane_b32 v56, s47, 37
	v_mad_u64_u32 v[6:7], s[6:7], s57, v8, v[6:7]
	v_lshlrev_b64 v[2:3], 3, v[2:3]
	s_addc_u32 s1, s1, s75
	v_writelane_b32 v56, s48, 38
	v_mov_b32_e32 v25, v6
	v_mov_b32_e32 v6, s15
	v_add_co_u32_e32 v26, vcc, s14, v2
	s_add_u32 s0, s0, s2
	v_writelane_b32 v56, s49, 39
	v_addc_co_u32_e32 v27, vcc, v6, v3, vcc
	v_mov_b32_e32 v2, 0xc00
	s_addc_u32 s1, s1, s3
	v_writelane_b32 v56, s78, 40
	v_lshl_or_b32 v46, v40, 3, v2
	v_mov_b32_e32 v2, s1
	v_add_co_u32_e32 v12, vcc, s0, v4
	s_mul_i32 s0, s57, s33
	s_mul_hi_u32 s1, s56, s33
	v_writelane_b32 v56, s79, 41
	s_mov_b32 s77, 0
	v_lshlrev_b32_e32 v41, 1, v0
	s_add_i32 s1, s1, s0
	s_mul_i32 s0, s56, s33
	v_writelane_b32 v56, s91, 42
	v_mov_b32_e32 v15, 0
	v_add_u32_e32 v42, 0xc00, v41
	v_lshlrev_b32_e32 v14, 2, v0
	s_mov_b32 s86, s77
	v_addc_co_u32_e32 v13, vcc, v2, v5, vcc
	s_lshl_b64 s[72:73], s[0:1], 1
	s_mov_b32 s94, 14
	s_mov_b64 s[66:67], 0
	s_movk_i32 s90, 0x3f80
	v_mov_b32_e32 v47, 0xffff
	v_mov_b32_e32 v48, 0x8000
	;; [unrolled: 1-line block ×3, first 2 shown]
	v_mov_b32_e32 v50, -1
	v_mov_b32_e32 v51, 0x5040100
	v_mov_b32_e32 v52, 0
	s_mov_b32 s93, 0
	s_mov_b32 s60, 0
	s_mov_b32 s81, 0
	v_writelane_b32 v56, s92, 43
                                        ; implicit-def: $sgpr36_sgpr37
                                        ; implicit-def: $sgpr42_sgpr43
                                        ; implicit-def: $sgpr88_sgpr89
                                        ; implicit-def: $sgpr40_sgpr41
                                        ; implicit-def: $sgpr34_sgpr35
                                        ; implicit-def: $sgpr54_sgpr55
	v_writelane_b32 v56, s87, 44
	s_branch .LBB143_44
.LBB143_40:                             ;   in Loop: Header=BB143_44 Depth=1
	s_xor_b32 s93, s93, 1
	s_add_i32 s10, s94, -2
	s_cmp_eq_u32 s94, 0
	s_mov_b64 s[2:3], 0
	s_cselect_b64 s[6:7], -1, 0
	s_mov_b32 s94, s10
.LBB143_41:                             ;   in Loop: Header=BB143_44 Depth=1
	s_andn2_b64 s[10:11], s[20:21], exec
	s_and_b64 s[2:3], s[2:3], exec
	s_or_b64 s[20:21], s[10:11], s[2:3]
	s_andn2_b64 s[22:23], s[22:23], exec
	s_andn2_b64 s[18:19], s[18:19], exec
	s_orn2_b64 s[14:15], s[6:7], exec
.LBB143_42:                             ;   in Loop: Header=BB143_44 Depth=1
	s_or_b64 exec, exec, s[0:1]
	s_andn2_b64 s[0:1], s[54:55], exec
	s_and_b64 s[2:3], s[20:21], exec
	s_or_b64 s[54:55], s[0:1], s[2:3]
	s_andn2_b64 s[0:1], s[34:35], exec
	s_and_b64 s[2:3], s[22:23], exec
	s_or_b64 s[34:35], s[0:1], s[2:3]
	;; [unrolled: 3-line block ×3, first 2 shown]
	s_orn2_b64 s[14:15], s[14:15], exec
.LBB143_43:                             ;   in Loop: Header=BB143_44 Depth=1
	s_or_b64 exec, exec, s[12:13]
	s_and_b64 s[0:1], exec, s[14:15]
	s_or_b64 s[66:67], s[0:1], s[66:67]
	s_andn2_b64 s[0:1], s[88:89], exec
	s_and_b64 s[2:3], s[54:55], exec
	s_or_b64 s[88:89], s[0:1], s[2:3]
	s_andn2_b64 s[0:1], s[42:43], exec
	s_and_b64 s[2:3], s[34:35], exec
	;; [unrolled: 3-line block ×3, first 2 shown]
	v_mov_b32_e32 v2, s60
	s_or_b64 s[36:37], s[0:1], s[2:3]
	s_andn2_b64 exec, exec, s[66:67]
	s_cbranch_execz .LBB143_310
.LBB143_44:                             ; =>This Loop Header: Depth=1
                                        ;     Child Loop BB143_49 Depth 2
                                        ;     Child Loop BB143_64 Depth 2
                                        ;     Child Loop BB143_91 Depth 2
                                        ;     Child Loop BB143_95 Depth 2
                                        ;     Child Loop BB143_77 Depth 2
                                        ;     Child Loop BB143_84 Depth 2
                                        ;     Child Loop BB143_104 Depth 2
                                        ;     Child Loop BB143_110 Depth 2
                                        ;     Child Loop BB143_137 Depth 2
                                        ;     Child Loop BB143_122 Depth 2
                                        ;     Child Loop BB143_187 Depth 2
                                        ;     Child Loop BB143_167 Depth 2
                                        ;     Child Loop BB143_234 Depth 2
                                        ;     Child Loop BB143_217 Depth 2
                                        ;     Child Loop BB143_281 Depth 2
                                        ;     Child Loop BB143_264 Depth 2
	ds_read_b128 v[2:5], v11 offset:5120
	s_waitcnt lgkmcnt(0)
	v_readfirstlane_b32 s1, v3
	v_readfirstlane_b32 s0, v2
	s_cmp_lg_u64 s[0:1], 0
	s_cbranch_scc1 .LBB143_71
; %bb.45:                               ;   in Loop: Header=BB143_44 Depth=1
	v_readlane_b32 s0, v56, 18
	v_readlane_b32 s1, v56, 19
	s_and_b64 vcc, exec, s[0:1]
	s_cbranch_vccz .LBB143_57
; %bb.46:                               ;   in Loop: Header=BB143_44 Depth=1
	s_mov_b64 s[0:1], 0x601
	v_cmp_gt_u64_e32 vcc, s[0:1], v[4:5]
	s_mov_b64 s[0:1], 0
	s_mov_b64 s[2:3], 0
	s_cbranch_vccz .LBB143_58
; %bb.47:                               ;   in Loop: Header=BB143_44 Depth=1
	global_load_ushort v6, v11, s[78:79]
	global_load_ushort v7, v[16:17], off
	v_readlane_b32 s2, v56, 30
	v_readlane_b32 s3, v56, 31
	;; [unrolled: 1-line block ×3, first 2 shown]
	v_pk_mov_b32 v[2:3], s[2:3], s[2:3] op_sel:[0,1]
	v_readlane_b32 s5, v56, 33
	s_mov_b64 s[2:3], 0
	s_waitcnt vmcnt(1)
	v_readfirstlane_b32 s6, v6
	s_and_b32 s6, 0xffff, s6
	v_add_u32_e32 v5, s6, v0
	s_mul_i32 s10, s5, s6
	s_mul_hi_u32 s11, s4, s6
	s_mul_i32 s18, s4, s6
	v_mad_u64_u32 v[2:3], s[6:7], s4, v5, v[2:3]
	v_mov_b32_e32 v4, v3
	v_mad_u64_u32 v[4:5], s[6:7], s5, v5, v[4:5]
	s_add_i32 s19, s11, s10
	v_mov_b32_e32 v3, v4
	v_pk_mov_b32 v[4:5], v[0:1], v[0:1] op_sel:[0,1]
	s_branch .LBB143_49
.LBB143_48:                             ;   in Loop: Header=BB143_49 Depth=2
	s_or_b64 exec, exec, s[6:7]
	v_mov_b32_e32 v7, s19
	v_add_co_u32_e32 v2, vcc, s18, v2
	v_addc_co_u32_e32 v3, vcc, v3, v7, vcc
	v_mov_b32_e32 v7, v8
	s_andn2_b64 exec, exec, s[2:3]
	s_cbranch_execz .LBB143_174
.LBB143_49:                             ;   Parent Loop BB143_44 Depth=1
                                        ; =>  This Inner Loop Header: Depth=2
	v_add_co_u32_sdwa v4, vcc, v4, v6 dst_sel:DWORD dst_unused:UNUSED_PAD src0_sel:DWORD src1_sel:WORD_0
	v_addc_co_u32_e32 v5, vcc, 0, v5, vcc
	v_cmp_gt_u64_e64 s[6:7], s[52:53], v[4:5]
	v_cmp_le_u64_e32 vcc, s[52:53], v[4:5]
	s_waitcnt lgkmcnt(0)
	v_mov_b32_e32 v9, 0
	v_mov_b32_e32 v8, 0
	s_and_saveexec_b64 s[10:11], s[6:7]
	s_cbranch_execz .LBB143_51
; %bb.50:                               ;   in Loop: Header=BB143_49 Depth=2
	global_load_ushort v8, v[2:3], off
.LBB143_51:                             ;   in Loop: Header=BB143_49 Depth=2
	s_or_b64 exec, exec, s[10:11]
	s_waitcnt vmcnt(0)
	v_cmp_lt_i16_e64 s[6:7], -1, v7
	v_cndmask_b32_e64 v10, v47, v48, s[6:7]
	v_lshlrev_b32_e32 v28, 16, v7
	v_xor_b32_sdwa v10, v10, v7 dst_sel:DWORD dst_unused:UNUSED_PAD src0_sel:DWORD src1_sel:WORD_0
	v_cmp_o_f32_e64 s[6:7], v28, v28
	v_cndmask_b32_e64 v10, v47, v10, s[6:7]
	v_and_b32_e32 v10, s81, v10
	v_cmp_eq_u32_e64 s[10:11], s60, v10
	s_cmp_lg_u64 s[10:11], 0
	s_cselect_b64 s[6:7], -1, 0
	s_and_b64 s[6:7], s[46:47], s[6:7]
	s_and_saveexec_b64 s[12:13], s[6:7]
	s_cbranch_execz .LBB143_55
; %bb.52:                               ;   in Loop: Header=BB143_49 Depth=2
	s_mov_b64 s[16:17], exec
	v_mbcnt_lo_u32_b32 v9, s16, 0
	v_mbcnt_hi_u32_b32 v9, s17, v9
	s_bcnt1_i32_b64 s20, s[10:11]
	v_cmp_eq_u32_e64 s[6:7], 0, v9
                                        ; implicit-def: $vgpr10
	s_and_saveexec_b64 s[14:15], s[6:7]
	s_cbranch_execz .LBB143_54
; %bb.53:                               ;   in Loop: Header=BB143_49 Depth=2
	s_bcnt1_i32_b64 s6, s[16:17]
	s_mul_i32 s6, s20, s6
	v_mov_b32_e32 v10, s6
	ds_add_rtn_u32 v10, v11, v10 offset:5144
.LBB143_54:                             ;   in Loop: Header=BB143_49 Depth=2
	s_or_b64 exec, exec, s[14:15]
	s_waitcnt lgkmcnt(0)
	v_readfirstlane_b32 s6, v10
	v_mov_b32_e32 v10, s6
	v_mad_u32_u24 v9, s20, v9, v10
.LBB143_55:                             ;   in Loop: Header=BB143_49 Depth=2
	s_or_b64 exec, exec, s[12:13]
	ds_bpermute_b32 v9, v44, v9
	s_and_b64 s[6:7], exec, vcc
	s_or_b64 s[2:3], s[6:7], s[2:3]
	s_and_saveexec_b64 s[6:7], s[10:11]
	s_cbranch_execz .LBB143_48
; %bb.56:                               ;   in Loop: Header=BB143_49 Depth=2
	v_and_b32_e32 v28, s10, v18
	v_and_b32_e32 v10, s11, v19
	v_bcnt_u32_b32 v28, v28, 0
	v_bcnt_u32_b32 v10, v10, v28
	v_lshlrev_b32_e32 v10, 1, v10
	s_waitcnt lgkmcnt(0)
	v_lshl_add_u32 v9, v9, 1, v10
	ds_write_b16 v9, v7
	s_branch .LBB143_48
.LBB143_57:                             ;   in Loop: Header=BB143_44 Depth=1
	s_mov_b64 s[0:1], -1
	s_mov_b64 s[2:3], 0
.LBB143_58:                             ;   in Loop: Header=BB143_44 Depth=1
	s_and_b64 vcc, exec, s[0:1]
	s_cbranch_vccz .LBB143_69
.LBB143_59:                             ;   in Loop: Header=BB143_44 Depth=1
	v_mov_b32_e32 v6, 0
	s_mov_b64 s[0:1], exec
	v_readlane_b32 s2, v56, 12
	v_readlane_b32 s3, v56, 13
	s_and_b64 s[2:3], s[0:1], s[2:3]
	s_mov_b64 exec, s[2:3]
	s_cbranch_execz .LBB143_61
; %bb.60:                               ;   in Loop: Header=BB143_44 Depth=1
	global_load_ushort v6, v[16:17], off
.LBB143_61:                             ;   in Loop: Header=BB143_44 Depth=1
	s_or_b64 exec, exec, s[0:1]
	s_mov_b64 s[0:1], exec
	v_readlane_b32 s2, v56, 12
	v_readlane_b32 s3, v56, 13
	s_and_b64 s[2:3], s[0:1], s[2:3]
	s_mov_b64 exec, s[2:3]
	s_cbranch_execz .LBB143_66
; %bb.62:                               ;   in Loop: Header=BB143_44 Depth=1
	global_load_ushort v7, v11, s[78:79]
	v_readlane_b32 s2, v56, 30
	v_readlane_b32 s3, v56, 31
	;; [unrolled: 1-line block ×3, first 2 shown]
	v_pk_mov_b32 v[2:3], s[2:3], s[2:3] op_sel:[0,1]
	v_readlane_b32 s5, v56, 33
	s_mov_b64 s[2:3], 0
	v_mov_b32_e32 v8, v41
	s_waitcnt vmcnt(0)
	v_readfirstlane_b32 s6, v7
	s_and_b32 s6, 0xffff, s6
	v_add_u32_e32 v5, s6, v0
	s_lshl_b32 s12, s6, 1
	s_mul_i32 s10, s5, s6
	s_mul_hi_u32 s11, s4, s6
	s_mul_i32 s13, s4, s6
	v_mad_u64_u32 v[2:3], s[6:7], s4, v5, v[2:3]
	v_mov_b32_e32 v4, v3
	v_mad_u64_u32 v[4:5], s[6:7], s5, v5, v[4:5]
	s_add_i32 s14, s11, s10
	v_mov_b32_e32 v3, v4
	v_pk_mov_b32 v[4:5], v[0:1], v[0:1] op_sel:[0,1]
	s_branch .LBB143_64
.LBB143_63:                             ;   in Loop: Header=BB143_64 Depth=2
	s_or_b64 exec, exec, s[10:11]
	s_and_b64 s[6:7], exec, vcc
	ds_write_b16 v8, v6
	v_mov_b32_e32 v6, s14
	v_add_co_u32_e32 v2, vcc, s13, v2
	s_or_b64 s[2:3], s[6:7], s[2:3]
	v_add_u32_e32 v8, s12, v8
	v_addc_co_u32_e32 v3, vcc, v3, v6, vcc
	s_waitcnt vmcnt(0)
	v_mov_b32_e32 v6, v9
	s_andn2_b64 exec, exec, s[2:3]
	s_cbranch_execz .LBB143_66
.LBB143_64:                             ;   Parent Loop BB143_44 Depth=1
                                        ; =>  This Inner Loop Header: Depth=2
	v_add_co_u32_sdwa v4, vcc, v4, v7 dst_sel:DWORD dst_unused:UNUSED_PAD src0_sel:DWORD src1_sel:WORD_0
	v_addc_co_u32_e32 v5, vcc, 0, v5, vcc
	v_cmp_gt_u64_e64 s[6:7], s[52:53], v[4:5]
	v_cmp_le_u64_e32 vcc, s[52:53], v[4:5]
	v_mov_b32_e32 v9, 0
	s_and_saveexec_b64 s[10:11], s[6:7]
	s_cbranch_execz .LBB143_63
; %bb.65:                               ;   in Loop: Header=BB143_64 Depth=2
	global_load_ushort v9, v[2:3], off
	s_branch .LBB143_63
.LBB143_66:                             ;   in Loop: Header=BB143_44 Depth=1
	s_or_b64 exec, exec, s[0:1]
	s_waitcnt lgkmcnt(0)
	s_barrier
	s_mov_b64 s[0:1], exec
	v_readlane_b32 s2, v56, 14
	v_readlane_b32 s3, v56, 15
	s_and_b64 s[2:3], s[0:1], s[2:3]
	s_mov_b64 exec, s[2:3]
	s_cbranch_execz .LBB143_68
; %bb.67:                               ;   in Loop: Header=BB143_44 Depth=1
	v_pk_mov_b32 v[2:3], s[52:53], s[52:53] op_sel:[0,1]
	ds_write_b64 v11, v[2:3] offset:5120
.LBB143_68:                             ;   in Loop: Header=BB143_44 Depth=1
	s_or_b64 exec, exec, s[0:1]
	s_mov_b64 s[2:3], -1
	s_waitcnt lgkmcnt(0)
	s_barrier
                                        ; implicit-def: $sgpr0_sgpr1
.LBB143_69:                             ;   in Loop: Header=BB143_44 Depth=1
	s_and_b64 vcc, exec, s[2:3]
	s_cbranch_vccz .LBB143_71
; %bb.70:                               ;   in Loop: Header=BB143_44 Depth=1
	ds_read_b64 v[2:3], v11 offset:5120
	s_waitcnt lgkmcnt(0)
	v_readfirstlane_b32 s0, v2
.LBB143_71:                             ;   in Loop: Header=BB143_44 Depth=1
	s_cmp_lt_i32 s0, 1
	s_cbranch_scc0 .LBB143_86
; %bb.72:                               ;   in Loop: Header=BB143_44 Depth=1
	global_load_ushort v2, v11, s[78:79]
	s_mov_b32 s2, s77
	s_mov_b32 s3, s53
	s_waitcnt vmcnt(0)
	v_readfirstlane_b32 s1, v2
	s_and_b32 s1, s1, 0xffff
	s_lshl_b32 s61, s1, 2
	s_cmp_lg_u64 s[2:3], 0
	s_cbranch_scc0 .LBB143_106
; %bb.73:                               ;   in Loop: Header=BB143_44 Depth=1
	v_cvt_f32_u32_e32 v2, s61
	s_sub_u32 s2, 0, s61
	s_subb_u32 s3, 0, 0
	v_mac_f32_e32 v2, 0, v49
	v_rcp_f32_e32 v2, v2
	v_mul_f32_e32 v2, 0x5f7ffffc, v2
	v_mul_f32_e32 v3, 0x2f800000, v2
	v_trunc_f32_e32 v3, v3
	v_mac_f32_e32 v2, 0xcf800000, v3
	v_cvt_u32_f32_e32 v3, v3
	v_cvt_u32_f32_e32 v2, v2
	v_readfirstlane_b32 s6, v3
	v_readfirstlane_b32 s7, v2
	s_mul_i32 s10, s2, s6
	s_mul_hi_u32 s12, s2, s7
	s_mul_i32 s11, s3, s7
	s_add_i32 s10, s12, s10
	s_mul_i32 s13, s2, s7
	s_add_i32 s10, s10, s11
	s_mul_hi_u32 s12, s7, s13
	s_mul_hi_u32 s11, s7, s10
	s_mul_i32 s7, s7, s10
	s_add_u32 s7, s12, s7
	s_addc_u32 s11, 0, s11
	s_mul_hi_u32 s14, s6, s13
	s_mul_i32 s13, s6, s13
	s_add_u32 s7, s7, s13
	s_mul_hi_u32 s12, s6, s10
	s_addc_u32 s7, s11, s14
	s_addc_u32 s11, s12, 0
	s_mul_i32 s10, s6, s10
	s_add_u32 s7, s7, s10
	s_addc_u32 s10, 0, s11
	v_add_co_u32_e32 v2, vcc, s7, v2
	s_cmp_lg_u64 vcc, 0
	s_addc_u32 s6, s6, s10
	v_readfirstlane_b32 s10, v2
	s_mul_i32 s7, s2, s6
	s_mul_hi_u32 s11, s2, s10
	s_add_i32 s7, s11, s7
	s_mul_i32 s3, s3, s10
	s_add_i32 s7, s7, s3
	s_mul_i32 s2, s2, s10
	s_mul_hi_u32 s11, s6, s2
	s_mul_i32 s12, s6, s2
	s_mul_i32 s14, s10, s7
	s_mul_hi_u32 s2, s10, s2
	s_mul_hi_u32 s13, s10, s7
	s_add_u32 s2, s2, s14
	s_addc_u32 s10, 0, s13
	s_add_u32 s2, s2, s12
	s_mul_hi_u32 s3, s6, s7
	s_addc_u32 s2, s10, s11
	s_addc_u32 s3, s3, 0
	s_mul_i32 s7, s6, s7
	s_add_u32 s2, s2, s7
	s_addc_u32 s3, 0, s3
	v_add_co_u32_e32 v2, vcc, s2, v2
	s_cmp_lg_u64 vcc, 0
	s_addc_u32 s2, s6, s3
	v_readfirstlane_b32 s7, v2
	s_mul_i32 s6, s52, s2
	s_mul_hi_u32 s10, s52, s7
	s_mul_hi_u32 s3, s52, s2
	s_add_u32 s6, s10, s6
	s_addc_u32 s3, 0, s3
	s_mul_hi_u32 s11, s53, s7
	s_mul_i32 s7, s53, s7
	s_add_u32 s6, s6, s7
	s_mul_hi_u32 s10, s53, s2
	s_addc_u32 s3, s3, s11
	s_addc_u32 s6, s10, 0
	s_mul_i32 s2, s53, s2
	s_add_u32 s2, s3, s2
	s_addc_u32 s3, 0, s6
	s_mul_hi_u32 s6, s61, s2
	s_mul_i32 s2, s61, s2
	s_mul_i32 s3, s61, s3
	v_mov_b32_e32 v2, s2
	s_add_i32 s6, s6, s3
	v_sub_co_u32_e32 v2, vcc, s52, v2
	s_cmp_lg_u64 vcc, 0
	s_subb_u32 s2, s53, s6
	v_subrev_co_u32_e32 v3, vcc, s61, v2
	s_cmp_lg_u64 vcc, 0
	s_subb_u32 s3, s2, 0
	v_subrev_co_u32_e32 v4, vcc, s61, v3
	s_cmp_lg_u64 vcc, 0
	s_subb_u32 s6, s3, 0
	v_cmp_le_u32_e32 vcc, s61, v3
	s_cmp_eq_u32 s3, 0
	v_cndmask_b32_e64 v5, 0, -1, vcc
	s_cselect_b64 vcc, -1, 0
	v_cndmask_b32_e32 v5, -1, v5, vcc
	v_mov_b32_e32 v6, s3
	v_mov_b32_e32 v7, s6
	v_cmp_ne_u32_e32 vcc, 0, v5
	v_cndmask_b32_e32 v5, v6, v7, vcc
	v_cndmask_b32_e32 v4, v3, v4, vcc
	v_cmp_le_u32_e32 vcc, s61, v2
	s_cmp_eq_u32 s2, 0
	v_cndmask_b32_e64 v3, 0, -1, vcc
	s_cselect_b64 vcc, -1, 0
	v_cndmask_b32_e32 v3, -1, v3, vcc
	v_mov_b32_e32 v6, s2
	v_cmp_ne_u32_e32 vcc, 0, v3
	v_cndmask_b32_e32 v3, v6, v5, vcc
	v_cndmask_b32_e32 v2, v2, v4, vcc
	s_mov_b64 s[84:85], s[42:43]
	s_cbranch_execnz .LBB143_75
.LBB143_74:                             ;   in Loop: Header=BB143_44 Depth=1
	v_cvt_f32_u32_e32 v2, s61
	s_sub_i32 s2, 0, s61
	v_rcp_iflag_f32_e32 v2, v2
	v_mul_f32_e32 v2, 0x4f7ffffe, v2
	v_cvt_u32_f32_e32 v2, v2
	v_mul_lo_u32 v3, s2, v2
	v_mul_hi_u32 v3, v2, v3
	v_add_u32_e32 v2, v2, v3
	v_mul_hi_u32 v2, s52, v2
	v_mul_lo_u32 v2, v2, s61
	v_sub_u32_e32 v2, s52, v2
	v_subrev_u32_e32 v3, s61, v2
	v_cmp_le_u32_e32 vcc, s61, v2
	v_cndmask_b32_e32 v2, v2, v3, vcc
	v_subrev_u32_e32 v3, s61, v2
	v_cmp_le_u32_e32 vcc, s61, v2
	v_cndmask_b32_e32 v10, v2, v3, vcc
	v_pk_mov_b32 v[2:3], v[10:11], v[10:11] op_sel:[0,1]
.LBB143_75:                             ;   in Loop: Header=BB143_44 Depth=1
	v_mov_b32_e32 v4, s53
	v_sub_co_u32_e32 v28, vcc, s52, v2
	v_subb_co_u32_e32 v29, vcc, v4, v3, vcc
	v_pk_mov_b32 v[2:3], 0, 0
	v_cmp_gt_u64_e32 vcc, v[28:29], v[14:15]
	s_mov_b64 s[82:83], 0
	v_pk_mov_b32 v[4:5], v[2:3], v[2:3] op_sel:[0,1]
	v_pk_mov_b32 v[6:7], v[2:3], v[2:3] op_sel:[0,1]
	;; [unrolled: 1-line block ×3, first 2 shown]
	s_and_saveexec_b64 s[2:3], vcc
	s_cbranch_execz .LBB143_79
; %bb.76:                               ;   in Loop: Header=BB143_44 Depth=1
	v_readlane_b32 s10, v56, 34
	v_readlane_b32 s11, v56, 35
	s_mul_i32 s6, s11, s1
	s_mul_hi_u32 s7, s10, s1
	s_mov_b32 s87, s93
	s_mov_b64 s[70:71], s[36:37]
	s_mov_b64 s[62:63], s[34:35]
	;; [unrolled: 1-line block ×3, first 2 shown]
	s_mov_b32 s93, s69
	s_mov_b64 s[90:91], s[50:51]
	s_mov_b64 s[4:5], s[64:65]
	s_mov_b32 s92, s94
	s_and_b32 s76, s94, 0xfe
	s_add_i32 s64, s7, s6
	s_mul_i32 s65, s10, s1
	v_pk_mov_b32 v[30:31], v[26:27], v[26:27] op_sel:[0,1]
	v_pk_mov_b32 v[32:33], v[24:25], v[24:25] op_sel:[0,1]
	;; [unrolled: 1-line block ×4, first 2 shown]
	s_mov_b64 s[26:27], 0
	s_mov_b64 s[68:69], 0
	;; [unrolled: 1-line block ×4, first 2 shown]
	v_pk_mov_b32 v[38:39], v[14:15], v[14:15] op_sel:[0,1]
.LBB143_77:                             ;   Parent Loop BB143_44 Depth=1
                                        ; =>  This Inner Loop Header: Depth=2
	v_mov_b32_e32 v7, s75
	v_add_co_u32_e32 v2, vcc, s74, v32
	v_add_co_u32_e64 v8, s[18:19], s74, v30
	v_add_co_u32_e64 v4, s[10:11], s74, v34
	;; [unrolled: 1-line block ×3, first 2 shown]
	v_addc_co_u32_e64 v9, s[18:19], v31, v7, s[18:19]
	v_addc_co_u32_e32 v3, vcc, v33, v7, vcc
	v_addc_co_u32_e64 v5, vcc, v35, v7, s[10:11]
	v_addc_co_u32_e64 v7, vcc, v37, v7, s[12:13]
	global_load_ushort v8, v[8:9], off
	s_nop 0
	global_load_ushort v2, v[2:3], off
	s_nop 0
	;; [unrolled: 2-line block ×3, first 2 shown]
	global_load_ushort v4, v[6:7], off
	v_mov_b32_e32 v10, s64
	v_add_co_u32_e64 v36, s[6:7], s65, v36
	v_add_co_u32_e64 v34, s[14:15], s65, v34
	;; [unrolled: 1-line block ×4, first 2 shown]
	v_addc_co_u32_e64 v37, vcc, v37, v10, s[6:7]
	v_addc_co_u32_e64 v35, vcc, v35, v10, s[14:15]
	;; [unrolled: 1-line block ×4, first 2 shown]
	v_add_co_u32_e64 v38, s[22:23], s61, v38
	v_addc_co_u32_e64 v39, s[22:23], 0, v39, s[22:23]
	v_cmp_ge_u64_e32 vcc, v[38:39], v[28:29]
	s_waitcnt vmcnt(3)
	v_cmp_lt_i16_e64 s[6:7], -1, v8
	v_cndmask_b32_e64 v10, v47, v48, s[6:7]
	s_waitcnt vmcnt(2)
	v_cmp_lt_i16_e64 s[6:7], -1, v2
	v_cndmask_b32_e64 v53, v47, v48, s[6:7]
	s_waitcnt vmcnt(1)
	v_cmp_lt_i16_e64 s[6:7], -1, v3
	v_lshlrev_b32_e32 v5, 16, v8
	v_lshlrev_b32_e32 v6, 16, v2
	v_cndmask_b32_e64 v54, v47, v48, s[6:7]
	s_waitcnt vmcnt(0)
	v_cmp_lt_i16_e64 s[6:7], -1, v4
	v_cndmask_b32_e64 v55, v47, v48, s[6:7]
	v_cmp_o_f32_e64 s[6:7], v6, v6
	v_xor_b32_sdwa v6, v10, v8 dst_sel:DWORD dst_unused:UNUSED_PAD src0_sel:DWORD src1_sel:WORD_0
	v_cmp_o_f32_e64 s[14:15], v5, v5
	v_lshlrev_b32_e32 v7, 16, v3
	v_xor_b32_sdwa v2, v53, v2 dst_sel:DWORD dst_unused:UNUSED_PAD src0_sel:DWORD src1_sel:WORD_0
	v_cndmask_b32_e64 v5, v47, v6, s[14:15]
	v_lshlrev_b32_e32 v9, 16, v4
	v_xor_b32_sdwa v3, v54, v3 dst_sel:DWORD dst_unused:UNUSED_PAD src0_sel:DWORD src1_sel:WORD_0
	v_cmp_o_f32_e64 s[10:11], v7, v7
	v_cndmask_b32_e64 v2, v47, v2, s[6:7]
	v_and_b32_e32 v6, s81, v5
	v_bfe_u32 v5, v5, s76, 2
	v_xor_b32_sdwa v4, v55, v4 dst_sel:DWORD dst_unused:UNUSED_PAD src0_sel:DWORD src1_sel:WORD_0
	v_cmp_o_f32_e64 s[12:13], v9, v9
	v_cndmask_b32_e64 v3, v47, v3, s[10:11]
	v_and_b32_e32 v7, s81, v2
	v_bfe_u32 v2, v2, s76, 2
	v_cmp_eq_u32_e64 s[16:17], s60, v6
	v_cmp_eq_u32_e64 s[6:7], 0, v5
	v_cndmask_b32_e64 v4, v47, v4, s[12:13]
	v_and_b32_e32 v8, s81, v3
	v_bfe_u32 v3, v3, s76, 2
	v_cmp_eq_u32_e64 s[14:15], s60, v7
	v_cmp_eq_u32_e64 s[28:29], 0, v2
	s_and_b64 s[6:7], s[16:17], s[6:7]
	v_and_b32_e32 v9, s81, v4
	v_bfe_u32 v4, v4, s76, 2
	v_cmp_eq_u32_e64 s[12:13], s60, v8
	v_cmp_eq_u32_e64 s[30:31], 0, v3
	;; [unrolled: 1-line block ×5, first 2 shown]
	v_cndmask_b32_e64 v2, 0, 1, s[6:7]
	s_and_b64 s[6:7], s[14:15], s[28:29]
	v_cmp_eq_u32_e64 s[10:11], s60, v9
	v_cmp_eq_u32_e64 s[34:35], 0, v4
	;; [unrolled: 1-line block ×5, first 2 shown]
	v_cndmask_b32_e64 v3, 0, 1, s[6:7]
	s_and_b64 s[6:7], s[12:13], s[30:31]
	v_cmp_eq_u32_e64 s[42:43], 1, v4
	v_cmp_eq_u32_e64 s[50:51], 2, v4
	;; [unrolled: 1-line block ×3, first 2 shown]
	v_cndmask_b32_e64 v4, 0, 1, s[6:7]
	s_and_b64 s[6:7], s[10:11], s[34:35]
	v_cmp_eq_u32_e64 s[36:37], 1, v5
	v_cmp_eq_u32_e64 s[44:45], 2, v5
	;; [unrolled: 1-line block ×3, first 2 shown]
	v_cndmask_b32_e64 v5, 0, 1, s[6:7]
	v_cmp_ne_u32_e64 s[6:7], 0, v2
	v_cmp_ne_u32_e64 s[28:29], 0, v3
	v_cmp_ne_u32_e64 s[30:31], 0, v4
	v_cmp_ne_u32_e64 s[34:35], 0, v5
	s_bcnt1_i32_b64 s6, s[6:7]
	s_bcnt1_i32_b64 s7, s[28:29]
	s_bcnt1_i32_b64 s28, s[30:31]
	s_bcnt1_i32_b64 s29, s[34:35]
	s_add_u32 s6, s6, s78
	s_addc_u32 s30, 0, s79
	s_add_u32 s6, s6, s7
	s_addc_u32 s7, s30, 0
	s_add_u32 s6, s6, s28
	s_addc_u32 s7, s7, 0
	s_add_u32 s78, s6, s29
	s_addc_u32 s79, s7, 0
	s_and_b64 s[6:7], s[16:17], s[36:37]
	v_cndmask_b32_e64 v4, 0, 1, s[6:7]
	s_and_b64 s[6:7], s[14:15], s[38:39]
	v_cndmask_b32_e64 v5, 0, 1, s[6:7]
	s_and_b64 s[6:7], s[12:13], s[40:41]
	v_cndmask_b32_e64 v6, 0, 1, s[6:7]
	s_and_b64 s[6:7], s[10:11], s[42:43]
	v_cndmask_b32_e64 v7, 0, 1, s[6:7]
	v_cmp_ne_u32_e64 s[6:7], 0, v4
	v_cmp_ne_u32_e64 s[28:29], 0, v5
	v_cmp_ne_u32_e64 s[30:31], 0, v6
	v_cmp_ne_u32_e64 s[34:35], 0, v7
	s_bcnt1_i32_b64 s6, s[6:7]
	s_bcnt1_i32_b64 s7, s[28:29]
	s_bcnt1_i32_b64 s28, s[30:31]
	s_bcnt1_i32_b64 s29, s[34:35]
	s_add_u32 s6, s6, s94
	s_addc_u32 s30, 0, s95
	s_add_u32 s6, s6, s7
	s_addc_u32 s7, s30, 0
	s_add_u32 s6, s6, s28
	s_addc_u32 s7, s7, 0
	s_add_u32 s94, s6, s29
	s_addc_u32 s95, s7, 0
	s_and_b64 s[6:7], s[16:17], s[44:45]
	v_cndmask_b32_e64 v6, 0, 1, s[6:7]
	s_and_b64 s[6:7], s[14:15], s[46:47]
	v_cndmask_b32_e64 v7, 0, 1, s[6:7]
	s_and_b64 s[6:7], s[12:13], s[48:49]
	v_cndmask_b32_e64 v8, 0, 1, s[6:7]
	s_and_b64 s[6:7], s[10:11], s[50:51]
	;; [unrolled: 24-line block ×3, first 2 shown]
	v_cndmask_b32_e64 v53, 0, 1, s[6:7]
	v_cmp_ne_u32_e64 s[6:7], 0, v8
	v_cmp_ne_u32_e64 s[10:11], 0, v9
	;; [unrolled: 1-line block ×4, first 2 shown]
	s_bcnt1_i32_b64 s6, s[6:7]
	s_bcnt1_i32_b64 s7, s[10:11]
	;; [unrolled: 1-line block ×4, first 2 shown]
	s_add_u32 s6, s6, s26
	s_addc_u32 s12, 0, s27
	s_add_u32 s6, s6, s7
	s_addc_u32 s7, s12, 0
	s_add_u32 s6, s6, s10
	s_addc_u32 s7, s7, 0
	s_add_u32 s26, s6, s11
	s_addc_u32 s27, s7, 0
	v_pk_mov_b32 v[2:3], s[78:79], s[78:79] op_sel:[0,1]
	v_pk_mov_b32 v[4:5], s[94:95], s[94:95] op_sel:[0,1]
	v_pk_mov_b32 v[6:7], s[68:69], s[68:69] op_sel:[0,1]
	s_or_b64 s[82:83], vcc, s[82:83]
	v_pk_mov_b32 v[8:9], s[26:27], s[26:27] op_sel:[0,1]
	s_andn2_b64 exec, exec, s[82:83]
	s_cbranch_execnz .LBB143_77
; %bb.78:                               ;   in Loop: Header=BB143_44 Depth=1
	s_or_b64 exec, exec, s[82:83]
	v_readlane_b32 s46, v56, 36
	v_readlane_b32 s48, v56, 38
	;; [unrolled: 1-line block ×3, first 2 shown]
	s_mov_b64 s[64:65], s[4:5]
	v_readlane_b32 s47, v56, 37
	v_readlane_b32 s49, v56, 39
	s_mov_b64 s[50:51], s[90:91]
	s_mov_b32 s69, s93
	v_readlane_b32 s79, v56, 41
	s_movk_i32 s90, 0x3f80
	s_mov_b32 s94, s92
	s_mov_b64 s[40:41], s[8:9]
	s_mov_b64 s[34:35], s[62:63]
	;; [unrolled: 1-line block ×3, first 2 shown]
	v_readlane_b32 s91, v56, 42
	v_readlane_b32 s92, v56, 43
	s_mov_b32 s93, s87
	v_readlane_b32 s87, v56, 44
.LBB143_79:                             ;   in Loop: Header=BB143_44 Depth=1
	s_or_b64 exec, exec, s[2:3]
	v_add_co_u32_e32 v28, vcc, v28, v0
	v_addc_co_u32_e32 v29, vcc, 0, v29, vcc
	v_cmp_gt_u64_e32 vcc, s[52:53], v[28:29]
	v_mov_b32_e32 v10, 0
	s_and_saveexec_b64 s[2:3], vcc
	s_mov_b64 s[42:43], s[84:85]
	s_cbranch_execz .LBB143_81
; %bb.80:                               ;   in Loop: Header=BB143_44 Depth=1
	v_mul_lo_u32 v10, v29, s56
	v_mul_lo_u32 v32, v28, s57
	v_mad_u64_u32 v[30:31], s[6:7], v28, s56, 0
	v_add3_u32 v31, v31, v32, v10
	v_lshlrev_b64 v[30:31], 1, v[30:31]
	v_mov_b32_e32 v10, s87
	v_add_co_u32_e64 v30, s[6:7], s91, v30
	v_addc_co_u32_e64 v31, s[6:7], v10, v31, s[6:7]
	global_load_ushort v10, v[30:31], off
.LBB143_81:                             ;   in Loop: Header=BB143_44 Depth=1
	s_or_b64 exec, exec, s[2:3]
	s_and_saveexec_b64 s[2:3], vcc
	s_cbranch_execz .LBB143_88
; %bb.82:                               ;   in Loop: Header=BB143_44 Depth=1
	s_and_b32 s14, s94, 0xfe
	s_mov_b64 s[10:11], 0
	s_branch .LBB143_84
.LBB143_83:                             ;   in Loop: Header=BB143_84 Depth=2
	s_or_b64 exec, exec, s[12:13]
	s_and_b64 s[6:7], exec, vcc
	s_waitcnt vmcnt(0)
	v_cmp_lt_i16_e32 vcc, -1, v10
	v_cndmask_b32_e32 v31, v47, v48, vcc
	v_lshlrev_b32_e32 v32, 16, v10
	v_xor_b32_sdwa v10, v31, v10 dst_sel:DWORD dst_unused:UNUSED_PAD src0_sel:DWORD src1_sel:WORD_0
	v_cmp_o_f32_e32 vcc, v32, v32
	v_cndmask_b32_e32 v10, v47, v10, vcc
	v_and_b32_e32 v31, s81, v10
	v_bfe_u32 v10, v10, s14, 2
	s_or_b64 s[10:11], s[6:7], s[10:11]
	v_cmp_eq_u32_e32 vcc, s60, v31
	v_cmp_eq_u32_e64 s[6:7], 0, v10
	s_and_b64 s[6:7], vcc, s[6:7]
	v_cndmask_b32_e64 v31, 0, 1, s[6:7]
	v_cmp_ne_u32_e64 s[6:7], 0, v31
	s_bcnt1_i32_b64 s6, s[6:7]
	v_add_co_u32_e64 v2, s[6:7], s6, v2
	v_addc_co_u32_e64 v3, s[6:7], 0, v3, s[6:7]
	v_cmp_eq_u32_e64 s[6:7], 1, v10
	s_and_b64 s[6:7], vcc, s[6:7]
	v_cndmask_b32_e64 v31, 0, 1, s[6:7]
	v_cmp_ne_u32_e64 s[6:7], 0, v31
	s_bcnt1_i32_b64 s6, s[6:7]
	v_add_co_u32_e64 v4, s[6:7], s6, v4
	v_addc_co_u32_e64 v5, s[6:7], 0, v5, s[6:7]
	;; [unrolled: 7-line block ×3, first 2 shown]
	v_cmp_eq_u32_e64 s[6:7], 3, v10
	s_and_b64 s[6:7], vcc, s[6:7]
	v_cndmask_b32_e64 v10, 0, 1, s[6:7]
	v_cmp_ne_u32_e32 vcc, 0, v10
	s_bcnt1_i32_b64 s6, vcc
	v_add_co_u32_e32 v8, vcc, s6, v8
	v_addc_co_u32_e32 v9, vcc, 0, v9, vcc
	v_mov_b32_e32 v10, v30
	s_andn2_b64 exec, exec, s[10:11]
	s_cbranch_execz .LBB143_87
.LBB143_84:                             ;   Parent Loop BB143_44 Depth=1
                                        ; =>  This Inner Loop Header: Depth=2
	v_mov_b32_e32 v30, s77
	v_add_co_u32_e32 v28, vcc, s1, v28
	v_addc_co_u32_e32 v29, vcc, v29, v30, vcc
	v_cmp_gt_u64_e64 s[6:7], s[52:53], v[28:29]
	v_cmp_le_u64_e32 vcc, s[52:53], v[28:29]
	v_mov_b32_e32 v30, 0
	s_and_saveexec_b64 s[12:13], s[6:7]
	s_cbranch_execz .LBB143_83
; %bb.85:                               ;   in Loop: Header=BB143_84 Depth=2
	v_mul_lo_u32 v32, v29, s56
	v_mul_lo_u32 v33, v28, s57
	v_mad_u64_u32 v[30:31], s[6:7], v28, s56, 0
	v_add3_u32 v31, v31, v33, v32
	v_lshlrev_b64 v[30:31], 1, v[30:31]
	v_mov_b32_e32 v32, s87
	v_add_co_u32_e64 v30, s[6:7], s91, v30
	v_addc_co_u32_e64 v31, s[6:7], v32, v31, s[6:7]
	global_load_ushort v30, v[30:31], off
	s_branch .LBB143_83
.LBB143_86:                             ;   in Loop: Header=BB143_44 Depth=1
                                        ; implicit-def: $vgpr8_vgpr9
                                        ; implicit-def: $vgpr4_vgpr5
	s_cbranch_execnz .LBB143_89
	s_branch .LBB143_98
.LBB143_87:                             ;   in Loop: Header=BB143_44 Depth=1
	s_or_b64 exec, exec, s[10:11]
.LBB143_88:                             ;   in Loop: Header=BB143_44 Depth=1
	s_or_b64 exec, exec, s[2:3]
	s_branch .LBB143_98
.LBB143_89:                             ;   in Loop: Header=BB143_44 Depth=1
	global_load_ushort v8, v11, s[78:79]
	s_mov_b64 s[2:3], 0
	s_waitcnt vmcnt(0)
	v_readfirstlane_b32 s1, v8
	s_and_b32 s1, 0xffff, s1
	s_lshl_b32 s1, s1, 2
	v_cvt_f32_u32_e32 v2, s1
	s_sub_i32 s6, 0, s1
	v_and_b32_e32 v30, 0xffff, v8
	v_rcp_iflag_f32_e32 v6, v2
	v_pk_mov_b32 v[2:3], 0, 0
	v_pk_mov_b32 v[4:5], v[2:3], v[2:3] op_sel:[0,1]
	v_mul_f32_e32 v6, 0x4f7ffffe, v6
	v_cvt_u32_f32_e32 v9, v6
	v_pk_mov_b32 v[6:7], v[2:3], v[2:3] op_sel:[0,1]
	v_readfirstlane_b32 s7, v9
	s_mul_i32 s6, s6, s7
	s_mul_hi_u32 s6, s7, s6
	s_add_i32 s7, s7, s6
	s_mul_hi_u32 s6, s0, s7
	s_mul_i32 s6, s6, s1
	s_sub_i32 s6, s0, s6
	s_sub_i32 s7, s6, s1
	s_cmp_ge_u32 s6, s1
	s_cselect_b32 s6, s7, s6
	s_sub_i32 s7, s6, s1
	s_cmp_ge_u32 s6, s1
	s_cselect_b32 s6, s7, s6
	s_sub_i32 s76, s0, s6
	v_cmp_gt_u32_e32 vcc, s76, v14
	v_pk_mov_b32 v[8:9], v[2:3], v[2:3] op_sel:[0,1]
	s_and_saveexec_b64 s[26:27], vcc
	s_cbranch_execz .LBB143_93
; %bb.90:                               ;   in Loop: Header=BB143_44 Depth=1
	s_mov_b64 s[84:85], s[42:43]
	s_mov_b64 s[70:71], s[36:37]
	;; [unrolled: 1-line block ×4, first 2 shown]
	s_mov_b32 s91, s69
	s_mov_b64 s[4:5], s[50:51]
	s_mov_b32 s92, s94
	s_and_b32 s61, s94, 0xfe
	v_lshlrev_b32_e32 v10, 3, v30
	v_mov_b32_e32 v31, v45
	s_mov_b64 s[68:69], 0
	s_mov_b64 s[78:79], 0
	;; [unrolled: 1-line block ×4, first 2 shown]
	v_pk_mov_b32 v[28:29], v[14:15], v[14:15] op_sel:[0,1]
.LBB143_91:                             ;   Parent Loop BB143_44 Depth=1
                                        ; =>  This Inner Loop Header: Depth=2
	ds_read_b64 v[2:3], v31
	v_add_co_u32_e32 v28, vcc, s1, v28
	v_addc_co_u32_e32 v29, vcc, 0, v29, vcc
	s_waitcnt lgkmcnt(0)
	v_cmp_lt_i16_e64 s[6:7], -1, v2
	v_cndmask_b32_e64 v8, v47, v48, s[6:7]
	v_cmp_gt_i16_sdwa s[6:7], v2, v50 src0_sel:WORD_1 src1_sel:DWORD
	v_lshlrev_b32_e32 v4, 16, v2
	v_cndmask_b32_e64 v9, v47, v48, s[6:7]
	v_cmp_lt_i16_e64 s[6:7], -1, v3
	v_and_b32_e32 v5, 0xffff0000, v2
	v_cndmask_b32_e64 v32, v47, v48, s[6:7]
	v_cmp_gt_i16_sdwa s[6:7], v3, v50 src0_sel:WORD_1 src1_sel:DWORD
	v_xor_b32_sdwa v9, v9, v2 dst_sel:DWORD dst_unused:UNUSED_PAD src0_sel:DWORD src1_sel:WORD_1
	v_xor_b32_sdwa v2, v8, v2 dst_sel:DWORD dst_unused:UNUSED_PAD src0_sel:DWORD src1_sel:WORD_0
	v_cmp_o_f32_e64 s[14:15], v4, v4
	v_lshlrev_b32_e32 v6, 16, v3
	v_cndmask_b32_e64 v33, v47, v48, s[6:7]
	v_cmp_o_f32_e64 s[6:7], v5, v5
	v_cndmask_b32_e64 v2, v47, v2, s[14:15]
	v_and_b32_e32 v7, 0xffff0000, v3
	v_xor_b32_sdwa v5, v32, v3 dst_sel:DWORD dst_unused:UNUSED_PAD src0_sel:DWORD src1_sel:WORD_0
	v_cmp_o_f32_e64 s[10:11], v6, v6
	v_cndmask_b32_e64 v4, v47, v9, s[6:7]
	v_and_b32_e32 v6, s81, v2
	v_bfe_u32 v2, v2, s61, 2
	v_xor_b32_sdwa v3, v33, v3 dst_sel:DWORD dst_unused:UNUSED_PAD src0_sel:DWORD src1_sel:WORD_1
	v_cmp_o_f32_e64 s[12:13], v7, v7
	v_cndmask_b32_e64 v5, v47, v5, s[10:11]
	v_and_b32_e32 v7, s81, v4
	v_bfe_u32 v4, v4, s61, 2
	v_cmp_eq_u32_e64 s[16:17], s60, v6
	v_cmp_eq_u32_e64 s[6:7], 0, v2
	v_cndmask_b32_e64 v3, v47, v3, s[12:13]
	v_and_b32_e32 v8, s81, v5
	v_bfe_u32 v5, v5, s61, 2
	v_cmp_eq_u32_e64 s[14:15], s60, v7
	v_cmp_eq_u32_e64 s[28:29], 0, v4
	s_and_b64 s[6:7], s[16:17], s[6:7]
	v_and_b32_e32 v9, s81, v3
	v_bfe_u32 v3, v3, s61, 2
	v_cmp_eq_u32_e64 s[12:13], s60, v8
	v_cmp_eq_u32_e64 s[30:31], 0, v5
	;; [unrolled: 1-line block ×5, first 2 shown]
	v_cndmask_b32_e64 v2, 0, 1, s[6:7]
	s_and_b64 s[6:7], s[14:15], s[28:29]
	v_cmp_eq_u32_e64 s[10:11], s60, v9
	v_cmp_eq_u32_e64 s[34:35], 0, v3
	;; [unrolled: 1-line block ×5, first 2 shown]
	v_cndmask_b32_e64 v3, 0, 1, s[6:7]
	s_and_b64 s[6:7], s[12:13], s[30:31]
	v_cmp_eq_u32_e64 s[38:39], 1, v4
	v_cmp_eq_u32_e64 s[46:47], 2, v4
	;; [unrolled: 1-line block ×3, first 2 shown]
	v_cndmask_b32_e64 v4, 0, 1, s[6:7]
	s_and_b64 s[6:7], s[10:11], s[34:35]
	v_cmp_eq_u32_e64 s[40:41], 1, v5
	v_cmp_eq_u32_e64 s[48:49], 2, v5
	;; [unrolled: 1-line block ×3, first 2 shown]
	v_cndmask_b32_e64 v5, 0, 1, s[6:7]
	v_cmp_ne_u32_e64 s[6:7], 0, v2
	v_cmp_ne_u32_e64 s[28:29], 0, v3
	v_cmp_ne_u32_e64 s[30:31], 0, v4
	v_cmp_ne_u32_e64 s[34:35], 0, v5
	s_bcnt1_i32_b64 s6, s[6:7]
	s_bcnt1_i32_b64 s7, s[28:29]
	s_bcnt1_i32_b64 s28, s[30:31]
	s_bcnt1_i32_b64 s29, s[34:35]
	s_add_u32 s6, s6, s94
	s_addc_u32 s30, 0, s95
	s_add_u32 s6, s6, s7
	s_addc_u32 s7, s30, 0
	s_add_u32 s6, s6, s28
	s_addc_u32 s7, s7, 0
	s_add_u32 s94, s6, s29
	s_addc_u32 s95, s7, 0
	s_and_b64 s[6:7], s[16:17], s[36:37]
	v_cndmask_b32_e64 v4, 0, 1, s[6:7]
	s_and_b64 s[6:7], s[14:15], s[38:39]
	v_cndmask_b32_e64 v5, 0, 1, s[6:7]
	s_and_b64 s[6:7], s[12:13], s[40:41]
	v_cndmask_b32_e64 v6, 0, 1, s[6:7]
	s_and_b64 s[6:7], s[10:11], s[42:43]
	v_cndmask_b32_e64 v7, 0, 1, s[6:7]
	v_cmp_ne_u32_e64 s[6:7], 0, v4
	v_cmp_ne_u32_e64 s[28:29], 0, v5
	v_cmp_ne_u32_e64 s[30:31], 0, v6
	v_cmp_ne_u32_e64 s[34:35], 0, v7
	s_bcnt1_i32_b64 s6, s[6:7]
	s_bcnt1_i32_b64 s7, s[28:29]
	s_bcnt1_i32_b64 s28, s[30:31]
	s_bcnt1_i32_b64 s29, s[34:35]
	s_add_u32 s6, s6, s82
	s_addc_u32 s30, 0, s83
	s_add_u32 s6, s6, s7
	s_addc_u32 s7, s30, 0
	s_add_u32 s6, s6, s28
	s_addc_u32 s7, s7, 0
	s_add_u32 s82, s6, s29
	s_addc_u32 s83, s7, 0
	s_and_b64 s[6:7], s[16:17], s[44:45]
	v_cndmask_b32_e64 v6, 0, 1, s[6:7]
	s_and_b64 s[6:7], s[14:15], s[46:47]
	v_cndmask_b32_e64 v7, 0, 1, s[6:7]
	s_and_b64 s[6:7], s[12:13], s[48:49]
	v_cndmask_b32_e64 v8, 0, 1, s[6:7]
	s_and_b64 s[6:7], s[10:11], s[50:51]
	;; [unrolled: 24-line block ×3, first 2 shown]
	v_cndmask_b32_e64 v33, 0, 1, s[6:7]
	v_cmp_ne_u32_e64 s[6:7], 0, v8
	v_cmp_ne_u32_e64 s[10:11], 0, v9
	;; [unrolled: 1-line block ×4, first 2 shown]
	s_bcnt1_i32_b64 s6, s[6:7]
	s_bcnt1_i32_b64 s7, s[10:11]
	;; [unrolled: 1-line block ×4, first 2 shown]
	s_add_u32 s6, s6, s68
	s_addc_u32 s12, 0, s69
	s_add_u32 s6, s6, s7
	s_addc_u32 s7, s12, 0
	;; [unrolled: 2-line block ×3, first 2 shown]
	s_add_u32 s68, s6, s11
	v_cmp_le_u64_e32 vcc, s[76:77], v[28:29]
	s_addc_u32 s69, s7, 0
	v_add_u32_e32 v31, v31, v10
	v_pk_mov_b32 v[2:3], s[94:95], s[94:95] op_sel:[0,1]
	v_pk_mov_b32 v[4:5], s[82:83], s[82:83] op_sel:[0,1]
	;; [unrolled: 1-line block ×3, first 2 shown]
	s_or_b64 s[2:3], vcc, s[2:3]
	v_pk_mov_b32 v[8:9], s[68:69], s[68:69] op_sel:[0,1]
	s_andn2_b64 exec, exec, s[2:3]
	s_cbranch_execnz .LBB143_91
; %bb.92:                               ;   in Loop: Header=BB143_44 Depth=1
	s_or_b64 exec, exec, s[2:3]
	v_readlane_b32 s46, v56, 36
	v_readlane_b32 s48, v56, 38
	;; [unrolled: 1-line block ×5, first 2 shown]
	s_mov_b64 s[50:51], s[4:5]
	s_mov_b32 s69, s91
	v_readlane_b32 s79, v56, 41
	s_movk_i32 s90, 0x3f80
	s_mov_b32 s94, s92
	s_mov_b64 s[40:41], s[8:9]
	s_mov_b64 s[34:35], s[62:63]
	;; [unrolled: 1-line block ×4, first 2 shown]
	v_readlane_b32 s91, v56, 42
	v_readlane_b32 s92, v56, 43
	;; [unrolled: 1-line block ×3, first 2 shown]
.LBB143_93:                             ;   in Loop: Header=BB143_44 Depth=1
	s_or_b64 exec, exec, s[26:27]
	v_add_u32_e32 v10, s76, v0
	v_cmp_gt_u32_e32 vcc, s0, v10
	s_and_saveexec_b64 s[2:3], vcc
	s_cbranch_execz .LBB143_97
; %bb.94:                               ;   in Loop: Header=BB143_44 Depth=1
	s_and_b32 s76, s0, 0x7fffffff
	s_and_b32 s18, s94, 0xfe
	v_lshlrev_b32_e32 v31, 1, v10
	v_lshlrev_b32_e32 v32, 1, v30
	s_mov_b64 s[0:1], 0
	v_pk_mov_b32 v[28:29], v[10:11], v[10:11] op_sel:[0,1]
.LBB143_95:                             ;   Parent Loop BB143_44 Depth=1
                                        ; =>  This Inner Loop Header: Depth=2
	ds_read_u16 v10, v31
	v_add_co_u32_e32 v28, vcc, v28, v30
	v_addc_co_u32_e32 v29, vcc, 0, v29, vcc
	s_waitcnt lgkmcnt(0)
	v_cmp_lt_i16_e64 s[6:7], -1, v10
	v_lshlrev_b32_e32 v33, 16, v10
	v_cndmask_b32_e64 v34, v47, v48, s[6:7]
	v_xor_b32_sdwa v10, v34, v10 dst_sel:DWORD dst_unused:UNUSED_PAD src0_sel:DWORD src1_sel:WORD_0
	v_cmp_o_f32_e64 s[6:7], v33, v33
	v_cndmask_b32_e64 v10, v47, v10, s[6:7]
	v_and_b32_e32 v33, s81, v10
	v_bfe_u32 v10, v10, s18, 2
	v_cmp_eq_u32_e64 s[6:7], s60, v33
	v_cmp_eq_u32_e64 s[10:11], 0, v10
	v_cmp_eq_u32_e64 s[12:13], 1, v10
	s_and_b64 s[10:11], s[6:7], s[10:11]
	v_cmp_eq_u32_e64 s[14:15], 2, v10
	v_cmp_eq_u32_e64 s[16:17], 3, v10
	v_cndmask_b32_e64 v10, 0, 1, s[10:11]
	s_and_b64 s[10:11], s[6:7], s[12:13]
	v_cndmask_b32_e64 v33, 0, 1, s[10:11]
	s_and_b64 s[10:11], s[6:7], s[14:15]
	s_and_b64 s[6:7], s[6:7], s[16:17]
	v_cndmask_b32_e64 v34, 0, 1, s[10:11]
	v_cndmask_b32_e64 v35, 0, 1, s[6:7]
	v_cmp_ne_u32_e64 s[6:7], 0, v10
	v_cmp_ne_u32_e64 s[10:11], 0, v33
	;; [unrolled: 1-line block ×4, first 2 shown]
	v_cmp_le_u64_e32 vcc, s[76:77], v[28:29]
	s_bcnt1_i32_b64 s6, s[6:7]
	s_bcnt1_i32_b64 s7, s[10:11]
	;; [unrolled: 1-line block ×4, first 2 shown]
	s_or_b64 s[0:1], vcc, s[0:1]
	v_add_co_u32_e32 v2, vcc, s6, v2
	v_addc_co_u32_e32 v3, vcc, 0, v3, vcc
	v_add_co_u32_e32 v4, vcc, s7, v4
	v_addc_co_u32_e32 v5, vcc, 0, v5, vcc
	;; [unrolled: 2-line block ×3, first 2 shown]
	v_add_co_u32_e32 v8, vcc, s11, v8
	v_add_u32_e32 v31, v31, v32
	v_addc_co_u32_e32 v9, vcc, 0, v9, vcc
	s_andn2_b64 exec, exec, s[0:1]
	s_cbranch_execnz .LBB143_95
; %bb.96:                               ;   in Loop: Header=BB143_44 Depth=1
	s_or_b64 exec, exec, s[0:1]
.LBB143_97:                             ;   in Loop: Header=BB143_44 Depth=1
	s_or_b64 exec, exec, s[2:3]
.LBB143_98:                             ;   in Loop: Header=BB143_44 Depth=1
	s_lshl_b32 s2, s93, 6
	s_and_saveexec_b64 s[0:1], s[46:47]
	s_cbranch_execz .LBB143_100
; %bb.99:                               ;   in Loop: Header=BB143_44 Depth=1
	s_waitcnt vmcnt(0)
	v_or_b32_e32 v10, s2, v43
	v_lshlrev_b32_e32 v10, 3, v10
	ds_write_b128 v10, v[2:5] offset:3072
	ds_write_b128 v10, v[6:9] offset:3088
.LBB143_100:                            ;   in Loop: Header=BB143_44 Depth=1
	s_or_b64 exec, exec, s[0:1]
	s_waitcnt lgkmcnt(0)
	s_barrier
	s_and_saveexec_b64 s[0:1], s[48:49]
	s_cbranch_execz .LBB143_112
; %bb.101:                              ;   in Loop: Header=BB143_44 Depth=1
	v_readlane_b32 s4, v56, 20
	v_readlane_b32 s5, v56, 21
	s_andn2_b64 vcc, exec, s[4:5]
	v_pk_mov_b32 v[2:3], 0, 0
	s_cbranch_vccnz .LBB143_111
; %bb.102:                              ;   in Loop: Header=BB143_44 Depth=1
	v_readlane_b32 s4, v56, 25
	v_readlane_b32 s5, v56, 26
	s_andn2_b64 vcc, exec, s[4:5]
	s_cbranch_vccnz .LBB143_107
; %bb.103:                              ;   in Loop: Header=BB143_44 Depth=1
	v_lshl_add_u32 v4, s93, 9, v46
	s_mov_b32 s3, 0
	v_pk_mov_b32 v[2:3], 0, 0
.LBB143_104:                            ;   Parent Loop BB143_44 Depth=1
                                        ; =>  This Inner Loop Header: Depth=2
	s_waitcnt vmcnt(0)
	ds_read2_b64 v[6:9], v4 offset1:4
	ds_read2_b64 v[28:31], v4 offset0:8 offset1:12
	ds_read2_b64 v[32:35], v4 offset0:16 offset1:20
	;; [unrolled: 1-line block ×3, first 2 shown]
	s_add_i32 s3, s3, 8
	s_waitcnt lgkmcnt(3)
	v_add_co_u32_e32 v2, vcc, v6, v2
	v_addc_co_u32_e32 v3, vcc, v7, v3, vcc
	v_add_co_u32_e32 v2, vcc, v8, v2
	v_addc_co_u32_e32 v3, vcc, v9, v3, vcc
	s_waitcnt lgkmcnt(2)
	v_add_co_u32_e32 v2, vcc, v28, v2
	v_addc_co_u32_e32 v3, vcc, v29, v3, vcc
	v_add_co_u32_e32 v2, vcc, v30, v2
	v_addc_co_u32_e32 v3, vcc, v31, v3, vcc
	;; [unrolled: 5-line block ×3, first 2 shown]
	s_waitcnt lgkmcnt(0)
	v_add_co_u32_e32 v2, vcc, v36, v2
	v_addc_co_u32_e32 v3, vcc, v37, v3, vcc
	v_add_co_u32_e32 v2, vcc, v38, v2
	v_add_u32_e32 v4, 0x100, v4
	s_cmp_eq_u32 s92, s3
	v_addc_co_u32_e32 v3, vcc, v39, v3, vcc
	s_cbranch_scc0 .LBB143_104
; %bb.105:                              ;   in Loop: Header=BB143_44 Depth=1
	s_mov_b32 s3, s92
	s_branch .LBB143_108
.LBB143_106:                            ;   in Loop: Header=BB143_44 Depth=1
                                        ; implicit-def: $vgpr2_vgpr3
	s_mov_b64 s[84:85], s[42:43]
	s_branch .LBB143_74
.LBB143_107:                            ;   in Loop: Header=BB143_44 Depth=1
	s_mov_b32 s3, 0
	v_pk_mov_b32 v[2:3], 0, 0
.LBB143_108:                            ;   in Loop: Header=BB143_44 Depth=1
	v_readlane_b32 s4, v56, 28
	v_readlane_b32 s5, v56, 29
	s_andn2_b64 vcc, exec, s[4:5]
	s_cbranch_vccnz .LBB143_111
; %bb.109:                              ;   in Loop: Header=BB143_44 Depth=1
	s_lshl_b32 s6, s93, 9
	s_lshl_b32 s3, s3, 5
	s_add_i32 s6, s6, s3
	v_add_u32_e32 v4, s6, v46
	v_readlane_b32 s3, v56, 27
.LBB143_110:                            ;   Parent Loop BB143_44 Depth=1
                                        ; =>  This Inner Loop Header: Depth=2
	s_waitcnt vmcnt(0)
	ds_read_b64 v[6:7], v4
	s_add_i32 s3, s3, -1
	v_add_u32_e32 v4, 32, v4
	s_cmp_lg_u32 s3, 0
	s_waitcnt lgkmcnt(0)
	v_add_co_u32_e32 v2, vcc, v6, v2
	v_addc_co_u32_e32 v3, vcc, v7, v3, vcc
	s_cbranch_scc1 .LBB143_110
.LBB143_111:                            ;   in Loop: Header=BB143_44 Depth=1
	v_add_lshl_u32 v4, s2, v40, 3
	ds_write_b64 v4, v[2:3] offset:3072
.LBB143_112:                            ;   in Loop: Header=BB143_44 Depth=1
	s_or_b64 exec, exec, s[0:1]
	s_lshl_b32 s0, s2, 3
	s_waitcnt vmcnt(0)
	v_mov_b32_e32 v6, s0
	s_waitcnt lgkmcnt(0)
	s_barrier
	ds_read_b128 v[2:5], v6 offset:3072
	ds_read_b128 v[6:9], v6 offset:3088
	s_and_b32 s38, s94, 0xfe
	s_lshl_b32 s44, 3, s38
	s_not_b32 s39, s44
	s_waitcnt lgkmcnt(1)
	v_readfirstlane_b32 s1, v3
	v_readfirstlane_b32 s0, v2
	s_cmp_eq_u64 s[0:1], 1
	s_cselect_b64 s[2:3], -1, 0
	s_cmp_eq_u64 s[50:51], 1
	s_cselect_b64 s[6:7], -1, 0
	s_and_b64 s[18:19], s[2:3], s[6:7]
	v_readfirstlane_b32 s28, v4
	v_readfirstlane_b32 s29, v5
	s_waitcnt lgkmcnt(0)
	v_readfirstlane_b32 s16, v6
	v_readfirstlane_b32 s17, v7
	v_readfirstlane_b32 s10, v8
	v_readfirstlane_b32 s11, v9
	s_mov_b64 s[14:15], -1
	s_and_b64 vcc, exec, s[18:19]
	s_cbranch_vccz .LBB143_127
; %bb.113:                              ;   in Loop: Header=BB143_44 Depth=1
	ds_read_b64 v[2:3], v11 offset:5120
	v_readlane_b32 s4, v56, 16
	v_readlane_b32 s5, v56, 17
	s_waitcnt lgkmcnt(0)
	s_barrier
	v_readfirstlane_b32 s2, v2
	v_readfirstlane_b32 s3, v3
	s_and_saveexec_b64 s[6:7], s[4:5]
	s_cbranch_execz .LBB143_115
; %bb.114:                              ;   in Loop: Header=BB143_44 Depth=1
	ds_write_b16 v42, v15
.LBB143_115:                            ;   in Loop: Header=BB143_44 Depth=1
	s_or_b64 exec, exec, s[6:7]
	s_and_b32 s60, s60, s39
	s_or_b32 s81, s81, s44
	s_cmp_eq_u64 s[2:3], 0
	s_waitcnt lgkmcnt(0)
	s_barrier
	s_cbranch_scc1 .LBB143_128
; %bb.116:                              ;   in Loop: Header=BB143_44 Depth=1
	v_readlane_b32 s4, v56, 22
	s_add_u32 s20, s4, s2
	v_readlane_b32 s4, v56, 24
	s_addc_u32 s7, s4, s3
	s_mov_b32 s6, s77
	s_cmp_lg_u64 s[6:7], 0
	s_cbranch_scc0 .LBB143_173
; %bb.117:                              ;   in Loop: Header=BB143_44 Depth=1
	v_cvt_f32_u32_e32 v2, s33
	s_sub_u32 s6, 0, s33
	s_subb_u32 s12, 0, 0
	v_mac_f32_e32 v2, 0, v49
	v_rcp_f32_e32 v2, v2
	v_mul_f32_e32 v2, 0x5f7ffffc, v2
	v_mul_f32_e32 v3, 0x2f800000, v2
	v_trunc_f32_e32 v3, v3
	v_mac_f32_e32 v2, 0xcf800000, v3
	v_cvt_u32_f32_e32 v3, v3
	v_cvt_u32_f32_e32 v2, v2
	v_readfirstlane_b32 s13, v3
	v_readfirstlane_b32 s21, v2
	s_mul_i32 s22, s6, s13
	s_mul_hi_u32 s24, s6, s21
	s_mul_i32 s23, s12, s21
	s_add_i32 s22, s24, s22
	s_mul_i32 s25, s6, s21
	s_add_i32 s22, s22, s23
	s_mul_hi_u32 s24, s21, s25
	s_mul_hi_u32 s23, s21, s22
	s_mul_i32 s21, s21, s22
	s_add_u32 s21, s24, s21
	s_addc_u32 s23, 0, s23
	s_mul_hi_u32 s26, s13, s25
	s_mul_i32 s25, s13, s25
	s_add_u32 s21, s21, s25
	s_mul_hi_u32 s24, s13, s22
	s_addc_u32 s21, s23, s26
	s_addc_u32 s23, s24, 0
	s_mul_i32 s22, s13, s22
	s_add_u32 s21, s21, s22
	s_addc_u32 s22, 0, s23
	v_add_co_u32_e32 v2, vcc, s21, v2
	s_cmp_lg_u64 vcc, 0
	s_addc_u32 s13, s13, s22
	v_readfirstlane_b32 s22, v2
	s_mul_i32 s21, s6, s13
	s_mul_hi_u32 s23, s6, s22
	s_add_i32 s21, s23, s21
	s_mul_i32 s12, s12, s22
	s_add_i32 s21, s21, s12
	s_mul_i32 s6, s6, s22
	s_mul_hi_u32 s23, s13, s6
	s_mul_i32 s24, s13, s6
	s_mul_i32 s26, s22, s21
	s_mul_hi_u32 s6, s22, s6
	s_mul_hi_u32 s25, s22, s21
	s_add_u32 s6, s6, s26
	s_addc_u32 s22, 0, s25
	s_add_u32 s6, s6, s24
	s_mul_hi_u32 s12, s13, s21
	s_addc_u32 s6, s22, s23
	s_addc_u32 s12, s12, 0
	s_mul_i32 s21, s13, s21
	s_add_u32 s6, s6, s21
	s_addc_u32 s12, 0, s12
	v_add_co_u32_e32 v2, vcc, s6, v2
	s_cmp_lg_u64 vcc, 0
	s_addc_u32 s6, s13, s12
	v_readfirstlane_b32 s21, v2
	s_mul_i32 s13, s20, s6
	s_mul_hi_u32 s22, s20, s21
	s_mul_hi_u32 s12, s20, s6
	s_add_u32 s13, s22, s13
	s_addc_u32 s12, 0, s12
	s_mul_hi_u32 s23, s7, s21
	s_mul_i32 s21, s7, s21
	s_add_u32 s13, s13, s21
	s_mul_hi_u32 s22, s7, s6
	s_addc_u32 s12, s12, s23
	s_addc_u32 s13, s22, 0
	s_mul_i32 s6, s7, s6
	s_add_u32 s6, s12, s6
	s_addc_u32 s12, 0, s13
	s_mul_hi_u32 s13, s33, s6
	s_mul_i32 s6, s33, s6
	s_mul_i32 s12, s33, s12
	v_mov_b32_e32 v2, s6
	s_add_i32 s13, s13, s12
	v_sub_co_u32_e32 v2, vcc, s20, v2
	s_cmp_lg_u64 vcc, 0
	s_subb_u32 s6, s7, s13
	v_subrev_co_u32_e32 v3, vcc, s33, v2
	s_cmp_lg_u64 vcc, 0
	s_subb_u32 s12, s6, 0
	v_subrev_co_u32_e32 v4, vcc, s33, v3
	s_cmp_lg_u64 vcc, 0
	s_subb_u32 s13, s12, 0
	v_cmp_le_u32_e32 vcc, s33, v3
	s_cmp_eq_u32 s12, 0
	v_cndmask_b32_e64 v5, 0, -1, vcc
	s_cselect_b64 vcc, -1, 0
	v_cndmask_b32_e32 v5, -1, v5, vcc
	v_mov_b32_e32 v6, s12
	v_mov_b32_e32 v7, s13
	v_cmp_ne_u32_e32 vcc, 0, v5
	v_cndmask_b32_e32 v5, v6, v7, vcc
	v_cndmask_b32_e32 v4, v3, v4, vcc
	v_cmp_le_u32_e32 vcc, s33, v2
	s_cmp_eq_u32 s6, 0
	v_cndmask_b32_e64 v3, 0, -1, vcc
	s_cselect_b64 vcc, -1, 0
	v_cndmask_b32_e32 v3, -1, v3, vcc
	v_mov_b32_e32 v6, s6
	v_cmp_ne_u32_e32 vcc, 0, v3
	v_cndmask_b32_e32 v3, v6, v5, vcc
	v_cndmask_b32_e32 v2, v2, v4, vcc
	s_cbranch_execnz .LBB143_119
.LBB143_118:                            ;   in Loop: Header=BB143_44 Depth=1
	v_cvt_f32_u32_e32 v2, s33
	s_sub_i32 s6, 0, s33
	v_rcp_iflag_f32_e32 v2, v2
	v_mul_f32_e32 v2, 0x4f7ffffe, v2
	v_cvt_u32_f32_e32 v2, v2
	v_mul_lo_u32 v3, s6, v2
	v_mul_hi_u32 v3, v2, v3
	v_add_u32_e32 v2, v2, v3
	v_mul_hi_u32 v2, s20, v2
	v_mul_lo_u32 v2, v2, s33
	v_sub_u32_e32 v2, s20, v2
	v_subrev_u32_e32 v3, s33, v2
	v_cmp_le_u32_e32 vcc, s33, v2
	v_cndmask_b32_e32 v2, v2, v3, vcc
	v_subrev_u32_e32 v3, s33, v2
	v_cmp_le_u32_e32 vcc, s33, v2
	v_cndmask_b32_e32 v10, v2, v3, vcc
	v_pk_mov_b32 v[2:3], v[10:11], v[10:11] op_sel:[0,1]
.LBB143_119:                            ;   in Loop: Header=BB143_44 Depth=1
	v_mov_b32_e32 v4, s7
	v_sub_co_u32_e32 v2, vcc, s20, v2
	v_subb_co_u32_e32 v3, vcc, v4, v3, vcc
	v_cmp_gt_u64_e32 vcc, v[2:3], v[0:1]
	s_mov_b64 s[6:7], 0
                                        ; implicit-def: $vgpr52
	s_and_saveexec_b64 s[12:13], vcc
	s_cbranch_execz .LBB143_130
; %bb.120:                              ;   in Loop: Header=BB143_44 Depth=1
	s_mov_b64 s[20:21], 0
	v_mov_b32_e32 v6, v41
	v_pk_mov_b32 v[4:5], v[0:1], v[0:1] op_sel:[0,1]
                                        ; implicit-def: $sgpr22_sgpr23
	s_branch .LBB143_122
.LBB143_121:                            ;   in Loop: Header=BB143_122 Depth=2
	s_or_b64 exec, exec, s[6:7]
	s_waitcnt lgkmcnt(0)
	s_barrier
	ds_read_b32 v7, v11 offset:3072
	v_add_co_u32_e64 v4, s[6:7], s33, v4
	v_add_u32_e32 v6, s80, v6
	s_waitcnt lgkmcnt(0)
	v_and_b32_e32 v8, 0x7fff, v7
	v_cmp_ne_u16_e32 vcc, 0, v8
	v_mov_b32_e32 v8, s86
	v_addc_co_u32_e64 v5, s[6:7], v5, v8, s[6:7]
	v_cmp_ge_u64_e64 s[6:7], v[4:5], v[2:3]
	s_or_b64 s[6:7], s[6:7], vcc
	s_and_b64 s[6:7], exec, s[6:7]
	s_or_b64 s[20:21], s[6:7], s[20:21]
	s_andn2_b64 s[6:7], s[22:23], exec
	s_and_b64 s[22:23], vcc, exec
	s_or_b64 s[22:23], s[6:7], s[22:23]
	s_barrier
	s_andn2_b64 exec, exec, s[20:21]
	s_cbranch_execz .LBB143_129
.LBB143_122:                            ;   Parent Loop BB143_44 Depth=1
                                        ; =>  This Inner Loop Header: Depth=2
	v_cmp_gt_u64_e32 vcc, s[2:3], v[4:5]
	v_mov_b32_e32 v7, 0
	s_and_saveexec_b64 s[6:7], vcc
	s_cbranch_execz .LBB143_124
; %bb.123:                              ;   in Loop: Header=BB143_122 Depth=2
	ds_read_u16 v7, v6
.LBB143_124:                            ;   in Loop: Header=BB143_122 Depth=2
	s_or_b64 exec, exec, s[6:7]
	s_and_saveexec_b64 s[6:7], vcc
	s_cbranch_execz .LBB143_121
; %bb.125:                              ;   in Loop: Header=BB143_122 Depth=2
	s_waitcnt lgkmcnt(0)
	v_cmp_lt_i16_e32 vcc, -1, v7
	v_cndmask_b32_e32 v8, v47, v48, vcc
	v_lshlrev_b32_e32 v9, 16, v7
	v_xor_b32_sdwa v8, v8, v7 dst_sel:DWORD dst_unused:UNUSED_PAD src0_sel:DWORD src1_sel:WORD_0
	v_cmp_o_f32_e32 vcc, v9, v9
	v_cndmask_b32_e32 v8, v47, v8, vcc
	v_and_b32_e32 v8, s81, v8
	v_cmp_eq_u32_e32 vcc, s60, v8
	s_and_b64 exec, exec, vcc
	s_cbranch_execz .LBB143_121
; %bb.126:                              ;   in Loop: Header=BB143_122 Depth=2
	v_perm_b32 v7, v7, s90, v51
	ds_write_b32 v11, v7 offset:3072
	s_branch .LBB143_121
.LBB143_127:                            ;   in Loop: Header=BB143_44 Depth=1
	s_mov_b64 s[6:7], -1
                                        ; implicit-def: $sgpr2_sgpr3
                                        ; implicit-def: $sgpr20_sgpr21
                                        ; implicit-def: $sgpr12_sgpr13
	s_branch .LBB143_144
.LBB143_128:                            ;   in Loop: Header=BB143_44 Depth=1
	s_mov_b64 s[2:3], -1
	s_mov_b64 s[6:7], 0
                                        ; implicit-def: $sgpr12_sgpr13
                                        ; implicit-def: $vgpr52
	s_mov_b64 s[20:21], s[2:3]
	s_cbranch_execnz .LBB143_131
	s_branch .LBB143_144
.LBB143_129:                            ;   in Loop: Header=BB143_44 Depth=1
	s_or_b64 exec, exec, s[20:21]
	v_lshrrev_b32_e32 v52, 16, v7
	s_and_b64 s[6:7], s[22:23], exec
.LBB143_130:                            ;   in Loop: Header=BB143_44 Depth=1
	s_or_b64 exec, exec, s[12:13]
	s_mov_b64 s[12:13], -1
	s_mov_b64 s[2:3], 0
	s_mov_b64 s[20:21], s[2:3]
	s_branch .LBB143_144
.LBB143_131:                            ;   in Loop: Header=BB143_44 Depth=1
	s_mov_b32 s68, s77
	s_cmp_lg_u64 s[68:69], 0
	s_cbranch_scc0 .LBB143_177
; %bb.132:                              ;   in Loop: Header=BB143_44 Depth=1
	v_cvt_f32_u32_e32 v2, s33
	s_sub_u32 s2, 0, s33
	s_subb_u32 s3, 0, 0
	v_readlane_b32 s4, v56, 23
	v_mac_f32_e32 v2, 0, v49
	v_rcp_f32_e32 v2, v2
	v_mul_f32_e32 v2, 0x5f7ffffc, v2
	v_mul_f32_e32 v3, 0x2f800000, v2
	v_trunc_f32_e32 v3, v3
	v_mac_f32_e32 v2, 0xcf800000, v3
	v_cvt_u32_f32_e32 v3, v3
	v_cvt_u32_f32_e32 v2, v2
	v_readfirstlane_b32 s6, v3
	v_readfirstlane_b32 s7, v2
	s_mul_i32 s12, s2, s6
	s_mul_hi_u32 s20, s2, s7
	s_mul_i32 s13, s3, s7
	s_add_i32 s12, s20, s12
	s_mul_i32 s21, s2, s7
	s_add_i32 s12, s12, s13
	s_mul_hi_u32 s20, s7, s21
	s_mul_hi_u32 s13, s7, s12
	s_mul_i32 s7, s7, s12
	s_add_u32 s7, s20, s7
	s_addc_u32 s13, 0, s13
	s_mul_hi_u32 s22, s6, s21
	s_mul_i32 s21, s6, s21
	s_add_u32 s7, s7, s21
	s_mul_hi_u32 s20, s6, s12
	s_addc_u32 s7, s13, s22
	s_addc_u32 s13, s20, 0
	s_mul_i32 s12, s6, s12
	s_add_u32 s7, s7, s12
	s_addc_u32 s12, 0, s13
	v_add_co_u32_e32 v2, vcc, s7, v2
	s_cmp_lg_u64 vcc, 0
	s_addc_u32 s6, s6, s12
	v_readfirstlane_b32 s12, v2
	s_mul_i32 s7, s2, s6
	s_mul_hi_u32 s13, s2, s12
	s_add_i32 s7, s13, s7
	s_mul_i32 s3, s3, s12
	s_add_i32 s7, s7, s3
	s_mul_i32 s2, s2, s12
	s_mul_hi_u32 s13, s6, s2
	s_mul_i32 s20, s6, s2
	s_mul_i32 s22, s12, s7
	s_mul_hi_u32 s2, s12, s2
	s_mul_hi_u32 s21, s12, s7
	s_add_u32 s2, s2, s22
	s_addc_u32 s12, 0, s21
	s_add_u32 s2, s2, s20
	s_mul_hi_u32 s3, s6, s7
	s_addc_u32 s2, s12, s13
	s_addc_u32 s3, s3, 0
	s_mul_i32 s7, s6, s7
	s_add_u32 s2, s2, s7
	s_addc_u32 s3, 0, s3
	v_add_co_u32_e32 v2, vcc, s2, v2
	s_cmp_lg_u64 vcc, 0
	s_addc_u32 s2, s6, s3
	v_readfirstlane_b32 s7, v2
	s_mul_i32 s6, s4, s2
	s_mul_hi_u32 s12, s4, s7
	s_mul_hi_u32 s3, s4, s2
	s_add_u32 s6, s12, s6
	s_addc_u32 s3, 0, s3
	s_mul_hi_u32 s13, s69, s7
	s_mul_i32 s7, s69, s7
	s_add_u32 s6, s6, s7
	s_mul_hi_u32 s12, s69, s2
	s_addc_u32 s3, s3, s13
	s_addc_u32 s6, s12, 0
	s_mul_i32 s2, s69, s2
	s_add_u32 s2, s3, s2
	s_addc_u32 s3, 0, s6
	s_mul_hi_u32 s6, s33, s2
	s_mul_i32 s2, s33, s2
	s_mul_i32 s3, s33, s3
	v_mov_b32_e32 v2, s2
	s_add_i32 s6, s6, s3
	v_sub_co_u32_e32 v2, vcc, s4, v2
	s_cmp_lg_u64 vcc, 0
	s_subb_u32 s2, s69, s6
	v_subrev_co_u32_e32 v3, vcc, s33, v2
	s_cmp_lg_u64 vcc, 0
	s_subb_u32 s3, s2, 0
	v_subrev_co_u32_e32 v4, vcc, s33, v3
	s_cmp_lg_u64 vcc, 0
	s_subb_u32 s6, s3, 0
	v_cmp_le_u32_e32 vcc, s33, v3
	s_cmp_eq_u32 s3, 0
	v_cndmask_b32_e64 v5, 0, -1, vcc
	s_cselect_b64 vcc, -1, 0
	v_cndmask_b32_e32 v5, -1, v5, vcc
	v_mov_b32_e32 v6, s3
	v_mov_b32_e32 v7, s6
	v_cmp_ne_u32_e32 vcc, 0, v5
	v_cndmask_b32_e32 v5, v6, v7, vcc
	v_cndmask_b32_e32 v4, v3, v4, vcc
	v_cmp_le_u32_e32 vcc, s33, v2
	s_cmp_eq_u32 s2, 0
	v_cndmask_b32_e64 v3, 0, -1, vcc
	s_cselect_b64 vcc, -1, 0
	v_cndmask_b32_e32 v3, -1, v3, vcc
	v_mov_b32_e32 v6, s2
	v_cmp_ne_u32_e32 vcc, 0, v3
	v_cndmask_b32_e32 v3, v6, v5, vcc
	v_cndmask_b32_e32 v2, v2, v4, vcc
	s_cbranch_execnz .LBB143_134
.LBB143_133:                            ;   in Loop: Header=BB143_44 Depth=1
	v_cvt_f32_u32_e32 v2, s33
	s_sub_i32 s2, 0, s33
	v_rcp_iflag_f32_e32 v2, v2
	v_mul_f32_e32 v2, 0x4f7ffffe, v2
	v_cvt_u32_f32_e32 v2, v2
	v_mul_lo_u32 v3, s2, v2
	v_mul_hi_u32 v3, v2, v3
	v_add_u32_e32 v2, v2, v3
	v_readlane_b32 s2, v56, 23
	v_mul_hi_u32 v2, s2, v2
	v_mul_lo_u32 v2, v2, s33
	v_sub_u32_e32 v2, s2, v2
	v_subrev_u32_e32 v3, s33, v2
	v_cmp_le_u32_e32 vcc, s33, v2
	v_cndmask_b32_e32 v2, v2, v3, vcc
	v_subrev_u32_e32 v3, s33, v2
	v_cmp_le_u32_e32 vcc, s33, v2
	v_cndmask_b32_e32 v10, v2, v3, vcc
	v_pk_mov_b32 v[2:3], v[10:11], v[10:11] op_sel:[0,1]
.LBB143_134:                            ;   in Loop: Header=BB143_44 Depth=1
	v_readlane_b32 s2, v56, 23
	v_mov_b32_e32 v4, s69
	v_sub_co_u32_e32 v2, vcc, s2, v2
	v_subb_co_u32_e32 v3, vcc, v4, v3, vcc
	v_cmp_gt_u64_e32 vcc, v[2:3], v[0:1]
	s_mov_b64 s[6:7], 0
                                        ; implicit-def: $vgpr52
	s_and_saveexec_b64 s[2:3], vcc
	s_cbranch_execz .LBB143_143
; %bb.135:                              ;   in Loop: Header=BB143_44 Depth=1
	s_mov_b64 s[12:13], 0
	v_pk_mov_b32 v[4:5], v[12:13], v[12:13] op_sel:[0,1]
	v_pk_mov_b32 v[6:7], v[0:1], v[0:1] op_sel:[0,1]
                                        ; implicit-def: $sgpr20_sgpr21
	s_branch .LBB143_137
.LBB143_136:                            ;   in Loop: Header=BB143_137 Depth=2
	s_or_b64 exec, exec, s[6:7]
	s_waitcnt lgkmcnt(0)
	s_barrier
	s_waitcnt vmcnt(0)
	ds_read_b32 v8, v11 offset:3072
	v_add_co_u32_e64 v6, s[6:7], s33, v6
	s_waitcnt lgkmcnt(0)
	s_barrier
	v_and_b32_e32 v9, 0x7fff, v8
	v_cmp_ne_u16_e32 vcc, 0, v9
	v_mov_b32_e32 v9, s86
	v_addc_co_u32_e64 v7, s[6:7], v7, v9, s[6:7]
	v_cmp_ge_u64_e64 s[6:7], v[6:7], v[2:3]
	s_or_b64 s[22:23], s[6:7], vcc
	v_mov_b32_e32 v9, s73
	v_add_co_u32_e64 v4, s[6:7], s72, v4
	v_addc_co_u32_e64 v5, s[6:7], v5, v9, s[6:7]
	s_and_b64 s[6:7], exec, s[22:23]
	s_or_b64 s[12:13], s[6:7], s[12:13]
	s_andn2_b64 s[6:7], s[20:21], exec
	s_and_b64 s[20:21], vcc, exec
	s_or_b64 s[20:21], s[6:7], s[20:21]
	s_andn2_b64 exec, exec, s[12:13]
	s_cbranch_execz .LBB143_142
.LBB143_137:                            ;   Parent Loop BB143_44 Depth=1
                                        ; =>  This Inner Loop Header: Depth=2
	v_cmp_gt_u64_e32 vcc, s[52:53], v[6:7]
	v_mov_b32_e32 v8, 0
	s_and_saveexec_b64 s[6:7], vcc
	s_cbranch_execz .LBB143_139
; %bb.138:                              ;   in Loop: Header=BB143_137 Depth=2
	global_load_ushort v8, v[4:5], off
.LBB143_139:                            ;   in Loop: Header=BB143_137 Depth=2
	s_or_b64 exec, exec, s[6:7]
	s_and_saveexec_b64 s[6:7], vcc
	s_cbranch_execz .LBB143_136
; %bb.140:                              ;   in Loop: Header=BB143_137 Depth=2
	s_waitcnt vmcnt(0)
	v_cmp_lt_i16_e32 vcc, -1, v8
	v_cndmask_b32_e32 v9, v47, v48, vcc
	v_lshlrev_b32_e32 v10, 16, v8
	v_xor_b32_sdwa v9, v9, v8 dst_sel:DWORD dst_unused:UNUSED_PAD src0_sel:DWORD src1_sel:WORD_0
	v_cmp_o_f32_e32 vcc, v10, v10
	v_cndmask_b32_e32 v9, v47, v9, vcc
	v_and_b32_e32 v9, s81, v9
	v_cmp_eq_u32_e32 vcc, s60, v9
	s_and_b64 exec, exec, vcc
	s_cbranch_execz .LBB143_136
; %bb.141:                              ;   in Loop: Header=BB143_137 Depth=2
	v_perm_b32 v8, v8, s90, v51
	ds_write_b32 v11, v8 offset:3072
	s_branch .LBB143_136
.LBB143_142:                            ;   in Loop: Header=BB143_44 Depth=1
	s_or_b64 exec, exec, s[12:13]
	v_lshrrev_b32_e32 v52, 16, v8
	s_and_b64 s[6:7], s[20:21], exec
.LBB143_143:                            ;   in Loop: Header=BB143_44 Depth=1
	s_or_b64 exec, exec, s[2:3]
	s_mov_b64 s[20:21], -1
	s_mov_b64 s[2:3], 0
	s_mov_b64 s[12:13], 0
.LBB143_144:                            ;   in Loop: Header=BB143_44 Depth=1
	s_andn2_b64 s[8:9], s[54:55], exec
	s_and_b64 s[2:3], s[2:3], exec
	s_or_b64 s[54:55], s[8:9], s[2:3]
	s_andn2_b64 s[2:3], s[34:35], exec
	s_and_b64 s[20:21], s[20:21], exec
	s_or_b64 s[34:35], s[2:3], s[20:21]
	;; [unrolled: 3-line block ×3, first 2 shown]
	s_and_saveexec_b64 s[12:13], s[6:7]
	s_cbranch_execz .LBB143_43
; %bb.145:                              ;   in Loop: Header=BB143_44 Depth=1
	s_xor_b64 s[2:3], s[18:19], -1
	s_andn2_b64 vcc, exec, s[2:3]
	s_mov_b32 s45, 1
	s_cbranch_vccnz .LBB143_156
; %bb.146:                              ;   in Loop: Header=BB143_44 Depth=1
	v_pk_mov_b32 v[2:3], s[0:1], s[0:1] op_sel:[0,1]
	v_cmp_gt_u64_e32 vcc, s[50:51], v[2:3]
	s_mov_b64 s[2:3], -1
                                        ; implicit-def: $sgpr45
                                        ; implicit-def: $sgpr6
                                        ; implicit-def: $sgpr7
	s_cbranch_vccnz .LBB143_152
; %bb.147:                              ;   in Loop: Header=BB143_44 Depth=1
	ds_read_b64 v[2:3], v11 offset:5120
	s_waitcnt lgkmcnt(0)
	v_cmp_ne_u64_e32 vcc, 0, v[2:3]
	s_cbranch_vccnz .LBB143_151
; %bb.148:                              ;   in Loop: Header=BB143_44 Depth=1
	v_readlane_b32 s4, v56, 14
	v_readlane_b32 s5, v56, 15
	s_and_saveexec_b64 s[2:3], s[4:5]
	s_cbranch_execz .LBB143_150
; %bb.149:                              ;   in Loop: Header=BB143_44 Depth=1
	v_pk_mov_b32 v[2:3], s[0:1], s[0:1] op_sel:[0,1]
	ds_write_b64 v11, v[2:3] offset:5128
.LBB143_150:                            ;   in Loop: Header=BB143_44 Depth=1
	s_or_b64 exec, exec, s[2:3]
	s_waitcnt lgkmcnt(0)
	s_barrier
.LBB143_151:                            ;   in Loop: Header=BB143_44 Depth=1
	s_and_b32 s6, s60, s39
	s_or_b32 s7, s81, s44
	s_mov_b64 s[2:3], 0
	s_mov_b32 s45, 8
.LBB143_152:                            ;   in Loop: Header=BB143_44 Depth=1
	s_andn2_b64 vcc, exec, s[2:3]
	s_cbranch_vccnz .LBB143_154
; %bb.153:                              ;   in Loop: Header=BB143_44 Depth=1
	s_sub_u32 s50, s50, s0
	s_subb_u32 s51, s51, s1
	s_mov_b64 s[2:3], -1
	s_mov_b32 s45, 0
	s_mov_b32 s6, s60
	;; [unrolled: 1-line block ×3, first 2 shown]
.LBB143_154:                            ;   in Loop: Header=BB143_44 Depth=1
	s_mov_b32 s81, s7
	s_mov_b32 s60, s6
	s_mov_b64 s[14:15], -1
	s_and_b64 vcc, exec, s[2:3]
	s_cbranch_vccnz .LBB143_157
.LBB143_155:                            ;   in Loop: Header=BB143_44 Depth=1
	s_mov_b64 s[2:3], -1
                                        ; implicit-def: $sgpr18_sgpr19
                                        ; implicit-def: $sgpr22_sgpr23
                                        ; implicit-def: $sgpr20_sgpr21
	s_and_saveexec_b64 s[0:1], s[2:3]
	s_xor_b64 s[0:1], exec, s[0:1]
	s_cbranch_execz .LBB143_42
	s_branch .LBB143_306
.LBB143_156:                            ;   in Loop: Header=BB143_44 Depth=1
	s_mov_b64 s[50:51], 1
	s_mov_b64 s[14:15], -1
	s_branch .LBB143_155
.LBB143_157:                            ;   in Loop: Header=BB143_44 Depth=1
	s_cmp_eq_u64 s[28:29], 1
	s_cselect_b64 s[0:1], -1, 0
	s_cmp_eq_u64 s[50:51], 1
	s_cselect_b64 s[2:3], -1, 0
	s_and_b64 s[0:1], s[0:1], s[2:3]
	s_mov_b64 s[6:7], -1
	s_and_b64 vcc, exec, s[0:1]
	s_cbranch_vccz .LBB143_172
; %bb.158:                              ;   in Loop: Header=BB143_44 Depth=1
	ds_read_b64 v[2:3], v11 offset:5120
	v_readlane_b32 s4, v56, 16
	v_readlane_b32 s5, v56, 17
	s_waitcnt lgkmcnt(0)
	s_barrier
	v_readfirstlane_b32 s2, v2
	v_readfirstlane_b32 s3, v3
	s_and_saveexec_b64 s[6:7], s[4:5]
	s_cbranch_execz .LBB143_160
; %bb.159:                              ;   in Loop: Header=BB143_44 Depth=1
	ds_write_b16 v42, v15
.LBB143_160:                            ;   in Loop: Header=BB143_44 Depth=1
	s_or_b64 exec, exec, s[6:7]
	s_lshl_b32 s6, 1, s38
	s_and_b32 s7, s60, s39
	s_or_b32 s60, s7, s6
	s_or_b32 s81, s81, s44
	s_cmp_eq_u64 s[2:3], 0
	s_waitcnt lgkmcnt(0)
	s_barrier
	s_cbranch_scc1 .LBB143_178
; %bb.161:                              ;   in Loop: Header=BB143_44 Depth=1
	v_readlane_b32 s4, v56, 22
	s_add_u32 s20, s4, s2
	v_readlane_b32 s4, v56, 24
	s_addc_u32 s7, s4, s3
	s_mov_b32 s6, s77
	s_cmp_lg_u64 s[6:7], 0
	s_cbranch_scc0 .LBB143_223
; %bb.162:                              ;   in Loop: Header=BB143_44 Depth=1
	v_cvt_f32_u32_e32 v2, s33
	s_sub_u32 s6, 0, s33
	s_subb_u32 s18, 0, 0
	v_mac_f32_e32 v2, 0, v49
	v_rcp_f32_e32 v2, v2
	v_mul_f32_e32 v2, 0x5f7ffffc, v2
	v_mul_f32_e32 v3, 0x2f800000, v2
	v_trunc_f32_e32 v3, v3
	v_mac_f32_e32 v2, 0xcf800000, v3
	v_cvt_u32_f32_e32 v3, v3
	v_cvt_u32_f32_e32 v2, v2
	v_readfirstlane_b32 s19, v3
	v_readfirstlane_b32 s21, v2
	s_mul_i32 s22, s6, s19
	s_mul_hi_u32 s24, s6, s21
	s_mul_i32 s23, s18, s21
	s_add_i32 s22, s24, s22
	s_mul_i32 s25, s6, s21
	s_add_i32 s22, s22, s23
	s_mul_hi_u32 s24, s21, s25
	s_mul_hi_u32 s23, s21, s22
	s_mul_i32 s21, s21, s22
	s_add_u32 s21, s24, s21
	s_addc_u32 s23, 0, s23
	s_mul_hi_u32 s26, s19, s25
	s_mul_i32 s25, s19, s25
	s_add_u32 s21, s21, s25
	s_mul_hi_u32 s24, s19, s22
	s_addc_u32 s21, s23, s26
	s_addc_u32 s23, s24, 0
	s_mul_i32 s22, s19, s22
	s_add_u32 s21, s21, s22
	s_addc_u32 s22, 0, s23
	v_add_co_u32_e32 v2, vcc, s21, v2
	s_cmp_lg_u64 vcc, 0
	s_addc_u32 s19, s19, s22
	v_readfirstlane_b32 s22, v2
	s_mul_i32 s21, s6, s19
	s_mul_hi_u32 s23, s6, s22
	s_add_i32 s21, s23, s21
	s_mul_i32 s18, s18, s22
	s_add_i32 s21, s21, s18
	s_mul_i32 s6, s6, s22
	s_mul_hi_u32 s23, s19, s6
	s_mul_i32 s24, s19, s6
	s_mul_i32 s26, s22, s21
	s_mul_hi_u32 s6, s22, s6
	s_mul_hi_u32 s25, s22, s21
	s_add_u32 s6, s6, s26
	s_addc_u32 s22, 0, s25
	s_add_u32 s6, s6, s24
	s_mul_hi_u32 s18, s19, s21
	s_addc_u32 s6, s22, s23
	s_addc_u32 s18, s18, 0
	s_mul_i32 s21, s19, s21
	s_add_u32 s6, s6, s21
	s_addc_u32 s18, 0, s18
	v_add_co_u32_e32 v2, vcc, s6, v2
	s_cmp_lg_u64 vcc, 0
	s_addc_u32 s6, s19, s18
	v_readfirstlane_b32 s21, v2
	s_mul_i32 s19, s20, s6
	s_mul_hi_u32 s22, s20, s21
	s_mul_hi_u32 s18, s20, s6
	s_add_u32 s19, s22, s19
	s_addc_u32 s18, 0, s18
	s_mul_hi_u32 s23, s7, s21
	s_mul_i32 s21, s7, s21
	s_add_u32 s19, s19, s21
	s_mul_hi_u32 s22, s7, s6
	s_addc_u32 s18, s18, s23
	s_addc_u32 s19, s22, 0
	s_mul_i32 s6, s7, s6
	s_add_u32 s6, s18, s6
	s_addc_u32 s18, 0, s19
	s_mul_hi_u32 s19, s33, s6
	s_mul_i32 s6, s33, s6
	s_mul_i32 s18, s33, s18
	v_mov_b32_e32 v2, s6
	s_add_i32 s19, s19, s18
	v_sub_co_u32_e32 v2, vcc, s20, v2
	s_cmp_lg_u64 vcc, 0
	s_subb_u32 s6, s7, s19
	v_subrev_co_u32_e32 v3, vcc, s33, v2
	s_cmp_lg_u64 vcc, 0
	s_subb_u32 s18, s6, 0
	v_subrev_co_u32_e32 v4, vcc, s33, v3
	s_cmp_lg_u64 vcc, 0
	s_subb_u32 s19, s18, 0
	v_cmp_le_u32_e32 vcc, s33, v3
	s_cmp_eq_u32 s18, 0
	v_cndmask_b32_e64 v5, 0, -1, vcc
	s_cselect_b64 vcc, -1, 0
	v_cndmask_b32_e32 v5, -1, v5, vcc
	v_mov_b32_e32 v6, s18
	v_mov_b32_e32 v7, s19
	v_cmp_ne_u32_e32 vcc, 0, v5
	v_cndmask_b32_e32 v5, v6, v7, vcc
	v_cndmask_b32_e32 v4, v3, v4, vcc
	v_cmp_le_u32_e32 vcc, s33, v2
	s_cmp_eq_u32 s6, 0
	v_cndmask_b32_e64 v3, 0, -1, vcc
	s_cselect_b64 vcc, -1, 0
	v_cndmask_b32_e32 v3, -1, v3, vcc
	v_mov_b32_e32 v6, s6
	v_cmp_ne_u32_e32 vcc, 0, v3
	v_cndmask_b32_e32 v3, v6, v5, vcc
	v_cndmask_b32_e32 v2, v2, v4, vcc
	s_cbranch_execnz .LBB143_164
.LBB143_163:                            ;   in Loop: Header=BB143_44 Depth=1
	v_cvt_f32_u32_e32 v2, s33
	s_sub_i32 s6, 0, s33
	v_rcp_iflag_f32_e32 v2, v2
	v_mul_f32_e32 v2, 0x4f7ffffe, v2
	v_cvt_u32_f32_e32 v2, v2
	v_mul_lo_u32 v3, s6, v2
	v_mul_hi_u32 v3, v2, v3
	v_add_u32_e32 v2, v2, v3
	v_mul_hi_u32 v2, s20, v2
	v_mul_lo_u32 v2, v2, s33
	v_sub_u32_e32 v2, s20, v2
	v_subrev_u32_e32 v3, s33, v2
	v_cmp_le_u32_e32 vcc, s33, v2
	v_cndmask_b32_e32 v2, v2, v3, vcc
	v_subrev_u32_e32 v3, s33, v2
	v_cmp_le_u32_e32 vcc, s33, v2
	v_cndmask_b32_e32 v10, v2, v3, vcc
	v_pk_mov_b32 v[2:3], v[10:11], v[10:11] op_sel:[0,1]
.LBB143_164:                            ;   in Loop: Header=BB143_44 Depth=1
	v_mov_b32_e32 v4, s7
	v_sub_co_u32_e32 v2, vcc, s20, v2
	v_subb_co_u32_e32 v3, vcc, v4, v3, vcc
	v_cmp_gt_u64_e32 vcc, v[2:3], v[0:1]
	s_mov_b64 s[6:7], 0
                                        ; implicit-def: $vgpr52
	s_and_saveexec_b64 s[18:19], vcc
	s_cbranch_execz .LBB143_180
; %bb.165:                              ;   in Loop: Header=BB143_44 Depth=1
	s_mov_b64 s[20:21], 0
	v_mov_b32_e32 v6, v41
	v_pk_mov_b32 v[4:5], v[0:1], v[0:1] op_sel:[0,1]
                                        ; implicit-def: $sgpr22_sgpr23
	s_branch .LBB143_167
.LBB143_166:                            ;   in Loop: Header=BB143_167 Depth=2
	s_or_b64 exec, exec, s[6:7]
	s_waitcnt lgkmcnt(0)
	s_barrier
	ds_read_b32 v7, v11 offset:3072
	v_add_co_u32_e64 v4, s[6:7], s33, v4
	v_add_u32_e32 v6, s80, v6
	s_waitcnt lgkmcnt(0)
	v_and_b32_e32 v8, 0x7fff, v7
	v_cmp_ne_u16_e32 vcc, 0, v8
	v_mov_b32_e32 v8, s86
	v_addc_co_u32_e64 v5, s[6:7], v5, v8, s[6:7]
	v_cmp_ge_u64_e64 s[6:7], v[4:5], v[2:3]
	s_or_b64 s[6:7], s[6:7], vcc
	s_and_b64 s[6:7], exec, s[6:7]
	s_or_b64 s[20:21], s[6:7], s[20:21]
	s_andn2_b64 s[6:7], s[22:23], exec
	s_and_b64 s[22:23], vcc, exec
	s_or_b64 s[22:23], s[6:7], s[22:23]
	s_barrier
	s_andn2_b64 exec, exec, s[20:21]
	s_cbranch_execz .LBB143_179
.LBB143_167:                            ;   Parent Loop BB143_44 Depth=1
                                        ; =>  This Inner Loop Header: Depth=2
	v_cmp_gt_u64_e32 vcc, s[2:3], v[4:5]
	v_mov_b32_e32 v7, 0
	s_and_saveexec_b64 s[6:7], vcc
	s_cbranch_execz .LBB143_169
; %bb.168:                              ;   in Loop: Header=BB143_167 Depth=2
	ds_read_u16 v7, v6
.LBB143_169:                            ;   in Loop: Header=BB143_167 Depth=2
	s_or_b64 exec, exec, s[6:7]
	s_and_saveexec_b64 s[6:7], vcc
	s_cbranch_execz .LBB143_166
; %bb.170:                              ;   in Loop: Header=BB143_167 Depth=2
	s_waitcnt lgkmcnt(0)
	v_cmp_lt_i16_e32 vcc, -1, v7
	v_cndmask_b32_e32 v8, v47, v48, vcc
	v_lshlrev_b32_e32 v9, 16, v7
	v_xor_b32_sdwa v8, v8, v7 dst_sel:DWORD dst_unused:UNUSED_PAD src0_sel:DWORD src1_sel:WORD_0
	v_cmp_o_f32_e32 vcc, v9, v9
	v_cndmask_b32_e32 v8, v47, v8, vcc
	v_and_b32_e32 v8, s81, v8
	v_cmp_eq_u32_e32 vcc, s60, v8
	s_and_b64 exec, exec, vcc
	s_cbranch_execz .LBB143_166
; %bb.171:                              ;   in Loop: Header=BB143_167 Depth=2
	v_perm_b32 v7, v7, s90, v51
	ds_write_b32 v11, v7 offset:3072
	s_branch .LBB143_166
.LBB143_172:                            ;   in Loop: Header=BB143_44 Depth=1
                                        ; implicit-def: $sgpr20_sgpr21
                                        ; implicit-def: $sgpr22_sgpr23
                                        ; implicit-def: $sgpr18_sgpr19
	s_branch .LBB143_194
.LBB143_173:                            ;   in Loop: Header=BB143_44 Depth=1
                                        ; implicit-def: $vgpr2_vgpr3
	s_branch .LBB143_118
.LBB143_174:                            ;   in Loop: Header=BB143_44 Depth=1
	s_or_b64 exec, exec, s[2:3]
	v_readlane_b32 s4, v56, 14
	v_readlane_b32 s5, v56, 15
	s_waitcnt lgkmcnt(0)
	s_barrier
	s_and_saveexec_b64 s[2:3], s[4:5]
	s_cbranch_execz .LBB143_176
; %bb.175:                              ;   in Loop: Header=BB143_44 Depth=1
	ds_read_b32 v2, v11 offset:5144
	s_waitcnt lgkmcnt(0)
	v_ashrrev_i32_e32 v3, 31, v2
	ds_write_b64 v11, v[2:3] offset:5120
.LBB143_176:                            ;   in Loop: Header=BB143_44 Depth=1
	s_or_b64 exec, exec, s[2:3]
	s_waitcnt lgkmcnt(0)
	s_barrier
	s_mov_b64 s[2:3], -1
	s_and_b64 vcc, exec, s[0:1]
	s_cbranch_vccnz .LBB143_59
	s_branch .LBB143_69
.LBB143_177:                            ;   in Loop: Header=BB143_44 Depth=1
                                        ; implicit-def: $vgpr2_vgpr3
	s_branch .LBB143_133
.LBB143_178:                            ;   in Loop: Header=BB143_44 Depth=1
	s_mov_b64 s[20:21], -1
	s_mov_b64 s[6:7], 0
                                        ; implicit-def: $sgpr18_sgpr19
                                        ; implicit-def: $vgpr52
	s_mov_b64 s[22:23], s[20:21]
	s_cbranch_execnz .LBB143_181
	s_branch .LBB143_194
.LBB143_179:                            ;   in Loop: Header=BB143_44 Depth=1
	s_or_b64 exec, exec, s[20:21]
	v_lshrrev_b32_e32 v52, 16, v7
	s_and_b64 s[6:7], s[22:23], exec
.LBB143_180:                            ;   in Loop: Header=BB143_44 Depth=1
	s_or_b64 exec, exec, s[18:19]
	s_mov_b64 s[18:19], -1
	s_mov_b64 s[20:21], 0
	s_mov_b64 s[22:23], s[20:21]
	s_branch .LBB143_194
.LBB143_181:                            ;   in Loop: Header=BB143_44 Depth=1
	s_mov_b32 s68, s77
	s_cmp_lg_u64 s[68:69], 0
	s_cbranch_scc0 .LBB143_224
; %bb.182:                              ;   in Loop: Header=BB143_44 Depth=1
	v_cvt_f32_u32_e32 v2, s33
	s_sub_u32 s2, 0, s33
	s_subb_u32 s3, 0, 0
	v_readlane_b32 s4, v56, 23
	v_mac_f32_e32 v2, 0, v49
	v_rcp_f32_e32 v2, v2
	v_mul_f32_e32 v2, 0x5f7ffffc, v2
	v_mul_f32_e32 v3, 0x2f800000, v2
	v_trunc_f32_e32 v3, v3
	v_mac_f32_e32 v2, 0xcf800000, v3
	v_cvt_u32_f32_e32 v3, v3
	v_cvt_u32_f32_e32 v2, v2
	v_readfirstlane_b32 s6, v3
	v_readfirstlane_b32 s7, v2
	s_mul_i32 s18, s2, s6
	s_mul_hi_u32 s20, s2, s7
	s_mul_i32 s19, s3, s7
	s_add_i32 s18, s20, s18
	s_mul_i32 s21, s2, s7
	s_add_i32 s18, s18, s19
	s_mul_hi_u32 s20, s7, s21
	s_mul_hi_u32 s19, s7, s18
	s_mul_i32 s7, s7, s18
	s_add_u32 s7, s20, s7
	s_addc_u32 s19, 0, s19
	s_mul_hi_u32 s22, s6, s21
	s_mul_i32 s21, s6, s21
	s_add_u32 s7, s7, s21
	s_mul_hi_u32 s20, s6, s18
	s_addc_u32 s7, s19, s22
	s_addc_u32 s19, s20, 0
	s_mul_i32 s18, s6, s18
	s_add_u32 s7, s7, s18
	s_addc_u32 s18, 0, s19
	v_add_co_u32_e32 v2, vcc, s7, v2
	s_cmp_lg_u64 vcc, 0
	s_addc_u32 s6, s6, s18
	v_readfirstlane_b32 s18, v2
	s_mul_i32 s7, s2, s6
	s_mul_hi_u32 s19, s2, s18
	s_add_i32 s7, s19, s7
	s_mul_i32 s3, s3, s18
	s_add_i32 s7, s7, s3
	s_mul_i32 s2, s2, s18
	s_mul_hi_u32 s19, s6, s2
	s_mul_i32 s20, s6, s2
	s_mul_i32 s22, s18, s7
	s_mul_hi_u32 s2, s18, s2
	s_mul_hi_u32 s21, s18, s7
	s_add_u32 s2, s2, s22
	s_addc_u32 s18, 0, s21
	s_add_u32 s2, s2, s20
	s_mul_hi_u32 s3, s6, s7
	s_addc_u32 s2, s18, s19
	s_addc_u32 s3, s3, 0
	s_mul_i32 s7, s6, s7
	s_add_u32 s2, s2, s7
	s_addc_u32 s3, 0, s3
	v_add_co_u32_e32 v2, vcc, s2, v2
	s_cmp_lg_u64 vcc, 0
	s_addc_u32 s2, s6, s3
	v_readfirstlane_b32 s7, v2
	s_mul_i32 s6, s4, s2
	s_mul_hi_u32 s18, s4, s7
	s_mul_hi_u32 s3, s4, s2
	s_add_u32 s6, s18, s6
	s_addc_u32 s3, 0, s3
	s_mul_hi_u32 s19, s69, s7
	s_mul_i32 s7, s69, s7
	s_add_u32 s6, s6, s7
	s_mul_hi_u32 s18, s69, s2
	s_addc_u32 s3, s3, s19
	s_addc_u32 s6, s18, 0
	s_mul_i32 s2, s69, s2
	s_add_u32 s2, s3, s2
	s_addc_u32 s3, 0, s6
	s_mul_hi_u32 s6, s33, s2
	s_mul_i32 s2, s33, s2
	s_mul_i32 s3, s33, s3
	v_mov_b32_e32 v2, s2
	s_add_i32 s6, s6, s3
	v_sub_co_u32_e32 v2, vcc, s4, v2
	s_cmp_lg_u64 vcc, 0
	s_subb_u32 s2, s69, s6
	v_subrev_co_u32_e32 v3, vcc, s33, v2
	s_cmp_lg_u64 vcc, 0
	s_subb_u32 s3, s2, 0
	v_subrev_co_u32_e32 v4, vcc, s33, v3
	s_cmp_lg_u64 vcc, 0
	s_subb_u32 s6, s3, 0
	v_cmp_le_u32_e32 vcc, s33, v3
	s_cmp_eq_u32 s3, 0
	v_cndmask_b32_e64 v5, 0, -1, vcc
	s_cselect_b64 vcc, -1, 0
	v_cndmask_b32_e32 v5, -1, v5, vcc
	v_mov_b32_e32 v6, s3
	v_mov_b32_e32 v7, s6
	v_cmp_ne_u32_e32 vcc, 0, v5
	v_cndmask_b32_e32 v5, v6, v7, vcc
	v_cndmask_b32_e32 v4, v3, v4, vcc
	v_cmp_le_u32_e32 vcc, s33, v2
	s_cmp_eq_u32 s2, 0
	v_cndmask_b32_e64 v3, 0, -1, vcc
	s_cselect_b64 vcc, -1, 0
	v_cndmask_b32_e32 v3, -1, v3, vcc
	v_mov_b32_e32 v6, s2
	v_cmp_ne_u32_e32 vcc, 0, v3
	v_cndmask_b32_e32 v3, v6, v5, vcc
	v_cndmask_b32_e32 v2, v2, v4, vcc
	s_cbranch_execnz .LBB143_184
.LBB143_183:                            ;   in Loop: Header=BB143_44 Depth=1
	v_cvt_f32_u32_e32 v2, s33
	s_sub_i32 s2, 0, s33
	v_rcp_iflag_f32_e32 v2, v2
	v_mul_f32_e32 v2, 0x4f7ffffe, v2
	v_cvt_u32_f32_e32 v2, v2
	v_mul_lo_u32 v3, s2, v2
	v_mul_hi_u32 v3, v2, v3
	v_add_u32_e32 v2, v2, v3
	v_readlane_b32 s2, v56, 23
	v_mul_hi_u32 v2, s2, v2
	v_mul_lo_u32 v2, v2, s33
	v_sub_u32_e32 v2, s2, v2
	v_subrev_u32_e32 v3, s33, v2
	v_cmp_le_u32_e32 vcc, s33, v2
	v_cndmask_b32_e32 v2, v2, v3, vcc
	v_subrev_u32_e32 v3, s33, v2
	v_cmp_le_u32_e32 vcc, s33, v2
	v_cndmask_b32_e32 v10, v2, v3, vcc
	v_pk_mov_b32 v[2:3], v[10:11], v[10:11] op_sel:[0,1]
.LBB143_184:                            ;   in Loop: Header=BB143_44 Depth=1
	v_readlane_b32 s2, v56, 23
	v_mov_b32_e32 v4, s69
	v_sub_co_u32_e32 v2, vcc, s2, v2
	v_subb_co_u32_e32 v3, vcc, v4, v3, vcc
	v_cmp_gt_u64_e32 vcc, v[2:3], v[0:1]
	s_mov_b64 s[6:7], 0
                                        ; implicit-def: $vgpr52
	s_and_saveexec_b64 s[2:3], vcc
	s_cbranch_execz .LBB143_193
; %bb.185:                              ;   in Loop: Header=BB143_44 Depth=1
	s_mov_b64 s[18:19], 0
	v_pk_mov_b32 v[4:5], v[12:13], v[12:13] op_sel:[0,1]
	v_pk_mov_b32 v[6:7], v[0:1], v[0:1] op_sel:[0,1]
                                        ; implicit-def: $sgpr20_sgpr21
	s_branch .LBB143_187
.LBB143_186:                            ;   in Loop: Header=BB143_187 Depth=2
	s_or_b64 exec, exec, s[6:7]
	s_waitcnt lgkmcnt(0)
	s_barrier
	s_waitcnt vmcnt(0)
	ds_read_b32 v8, v11 offset:3072
	v_add_co_u32_e64 v6, s[6:7], s33, v6
	s_waitcnt lgkmcnt(0)
	s_barrier
	v_and_b32_e32 v9, 0x7fff, v8
	v_cmp_ne_u16_e32 vcc, 0, v9
	v_mov_b32_e32 v9, s86
	v_addc_co_u32_e64 v7, s[6:7], v7, v9, s[6:7]
	v_cmp_ge_u64_e64 s[6:7], v[6:7], v[2:3]
	s_or_b64 s[22:23], s[6:7], vcc
	v_mov_b32_e32 v9, s73
	v_add_co_u32_e64 v4, s[6:7], s72, v4
	v_addc_co_u32_e64 v5, s[6:7], v5, v9, s[6:7]
	s_and_b64 s[6:7], exec, s[22:23]
	s_or_b64 s[18:19], s[6:7], s[18:19]
	s_andn2_b64 s[6:7], s[20:21], exec
	s_and_b64 s[20:21], vcc, exec
	s_or_b64 s[20:21], s[6:7], s[20:21]
	s_andn2_b64 exec, exec, s[18:19]
	s_cbranch_execz .LBB143_192
.LBB143_187:                            ;   Parent Loop BB143_44 Depth=1
                                        ; =>  This Inner Loop Header: Depth=2
	v_cmp_gt_u64_e32 vcc, s[52:53], v[6:7]
	v_mov_b32_e32 v8, 0
	s_and_saveexec_b64 s[6:7], vcc
	s_cbranch_execz .LBB143_189
; %bb.188:                              ;   in Loop: Header=BB143_187 Depth=2
	global_load_ushort v8, v[4:5], off
.LBB143_189:                            ;   in Loop: Header=BB143_187 Depth=2
	s_or_b64 exec, exec, s[6:7]
	s_and_saveexec_b64 s[6:7], vcc
	s_cbranch_execz .LBB143_186
; %bb.190:                              ;   in Loop: Header=BB143_187 Depth=2
	s_waitcnt vmcnt(0)
	v_cmp_lt_i16_e32 vcc, -1, v8
	v_cndmask_b32_e32 v9, v47, v48, vcc
	v_lshlrev_b32_e32 v10, 16, v8
	v_xor_b32_sdwa v9, v9, v8 dst_sel:DWORD dst_unused:UNUSED_PAD src0_sel:DWORD src1_sel:WORD_0
	v_cmp_o_f32_e32 vcc, v10, v10
	v_cndmask_b32_e32 v9, v47, v9, vcc
	v_and_b32_e32 v9, s81, v9
	v_cmp_eq_u32_e32 vcc, s60, v9
	s_and_b64 exec, exec, vcc
	s_cbranch_execz .LBB143_186
; %bb.191:                              ;   in Loop: Header=BB143_187 Depth=2
	v_perm_b32 v8, v8, s90, v51
	ds_write_b32 v11, v8 offset:3072
	s_branch .LBB143_186
.LBB143_192:                            ;   in Loop: Header=BB143_44 Depth=1
	s_or_b64 exec, exec, s[18:19]
	v_lshrrev_b32_e32 v52, 16, v8
	s_and_b64 s[6:7], s[20:21], exec
.LBB143_193:                            ;   in Loop: Header=BB143_44 Depth=1
	s_or_b64 exec, exec, s[2:3]
	s_mov_b64 s[22:23], -1
	s_mov_b64 s[20:21], 0
	s_mov_b64 s[18:19], 0
.LBB143_194:                            ;   in Loop: Header=BB143_44 Depth=1
	s_mov_b64 s[2:3], 0
                                        ; implicit-def: $sgpr45
	s_and_saveexec_b64 s[24:25], s[6:7]
	s_cbranch_execz .LBB143_305
; %bb.195:                              ;   in Loop: Header=BB143_44 Depth=1
	s_xor_b64 s[0:1], s[0:1], -1
	s_andn2_b64 vcc, exec, s[0:1]
	s_mov_b32 s45, 1
	s_cbranch_vccnz .LBB143_206
; %bb.196:                              ;   in Loop: Header=BB143_44 Depth=1
	v_pk_mov_b32 v[2:3], s[28:29], s[28:29] op_sel:[0,1]
	v_cmp_gt_u64_e32 vcc, s[50:51], v[2:3]
	s_mov_b64 s[0:1], -1
                                        ; implicit-def: $sgpr45
                                        ; implicit-def: $sgpr2
                                        ; implicit-def: $sgpr3
	s_cbranch_vccnz .LBB143_202
; %bb.197:                              ;   in Loop: Header=BB143_44 Depth=1
	ds_read_b64 v[2:3], v11 offset:5120
	s_waitcnt lgkmcnt(0)
	v_cmp_ne_u64_e32 vcc, 0, v[2:3]
	s_cbranch_vccnz .LBB143_201
; %bb.198:                              ;   in Loop: Header=BB143_44 Depth=1
	s_mov_b64 s[0:1], exec
	v_readlane_b32 s2, v56, 14
	v_readlane_b32 s3, v56, 15
	s_and_b64 s[2:3], s[0:1], s[2:3]
	s_mov_b64 exec, s[2:3]
	s_cbranch_execz .LBB143_200
; %bb.199:                              ;   in Loop: Header=BB143_44 Depth=1
	v_pk_mov_b32 v[2:3], s[28:29], s[28:29] op_sel:[0,1]
	ds_write_b64 v11, v[2:3] offset:5128
.LBB143_200:                            ;   in Loop: Header=BB143_44 Depth=1
	s_or_b64 exec, exec, s[0:1]
	s_waitcnt lgkmcnt(0)
	s_barrier
.LBB143_201:                            ;   in Loop: Header=BB143_44 Depth=1
	s_lshl_b32 s0, 1, s38
	s_and_b32 s1, s60, s39
	s_or_b32 s2, s1, s0
	s_or_b32 s3, s81, s44
	s_mov_b64 s[0:1], 0
	s_mov_b32 s45, 8
.LBB143_202:                            ;   in Loop: Header=BB143_44 Depth=1
	s_andn2_b64 vcc, exec, s[0:1]
	s_cbranch_vccnz .LBB143_204
; %bb.203:                              ;   in Loop: Header=BB143_44 Depth=1
	s_sub_u32 s50, s50, s28
	s_subb_u32 s51, s51, s29
	s_mov_b64 s[0:1], -1
	s_mov_b32 s45, 0
	s_mov_b32 s2, s60
	;; [unrolled: 1-line block ×3, first 2 shown]
.LBB143_204:                            ;   in Loop: Header=BB143_44 Depth=1
	s_mov_b32 s81, s3
	s_mov_b32 s60, s2
	s_andn2_b64 vcc, exec, s[0:1]
	s_mov_b64 s[6:7], -1
	s_cbranch_vccz .LBB143_207
.LBB143_205:                            ;   in Loop: Header=BB143_44 Depth=1
	s_mov_b64 s[70:71], s[88:89]
                                        ; implicit-def: $sgpr28_sgpr29
                                        ; implicit-def: $sgpr30_sgpr31
                                        ; implicit-def: $sgpr0_sgpr1
	s_branch .LBB143_304
.LBB143_206:                            ;   in Loop: Header=BB143_44 Depth=1
	s_mov_b64 s[50:51], 1
	s_mov_b64 s[6:7], -1
	s_cbranch_execnz .LBB143_205
.LBB143_207:                            ;   in Loop: Header=BB143_44 Depth=1
	s_cmp_eq_u64 s[16:17], 1
	s_cselect_b64 s[0:1], -1, 0
	s_cmp_eq_u64 s[50:51], 1
	s_cselect_b64 s[2:3], -1, 0
	s_mov_b64 s[62:63], s[36:37]
	s_and_b64 s[36:37], s[0:1], s[2:3]
	s_mov_b64 s[8:9], s[34:35]
	s_mov_b64 s[2:3], -1
	s_and_b64 vcc, exec, s[36:37]
	s_cbranch_vccz .LBB143_222
; %bb.208:                              ;   in Loop: Header=BB143_44 Depth=1
	ds_read_b64 v[2:3], v11 offset:5120
	v_readlane_b32 s4, v56, 16
	v_readlane_b32 s5, v56, 17
	s_waitcnt lgkmcnt(0)
	s_barrier
	v_readfirstlane_b32 s0, v2
	v_readfirstlane_b32 s1, v3
	s_and_saveexec_b64 s[2:3], s[4:5]
	s_cbranch_execz .LBB143_210
; %bb.209:                              ;   in Loop: Header=BB143_44 Depth=1
	ds_write_b16 v42, v15
.LBB143_210:                            ;   in Loop: Header=BB143_44 Depth=1
	s_or_b64 exec, exec, s[2:3]
	s_lshl_b32 s2, 2, s38
	s_and_b32 s3, s60, s39
	s_or_b32 s60, s3, s2
	s_or_b32 s81, s81, s44
	s_cmp_eq_u64 s[0:1], 0
	s_mov_b64 s[70:71], s[88:89]
	s_waitcnt lgkmcnt(0)
	s_barrier
	s_cbranch_scc1 .LBB143_225
; %bb.211:                              ;   in Loop: Header=BB143_44 Depth=1
	v_readlane_b32 s2, v56, 22
	s_add_u32 s26, s2, s0
	v_readlane_b32 s2, v56, 24
	s_addc_u32 s3, s2, s1
	s_mov_b32 s2, s77
	s_cmp_lg_u64 s[2:3], 0
	s_cbranch_scc0 .LBB143_270
; %bb.212:                              ;   in Loop: Header=BB143_44 Depth=1
	v_cvt_f32_u32_e32 v2, s33
	s_sub_u32 s2, 0, s33
	s_subb_u32 s6, 0, 0
	v_mac_f32_e32 v2, 0, v49
	v_rcp_f32_e32 v2, v2
	v_mul_f32_e32 v2, 0x5f7ffffc, v2
	v_mul_f32_e32 v3, 0x2f800000, v2
	v_trunc_f32_e32 v3, v3
	v_mac_f32_e32 v2, 0xcf800000, v3
	v_cvt_u32_f32_e32 v3, v3
	v_cvt_u32_f32_e32 v2, v2
	v_readfirstlane_b32 s7, v3
	v_readfirstlane_b32 s27, v2
	s_mul_i32 s28, s2, s7
	s_mul_hi_u32 s30, s2, s27
	s_mul_i32 s29, s6, s27
	s_add_i32 s28, s30, s28
	s_mul_i32 s31, s2, s27
	s_add_i32 s28, s28, s29
	s_mul_hi_u32 s30, s27, s31
	s_mul_hi_u32 s29, s27, s28
	s_mul_i32 s27, s27, s28
	s_add_u32 s27, s30, s27
	s_addc_u32 s29, 0, s29
	s_mul_hi_u32 s34, s7, s31
	s_mul_i32 s31, s7, s31
	s_add_u32 s27, s27, s31
	s_mul_hi_u32 s30, s7, s28
	s_addc_u32 s27, s29, s34
	s_addc_u32 s29, s30, 0
	s_mul_i32 s28, s7, s28
	s_add_u32 s27, s27, s28
	s_addc_u32 s28, 0, s29
	v_add_co_u32_e32 v2, vcc, s27, v2
	s_cmp_lg_u64 vcc, 0
	s_addc_u32 s7, s7, s28
	v_readfirstlane_b32 s28, v2
	s_mul_i32 s27, s2, s7
	s_mul_hi_u32 s29, s2, s28
	s_add_i32 s27, s29, s27
	s_mul_i32 s6, s6, s28
	s_add_i32 s27, s27, s6
	s_mul_i32 s2, s2, s28
	s_mul_hi_u32 s29, s7, s2
	s_mul_i32 s30, s7, s2
	s_mul_i32 s34, s28, s27
	s_mul_hi_u32 s2, s28, s2
	s_mul_hi_u32 s31, s28, s27
	s_add_u32 s2, s2, s34
	s_addc_u32 s28, 0, s31
	s_add_u32 s2, s2, s30
	s_mul_hi_u32 s6, s7, s27
	s_addc_u32 s2, s28, s29
	s_addc_u32 s6, s6, 0
	s_mul_i32 s27, s7, s27
	s_add_u32 s2, s2, s27
	s_addc_u32 s6, 0, s6
	v_add_co_u32_e32 v2, vcc, s2, v2
	s_cmp_lg_u64 vcc, 0
	s_addc_u32 s2, s7, s6
	v_readfirstlane_b32 s27, v2
	s_mul_i32 s7, s26, s2
	s_mul_hi_u32 s28, s26, s27
	s_mul_hi_u32 s6, s26, s2
	s_add_u32 s7, s28, s7
	s_addc_u32 s6, 0, s6
	s_mul_hi_u32 s29, s3, s27
	s_mul_i32 s27, s3, s27
	s_add_u32 s7, s7, s27
	s_mul_hi_u32 s28, s3, s2
	s_addc_u32 s6, s6, s29
	s_addc_u32 s7, s28, 0
	s_mul_i32 s2, s3, s2
	s_add_u32 s2, s6, s2
	s_addc_u32 s6, 0, s7
	s_mul_hi_u32 s7, s33, s2
	s_mul_i32 s2, s33, s2
	s_mul_i32 s6, s33, s6
	v_mov_b32_e32 v2, s2
	s_add_i32 s7, s7, s6
	v_sub_co_u32_e32 v2, vcc, s26, v2
	s_cmp_lg_u64 vcc, 0
	s_subb_u32 s2, s3, s7
	v_subrev_co_u32_e32 v3, vcc, s33, v2
	s_cmp_lg_u64 vcc, 0
	s_subb_u32 s6, s2, 0
	v_subrev_co_u32_e32 v4, vcc, s33, v3
	s_cmp_lg_u64 vcc, 0
	s_subb_u32 s7, s6, 0
	v_cmp_le_u32_e32 vcc, s33, v3
	s_cmp_eq_u32 s6, 0
	v_cndmask_b32_e64 v5, 0, -1, vcc
	s_cselect_b64 vcc, -1, 0
	v_cndmask_b32_e32 v5, -1, v5, vcc
	v_mov_b32_e32 v6, s6
	v_mov_b32_e32 v7, s7
	v_cmp_ne_u32_e32 vcc, 0, v5
	v_cndmask_b32_e32 v5, v6, v7, vcc
	v_cndmask_b32_e32 v4, v3, v4, vcc
	v_cmp_le_u32_e32 vcc, s33, v2
	s_cmp_eq_u32 s2, 0
	v_cndmask_b32_e64 v3, 0, -1, vcc
	s_cselect_b64 vcc, -1, 0
	v_cndmask_b32_e32 v3, -1, v3, vcc
	v_mov_b32_e32 v6, s2
	v_cmp_ne_u32_e32 vcc, 0, v3
	v_cndmask_b32_e32 v3, v6, v5, vcc
	v_cndmask_b32_e32 v2, v2, v4, vcc
	s_cbranch_execnz .LBB143_214
.LBB143_213:                            ;   in Loop: Header=BB143_44 Depth=1
	v_cvt_f32_u32_e32 v2, s33
	s_sub_i32 s2, 0, s33
	v_rcp_iflag_f32_e32 v2, v2
	v_mul_f32_e32 v2, 0x4f7ffffe, v2
	v_cvt_u32_f32_e32 v2, v2
	v_mul_lo_u32 v3, s2, v2
	v_mul_hi_u32 v3, v2, v3
	v_add_u32_e32 v2, v2, v3
	v_mul_hi_u32 v2, s26, v2
	v_mul_lo_u32 v2, v2, s33
	v_sub_u32_e32 v2, s26, v2
	v_subrev_u32_e32 v3, s33, v2
	v_cmp_le_u32_e32 vcc, s33, v2
	v_cndmask_b32_e32 v2, v2, v3, vcc
	v_subrev_u32_e32 v3, s33, v2
	v_cmp_le_u32_e32 vcc, s33, v2
	v_cndmask_b32_e32 v10, v2, v3, vcc
	v_pk_mov_b32 v[2:3], v[10:11], v[10:11] op_sel:[0,1]
.LBB143_214:                            ;   in Loop: Header=BB143_44 Depth=1
	v_mov_b32_e32 v4, s3
	v_sub_co_u32_e32 v2, vcc, s26, v2
	v_subb_co_u32_e32 v3, vcc, v4, v3, vcc
	v_cmp_gt_u64_e32 vcc, v[2:3], v[0:1]
	s_mov_b64 s[2:3], 0
                                        ; implicit-def: $vgpr52
	s_and_saveexec_b64 s[26:27], vcc
	s_cbranch_execz .LBB143_227
; %bb.215:                              ;   in Loop: Header=BB143_44 Depth=1
	v_mov_b32_e32 v6, v41
	v_pk_mov_b32 v[4:5], v[0:1], v[0:1] op_sel:[0,1]
                                        ; implicit-def: $sgpr28_sgpr29
	s_branch .LBB143_217
.LBB143_216:                            ;   in Loop: Header=BB143_217 Depth=2
	s_or_b64 exec, exec, s[6:7]
	s_waitcnt lgkmcnt(0)
	s_barrier
	ds_read_b32 v7, v11 offset:3072
	v_add_co_u32_e64 v4, s[6:7], s33, v4
	v_add_u32_e32 v6, s80, v6
	s_waitcnt lgkmcnt(0)
	v_and_b32_e32 v8, 0x7fff, v7
	v_cmp_ne_u16_e32 vcc, 0, v8
	v_mov_b32_e32 v8, s86
	v_addc_co_u32_e64 v5, s[6:7], v5, v8, s[6:7]
	v_cmp_ge_u64_e64 s[6:7], v[4:5], v[2:3]
	s_or_b64 s[6:7], s[6:7], vcc
	s_and_b64 s[6:7], exec, s[6:7]
	s_or_b64 s[2:3], s[6:7], s[2:3]
	s_andn2_b64 s[6:7], s[28:29], exec
	s_and_b64 s[28:29], vcc, exec
	s_or_b64 s[28:29], s[6:7], s[28:29]
	s_barrier
	s_andn2_b64 exec, exec, s[2:3]
	s_cbranch_execz .LBB143_226
.LBB143_217:                            ;   Parent Loop BB143_44 Depth=1
                                        ; =>  This Inner Loop Header: Depth=2
	v_cmp_gt_u64_e32 vcc, s[0:1], v[4:5]
	v_mov_b32_e32 v7, 0
	s_and_saveexec_b64 s[6:7], vcc
	s_cbranch_execz .LBB143_219
; %bb.218:                              ;   in Loop: Header=BB143_217 Depth=2
	ds_read_u16 v7, v6
.LBB143_219:                            ;   in Loop: Header=BB143_217 Depth=2
	s_or_b64 exec, exec, s[6:7]
	s_and_saveexec_b64 s[6:7], vcc
	s_cbranch_execz .LBB143_216
; %bb.220:                              ;   in Loop: Header=BB143_217 Depth=2
	s_waitcnt lgkmcnt(0)
	v_cmp_lt_i16_e32 vcc, -1, v7
	v_cndmask_b32_e32 v8, v47, v48, vcc
	v_lshlrev_b32_e32 v9, 16, v7
	v_xor_b32_sdwa v8, v8, v7 dst_sel:DWORD dst_unused:UNUSED_PAD src0_sel:DWORD src1_sel:WORD_0
	v_cmp_o_f32_e32 vcc, v9, v9
	v_cndmask_b32_e32 v8, v47, v8, vcc
	v_and_b32_e32 v8, s81, v8
	v_cmp_eq_u32_e32 vcc, s60, v8
	s_and_b64 exec, exec, vcc
	s_cbranch_execz .LBB143_216
; %bb.221:                              ;   in Loop: Header=BB143_217 Depth=2
	v_perm_b32 v7, v7, s90, v51
	ds_write_b32 v11, v7 offset:3072
	s_branch .LBB143_216
.LBB143_222:                            ;   in Loop: Header=BB143_44 Depth=1
	s_mov_b64 s[70:71], s[88:89]
                                        ; implicit-def: $sgpr0_sgpr1
                                        ; implicit-def: $sgpr30_sgpr31
                                        ; implicit-def: $sgpr28_sgpr29
	s_branch .LBB143_241
.LBB143_223:                            ;   in Loop: Header=BB143_44 Depth=1
                                        ; implicit-def: $vgpr2_vgpr3
	s_branch .LBB143_163
.LBB143_224:                            ;   in Loop: Header=BB143_44 Depth=1
                                        ; implicit-def: $vgpr2_vgpr3
	s_branch .LBB143_183
.LBB143_225:                            ;   in Loop: Header=BB143_44 Depth=1
	s_mov_b64 s[0:1], -1
	s_mov_b64 s[2:3], 0
                                        ; implicit-def: $sgpr28_sgpr29
                                        ; implicit-def: $vgpr52
	s_mov_b64 s[30:31], s[0:1]
	s_cbranch_execnz .LBB143_228
	s_branch .LBB143_241
.LBB143_226:                            ;   in Loop: Header=BB143_44 Depth=1
	s_or_b64 exec, exec, s[2:3]
	v_lshrrev_b32_e32 v52, 16, v7
	s_and_b64 s[2:3], s[28:29], exec
.LBB143_227:                            ;   in Loop: Header=BB143_44 Depth=1
	s_or_b64 exec, exec, s[26:27]
	s_mov_b64 s[28:29], -1
	s_mov_b64 s[0:1], 0
	s_mov_b64 s[30:31], s[0:1]
	s_branch .LBB143_241
.LBB143_228:                            ;   in Loop: Header=BB143_44 Depth=1
	s_mov_b32 s68, s77
	s_cmp_lg_u64 s[68:69], 0
	s_cbranch_scc0 .LBB143_271
; %bb.229:                              ;   in Loop: Header=BB143_44 Depth=1
	v_cvt_f32_u32_e32 v2, s33
	s_sub_u32 s0, 0, s33
	s_subb_u32 s1, 0, 0
	v_readlane_b32 s4, v56, 23
	v_mac_f32_e32 v2, 0, v49
	v_rcp_f32_e32 v2, v2
	v_mul_f32_e32 v2, 0x5f7ffffc, v2
	v_mul_f32_e32 v3, 0x2f800000, v2
	v_trunc_f32_e32 v3, v3
	v_mac_f32_e32 v2, 0xcf800000, v3
	v_cvt_u32_f32_e32 v3, v3
	v_cvt_u32_f32_e32 v2, v2
	v_readfirstlane_b32 s2, v3
	v_readfirstlane_b32 s3, v2
	s_mul_i32 s6, s0, s2
	s_mul_hi_u32 s26, s0, s3
	s_mul_i32 s7, s1, s3
	s_add_i32 s6, s26, s6
	s_mul_i32 s27, s0, s3
	s_add_i32 s6, s6, s7
	s_mul_hi_u32 s26, s3, s27
	s_mul_hi_u32 s7, s3, s6
	s_mul_i32 s3, s3, s6
	s_add_u32 s3, s26, s3
	s_addc_u32 s7, 0, s7
	s_mul_hi_u32 s28, s2, s27
	s_mul_i32 s27, s2, s27
	s_add_u32 s3, s3, s27
	s_mul_hi_u32 s26, s2, s6
	s_addc_u32 s3, s7, s28
	s_addc_u32 s7, s26, 0
	s_mul_i32 s6, s2, s6
	s_add_u32 s3, s3, s6
	s_addc_u32 s6, 0, s7
	v_add_co_u32_e32 v2, vcc, s3, v2
	s_cmp_lg_u64 vcc, 0
	s_addc_u32 s2, s2, s6
	v_readfirstlane_b32 s6, v2
	s_mul_i32 s3, s0, s2
	s_mul_hi_u32 s7, s0, s6
	s_add_i32 s3, s7, s3
	s_mul_i32 s1, s1, s6
	s_add_i32 s3, s3, s1
	s_mul_i32 s0, s0, s6
	s_mul_hi_u32 s7, s2, s0
	s_mul_i32 s26, s2, s0
	s_mul_i32 s28, s6, s3
	s_mul_hi_u32 s0, s6, s0
	s_mul_hi_u32 s27, s6, s3
	s_add_u32 s0, s0, s28
	s_addc_u32 s6, 0, s27
	s_add_u32 s0, s0, s26
	s_mul_hi_u32 s1, s2, s3
	s_addc_u32 s0, s6, s7
	s_addc_u32 s1, s1, 0
	s_mul_i32 s3, s2, s3
	s_add_u32 s0, s0, s3
	s_addc_u32 s1, 0, s1
	v_add_co_u32_e32 v2, vcc, s0, v2
	s_cmp_lg_u64 vcc, 0
	s_addc_u32 s0, s2, s1
	v_readfirstlane_b32 s3, v2
	s_mul_i32 s2, s4, s0
	s_mul_hi_u32 s6, s4, s3
	s_mul_hi_u32 s1, s4, s0
	s_add_u32 s2, s6, s2
	s_addc_u32 s1, 0, s1
	s_mul_hi_u32 s7, s69, s3
	s_mul_i32 s3, s69, s3
	s_add_u32 s2, s2, s3
	s_mul_hi_u32 s6, s69, s0
	s_addc_u32 s1, s1, s7
	s_addc_u32 s2, s6, 0
	s_mul_i32 s0, s69, s0
	s_add_u32 s0, s1, s0
	s_addc_u32 s1, 0, s2
	s_mul_hi_u32 s2, s33, s0
	s_mul_i32 s0, s33, s0
	s_mul_i32 s1, s33, s1
	v_mov_b32_e32 v2, s0
	s_add_i32 s2, s2, s1
	v_sub_co_u32_e32 v2, vcc, s4, v2
	s_cmp_lg_u64 vcc, 0
	s_subb_u32 s0, s69, s2
	v_subrev_co_u32_e32 v3, vcc, s33, v2
	s_cmp_lg_u64 vcc, 0
	s_subb_u32 s1, s0, 0
	v_subrev_co_u32_e32 v4, vcc, s33, v3
	s_cmp_lg_u64 vcc, 0
	s_subb_u32 s2, s1, 0
	v_cmp_le_u32_e32 vcc, s33, v3
	s_cmp_eq_u32 s1, 0
	v_cndmask_b32_e64 v5, 0, -1, vcc
	s_cselect_b64 vcc, -1, 0
	v_cndmask_b32_e32 v5, -1, v5, vcc
	v_mov_b32_e32 v6, s1
	v_mov_b32_e32 v7, s2
	v_cmp_ne_u32_e32 vcc, 0, v5
	v_cndmask_b32_e32 v5, v6, v7, vcc
	v_cndmask_b32_e32 v4, v3, v4, vcc
	v_cmp_le_u32_e32 vcc, s33, v2
	s_cmp_eq_u32 s0, 0
	v_cndmask_b32_e64 v3, 0, -1, vcc
	s_cselect_b64 vcc, -1, 0
	v_cndmask_b32_e32 v3, -1, v3, vcc
	v_mov_b32_e32 v6, s0
	v_cmp_ne_u32_e32 vcc, 0, v3
	v_cndmask_b32_e32 v3, v6, v5, vcc
	v_cndmask_b32_e32 v2, v2, v4, vcc
	s_cbranch_execnz .LBB143_231
.LBB143_230:                            ;   in Loop: Header=BB143_44 Depth=1
	v_cvt_f32_u32_e32 v2, s33
	s_sub_i32 s0, 0, s33
	v_rcp_iflag_f32_e32 v2, v2
	v_mul_f32_e32 v2, 0x4f7ffffe, v2
	v_cvt_u32_f32_e32 v2, v2
	v_mul_lo_u32 v3, s0, v2
	v_mul_hi_u32 v3, v2, v3
	v_add_u32_e32 v2, v2, v3
	v_readlane_b32 s0, v56, 23
	v_mul_hi_u32 v2, s0, v2
	v_mul_lo_u32 v2, v2, s33
	v_sub_u32_e32 v2, s0, v2
	v_subrev_u32_e32 v3, s33, v2
	v_cmp_le_u32_e32 vcc, s33, v2
	v_cndmask_b32_e32 v2, v2, v3, vcc
	v_subrev_u32_e32 v3, s33, v2
	v_cmp_le_u32_e32 vcc, s33, v2
	v_cndmask_b32_e32 v10, v2, v3, vcc
	v_pk_mov_b32 v[2:3], v[10:11], v[10:11] op_sel:[0,1]
.LBB143_231:                            ;   in Loop: Header=BB143_44 Depth=1
	v_readlane_b32 s0, v56, 23
	v_mov_b32_e32 v4, s69
	v_sub_co_u32_e32 v2, vcc, s0, v2
	v_subb_co_u32_e32 v3, vcc, v4, v3, vcc
	v_cmp_gt_u64_e32 vcc, v[2:3], v[0:1]
	s_mov_b64 s[2:3], 0
                                        ; implicit-def: $vgpr52
	s_and_saveexec_b64 s[0:1], vcc
	s_cbranch_execz .LBB143_240
; %bb.232:                              ;   in Loop: Header=BB143_44 Depth=1
	v_pk_mov_b32 v[4:5], v[12:13], v[12:13] op_sel:[0,1]
	v_pk_mov_b32 v[6:7], v[0:1], v[0:1] op_sel:[0,1]
                                        ; implicit-def: $sgpr26_sgpr27
	s_branch .LBB143_234
.LBB143_233:                            ;   in Loop: Header=BB143_234 Depth=2
	s_or_b64 exec, exec, s[6:7]
	s_waitcnt lgkmcnt(0)
	s_barrier
	s_waitcnt vmcnt(0)
	ds_read_b32 v8, v11 offset:3072
	v_add_co_u32_e64 v6, s[6:7], s33, v6
	s_waitcnt lgkmcnt(0)
	s_barrier
	v_and_b32_e32 v9, 0x7fff, v8
	v_cmp_ne_u16_e32 vcc, 0, v9
	v_mov_b32_e32 v9, s86
	v_addc_co_u32_e64 v7, s[6:7], v7, v9, s[6:7]
	v_cmp_ge_u64_e64 s[6:7], v[6:7], v[2:3]
	s_or_b64 s[28:29], s[6:7], vcc
	v_mov_b32_e32 v9, s73
	v_add_co_u32_e64 v4, s[6:7], s72, v4
	v_addc_co_u32_e64 v5, s[6:7], v5, v9, s[6:7]
	s_and_b64 s[6:7], exec, s[28:29]
	s_or_b64 s[2:3], s[6:7], s[2:3]
	s_andn2_b64 s[6:7], s[26:27], exec
	s_and_b64 s[26:27], vcc, exec
	s_or_b64 s[26:27], s[6:7], s[26:27]
	s_andn2_b64 exec, exec, s[2:3]
	s_cbranch_execz .LBB143_239
.LBB143_234:                            ;   Parent Loop BB143_44 Depth=1
                                        ; =>  This Inner Loop Header: Depth=2
	v_cmp_gt_u64_e32 vcc, s[52:53], v[6:7]
	v_mov_b32_e32 v8, 0
	s_and_saveexec_b64 s[6:7], vcc
	s_cbranch_execz .LBB143_236
; %bb.235:                              ;   in Loop: Header=BB143_234 Depth=2
	global_load_ushort v8, v[4:5], off
.LBB143_236:                            ;   in Loop: Header=BB143_234 Depth=2
	s_or_b64 exec, exec, s[6:7]
	s_and_saveexec_b64 s[6:7], vcc
	s_cbranch_execz .LBB143_233
; %bb.237:                              ;   in Loop: Header=BB143_234 Depth=2
	s_waitcnt vmcnt(0)
	v_cmp_lt_i16_e32 vcc, -1, v8
	v_cndmask_b32_e32 v9, v47, v48, vcc
	v_lshlrev_b32_e32 v10, 16, v8
	v_xor_b32_sdwa v9, v9, v8 dst_sel:DWORD dst_unused:UNUSED_PAD src0_sel:DWORD src1_sel:WORD_0
	v_cmp_o_f32_e32 vcc, v10, v10
	v_cndmask_b32_e32 v9, v47, v9, vcc
	v_and_b32_e32 v9, s81, v9
	v_cmp_eq_u32_e32 vcc, s60, v9
	s_and_b64 exec, exec, vcc
	s_cbranch_execz .LBB143_233
; %bb.238:                              ;   in Loop: Header=BB143_234 Depth=2
	v_perm_b32 v8, v8, s90, v51
	ds_write_b32 v11, v8 offset:3072
	s_branch .LBB143_233
.LBB143_239:                            ;   in Loop: Header=BB143_44 Depth=1
	s_or_b64 exec, exec, s[2:3]
	v_lshrrev_b32_e32 v52, 16, v8
	s_and_b64 s[2:3], s[26:27], exec
.LBB143_240:                            ;   in Loop: Header=BB143_44 Depth=1
	s_or_b64 exec, exec, s[0:1]
	s_mov_b64 s[30:31], -1
	s_mov_b64 s[0:1], 0
	s_mov_b64 s[28:29], 0
.LBB143_241:                            ;   in Loop: Header=BB143_44 Depth=1
	s_mov_b64 s[6:7], 0
                                        ; implicit-def: $sgpr45
	s_and_saveexec_b64 s[34:35], s[2:3]
	s_cbranch_execz .LBB143_303
; %bb.242:                              ;   in Loop: Header=BB143_44 Depth=1
	s_xor_b64 s[2:3], s[36:37], -1
	s_andn2_b64 vcc, exec, s[2:3]
	s_mov_b32 s45, 1
	s_cbranch_vccnz .LBB143_253
; %bb.243:                              ;   in Loop: Header=BB143_44 Depth=1
	v_pk_mov_b32 v[2:3], s[16:17], s[16:17] op_sel:[0,1]
	v_cmp_gt_u64_e32 vcc, s[50:51], v[2:3]
	s_mov_b64 s[2:3], -1
                                        ; implicit-def: $sgpr45
                                        ; implicit-def: $sgpr6
                                        ; implicit-def: $sgpr7
	s_cbranch_vccnz .LBB143_249
; %bb.244:                              ;   in Loop: Header=BB143_44 Depth=1
	ds_read_b64 v[2:3], v11 offset:5120
	s_waitcnt lgkmcnt(0)
	v_cmp_ne_u64_e32 vcc, 0, v[2:3]
	s_cbranch_vccnz .LBB143_248
; %bb.245:                              ;   in Loop: Header=BB143_44 Depth=1
	v_readlane_b32 s4, v56, 14
	v_readlane_b32 s5, v56, 15
	s_and_saveexec_b64 s[2:3], s[4:5]
	s_cbranch_execz .LBB143_247
; %bb.246:                              ;   in Loop: Header=BB143_44 Depth=1
	v_pk_mov_b32 v[2:3], s[16:17], s[16:17] op_sel:[0,1]
	ds_write_b64 v11, v[2:3] offset:5128
.LBB143_247:                            ;   in Loop: Header=BB143_44 Depth=1
	s_or_b64 exec, exec, s[2:3]
	s_waitcnt lgkmcnt(0)
	s_barrier
.LBB143_248:                            ;   in Loop: Header=BB143_44 Depth=1
	s_lshl_b32 s2, 2, s38
	s_and_b32 s3, s60, s39
	s_or_b32 s6, s3, s2
	s_or_b32 s7, s81, s44
	s_mov_b64 s[2:3], 0
	s_mov_b32 s45, 8
.LBB143_249:                            ;   in Loop: Header=BB143_44 Depth=1
	s_mov_b64 s[88:89], s[42:43]
	s_mov_b64 s[82:83], s[40:41]
	s_andn2_b64 vcc, exec, s[2:3]
	s_cbranch_vccnz .LBB143_251
; %bb.250:                              ;   in Loop: Header=BB143_44 Depth=1
	s_sub_u32 s50, s50, s16
	s_subb_u32 s51, s51, s17
	s_mov_b64 s[2:3], -1
	s_mov_b32 s45, 0
	s_mov_b32 s6, s60
	;; [unrolled: 1-line block ×3, first 2 shown]
.LBB143_251:                            ;   in Loop: Header=BB143_44 Depth=1
	s_mov_b32 s81, s7
	s_mov_b32 s60, s6
	s_andn2_b64 vcc, exec, s[2:3]
	s_mov_b64 s[40:41], -1
	s_cbranch_vccz .LBB143_254
.LBB143_252:                            ;   in Loop: Header=BB143_44 Depth=1
                                        ; implicit-def: $sgpr2_sgpr3
                                        ; implicit-def: $sgpr26_sgpr27
                                        ; implicit-def: $sgpr6_sgpr7
	s_branch .LBB143_302
.LBB143_253:                            ;   in Loop: Header=BB143_44 Depth=1
	s_mov_b64 s[88:89], s[42:43]
	s_mov_b64 s[82:83], s[40:41]
	;; [unrolled: 1-line block ×3, first 2 shown]
	s_mov_b64 s[40:41], -1
	s_cbranch_execnz .LBB143_252
.LBB143_254:                            ;   in Loop: Header=BB143_44 Depth=1
	s_cmp_eq_u64 s[10:11], 1
	s_cselect_b64 s[2:3], -1, 0
	s_cmp_eq_u64 s[50:51], 1
	s_cselect_b64 s[6:7], -1, 0
	s_and_b64 s[16:17], s[2:3], s[6:7]
	s_mov_b64 s[36:37], -1
	s_and_b64 vcc, exec, s[16:17]
	s_cbranch_vccz .LBB143_269
; %bb.255:                              ;   in Loop: Header=BB143_44 Depth=1
	ds_read_b64 v[2:3], v11 offset:5120
	v_readlane_b32 s4, v56, 16
	v_readlane_b32 s5, v56, 17
	s_waitcnt lgkmcnt(0)
	s_barrier
	v_readfirstlane_b32 s2, v2
	v_readfirstlane_b32 s3, v3
	s_and_saveexec_b64 s[6:7], s[4:5]
	s_cbranch_execz .LBB143_257
; %bb.256:                              ;   in Loop: Header=BB143_44 Depth=1
	ds_write_b16 v42, v15
.LBB143_257:                            ;   in Loop: Header=BB143_44 Depth=1
	s_or_b64 exec, exec, s[6:7]
	s_or_b32 s60, s60, s44
	s_or_b32 s81, s81, s44
	s_cmp_eq_u64 s[2:3], 0
	s_waitcnt lgkmcnt(0)
	s_barrier
	s_cbranch_scc1 .LBB143_272
; %bb.258:                              ;   in Loop: Header=BB143_44 Depth=1
	v_readlane_b32 s4, v56, 22
	s_add_u32 s36, s4, s2
	v_readlane_b32 s4, v56, 24
	s_addc_u32 s7, s4, s3
	s_mov_b32 s6, s77
	s_cmp_lg_u64 s[6:7], 0
	s_cbranch_scc0 .LBB143_308
; %bb.259:                              ;   in Loop: Header=BB143_44 Depth=1
	v_cvt_f32_u32_e32 v2, s33
	s_sub_u32 s6, 0, s33
	s_subb_u32 s26, 0, 0
	v_mac_f32_e32 v2, 0, v49
	v_rcp_f32_e32 v2, v2
	v_mul_f32_e32 v2, 0x5f7ffffc, v2
	v_mul_f32_e32 v3, 0x2f800000, v2
	v_trunc_f32_e32 v3, v3
	v_mac_f32_e32 v2, 0xcf800000, v3
	v_cvt_u32_f32_e32 v3, v3
	v_cvt_u32_f32_e32 v2, v2
	v_readfirstlane_b32 s27, v3
	v_readfirstlane_b32 s37, v2
	s_mul_i32 s38, s6, s27
	s_mul_hi_u32 s40, s6, s37
	s_mul_i32 s39, s26, s37
	s_add_i32 s38, s40, s38
	s_mul_i32 s41, s6, s37
	s_add_i32 s38, s38, s39
	s_mul_hi_u32 s40, s37, s41
	s_mul_hi_u32 s39, s37, s38
	s_mul_i32 s37, s37, s38
	s_add_u32 s37, s40, s37
	s_addc_u32 s39, 0, s39
	s_mul_hi_u32 s42, s27, s41
	s_mul_i32 s41, s27, s41
	s_add_u32 s37, s37, s41
	s_mul_hi_u32 s40, s27, s38
	s_addc_u32 s37, s39, s42
	s_addc_u32 s39, s40, 0
	s_mul_i32 s38, s27, s38
	s_add_u32 s37, s37, s38
	s_addc_u32 s38, 0, s39
	v_add_co_u32_e32 v2, vcc, s37, v2
	s_cmp_lg_u64 vcc, 0
	s_addc_u32 s27, s27, s38
	v_readfirstlane_b32 s38, v2
	s_mul_i32 s37, s6, s27
	s_mul_hi_u32 s39, s6, s38
	s_add_i32 s37, s39, s37
	s_mul_i32 s26, s26, s38
	s_add_i32 s37, s37, s26
	s_mul_i32 s6, s6, s38
	s_mul_hi_u32 s39, s27, s6
	s_mul_i32 s40, s27, s6
	s_mul_i32 s42, s38, s37
	s_mul_hi_u32 s6, s38, s6
	s_mul_hi_u32 s41, s38, s37
	s_add_u32 s6, s6, s42
	s_addc_u32 s38, 0, s41
	s_add_u32 s6, s6, s40
	s_mul_hi_u32 s26, s27, s37
	s_addc_u32 s6, s38, s39
	s_addc_u32 s26, s26, 0
	s_mul_i32 s37, s27, s37
	s_add_u32 s6, s6, s37
	s_addc_u32 s26, 0, s26
	v_add_co_u32_e32 v2, vcc, s6, v2
	s_cmp_lg_u64 vcc, 0
	s_addc_u32 s6, s27, s26
	v_readfirstlane_b32 s37, v2
	s_mul_i32 s27, s36, s6
	s_mul_hi_u32 s38, s36, s37
	s_mul_hi_u32 s26, s36, s6
	s_add_u32 s27, s38, s27
	s_addc_u32 s26, 0, s26
	s_mul_hi_u32 s39, s7, s37
	s_mul_i32 s37, s7, s37
	s_add_u32 s27, s27, s37
	s_mul_hi_u32 s38, s7, s6
	s_addc_u32 s26, s26, s39
	s_addc_u32 s27, s38, 0
	s_mul_i32 s6, s7, s6
	s_add_u32 s6, s26, s6
	s_addc_u32 s26, 0, s27
	s_mul_hi_u32 s27, s33, s6
	s_mul_i32 s6, s33, s6
	s_mul_i32 s26, s33, s26
	v_mov_b32_e32 v2, s6
	s_add_i32 s27, s27, s26
	v_sub_co_u32_e32 v2, vcc, s36, v2
	s_cmp_lg_u64 vcc, 0
	s_subb_u32 s6, s7, s27
	v_subrev_co_u32_e32 v3, vcc, s33, v2
	s_cmp_lg_u64 vcc, 0
	s_subb_u32 s26, s6, 0
	v_subrev_co_u32_e32 v4, vcc, s33, v3
	s_cmp_lg_u64 vcc, 0
	s_subb_u32 s27, s26, 0
	v_cmp_le_u32_e32 vcc, s33, v3
	s_cmp_eq_u32 s26, 0
	v_cndmask_b32_e64 v5, 0, -1, vcc
	s_cselect_b64 vcc, -1, 0
	v_cndmask_b32_e32 v5, -1, v5, vcc
	v_mov_b32_e32 v6, s26
	v_mov_b32_e32 v7, s27
	v_cmp_ne_u32_e32 vcc, 0, v5
	v_cndmask_b32_e32 v5, v6, v7, vcc
	v_cndmask_b32_e32 v4, v3, v4, vcc
	v_cmp_le_u32_e32 vcc, s33, v2
	s_cmp_eq_u32 s6, 0
	v_cndmask_b32_e64 v3, 0, -1, vcc
	s_cselect_b64 vcc, -1, 0
	v_cndmask_b32_e32 v3, -1, v3, vcc
	v_mov_b32_e32 v6, s6
	v_cmp_ne_u32_e32 vcc, 0, v3
	v_cndmask_b32_e32 v3, v6, v5, vcc
	v_cndmask_b32_e32 v2, v2, v4, vcc
	s_cbranch_execnz .LBB143_261
.LBB143_260:                            ;   in Loop: Header=BB143_44 Depth=1
	v_cvt_f32_u32_e32 v2, s33
	s_sub_i32 s6, 0, s33
	v_rcp_iflag_f32_e32 v2, v2
	v_mul_f32_e32 v2, 0x4f7ffffe, v2
	v_cvt_u32_f32_e32 v2, v2
	v_mul_lo_u32 v3, s6, v2
	v_mul_hi_u32 v3, v2, v3
	v_add_u32_e32 v2, v2, v3
	v_mul_hi_u32 v2, s36, v2
	v_mul_lo_u32 v2, v2, s33
	v_sub_u32_e32 v2, s36, v2
	v_subrev_u32_e32 v3, s33, v2
	v_cmp_le_u32_e32 vcc, s33, v2
	v_cndmask_b32_e32 v2, v2, v3, vcc
	v_subrev_u32_e32 v3, s33, v2
	v_cmp_le_u32_e32 vcc, s33, v2
	v_cndmask_b32_e32 v10, v2, v3, vcc
	v_pk_mov_b32 v[2:3], v[10:11], v[10:11] op_sel:[0,1]
.LBB143_261:                            ;   in Loop: Header=BB143_44 Depth=1
	v_mov_b32_e32 v4, s7
	v_sub_co_u32_e32 v2, vcc, s36, v2
	v_subb_co_u32_e32 v3, vcc, v4, v3, vcc
	v_cmp_gt_u64_e32 vcc, v[2:3], v[0:1]
	s_mov_b64 s[36:37], 0
                                        ; implicit-def: $vgpr52
	s_and_saveexec_b64 s[26:27], vcc
	s_cbranch_execz .LBB143_274
; %bb.262:                              ;   in Loop: Header=BB143_44 Depth=1
	v_mov_b32_e32 v6, v41
	v_pk_mov_b32 v[4:5], v[0:1], v[0:1] op_sel:[0,1]
                                        ; implicit-def: $sgpr38_sgpr39
	s_branch .LBB143_264
.LBB143_263:                            ;   in Loop: Header=BB143_264 Depth=2
	s_or_b64 exec, exec, s[6:7]
	s_waitcnt lgkmcnt(0)
	s_barrier
	ds_read_b32 v7, v11 offset:3072
	v_add_co_u32_e64 v4, s[6:7], s33, v4
	v_add_u32_e32 v6, s80, v6
	s_waitcnt lgkmcnt(0)
	v_and_b32_e32 v8, 0x7fff, v7
	v_cmp_ne_u16_e32 vcc, 0, v8
	v_mov_b32_e32 v8, s86
	v_addc_co_u32_e64 v5, s[6:7], v5, v8, s[6:7]
	v_cmp_ge_u64_e64 s[6:7], v[4:5], v[2:3]
	s_or_b64 s[6:7], s[6:7], vcc
	s_and_b64 s[6:7], exec, s[6:7]
	s_or_b64 s[36:37], s[6:7], s[36:37]
	s_andn2_b64 s[6:7], s[38:39], exec
	s_and_b64 s[38:39], vcc, exec
	s_or_b64 s[38:39], s[6:7], s[38:39]
	s_barrier
	s_andn2_b64 exec, exec, s[36:37]
	s_cbranch_execz .LBB143_273
.LBB143_264:                            ;   Parent Loop BB143_44 Depth=1
                                        ; =>  This Inner Loop Header: Depth=2
	v_cmp_gt_u64_e32 vcc, s[2:3], v[4:5]
	v_mov_b32_e32 v7, 0
	s_and_saveexec_b64 s[6:7], vcc
	s_cbranch_execz .LBB143_266
; %bb.265:                              ;   in Loop: Header=BB143_264 Depth=2
	ds_read_u16 v7, v6
.LBB143_266:                            ;   in Loop: Header=BB143_264 Depth=2
	s_or_b64 exec, exec, s[6:7]
	s_and_saveexec_b64 s[6:7], vcc
	s_cbranch_execz .LBB143_263
; %bb.267:                              ;   in Loop: Header=BB143_264 Depth=2
	s_waitcnt lgkmcnt(0)
	v_cmp_lt_i16_e32 vcc, -1, v7
	v_cndmask_b32_e32 v8, v47, v48, vcc
	v_lshlrev_b32_e32 v9, 16, v7
	v_xor_b32_sdwa v8, v8, v7 dst_sel:DWORD dst_unused:UNUSED_PAD src0_sel:DWORD src1_sel:WORD_0
	v_cmp_o_f32_e32 vcc, v9, v9
	v_cndmask_b32_e32 v8, v47, v8, vcc
	v_and_b32_e32 v8, s81, v8
	v_cmp_eq_u32_e32 vcc, s60, v8
	s_and_b64 exec, exec, vcc
	s_cbranch_execz .LBB143_263
; %bb.268:                              ;   in Loop: Header=BB143_264 Depth=2
	v_perm_b32 v7, v7, s90, v51
	ds_write_b32 v11, v7 offset:3072
	s_branch .LBB143_263
.LBB143_269:                            ;   in Loop: Header=BB143_44 Depth=1
                                        ; implicit-def: $sgpr2_sgpr3
                                        ; implicit-def: $sgpr26_sgpr27
                                        ; implicit-def: $sgpr6_sgpr7
	s_branch .LBB143_288
.LBB143_270:                            ;   in Loop: Header=BB143_44 Depth=1
                                        ; implicit-def: $vgpr2_vgpr3
	s_andn2_b64 vcc, exec, s[6:7]
	s_cbranch_vccz .LBB143_213
	s_branch .LBB143_214
.LBB143_271:                            ;   in Loop: Header=BB143_44 Depth=1
                                        ; implicit-def: $vgpr2_vgpr3
	s_branch .LBB143_230
.LBB143_272:                            ;   in Loop: Header=BB143_44 Depth=1
	s_mov_b64 s[2:3], -1
	s_mov_b64 s[36:37], 0
                                        ; implicit-def: $sgpr6_sgpr7
                                        ; implicit-def: $vgpr52
	s_mov_b64 s[26:27], s[2:3]
	s_cbranch_execnz .LBB143_275
	s_branch .LBB143_288
.LBB143_273:                            ;   in Loop: Header=BB143_44 Depth=1
	s_or_b64 exec, exec, s[36:37]
	v_lshrrev_b32_e32 v52, 16, v7
	s_and_b64 s[36:37], s[38:39], exec
.LBB143_274:                            ;   in Loop: Header=BB143_44 Depth=1
	s_or_b64 exec, exec, s[26:27]
	s_mov_b64 s[6:7], -1
	s_mov_b64 s[2:3], 0
	s_mov_b64 s[26:27], s[2:3]
	s_branch .LBB143_288
.LBB143_275:                            ;   in Loop: Header=BB143_44 Depth=1
	s_mov_b32 s68, s77
	s_cmp_lg_u64 s[68:69], 0
	s_cbranch_scc0 .LBB143_309
; %bb.276:                              ;   in Loop: Header=BB143_44 Depth=1
	v_cvt_f32_u32_e32 v2, s33
	s_sub_u32 s2, 0, s33
	s_subb_u32 s3, 0, 0
	v_readlane_b32 s4, v56, 23
	v_mac_f32_e32 v2, 0, v49
	v_rcp_f32_e32 v2, v2
	v_mul_f32_e32 v2, 0x5f7ffffc, v2
	v_mul_f32_e32 v3, 0x2f800000, v2
	v_trunc_f32_e32 v3, v3
	v_mac_f32_e32 v2, 0xcf800000, v3
	v_cvt_u32_f32_e32 v3, v3
	v_cvt_u32_f32_e32 v2, v2
	v_readfirstlane_b32 s6, v3
	v_readfirstlane_b32 s7, v2
	s_mul_i32 s26, s2, s6
	s_mul_hi_u32 s36, s2, s7
	s_mul_i32 s27, s3, s7
	s_add_i32 s26, s36, s26
	s_mul_i32 s37, s2, s7
	s_add_i32 s26, s26, s27
	s_mul_hi_u32 s36, s7, s37
	s_mul_hi_u32 s27, s7, s26
	s_mul_i32 s7, s7, s26
	s_add_u32 s7, s36, s7
	s_addc_u32 s27, 0, s27
	s_mul_hi_u32 s38, s6, s37
	s_mul_i32 s37, s6, s37
	s_add_u32 s7, s7, s37
	s_mul_hi_u32 s36, s6, s26
	s_addc_u32 s7, s27, s38
	s_addc_u32 s27, s36, 0
	s_mul_i32 s26, s6, s26
	s_add_u32 s7, s7, s26
	s_addc_u32 s26, 0, s27
	v_add_co_u32_e32 v2, vcc, s7, v2
	s_cmp_lg_u64 vcc, 0
	s_addc_u32 s6, s6, s26
	v_readfirstlane_b32 s26, v2
	s_mul_i32 s7, s2, s6
	s_mul_hi_u32 s27, s2, s26
	s_add_i32 s7, s27, s7
	s_mul_i32 s3, s3, s26
	s_add_i32 s7, s7, s3
	s_mul_i32 s2, s2, s26
	s_mul_hi_u32 s27, s6, s2
	s_mul_i32 s36, s6, s2
	s_mul_i32 s38, s26, s7
	s_mul_hi_u32 s2, s26, s2
	s_mul_hi_u32 s37, s26, s7
	s_add_u32 s2, s2, s38
	s_addc_u32 s26, 0, s37
	s_add_u32 s2, s2, s36
	s_mul_hi_u32 s3, s6, s7
	s_addc_u32 s2, s26, s27
	s_addc_u32 s3, s3, 0
	s_mul_i32 s7, s6, s7
	s_add_u32 s2, s2, s7
	s_addc_u32 s3, 0, s3
	v_add_co_u32_e32 v2, vcc, s2, v2
	s_cmp_lg_u64 vcc, 0
	s_addc_u32 s2, s6, s3
	v_readfirstlane_b32 s7, v2
	s_mul_i32 s6, s4, s2
	s_mul_hi_u32 s26, s4, s7
	s_mul_hi_u32 s3, s4, s2
	s_add_u32 s6, s26, s6
	s_addc_u32 s3, 0, s3
	s_mul_hi_u32 s27, s69, s7
	s_mul_i32 s7, s69, s7
	s_add_u32 s6, s6, s7
	s_mul_hi_u32 s26, s69, s2
	s_addc_u32 s3, s3, s27
	s_addc_u32 s6, s26, 0
	s_mul_i32 s2, s69, s2
	s_add_u32 s2, s3, s2
	s_addc_u32 s3, 0, s6
	s_mul_hi_u32 s6, s33, s2
	s_mul_i32 s2, s33, s2
	s_mul_i32 s3, s33, s3
	v_mov_b32_e32 v2, s2
	s_add_i32 s6, s6, s3
	v_sub_co_u32_e32 v2, vcc, s4, v2
	s_cmp_lg_u64 vcc, 0
	s_subb_u32 s2, s69, s6
	v_subrev_co_u32_e32 v3, vcc, s33, v2
	s_cmp_lg_u64 vcc, 0
	s_subb_u32 s3, s2, 0
	v_subrev_co_u32_e32 v4, vcc, s33, v3
	s_cmp_lg_u64 vcc, 0
	s_subb_u32 s6, s3, 0
	v_cmp_le_u32_e32 vcc, s33, v3
	s_cmp_eq_u32 s3, 0
	v_cndmask_b32_e64 v5, 0, -1, vcc
	s_cselect_b64 vcc, -1, 0
	v_cndmask_b32_e32 v5, -1, v5, vcc
	v_mov_b32_e32 v6, s3
	v_mov_b32_e32 v7, s6
	v_cmp_ne_u32_e32 vcc, 0, v5
	v_cndmask_b32_e32 v5, v6, v7, vcc
	v_cndmask_b32_e32 v4, v3, v4, vcc
	v_cmp_le_u32_e32 vcc, s33, v2
	s_cmp_eq_u32 s2, 0
	v_cndmask_b32_e64 v3, 0, -1, vcc
	s_cselect_b64 vcc, -1, 0
	v_cndmask_b32_e32 v3, -1, v3, vcc
	v_mov_b32_e32 v6, s2
	v_cmp_ne_u32_e32 vcc, 0, v3
	v_cndmask_b32_e32 v3, v6, v5, vcc
	v_cndmask_b32_e32 v2, v2, v4, vcc
	s_cbranch_execnz .LBB143_278
.LBB143_277:                            ;   in Loop: Header=BB143_44 Depth=1
	v_cvt_f32_u32_e32 v2, s33
	s_sub_i32 s2, 0, s33
	v_rcp_iflag_f32_e32 v2, v2
	v_mul_f32_e32 v2, 0x4f7ffffe, v2
	v_cvt_u32_f32_e32 v2, v2
	v_mul_lo_u32 v3, s2, v2
	v_mul_hi_u32 v3, v2, v3
	v_add_u32_e32 v2, v2, v3
	v_readlane_b32 s2, v56, 23
	v_mul_hi_u32 v2, s2, v2
	v_mul_lo_u32 v2, v2, s33
	v_sub_u32_e32 v2, s2, v2
	v_subrev_u32_e32 v3, s33, v2
	v_cmp_le_u32_e32 vcc, s33, v2
	v_cndmask_b32_e32 v2, v2, v3, vcc
	v_subrev_u32_e32 v3, s33, v2
	v_cmp_le_u32_e32 vcc, s33, v2
	v_cndmask_b32_e32 v10, v2, v3, vcc
	v_pk_mov_b32 v[2:3], v[10:11], v[10:11] op_sel:[0,1]
.LBB143_278:                            ;   in Loop: Header=BB143_44 Depth=1
	v_readlane_b32 s2, v56, 23
	v_mov_b32_e32 v4, s69
	v_sub_co_u32_e32 v2, vcc, s2, v2
	v_subb_co_u32_e32 v3, vcc, v4, v3, vcc
	v_cmp_gt_u64_e32 vcc, v[2:3], v[0:1]
	s_mov_b64 s[36:37], 0
                                        ; implicit-def: $vgpr52
	s_and_saveexec_b64 s[2:3], vcc
	s_cbranch_execz .LBB143_287
; %bb.279:                              ;   in Loop: Header=BB143_44 Depth=1
	s_mov_b64 s[26:27], 0
	v_pk_mov_b32 v[4:5], v[12:13], v[12:13] op_sel:[0,1]
	v_pk_mov_b32 v[6:7], v[0:1], v[0:1] op_sel:[0,1]
                                        ; implicit-def: $sgpr36_sgpr37
	s_branch .LBB143_281
.LBB143_280:                            ;   in Loop: Header=BB143_281 Depth=2
	s_or_b64 exec, exec, s[6:7]
	s_waitcnt lgkmcnt(0)
	s_barrier
	s_waitcnt vmcnt(0)
	ds_read_b32 v8, v11 offset:3072
	v_add_co_u32_e64 v6, s[6:7], s33, v6
	s_waitcnt lgkmcnt(0)
	s_barrier
	v_and_b32_e32 v9, 0x7fff, v8
	v_cmp_ne_u16_e32 vcc, 0, v9
	v_mov_b32_e32 v9, s86
	v_addc_co_u32_e64 v7, s[6:7], v7, v9, s[6:7]
	v_cmp_ge_u64_e64 s[6:7], v[6:7], v[2:3]
	s_or_b64 s[38:39], s[6:7], vcc
	v_mov_b32_e32 v9, s73
	v_add_co_u32_e64 v4, s[6:7], s72, v4
	v_addc_co_u32_e64 v5, s[6:7], v5, v9, s[6:7]
	s_and_b64 s[6:7], exec, s[38:39]
	s_or_b64 s[26:27], s[6:7], s[26:27]
	s_andn2_b64 s[6:7], s[36:37], exec
	s_and_b64 s[36:37], vcc, exec
	s_or_b64 s[36:37], s[6:7], s[36:37]
	s_andn2_b64 exec, exec, s[26:27]
	s_cbranch_execz .LBB143_286
.LBB143_281:                            ;   Parent Loop BB143_44 Depth=1
                                        ; =>  This Inner Loop Header: Depth=2
	v_cmp_gt_u64_e32 vcc, s[52:53], v[6:7]
	v_mov_b32_e32 v8, 0
	s_and_saveexec_b64 s[6:7], vcc
	s_cbranch_execz .LBB143_283
; %bb.282:                              ;   in Loop: Header=BB143_281 Depth=2
	global_load_ushort v8, v[4:5], off
.LBB143_283:                            ;   in Loop: Header=BB143_281 Depth=2
	s_or_b64 exec, exec, s[6:7]
	s_and_saveexec_b64 s[6:7], vcc
	s_cbranch_execz .LBB143_280
; %bb.284:                              ;   in Loop: Header=BB143_281 Depth=2
	s_waitcnt vmcnt(0)
	v_cmp_lt_i16_e32 vcc, -1, v8
	v_cndmask_b32_e32 v9, v47, v48, vcc
	v_lshlrev_b32_e32 v10, 16, v8
	v_xor_b32_sdwa v9, v9, v8 dst_sel:DWORD dst_unused:UNUSED_PAD src0_sel:DWORD src1_sel:WORD_0
	v_cmp_o_f32_e32 vcc, v10, v10
	v_cndmask_b32_e32 v9, v47, v9, vcc
	v_and_b32_e32 v9, s81, v9
	v_cmp_eq_u32_e32 vcc, s60, v9
	s_and_b64 exec, exec, vcc
	s_cbranch_execz .LBB143_280
; %bb.285:                              ;   in Loop: Header=BB143_281 Depth=2
	v_perm_b32 v8, v8, s90, v51
	ds_write_b32 v11, v8 offset:3072
	s_branch .LBB143_280
.LBB143_286:                            ;   in Loop: Header=BB143_44 Depth=1
	s_or_b64 exec, exec, s[26:27]
	v_lshrrev_b32_e32 v52, 16, v8
	s_and_b64 s[36:37], s[36:37], exec
.LBB143_287:                            ;   in Loop: Header=BB143_44 Depth=1
	s_or_b64 exec, exec, s[2:3]
	s_mov_b64 s[26:27], -1
	s_mov_b64 s[2:3], 0
	s_mov_b64 s[6:7], 0
.LBB143_288:                            ;   in Loop: Header=BB143_44 Depth=1
	s_mov_b64 s[40:41], 0
                                        ; implicit-def: $sgpr45
                                        ; implicit-def: $sgpr42_sgpr43
	s_and_saveexec_b64 s[38:39], s[36:37]
	s_cbranch_execz .LBB143_301
; %bb.289:                              ;   in Loop: Header=BB143_44 Depth=1
	s_xor_b64 s[16:17], s[16:17], -1
	s_mov_b64 s[42:43], 1
	s_andn2_b64 vcc, exec, s[16:17]
	s_mov_b32 s45, 1
	s_cbranch_vccnz .LBB143_300
; %bb.290:                              ;   in Loop: Header=BB143_44 Depth=1
	v_pk_mov_b32 v[2:3], s[10:11], s[10:11] op_sel:[0,1]
	v_cmp_gt_u64_e32 vcc, s[50:51], v[2:3]
	s_cbranch_vccnz .LBB143_296
; %bb.291:                              ;   in Loop: Header=BB143_44 Depth=1
	ds_read_b64 v[2:3], v11 offset:5120
	s_waitcnt lgkmcnt(0)
	v_cmp_ne_u64_e32 vcc, 0, v[2:3]
	s_cbranch_vccnz .LBB143_295
; %bb.292:                              ;   in Loop: Header=BB143_44 Depth=1
	v_readlane_b32 s4, v56, 14
	v_readlane_b32 s5, v56, 15
	s_and_saveexec_b64 s[16:17], s[4:5]
	s_cbranch_execz .LBB143_294
; %bb.293:                              ;   in Loop: Header=BB143_44 Depth=1
	v_pk_mov_b32 v[2:3], s[10:11], s[10:11] op_sel:[0,1]
	ds_write_b64 v11, v[2:3] offset:5128
.LBB143_294:                            ;   in Loop: Header=BB143_44 Depth=1
	s_or_b64 exec, exec, s[16:17]
	s_waitcnt lgkmcnt(0)
	s_barrier
.LBB143_295:                            ;   in Loop: Header=BB143_44 Depth=1
	s_or_b32 s36, s60, s44
	s_or_b32 s37, s81, s44
	s_mov_b64 s[16:17], 0
	s_mov_b32 s45, 8
	s_branch .LBB143_297
.LBB143_296:                            ;   in Loop: Header=BB143_44 Depth=1
	s_mov_b64 s[16:17], -1
                                        ; implicit-def: $sgpr45
                                        ; implicit-def: $sgpr36
                                        ; implicit-def: $sgpr37
.LBB143_297:                            ;   in Loop: Header=BB143_44 Depth=1
	s_andn2_b64 vcc, exec, s[16:17]
	s_cbranch_vccnz .LBB143_299
; %bb.298:                              ;   in Loop: Header=BB143_44 Depth=1
	s_sub_u32 s50, s50, s10
	s_subb_u32 s51, s51, s11
	s_mov_b32 s45, 8
	s_mov_b32 s36, s60
	;; [unrolled: 1-line block ×3, first 2 shown]
.LBB143_299:                            ;   in Loop: Header=BB143_44 Depth=1
	s_mov_b64 s[42:43], s[50:51]
	s_mov_b32 s60, s36
	s_mov_b32 s81, s37
.LBB143_300:                            ;   in Loop: Header=BB143_44 Depth=1
	s_mov_b64 s[40:41], exec
.LBB143_301:                            ;   in Loop: Header=BB143_44 Depth=1
	s_or_b64 exec, exec, s[38:39]
	s_mov_b64 s[50:51], s[42:43]
.LBB143_302:                            ;   in Loop: Header=BB143_44 Depth=1
	s_andn2_b64 s[0:1], s[0:1], exec
	s_and_b64 s[2:3], s[2:3], exec
	s_or_b64 s[0:1], s[0:1], s[2:3]
	s_andn2_b64 s[2:3], s[30:31], exec
	s_and_b64 s[10:11], s[26:27], exec
	s_or_b64 s[30:31], s[2:3], s[10:11]
	;; [unrolled: 3-line block ×3, first 2 shown]
	s_and_b64 s[6:7], s[40:41], exec
	s_mov_b64 s[40:41], s[82:83]
	s_mov_b64 s[42:43], s[88:89]
.LBB143_303:                            ;   in Loop: Header=BB143_44 Depth=1
	s_or_b64 exec, exec, s[34:35]
	s_mov_b64 s[34:35], s[8:9]
	s_mov_b64 s[36:37], s[62:63]
.LBB143_304:                            ;   in Loop: Header=BB143_44 Depth=1
	s_andn2_b64 s[2:3], s[20:21], exec
	s_and_b64 s[0:1], s[0:1], exec
	s_or_b64 s[20:21], s[2:3], s[0:1]
	s_andn2_b64 s[0:1], s[22:23], exec
	s_and_b64 s[2:3], s[30:31], exec
	s_or_b64 s[22:23], s[0:1], s[2:3]
	;; [unrolled: 3-line block ×3, first 2 shown]
	s_and_b64 s[2:3], s[6:7], exec
	s_mov_b64 s[88:89], s[70:71]
.LBB143_305:                            ;   in Loop: Header=BB143_44 Depth=1
	s_or_b64 exec, exec, s[24:25]
	s_and_saveexec_b64 s[0:1], s[2:3]
	s_xor_b64 s[0:1], exec, s[0:1]
	s_cbranch_execz .LBB143_42
.LBB143_306:                            ;   in Loop: Header=BB143_44 Depth=1
	s_and_b32 s2, s45, -9
	s_cmp_eq_u32 s2, 0
	s_cbranch_scc1 .LBB143_40
; %bb.307:                              ;   in Loop: Header=BB143_44 Depth=1
	s_mov_b64 s[2:3], -1
                                        ; implicit-def: $sgpr81
                                        ; implicit-def: $sgpr50_sgpr51
                                        ; implicit-def: $sgpr94
                                        ; implicit-def: $sgpr93
	s_mov_b64 s[6:7], -1
	s_branch .LBB143_41
.LBB143_308:                            ;   in Loop: Header=BB143_44 Depth=1
                                        ; implicit-def: $vgpr2_vgpr3
	s_branch .LBB143_260
.LBB143_309:                            ;   in Loop: Header=BB143_44 Depth=1
                                        ; implicit-def: $vgpr2_vgpr3
	s_branch .LBB143_277
.LBB143_310:
	s_or_b64 exec, exec, s[66:67]
	s_xor_b64 s[4:5], s[42:43], -1
	s_xor_b64 s[2:3], s[36:37], -1
	;; [unrolled: 1-line block ×3, first 2 shown]
	s_mov_b64 s[0:1], 0
	s_and_saveexec_b64 s[8:9], s[2:3]
	s_xor_b64 s[2:3], exec, s[8:9]
	s_cbranch_execnz .LBB143_315
; %bb.311:
	s_andn2_saveexec_b64 s[2:3], s[2:3]
	s_cbranch_execnz .LBB143_328
.LBB143_312:
	s_or_b64 exec, exec, s[2:3]
	s_and_saveexec_b64 s[2:3], s[0:1]
.LBB143_313:
	; divergent unreachable
.LBB143_314:
	s_endpgm
.LBB143_315:
	s_and_saveexec_b64 s[0:1], s[4:5]
	s_xor_b64 s[4:5], exec, s[0:1]
	s_cbranch_execz .LBB143_326
; %bb.316:
	s_and_saveexec_b64 s[0:1], s[6:7]
	s_xor_b64 s[0:1], exec, s[0:1]
; %bb.317:
	v_and_b32_e32 v3, 0x8000, v2
	v_mov_b32_e32 v4, 0x8000
	v_mov_b32_e32 v5, 0xffff
	v_cmp_eq_u32_e32 vcc, 0, v3
	v_cndmask_b32_e32 v3, v4, v5, vcc
	v_xor_b32_e32 v52, v3, v2
; %bb.318:
	s_or_b64 exec, exec, s[0:1]
	v_readlane_b32 s6, v56, 2
	v_readlane_b32 s7, v56, 3
	v_readlane_b32 s8, v56, 4
	v_readlane_b32 s9, v56, 5
	s_mul_i32 s0, s8, s7
	s_mul_hi_u32 s1, s8, s6
	s_add_i32 s0, s1, s0
	s_mul_i32 s1, s9, s6
	s_add_i32 s1, s0, s1
	s_mul_i32 s0, s8, s6
	s_lshl_b64 s[0:1], s[0:1], 1
	v_readlane_b32 s6, v56, 8
	v_readlane_b32 s7, v56, 9
	s_add_u32 s6, s6, s0
	s_addc_u32 s7, s7, s1
	v_readlane_b32 s0, v56, 0
	v_readlane_b32 s1, v56, 1
	s_lshl_b64 s[0:1], s[0:1], 1
	s_add_u32 s0, s6, s0
	s_addc_u32 s1, s7, s1
	v_mov_b32_e32 v2, 0
	s_nop 0
	global_store_short v2, v52, s[0:1]
	s_mov_b64 s[6:7], exec
	v_readlane_b32 s0, v56, 12
	v_readlane_b32 s1, v56, 13
	s_and_b64 s[0:1], s[6:7], s[0:1]
	s_mov_b64 exec, s[0:1]
	s_cbranch_execz .LBB143_325
; %bb.319:
	v_lshlrev_b32_e32 v4, 16, v52
	v_cmp_u_f32_e32 vcc, v4, v4
	s_mov_b64 s[8:9], 0
	s_xor_b64 s[12:13], vcc, -1
                                        ; implicit-def: $sgpr10_sgpr11
                                        ; implicit-def: $sgpr16_sgpr17
                                        ; implicit-def: $sgpr14_sgpr15
	s_branch .LBB143_321
.LBB143_320:                            ;   in Loop: Header=BB143_321 Depth=1
	s_or_b64 exec, exec, s[0:1]
	s_and_b64 s[0:1], exec, s[16:17]
	s_or_b64 s[8:9], s[0:1], s[8:9]
	s_andn2_b64 s[0:1], s[10:11], exec
	s_and_b64 s[10:11], s[14:15], exec
	s_or_b64 s[10:11], s[0:1], s[10:11]
	s_andn2_b64 exec, exec, s[8:9]
	s_cbranch_execz .LBB143_323
.LBB143_321:                            ; =>This Inner Loop Header: Depth=1
	global_load_ushort v5, v[12:13], off
	v_pk_mov_b32 v[2:3], v[0:1], v[0:1] op_sel:[0,1]
	s_or_b64 s[14:15], s[14:15], exec
	s_or_b64 s[16:17], s[16:17], exec
	s_waitcnt vmcnt(0)
	v_lshlrev_b32_e32 v0, 16, v5
	v_cmp_o_f32_e64 s[0:1], v0, v0
	v_cmp_neq_f32_e32 vcc, v0, v4
	s_or_b64 s[0:1], s[12:13], s[0:1]
	s_and_b64 s[18:19], vcc, s[0:1]
                                        ; implicit-def: $vgpr0_vgpr1
	s_and_saveexec_b64 s[0:1], s[18:19]
	s_cbranch_execz .LBB143_320
; %bb.322:                              ;   in Loop: Header=BB143_321 Depth=1
	v_mov_b32_e32 v1, s86
	v_add_co_u32_e32 v0, vcc, s33, v2
	v_addc_co_u32_e32 v1, vcc, v3, v1, vcc
	v_mov_b32_e32 v5, s73
	v_add_co_u32_e32 v12, vcc, s72, v12
	v_addc_co_u32_e32 v13, vcc, v13, v5, vcc
	v_cmp_le_u64_e32 vcc, s[52:53], v[0:1]
	s_andn2_b64 s[16:17], s[16:17], exec
	s_and_b64 s[18:19], vcc, exec
	s_andn2_b64 s[14:15], s[14:15], exec
	s_or_b64 s[16:17], s[16:17], s[18:19]
	s_branch .LBB143_320
.LBB143_323:
	s_or_b64 exec, exec, s[8:9]
	s_and_saveexec_b64 s[0:1], s[10:11]
	s_xor_b64 s[0:1], exec, s[0:1]
	s_cbranch_execz .LBB143_325
; %bb.324:
	v_readlane_b32 s8, v56, 6
	v_readlane_b32 s9, v56, 7
	s_mul_i32 s0, s8, s65
	s_mul_hi_u32 s1, s8, s64
	s_add_i32 s0, s1, s0
	s_mul_i32 s1, s9, s64
	s_add_i32 s1, s0, s1
	s_mul_i32 s0, s8, s64
	s_lshl_b64 s[0:1], s[0:1], 3
	v_readlane_b32 s8, v56, 10
	v_readlane_b32 s9, v56, 11
	s_add_u32 s8, s8, s0
	s_addc_u32 s9, s9, s1
	s_lshl_b64 s[0:1], s[58:59], 3
	s_add_u32 s0, s8, s0
	s_addc_u32 s1, s9, s1
	v_mov_b32_e32 v0, 0
	global_store_dwordx2 v0, v[2:3], s[0:1]
.LBB143_325:
	s_or_b64 exec, exec, s[6:7]
.LBB143_326:
	s_or_saveexec_b64 s[0:1], s[4:5]
	s_mov_b64 s[4:5], 0
	s_xor_b64 exec, exec, s[0:1]
	s_cbranch_execnz .LBB143_329
.LBB143_327:
	s_or_b64 exec, exec, s[0:1]
	s_and_b64 s[0:1], s[4:5], exec
	s_andn2_saveexec_b64 s[2:3], s[2:3]
	s_cbranch_execz .LBB143_312
.LBB143_328:
	s_or_b64 s[0:1], s[0:1], exec
	s_trap 2
	s_or_b64 exec, exec, s[2:3]
	s_and_saveexec_b64 s[2:3], s[0:1]
	s_cbranch_execnz .LBB143_313
	s_branch .LBB143_314
.LBB143_329:
	s_mov_b64 s[4:5], exec
	s_trap 2
	s_branch .LBB143_327
	.section	.rodata,"a",@progbits
	.p2align	6, 0x0
	.amdhsa_kernel _ZN2at6native12_GLOBAL__N_112gatherMedianIN3c108BFloat16EmLin1EEEvNS_4cuda6detail10TensorInfoIT_T0_EENS7_IlS9_EENS7_IKS8_S9_EES9_S9_S9_b
		.amdhsa_group_segment_fixed_size 5152
		.amdhsa_private_segment_fixed_size 0
		.amdhsa_kernarg_size 1536
		.amdhsa_user_sgpr_count 6
		.amdhsa_user_sgpr_private_segment_buffer 1
		.amdhsa_user_sgpr_dispatch_ptr 0
		.amdhsa_user_sgpr_queue_ptr 0
		.amdhsa_user_sgpr_kernarg_segment_ptr 1
		.amdhsa_user_sgpr_dispatch_id 0
		.amdhsa_user_sgpr_flat_scratch_init 0
		.amdhsa_user_sgpr_kernarg_preload_length 0
		.amdhsa_user_sgpr_kernarg_preload_offset 0
		.amdhsa_user_sgpr_private_segment_size 0
		.amdhsa_uses_dynamic_stack 0
		.amdhsa_system_sgpr_private_segment_wavefront_offset 0
		.amdhsa_system_sgpr_workgroup_id_x 1
		.amdhsa_system_sgpr_workgroup_id_y 1
		.amdhsa_system_sgpr_workgroup_id_z 1
		.amdhsa_system_sgpr_workgroup_info 0
		.amdhsa_system_vgpr_workitem_id 0
		.amdhsa_next_free_vgpr 57
		.amdhsa_next_free_sgpr 96
		.amdhsa_accum_offset 60
		.amdhsa_reserve_vcc 1
		.amdhsa_reserve_flat_scratch 0
		.amdhsa_float_round_mode_32 0
		.amdhsa_float_round_mode_16_64 0
		.amdhsa_float_denorm_mode_32 3
		.amdhsa_float_denorm_mode_16_64 3
		.amdhsa_dx10_clamp 1
		.amdhsa_ieee_mode 1
		.amdhsa_fp16_overflow 0
		.amdhsa_tg_split 0
		.amdhsa_exception_fp_ieee_invalid_op 0
		.amdhsa_exception_fp_denorm_src 0
		.amdhsa_exception_fp_ieee_div_zero 0
		.amdhsa_exception_fp_ieee_overflow 0
		.amdhsa_exception_fp_ieee_underflow 0
		.amdhsa_exception_fp_ieee_inexact 0
		.amdhsa_exception_int_div_zero 0
	.end_amdhsa_kernel
	.section	.text._ZN2at6native12_GLOBAL__N_112gatherMedianIN3c108BFloat16EmLin1EEEvNS_4cuda6detail10TensorInfoIT_T0_EENS7_IlS9_EENS7_IKS8_S9_EES9_S9_S9_b,"axG",@progbits,_ZN2at6native12_GLOBAL__N_112gatherMedianIN3c108BFloat16EmLin1EEEvNS_4cuda6detail10TensorInfoIT_T0_EENS7_IlS9_EENS7_IKS8_S9_EES9_S9_S9_b,comdat
.Lfunc_end143:
	.size	_ZN2at6native12_GLOBAL__N_112gatherMedianIN3c108BFloat16EmLin1EEEvNS_4cuda6detail10TensorInfoIT_T0_EENS7_IlS9_EENS7_IKS8_S9_EES9_S9_S9_b, .Lfunc_end143-_ZN2at6native12_GLOBAL__N_112gatherMedianIN3c108BFloat16EmLin1EEEvNS_4cuda6detail10TensorInfoIT_T0_EENS7_IlS9_EENS7_IKS8_S9_EES9_S9_S9_b
                                        ; -- End function
	.section	.AMDGPU.csdata,"",@progbits
; Kernel info:
; codeLenInByte = 19336
; NumSgprs: 100
; NumVgprs: 57
; NumAgprs: 0
; TotalNumVgprs: 57
; ScratchSize: 0
; MemoryBound: 0
; FloatMode: 240
; IeeeMode: 1
; LDSByteSize: 5152 bytes/workgroup (compile time only)
; SGPRBlocks: 12
; VGPRBlocks: 7
; NumSGPRsForWavesPerEU: 100
; NumVGPRsForWavesPerEU: 57
; AccumOffset: 60
; Occupancy: 8
; WaveLimiterHint : 1
; COMPUTE_PGM_RSRC2:SCRATCH_EN: 0
; COMPUTE_PGM_RSRC2:USER_SGPR: 6
; COMPUTE_PGM_RSRC2:TRAP_HANDLER: 0
; COMPUTE_PGM_RSRC2:TGID_X_EN: 1
; COMPUTE_PGM_RSRC2:TGID_Y_EN: 1
; COMPUTE_PGM_RSRC2:TGID_Z_EN: 1
; COMPUTE_PGM_RSRC2:TIDIG_COMP_CNT: 0
; COMPUTE_PGM_RSRC3_GFX90A:ACCUM_OFFSET: 14
; COMPUTE_PGM_RSRC3_GFX90A:TG_SPLIT: 0
	.text
	.p2alignl 6, 3212836864
	.fill 256, 4, 3212836864
	.type	__hip_cuid_5741127d3b2a5004,@object ; @__hip_cuid_5741127d3b2a5004
	.section	.bss,"aw",@nobits
	.globl	__hip_cuid_5741127d3b2a5004
__hip_cuid_5741127d3b2a5004:
	.byte	0                               ; 0x0
	.size	__hip_cuid_5741127d3b2a5004, 1

	.ident	"AMD clang version 19.0.0git (https://github.com/RadeonOpenCompute/llvm-project roc-6.4.0 25133 c7fe45cf4b819c5991fe208aaa96edf142730f1d)"
	.section	".note.GNU-stack","",@progbits
	.addrsig
	.addrsig_sym __hip_cuid_5741127d3b2a5004
	.amdgpu_metadata
---
amdhsa.kernels:
  - .agpr_count:     0
    .args:
      - .offset:         0
        .size:           216
        .value_kind:     by_value
      - .offset:         216
        .size:           4
        .value_kind:     by_value
      - .offset:         220
        .size:           4
        .value_kind:     by_value
      - .offset:         224
        .size:           4
        .value_kind:     by_value
      - .offset:         228
        .size:           4
        .value_kind:     by_value
      - .offset:         232
        .size:           216
        .value_kind:     by_value
      - .offset:         448
        .size:           216
        .value_kind:     by_value
      - .offset:         664
        .size:           4
        .value_kind:     hidden_block_count_x
      - .offset:         668
        .size:           4
        .value_kind:     hidden_block_count_y
      - .offset:         672
        .size:           4
        .value_kind:     hidden_block_count_z
      - .offset:         676
        .size:           2
        .value_kind:     hidden_group_size_x
      - .offset:         678
        .size:           2
        .value_kind:     hidden_group_size_y
      - .offset:         680
        .size:           2
        .value_kind:     hidden_group_size_z
      - .offset:         682
        .size:           2
        .value_kind:     hidden_remainder_x
      - .offset:         684
        .size:           2
        .value_kind:     hidden_remainder_y
      - .offset:         686
        .size:           2
        .value_kind:     hidden_remainder_z
      - .offset:         704
        .size:           8
        .value_kind:     hidden_global_offset_x
      - .offset:         712
        .size:           8
        .value_kind:     hidden_global_offset_y
      - .offset:         720
        .size:           8
        .value_kind:     hidden_global_offset_z
      - .offset:         728
        .size:           2
        .value_kind:     hidden_grid_dims
    .group_segment_fixed_size: 4112
    .kernarg_segment_align: 8
    .kernarg_segment_size: 920
    .language:       OpenCL C
    .language_version:
      - 2
      - 0
    .max_flat_workgroup_size: 1024
    .name:           _ZN2at6native12_GLOBAL__N_114gatherKthValueIhiLi1EEEvNS_4cuda6detail10TensorInfoIKT_T0_EES8_S8_S8_S8_NS5_IS6_S8_EENS5_IlS8_EE
    .private_segment_fixed_size: 0
    .sgpr_count:     100
    .sgpr_spill_count: 34
    .symbol:         _ZN2at6native12_GLOBAL__N_114gatherKthValueIhiLi1EEEvNS_4cuda6detail10TensorInfoIKT_T0_EES8_S8_S8_S8_NS5_IS6_S8_EENS5_IlS8_EE.kd
    .uniform_work_group_size: 1
    .uses_dynamic_stack: false
    .vgpr_count:     43
    .vgpr_spill_count: 0
    .wavefront_size: 64
  - .agpr_count:     0
    .args:
      - .offset:         0
        .size:           216
        .value_kind:     by_value
      - .offset:         216
        .size:           4
        .value_kind:     by_value
      - .offset:         220
        .size:           4
        .value_kind:     by_value
      - .offset:         224
        .size:           4
        .value_kind:     by_value
      - .offset:         228
        .size:           4
        .value_kind:     by_value
      - .offset:         232
        .size:           216
        .value_kind:     by_value
      - .offset:         448
        .size:           216
        .value_kind:     by_value
      - .offset:         664
        .size:           4
        .value_kind:     hidden_block_count_x
      - .offset:         668
        .size:           4
        .value_kind:     hidden_block_count_y
      - .offset:         672
        .size:           4
        .value_kind:     hidden_block_count_z
      - .offset:         676
        .size:           2
        .value_kind:     hidden_group_size_x
      - .offset:         678
        .size:           2
        .value_kind:     hidden_group_size_y
      - .offset:         680
        .size:           2
        .value_kind:     hidden_group_size_z
      - .offset:         682
        .size:           2
        .value_kind:     hidden_remainder_x
      - .offset:         684
        .size:           2
        .value_kind:     hidden_remainder_y
      - .offset:         686
        .size:           2
        .value_kind:     hidden_remainder_z
      - .offset:         704
        .size:           8
        .value_kind:     hidden_global_offset_x
      - .offset:         712
        .size:           8
        .value_kind:     hidden_global_offset_y
      - .offset:         720
        .size:           8
        .value_kind:     hidden_global_offset_z
      - .offset:         728
        .size:           2
        .value_kind:     hidden_grid_dims
    .group_segment_fixed_size: 4112
    .kernarg_segment_align: 8
    .kernarg_segment_size: 920
    .language:       OpenCL C
    .language_version:
      - 2
      - 0
    .max_flat_workgroup_size: 1024
    .name:           _ZN2at6native12_GLOBAL__N_114gatherKthValueIhiLi2EEEvNS_4cuda6detail10TensorInfoIKT_T0_EES8_S8_S8_S8_NS5_IS6_S8_EENS5_IlS8_EE
    .private_segment_fixed_size: 0
    .sgpr_count:     100
    .sgpr_spill_count: 46
    .symbol:         _ZN2at6native12_GLOBAL__N_114gatherKthValueIhiLi2EEEvNS_4cuda6detail10TensorInfoIKT_T0_EES8_S8_S8_S8_NS5_IS6_S8_EENS5_IlS8_EE.kd
    .uniform_work_group_size: 1
    .uses_dynamic_stack: false
    .vgpr_count:     43
    .vgpr_spill_count: 0
    .wavefront_size: 64
  - .agpr_count:     0
    .args:
      - .offset:         0
        .size:           216
        .value_kind:     by_value
      - .offset:         216
        .size:           4
        .value_kind:     by_value
      - .offset:         220
        .size:           4
        .value_kind:     by_value
      - .offset:         224
        .size:           4
        .value_kind:     by_value
      - .offset:         228
        .size:           4
        .value_kind:     by_value
      - .offset:         232
        .size:           216
        .value_kind:     by_value
      - .offset:         448
        .size:           216
        .value_kind:     by_value
      - .offset:         664
        .size:           4
        .value_kind:     hidden_block_count_x
      - .offset:         668
        .size:           4
        .value_kind:     hidden_block_count_y
      - .offset:         672
        .size:           4
        .value_kind:     hidden_block_count_z
      - .offset:         676
        .size:           2
        .value_kind:     hidden_group_size_x
      - .offset:         678
        .size:           2
        .value_kind:     hidden_group_size_y
      - .offset:         680
        .size:           2
        .value_kind:     hidden_group_size_z
      - .offset:         682
        .size:           2
        .value_kind:     hidden_remainder_x
      - .offset:         684
        .size:           2
        .value_kind:     hidden_remainder_y
      - .offset:         686
        .size:           2
        .value_kind:     hidden_remainder_z
      - .offset:         704
        .size:           8
        .value_kind:     hidden_global_offset_x
      - .offset:         712
        .size:           8
        .value_kind:     hidden_global_offset_y
      - .offset:         720
        .size:           8
        .value_kind:     hidden_global_offset_z
      - .offset:         728
        .size:           2
        .value_kind:     hidden_grid_dims
    .group_segment_fixed_size: 4112
    .kernarg_segment_align: 8
    .kernarg_segment_size: 920
    .language:       OpenCL C
    .language_version:
      - 2
      - 0
    .max_flat_workgroup_size: 1024
    .name:           _ZN2at6native12_GLOBAL__N_114gatherKthValueIhiLi3EEEvNS_4cuda6detail10TensorInfoIKT_T0_EES8_S8_S8_S8_NS5_IS6_S8_EENS5_IlS8_EE
    .private_segment_fixed_size: 0
    .sgpr_count:     100
    .sgpr_spill_count: 56
    .symbol:         _ZN2at6native12_GLOBAL__N_114gatherKthValueIhiLi3EEEvNS_4cuda6detail10TensorInfoIKT_T0_EES8_S8_S8_S8_NS5_IS6_S8_EENS5_IlS8_EE.kd
    .uniform_work_group_size: 1
    .uses_dynamic_stack: false
    .vgpr_count:     43
    .vgpr_spill_count: 0
    .wavefront_size: 64
  - .agpr_count:     0
    .args:
      - .offset:         0
        .size:           216
        .value_kind:     by_value
      - .offset:         216
        .size:           4
        .value_kind:     by_value
      - .offset:         220
        .size:           4
        .value_kind:     by_value
      - .offset:         224
        .size:           4
        .value_kind:     by_value
      - .offset:         228
        .size:           4
        .value_kind:     by_value
      - .offset:         232
        .size:           216
        .value_kind:     by_value
      - .offset:         448
        .size:           216
        .value_kind:     by_value
      - .offset:         664
        .size:           4
        .value_kind:     hidden_block_count_x
      - .offset:         668
        .size:           4
        .value_kind:     hidden_block_count_y
      - .offset:         672
        .size:           4
        .value_kind:     hidden_block_count_z
      - .offset:         676
        .size:           2
        .value_kind:     hidden_group_size_x
      - .offset:         678
        .size:           2
        .value_kind:     hidden_group_size_y
      - .offset:         680
        .size:           2
        .value_kind:     hidden_group_size_z
      - .offset:         682
        .size:           2
        .value_kind:     hidden_remainder_x
      - .offset:         684
        .size:           2
        .value_kind:     hidden_remainder_y
      - .offset:         686
        .size:           2
        .value_kind:     hidden_remainder_z
      - .offset:         704
        .size:           8
        .value_kind:     hidden_global_offset_x
      - .offset:         712
        .size:           8
        .value_kind:     hidden_global_offset_y
      - .offset:         720
        .size:           8
        .value_kind:     hidden_global_offset_z
      - .offset:         728
        .size:           2
        .value_kind:     hidden_grid_dims
    .group_segment_fixed_size: 4112
    .kernarg_segment_align: 8
    .kernarg_segment_size: 920
    .language:       OpenCL C
    .language_version:
      - 2
      - 0
    .max_flat_workgroup_size: 1024
    .name:           _ZN2at6native12_GLOBAL__N_114gatherKthValueIhiLin1EEEvNS_4cuda6detail10TensorInfoIKT_T0_EES8_S8_S8_S8_NS5_IS6_S8_EENS5_IlS8_EE
    .private_segment_fixed_size: 0
    .sgpr_count:     100
    .sgpr_spill_count: 38
    .symbol:         _ZN2at6native12_GLOBAL__N_114gatherKthValueIhiLin1EEEvNS_4cuda6detail10TensorInfoIKT_T0_EES8_S8_S8_S8_NS5_IS6_S8_EENS5_IlS8_EE.kd
    .uniform_work_group_size: 1
    .uses_dynamic_stack: false
    .vgpr_count:     43
    .vgpr_spill_count: 0
    .wavefront_size: 64
  - .agpr_count:     0
    .args:
      - .offset:         0
        .size:           416
        .value_kind:     by_value
      - .offset:         416
        .size:           8
        .value_kind:     by_value
      - .offset:         424
        .size:           8
        .value_kind:     by_value
      - .offset:         432
        .size:           8
        .value_kind:     by_value
      - .offset:         440
        .size:           8
        .value_kind:     by_value
      - .offset:         448
        .size:           416
        .value_kind:     by_value
      - .offset:         864
        .size:           416
        .value_kind:     by_value
      - .offset:         1280
        .size:           4
        .value_kind:     hidden_block_count_x
      - .offset:         1284
        .size:           4
        .value_kind:     hidden_block_count_y
      - .offset:         1288
        .size:           4
        .value_kind:     hidden_block_count_z
      - .offset:         1292
        .size:           2
        .value_kind:     hidden_group_size_x
      - .offset:         1294
        .size:           2
        .value_kind:     hidden_group_size_y
      - .offset:         1296
        .size:           2
        .value_kind:     hidden_group_size_z
      - .offset:         1298
        .size:           2
        .value_kind:     hidden_remainder_x
      - .offset:         1300
        .size:           2
        .value_kind:     hidden_remainder_y
      - .offset:         1302
        .size:           2
        .value_kind:     hidden_remainder_z
      - .offset:         1320
        .size:           8
        .value_kind:     hidden_global_offset_x
      - .offset:         1328
        .size:           8
        .value_kind:     hidden_global_offset_y
      - .offset:         1336
        .size:           8
        .value_kind:     hidden_global_offset_z
      - .offset:         1344
        .size:           2
        .value_kind:     hidden_grid_dims
    .group_segment_fixed_size: 5144
    .kernarg_segment_align: 8
    .kernarg_segment_size: 1536
    .language:       OpenCL C
    .language_version:
      - 2
      - 0
    .max_flat_workgroup_size: 1024
    .name:           _ZN2at6native12_GLOBAL__N_114gatherKthValueIhlLi1EEEvNS_4cuda6detail10TensorInfoIKT_T0_EES8_S8_S8_S8_NS5_IS6_S8_EENS5_IlS8_EE
    .private_segment_fixed_size: 0
    .sgpr_count:     100
    .sgpr_spill_count: 34
    .symbol:         _ZN2at6native12_GLOBAL__N_114gatherKthValueIhlLi1EEEvNS_4cuda6detail10TensorInfoIKT_T0_EES8_S8_S8_S8_NS5_IS6_S8_EENS5_IlS8_EE.kd
    .uniform_work_group_size: 1
    .uses_dynamic_stack: false
    .vgpr_count:     49
    .vgpr_spill_count: 0
    .wavefront_size: 64
  - .agpr_count:     0
    .args:
      - .offset:         0
        .size:           416
        .value_kind:     by_value
      - .offset:         416
        .size:           8
        .value_kind:     by_value
      - .offset:         424
        .size:           8
        .value_kind:     by_value
      - .offset:         432
        .size:           8
        .value_kind:     by_value
      - .offset:         440
        .size:           8
        .value_kind:     by_value
      - .offset:         448
        .size:           416
        .value_kind:     by_value
      - .offset:         864
        .size:           416
        .value_kind:     by_value
      - .offset:         1280
        .size:           4
        .value_kind:     hidden_block_count_x
      - .offset:         1284
        .size:           4
        .value_kind:     hidden_block_count_y
      - .offset:         1288
        .size:           4
        .value_kind:     hidden_block_count_z
      - .offset:         1292
        .size:           2
        .value_kind:     hidden_group_size_x
      - .offset:         1294
        .size:           2
        .value_kind:     hidden_group_size_y
      - .offset:         1296
        .size:           2
        .value_kind:     hidden_group_size_z
      - .offset:         1298
        .size:           2
        .value_kind:     hidden_remainder_x
      - .offset:         1300
        .size:           2
        .value_kind:     hidden_remainder_y
      - .offset:         1302
        .size:           2
        .value_kind:     hidden_remainder_z
      - .offset:         1320
        .size:           8
        .value_kind:     hidden_global_offset_x
      - .offset:         1328
        .size:           8
        .value_kind:     hidden_global_offset_y
      - .offset:         1336
        .size:           8
        .value_kind:     hidden_global_offset_z
      - .offset:         1344
        .size:           2
        .value_kind:     hidden_grid_dims
    .group_segment_fixed_size: 5144
    .kernarg_segment_align: 8
    .kernarg_segment_size: 1536
    .language:       OpenCL C
    .language_version:
      - 2
      - 0
    .max_flat_workgroup_size: 1024
    .name:           _ZN2at6native12_GLOBAL__N_114gatherKthValueIhlLi2EEEvNS_4cuda6detail10TensorInfoIKT_T0_EES8_S8_S8_S8_NS5_IS6_S8_EENS5_IlS8_EE
    .private_segment_fixed_size: 0
    .sgpr_count:     100
    .sgpr_spill_count: 46
    .symbol:         _ZN2at6native12_GLOBAL__N_114gatherKthValueIhlLi2EEEvNS_4cuda6detail10TensorInfoIKT_T0_EES8_S8_S8_S8_NS5_IS6_S8_EENS5_IlS8_EE.kd
    .uniform_work_group_size: 1
    .uses_dynamic_stack: false
    .vgpr_count:     47
    .vgpr_spill_count: 0
    .wavefront_size: 64
  - .agpr_count:     0
    .args:
      - .offset:         0
        .size:           416
        .value_kind:     by_value
      - .offset:         416
        .size:           8
        .value_kind:     by_value
      - .offset:         424
        .size:           8
        .value_kind:     by_value
      - .offset:         432
        .size:           8
        .value_kind:     by_value
      - .offset:         440
        .size:           8
        .value_kind:     by_value
      - .offset:         448
        .size:           416
        .value_kind:     by_value
      - .offset:         864
        .size:           416
        .value_kind:     by_value
      - .offset:         1280
        .size:           4
        .value_kind:     hidden_block_count_x
      - .offset:         1284
        .size:           4
        .value_kind:     hidden_block_count_y
      - .offset:         1288
        .size:           4
        .value_kind:     hidden_block_count_z
      - .offset:         1292
        .size:           2
        .value_kind:     hidden_group_size_x
      - .offset:         1294
        .size:           2
        .value_kind:     hidden_group_size_y
      - .offset:         1296
        .size:           2
        .value_kind:     hidden_group_size_z
      - .offset:         1298
        .size:           2
        .value_kind:     hidden_remainder_x
      - .offset:         1300
        .size:           2
        .value_kind:     hidden_remainder_y
      - .offset:         1302
        .size:           2
        .value_kind:     hidden_remainder_z
      - .offset:         1320
        .size:           8
        .value_kind:     hidden_global_offset_x
      - .offset:         1328
        .size:           8
        .value_kind:     hidden_global_offset_y
      - .offset:         1336
        .size:           8
        .value_kind:     hidden_global_offset_z
      - .offset:         1344
        .size:           2
        .value_kind:     hidden_grid_dims
    .group_segment_fixed_size: 5144
    .kernarg_segment_align: 8
    .kernarg_segment_size: 1536
    .language:       OpenCL C
    .language_version:
      - 2
      - 0
    .max_flat_workgroup_size: 1024
    .name:           _ZN2at6native12_GLOBAL__N_114gatherKthValueIhlLi3EEEvNS_4cuda6detail10TensorInfoIKT_T0_EES8_S8_S8_S8_NS5_IS6_S8_EENS5_IlS8_EE
    .private_segment_fixed_size: 0
    .sgpr_count:     100
    .sgpr_spill_count: 59
    .symbol:         _ZN2at6native12_GLOBAL__N_114gatherKthValueIhlLi3EEEvNS_4cuda6detail10TensorInfoIKT_T0_EES8_S8_S8_S8_NS5_IS6_S8_EENS5_IlS8_EE.kd
    .uniform_work_group_size: 1
    .uses_dynamic_stack: false
    .vgpr_count:     49
    .vgpr_spill_count: 0
    .wavefront_size: 64
  - .agpr_count:     0
    .args:
      - .offset:         0
        .size:           416
        .value_kind:     by_value
      - .offset:         416
        .size:           8
        .value_kind:     by_value
      - .offset:         424
        .size:           8
        .value_kind:     by_value
      - .offset:         432
        .size:           8
        .value_kind:     by_value
      - .offset:         440
        .size:           8
        .value_kind:     by_value
      - .offset:         448
        .size:           416
        .value_kind:     by_value
      - .offset:         864
        .size:           416
        .value_kind:     by_value
      - .offset:         1280
        .size:           4
        .value_kind:     hidden_block_count_x
      - .offset:         1284
        .size:           4
        .value_kind:     hidden_block_count_y
      - .offset:         1288
        .size:           4
        .value_kind:     hidden_block_count_z
      - .offset:         1292
        .size:           2
        .value_kind:     hidden_group_size_x
      - .offset:         1294
        .size:           2
        .value_kind:     hidden_group_size_y
      - .offset:         1296
        .size:           2
        .value_kind:     hidden_group_size_z
      - .offset:         1298
        .size:           2
        .value_kind:     hidden_remainder_x
      - .offset:         1300
        .size:           2
        .value_kind:     hidden_remainder_y
      - .offset:         1302
        .size:           2
        .value_kind:     hidden_remainder_z
      - .offset:         1320
        .size:           8
        .value_kind:     hidden_global_offset_x
      - .offset:         1328
        .size:           8
        .value_kind:     hidden_global_offset_y
      - .offset:         1336
        .size:           8
        .value_kind:     hidden_global_offset_z
      - .offset:         1344
        .size:           2
        .value_kind:     hidden_grid_dims
    .group_segment_fixed_size: 5144
    .kernarg_segment_align: 8
    .kernarg_segment_size: 1536
    .language:       OpenCL C
    .language_version:
      - 2
      - 0
    .max_flat_workgroup_size: 1024
    .name:           _ZN2at6native12_GLOBAL__N_114gatherKthValueIhlLin1EEEvNS_4cuda6detail10TensorInfoIKT_T0_EES8_S8_S8_S8_NS5_IS6_S8_EENS5_IlS8_EE
    .private_segment_fixed_size: 0
    .sgpr_count:     100
    .sgpr_spill_count: 38
    .symbol:         _ZN2at6native12_GLOBAL__N_114gatherKthValueIhlLin1EEEvNS_4cuda6detail10TensorInfoIKT_T0_EES8_S8_S8_S8_NS5_IS6_S8_EENS5_IlS8_EE.kd
    .uniform_work_group_size: 1
    .uses_dynamic_stack: false
    .vgpr_count:     49
    .vgpr_spill_count: 0
    .wavefront_size: 64
  - .agpr_count:     0
    .args:
      - .offset:         0
        .size:           216
        .value_kind:     by_value
      - .offset:         216
        .size:           4
        .value_kind:     by_value
      - .offset:         220
        .size:           4
        .value_kind:     by_value
      - .offset:         224
        .size:           4
        .value_kind:     by_value
      - .offset:         228
        .size:           4
        .value_kind:     by_value
      - .offset:         232
        .size:           216
        .value_kind:     by_value
      - .offset:         448
        .size:           216
        .value_kind:     by_value
      - .offset:         664
        .size:           4
        .value_kind:     hidden_block_count_x
      - .offset:         668
        .size:           4
        .value_kind:     hidden_block_count_y
      - .offset:         672
        .size:           4
        .value_kind:     hidden_block_count_z
      - .offset:         676
        .size:           2
        .value_kind:     hidden_group_size_x
      - .offset:         678
        .size:           2
        .value_kind:     hidden_group_size_y
      - .offset:         680
        .size:           2
        .value_kind:     hidden_group_size_z
      - .offset:         682
        .size:           2
        .value_kind:     hidden_remainder_x
      - .offset:         684
        .size:           2
        .value_kind:     hidden_remainder_y
      - .offset:         686
        .size:           2
        .value_kind:     hidden_remainder_z
      - .offset:         704
        .size:           8
        .value_kind:     hidden_global_offset_x
      - .offset:         712
        .size:           8
        .value_kind:     hidden_global_offset_y
      - .offset:         720
        .size:           8
        .value_kind:     hidden_global_offset_z
      - .offset:         728
        .size:           2
        .value_kind:     hidden_grid_dims
    .group_segment_fixed_size: 4112
    .kernarg_segment_align: 8
    .kernarg_segment_size: 920
    .language:       OpenCL C
    .language_version:
      - 2
      - 0
    .max_flat_workgroup_size: 1024
    .name:           _ZN2at6native12_GLOBAL__N_114gatherKthValueIaiLi1EEEvNS_4cuda6detail10TensorInfoIKT_T0_EES8_S8_S8_S8_NS5_IS6_S8_EENS5_IlS8_EE
    .private_segment_fixed_size: 0
    .sgpr_count:     100
    .sgpr_spill_count: 35
    .symbol:         _ZN2at6native12_GLOBAL__N_114gatherKthValueIaiLi1EEEvNS_4cuda6detail10TensorInfoIKT_T0_EES8_S8_S8_S8_NS5_IS6_S8_EENS5_IlS8_EE.kd
    .uniform_work_group_size: 1
    .uses_dynamic_stack: false
    .vgpr_count:     43
    .vgpr_spill_count: 0
    .wavefront_size: 64
  - .agpr_count:     0
    .args:
      - .offset:         0
        .size:           216
        .value_kind:     by_value
      - .offset:         216
        .size:           4
        .value_kind:     by_value
      - .offset:         220
        .size:           4
        .value_kind:     by_value
      - .offset:         224
        .size:           4
        .value_kind:     by_value
      - .offset:         228
        .size:           4
        .value_kind:     by_value
      - .offset:         232
        .size:           216
        .value_kind:     by_value
      - .offset:         448
        .size:           216
        .value_kind:     by_value
      - .offset:         664
        .size:           4
        .value_kind:     hidden_block_count_x
      - .offset:         668
        .size:           4
        .value_kind:     hidden_block_count_y
      - .offset:         672
        .size:           4
        .value_kind:     hidden_block_count_z
      - .offset:         676
        .size:           2
        .value_kind:     hidden_group_size_x
      - .offset:         678
        .size:           2
        .value_kind:     hidden_group_size_y
      - .offset:         680
        .size:           2
        .value_kind:     hidden_group_size_z
      - .offset:         682
        .size:           2
        .value_kind:     hidden_remainder_x
      - .offset:         684
        .size:           2
        .value_kind:     hidden_remainder_y
      - .offset:         686
        .size:           2
        .value_kind:     hidden_remainder_z
      - .offset:         704
        .size:           8
        .value_kind:     hidden_global_offset_x
      - .offset:         712
        .size:           8
        .value_kind:     hidden_global_offset_y
      - .offset:         720
        .size:           8
        .value_kind:     hidden_global_offset_z
      - .offset:         728
        .size:           2
        .value_kind:     hidden_grid_dims
    .group_segment_fixed_size: 4112
    .kernarg_segment_align: 8
    .kernarg_segment_size: 920
    .language:       OpenCL C
    .language_version:
      - 2
      - 0
    .max_flat_workgroup_size: 1024
    .name:           _ZN2at6native12_GLOBAL__N_114gatherKthValueIaiLi2EEEvNS_4cuda6detail10TensorInfoIKT_T0_EES8_S8_S8_S8_NS5_IS6_S8_EENS5_IlS8_EE
    .private_segment_fixed_size: 0
    .sgpr_count:     100
    .sgpr_spill_count: 47
    .symbol:         _ZN2at6native12_GLOBAL__N_114gatherKthValueIaiLi2EEEvNS_4cuda6detail10TensorInfoIKT_T0_EES8_S8_S8_S8_NS5_IS6_S8_EENS5_IlS8_EE.kd
    .uniform_work_group_size: 1
    .uses_dynamic_stack: false
    .vgpr_count:     43
    .vgpr_spill_count: 0
    .wavefront_size: 64
  - .agpr_count:     0
    .args:
      - .offset:         0
        .size:           216
        .value_kind:     by_value
      - .offset:         216
        .size:           4
        .value_kind:     by_value
      - .offset:         220
        .size:           4
        .value_kind:     by_value
      - .offset:         224
        .size:           4
        .value_kind:     by_value
      - .offset:         228
        .size:           4
        .value_kind:     by_value
      - .offset:         232
        .size:           216
        .value_kind:     by_value
      - .offset:         448
        .size:           216
        .value_kind:     by_value
      - .offset:         664
        .size:           4
        .value_kind:     hidden_block_count_x
      - .offset:         668
        .size:           4
        .value_kind:     hidden_block_count_y
      - .offset:         672
        .size:           4
        .value_kind:     hidden_block_count_z
      - .offset:         676
        .size:           2
        .value_kind:     hidden_group_size_x
      - .offset:         678
        .size:           2
        .value_kind:     hidden_group_size_y
      - .offset:         680
        .size:           2
        .value_kind:     hidden_group_size_z
      - .offset:         682
        .size:           2
        .value_kind:     hidden_remainder_x
      - .offset:         684
        .size:           2
        .value_kind:     hidden_remainder_y
      - .offset:         686
        .size:           2
        .value_kind:     hidden_remainder_z
      - .offset:         704
        .size:           8
        .value_kind:     hidden_global_offset_x
      - .offset:         712
        .size:           8
        .value_kind:     hidden_global_offset_y
      - .offset:         720
        .size:           8
        .value_kind:     hidden_global_offset_z
      - .offset:         728
        .size:           2
        .value_kind:     hidden_grid_dims
    .group_segment_fixed_size: 4112
    .kernarg_segment_align: 8
    .kernarg_segment_size: 920
    .language:       OpenCL C
    .language_version:
      - 2
      - 0
    .max_flat_workgroup_size: 1024
    .name:           _ZN2at6native12_GLOBAL__N_114gatherKthValueIaiLi3EEEvNS_4cuda6detail10TensorInfoIKT_T0_EES8_S8_S8_S8_NS5_IS6_S8_EENS5_IlS8_EE
    .private_segment_fixed_size: 0
    .sgpr_count:     100
    .sgpr_spill_count: 57
    .symbol:         _ZN2at6native12_GLOBAL__N_114gatherKthValueIaiLi3EEEvNS_4cuda6detail10TensorInfoIKT_T0_EES8_S8_S8_S8_NS5_IS6_S8_EENS5_IlS8_EE.kd
    .uniform_work_group_size: 1
    .uses_dynamic_stack: false
    .vgpr_count:     43
    .vgpr_spill_count: 0
    .wavefront_size: 64
  - .agpr_count:     0
    .args:
      - .offset:         0
        .size:           216
        .value_kind:     by_value
      - .offset:         216
        .size:           4
        .value_kind:     by_value
      - .offset:         220
        .size:           4
        .value_kind:     by_value
      - .offset:         224
        .size:           4
        .value_kind:     by_value
      - .offset:         228
        .size:           4
        .value_kind:     by_value
      - .offset:         232
        .size:           216
        .value_kind:     by_value
      - .offset:         448
        .size:           216
        .value_kind:     by_value
      - .offset:         664
        .size:           4
        .value_kind:     hidden_block_count_x
      - .offset:         668
        .size:           4
        .value_kind:     hidden_block_count_y
      - .offset:         672
        .size:           4
        .value_kind:     hidden_block_count_z
      - .offset:         676
        .size:           2
        .value_kind:     hidden_group_size_x
      - .offset:         678
        .size:           2
        .value_kind:     hidden_group_size_y
      - .offset:         680
        .size:           2
        .value_kind:     hidden_group_size_z
      - .offset:         682
        .size:           2
        .value_kind:     hidden_remainder_x
      - .offset:         684
        .size:           2
        .value_kind:     hidden_remainder_y
      - .offset:         686
        .size:           2
        .value_kind:     hidden_remainder_z
      - .offset:         704
        .size:           8
        .value_kind:     hidden_global_offset_x
      - .offset:         712
        .size:           8
        .value_kind:     hidden_global_offset_y
      - .offset:         720
        .size:           8
        .value_kind:     hidden_global_offset_z
      - .offset:         728
        .size:           2
        .value_kind:     hidden_grid_dims
    .group_segment_fixed_size: 4112
    .kernarg_segment_align: 8
    .kernarg_segment_size: 920
    .language:       OpenCL C
    .language_version:
      - 2
      - 0
    .max_flat_workgroup_size: 1024
    .name:           _ZN2at6native12_GLOBAL__N_114gatherKthValueIaiLin1EEEvNS_4cuda6detail10TensorInfoIKT_T0_EES8_S8_S8_S8_NS5_IS6_S8_EENS5_IlS8_EE
    .private_segment_fixed_size: 0
    .sgpr_count:     100
    .sgpr_spill_count: 38
    .symbol:         _ZN2at6native12_GLOBAL__N_114gatherKthValueIaiLin1EEEvNS_4cuda6detail10TensorInfoIKT_T0_EES8_S8_S8_S8_NS5_IS6_S8_EENS5_IlS8_EE.kd
    .uniform_work_group_size: 1
    .uses_dynamic_stack: false
    .vgpr_count:     43
    .vgpr_spill_count: 0
    .wavefront_size: 64
  - .agpr_count:     0
    .args:
      - .offset:         0
        .size:           416
        .value_kind:     by_value
      - .offset:         416
        .size:           8
        .value_kind:     by_value
      - .offset:         424
        .size:           8
        .value_kind:     by_value
      - .offset:         432
        .size:           8
        .value_kind:     by_value
      - .offset:         440
        .size:           8
        .value_kind:     by_value
      - .offset:         448
        .size:           416
        .value_kind:     by_value
      - .offset:         864
        .size:           416
        .value_kind:     by_value
      - .offset:         1280
        .size:           4
        .value_kind:     hidden_block_count_x
      - .offset:         1284
        .size:           4
        .value_kind:     hidden_block_count_y
      - .offset:         1288
        .size:           4
        .value_kind:     hidden_block_count_z
      - .offset:         1292
        .size:           2
        .value_kind:     hidden_group_size_x
      - .offset:         1294
        .size:           2
        .value_kind:     hidden_group_size_y
      - .offset:         1296
        .size:           2
        .value_kind:     hidden_group_size_z
      - .offset:         1298
        .size:           2
        .value_kind:     hidden_remainder_x
      - .offset:         1300
        .size:           2
        .value_kind:     hidden_remainder_y
      - .offset:         1302
        .size:           2
        .value_kind:     hidden_remainder_z
      - .offset:         1320
        .size:           8
        .value_kind:     hidden_global_offset_x
      - .offset:         1328
        .size:           8
        .value_kind:     hidden_global_offset_y
      - .offset:         1336
        .size:           8
        .value_kind:     hidden_global_offset_z
      - .offset:         1344
        .size:           2
        .value_kind:     hidden_grid_dims
    .group_segment_fixed_size: 5144
    .kernarg_segment_align: 8
    .kernarg_segment_size: 1536
    .language:       OpenCL C
    .language_version:
      - 2
      - 0
    .max_flat_workgroup_size: 1024
    .name:           _ZN2at6native12_GLOBAL__N_114gatherKthValueIalLi1EEEvNS_4cuda6detail10TensorInfoIKT_T0_EES8_S8_S8_S8_NS5_IS6_S8_EENS5_IlS8_EE
    .private_segment_fixed_size: 0
    .sgpr_count:     100
    .sgpr_spill_count: 35
    .symbol:         _ZN2at6native12_GLOBAL__N_114gatherKthValueIalLi1EEEvNS_4cuda6detail10TensorInfoIKT_T0_EES8_S8_S8_S8_NS5_IS6_S8_EENS5_IlS8_EE.kd
    .uniform_work_group_size: 1
    .uses_dynamic_stack: false
    .vgpr_count:     49
    .vgpr_spill_count: 0
    .wavefront_size: 64
  - .agpr_count:     0
    .args:
      - .offset:         0
        .size:           416
        .value_kind:     by_value
      - .offset:         416
        .size:           8
        .value_kind:     by_value
      - .offset:         424
        .size:           8
        .value_kind:     by_value
      - .offset:         432
        .size:           8
        .value_kind:     by_value
      - .offset:         440
        .size:           8
        .value_kind:     by_value
      - .offset:         448
        .size:           416
        .value_kind:     by_value
      - .offset:         864
        .size:           416
        .value_kind:     by_value
      - .offset:         1280
        .size:           4
        .value_kind:     hidden_block_count_x
      - .offset:         1284
        .size:           4
        .value_kind:     hidden_block_count_y
      - .offset:         1288
        .size:           4
        .value_kind:     hidden_block_count_z
      - .offset:         1292
        .size:           2
        .value_kind:     hidden_group_size_x
      - .offset:         1294
        .size:           2
        .value_kind:     hidden_group_size_y
      - .offset:         1296
        .size:           2
        .value_kind:     hidden_group_size_z
      - .offset:         1298
        .size:           2
        .value_kind:     hidden_remainder_x
      - .offset:         1300
        .size:           2
        .value_kind:     hidden_remainder_y
      - .offset:         1302
        .size:           2
        .value_kind:     hidden_remainder_z
      - .offset:         1320
        .size:           8
        .value_kind:     hidden_global_offset_x
      - .offset:         1328
        .size:           8
        .value_kind:     hidden_global_offset_y
      - .offset:         1336
        .size:           8
        .value_kind:     hidden_global_offset_z
      - .offset:         1344
        .size:           2
        .value_kind:     hidden_grid_dims
    .group_segment_fixed_size: 5144
    .kernarg_segment_align: 8
    .kernarg_segment_size: 1536
    .language:       OpenCL C
    .language_version:
      - 2
      - 0
    .max_flat_workgroup_size: 1024
    .name:           _ZN2at6native12_GLOBAL__N_114gatherKthValueIalLi2EEEvNS_4cuda6detail10TensorInfoIKT_T0_EES8_S8_S8_S8_NS5_IS6_S8_EENS5_IlS8_EE
    .private_segment_fixed_size: 0
    .sgpr_count:     100
    .sgpr_spill_count: 47
    .symbol:         _ZN2at6native12_GLOBAL__N_114gatherKthValueIalLi2EEEvNS_4cuda6detail10TensorInfoIKT_T0_EES8_S8_S8_S8_NS5_IS6_S8_EENS5_IlS8_EE.kd
    .uniform_work_group_size: 1
    .uses_dynamic_stack: false
    .vgpr_count:     47
    .vgpr_spill_count: 0
    .wavefront_size: 64
  - .agpr_count:     0
    .args:
      - .offset:         0
        .size:           416
        .value_kind:     by_value
      - .offset:         416
        .size:           8
        .value_kind:     by_value
      - .offset:         424
        .size:           8
        .value_kind:     by_value
      - .offset:         432
        .size:           8
        .value_kind:     by_value
      - .offset:         440
        .size:           8
        .value_kind:     by_value
      - .offset:         448
        .size:           416
        .value_kind:     by_value
      - .offset:         864
        .size:           416
        .value_kind:     by_value
      - .offset:         1280
        .size:           4
        .value_kind:     hidden_block_count_x
      - .offset:         1284
        .size:           4
        .value_kind:     hidden_block_count_y
      - .offset:         1288
        .size:           4
        .value_kind:     hidden_block_count_z
      - .offset:         1292
        .size:           2
        .value_kind:     hidden_group_size_x
      - .offset:         1294
        .size:           2
        .value_kind:     hidden_group_size_y
      - .offset:         1296
        .size:           2
        .value_kind:     hidden_group_size_z
      - .offset:         1298
        .size:           2
        .value_kind:     hidden_remainder_x
      - .offset:         1300
        .size:           2
        .value_kind:     hidden_remainder_y
      - .offset:         1302
        .size:           2
        .value_kind:     hidden_remainder_z
      - .offset:         1320
        .size:           8
        .value_kind:     hidden_global_offset_x
      - .offset:         1328
        .size:           8
        .value_kind:     hidden_global_offset_y
      - .offset:         1336
        .size:           8
        .value_kind:     hidden_global_offset_z
      - .offset:         1344
        .size:           2
        .value_kind:     hidden_grid_dims
    .group_segment_fixed_size: 5144
    .kernarg_segment_align: 8
    .kernarg_segment_size: 1536
    .language:       OpenCL C
    .language_version:
      - 2
      - 0
    .max_flat_workgroup_size: 1024
    .name:           _ZN2at6native12_GLOBAL__N_114gatherKthValueIalLi3EEEvNS_4cuda6detail10TensorInfoIKT_T0_EES8_S8_S8_S8_NS5_IS6_S8_EENS5_IlS8_EE
    .private_segment_fixed_size: 0
    .sgpr_count:     100
    .sgpr_spill_count: 59
    .symbol:         _ZN2at6native12_GLOBAL__N_114gatherKthValueIalLi3EEEvNS_4cuda6detail10TensorInfoIKT_T0_EES8_S8_S8_S8_NS5_IS6_S8_EENS5_IlS8_EE.kd
    .uniform_work_group_size: 1
    .uses_dynamic_stack: false
    .vgpr_count:     49
    .vgpr_spill_count: 0
    .wavefront_size: 64
  - .agpr_count:     0
    .args:
      - .offset:         0
        .size:           416
        .value_kind:     by_value
      - .offset:         416
        .size:           8
        .value_kind:     by_value
      - .offset:         424
        .size:           8
        .value_kind:     by_value
      - .offset:         432
        .size:           8
        .value_kind:     by_value
      - .offset:         440
        .size:           8
        .value_kind:     by_value
      - .offset:         448
        .size:           416
        .value_kind:     by_value
      - .offset:         864
        .size:           416
        .value_kind:     by_value
      - .offset:         1280
        .size:           4
        .value_kind:     hidden_block_count_x
      - .offset:         1284
        .size:           4
        .value_kind:     hidden_block_count_y
      - .offset:         1288
        .size:           4
        .value_kind:     hidden_block_count_z
      - .offset:         1292
        .size:           2
        .value_kind:     hidden_group_size_x
      - .offset:         1294
        .size:           2
        .value_kind:     hidden_group_size_y
      - .offset:         1296
        .size:           2
        .value_kind:     hidden_group_size_z
      - .offset:         1298
        .size:           2
        .value_kind:     hidden_remainder_x
      - .offset:         1300
        .size:           2
        .value_kind:     hidden_remainder_y
      - .offset:         1302
        .size:           2
        .value_kind:     hidden_remainder_z
      - .offset:         1320
        .size:           8
        .value_kind:     hidden_global_offset_x
      - .offset:         1328
        .size:           8
        .value_kind:     hidden_global_offset_y
      - .offset:         1336
        .size:           8
        .value_kind:     hidden_global_offset_z
      - .offset:         1344
        .size:           2
        .value_kind:     hidden_grid_dims
    .group_segment_fixed_size: 5144
    .kernarg_segment_align: 8
    .kernarg_segment_size: 1536
    .language:       OpenCL C
    .language_version:
      - 2
      - 0
    .max_flat_workgroup_size: 1024
    .name:           _ZN2at6native12_GLOBAL__N_114gatherKthValueIalLin1EEEvNS_4cuda6detail10TensorInfoIKT_T0_EES8_S8_S8_S8_NS5_IS6_S8_EENS5_IlS8_EE
    .private_segment_fixed_size: 0
    .sgpr_count:     100
    .sgpr_spill_count: 40
    .symbol:         _ZN2at6native12_GLOBAL__N_114gatherKthValueIalLin1EEEvNS_4cuda6detail10TensorInfoIKT_T0_EES8_S8_S8_S8_NS5_IS6_S8_EENS5_IlS8_EE.kd
    .uniform_work_group_size: 1
    .uses_dynamic_stack: false
    .vgpr_count:     49
    .vgpr_spill_count: 0
    .wavefront_size: 64
  - .agpr_count:     0
    .args:
      - .offset:         0
        .size:           216
        .value_kind:     by_value
      - .offset:         216
        .size:           4
        .value_kind:     by_value
      - .offset:         220
        .size:           4
        .value_kind:     by_value
      - .offset:         224
        .size:           4
        .value_kind:     by_value
      - .offset:         228
        .size:           4
        .value_kind:     by_value
      - .offset:         232
        .size:           216
        .value_kind:     by_value
      - .offset:         448
        .size:           216
        .value_kind:     by_value
      - .offset:         664
        .size:           4
        .value_kind:     hidden_block_count_x
      - .offset:         668
        .size:           4
        .value_kind:     hidden_block_count_y
      - .offset:         672
        .size:           4
        .value_kind:     hidden_block_count_z
      - .offset:         676
        .size:           2
        .value_kind:     hidden_group_size_x
      - .offset:         678
        .size:           2
        .value_kind:     hidden_group_size_y
      - .offset:         680
        .size:           2
        .value_kind:     hidden_group_size_z
      - .offset:         682
        .size:           2
        .value_kind:     hidden_remainder_x
      - .offset:         684
        .size:           2
        .value_kind:     hidden_remainder_y
      - .offset:         686
        .size:           2
        .value_kind:     hidden_remainder_z
      - .offset:         704
        .size:           8
        .value_kind:     hidden_global_offset_x
      - .offset:         712
        .size:           8
        .value_kind:     hidden_global_offset_y
      - .offset:         720
        .size:           8
        .value_kind:     hidden_global_offset_z
      - .offset:         728
        .size:           2
        .value_kind:     hidden_grid_dims
    .group_segment_fixed_size: 4112
    .kernarg_segment_align: 8
    .kernarg_segment_size: 920
    .language:       OpenCL C
    .language_version:
      - 2
      - 0
    .max_flat_workgroup_size: 1024
    .name:           _ZN2at6native12_GLOBAL__N_114gatherKthValueIiiLi1EEEvNS_4cuda6detail10TensorInfoIKT_T0_EES8_S8_S8_S8_NS5_IS6_S8_EENS5_IlS8_EE
    .private_segment_fixed_size: 0
    .sgpr_count:     100
    .sgpr_spill_count: 35
    .symbol:         _ZN2at6native12_GLOBAL__N_114gatherKthValueIiiLi1EEEvNS_4cuda6detail10TensorInfoIKT_T0_EES8_S8_S8_S8_NS5_IS6_S8_EENS5_IlS8_EE.kd
    .uniform_work_group_size: 1
    .uses_dynamic_stack: false
    .vgpr_count:     51
    .vgpr_spill_count: 0
    .wavefront_size: 64
  - .agpr_count:     0
    .args:
      - .offset:         0
        .size:           216
        .value_kind:     by_value
      - .offset:         216
        .size:           4
        .value_kind:     by_value
      - .offset:         220
        .size:           4
        .value_kind:     by_value
      - .offset:         224
        .size:           4
        .value_kind:     by_value
      - .offset:         228
        .size:           4
        .value_kind:     by_value
      - .offset:         232
        .size:           216
        .value_kind:     by_value
      - .offset:         448
        .size:           216
        .value_kind:     by_value
      - .offset:         664
        .size:           4
        .value_kind:     hidden_block_count_x
      - .offset:         668
        .size:           4
        .value_kind:     hidden_block_count_y
      - .offset:         672
        .size:           4
        .value_kind:     hidden_block_count_z
      - .offset:         676
        .size:           2
        .value_kind:     hidden_group_size_x
      - .offset:         678
        .size:           2
        .value_kind:     hidden_group_size_y
      - .offset:         680
        .size:           2
        .value_kind:     hidden_group_size_z
      - .offset:         682
        .size:           2
        .value_kind:     hidden_remainder_x
      - .offset:         684
        .size:           2
        .value_kind:     hidden_remainder_y
      - .offset:         686
        .size:           2
        .value_kind:     hidden_remainder_z
      - .offset:         704
        .size:           8
        .value_kind:     hidden_global_offset_x
      - .offset:         712
        .size:           8
        .value_kind:     hidden_global_offset_y
      - .offset:         720
        .size:           8
        .value_kind:     hidden_global_offset_z
      - .offset:         728
        .size:           2
        .value_kind:     hidden_grid_dims
    .group_segment_fixed_size: 4112
    .kernarg_segment_align: 8
    .kernarg_segment_size: 920
    .language:       OpenCL C
    .language_version:
      - 2
      - 0
    .max_flat_workgroup_size: 1024
    .name:           _ZN2at6native12_GLOBAL__N_114gatherKthValueIiiLi2EEEvNS_4cuda6detail10TensorInfoIKT_T0_EES8_S8_S8_S8_NS5_IS6_S8_EENS5_IlS8_EE
    .private_segment_fixed_size: 0
    .sgpr_count:     100
    .sgpr_spill_count: 47
    .symbol:         _ZN2at6native12_GLOBAL__N_114gatherKthValueIiiLi2EEEvNS_4cuda6detail10TensorInfoIKT_T0_EES8_S8_S8_S8_NS5_IS6_S8_EENS5_IlS8_EE.kd
    .uniform_work_group_size: 1
    .uses_dynamic_stack: false
    .vgpr_count:     51
    .vgpr_spill_count: 0
    .wavefront_size: 64
  - .agpr_count:     0
    .args:
      - .offset:         0
        .size:           216
        .value_kind:     by_value
      - .offset:         216
        .size:           4
        .value_kind:     by_value
      - .offset:         220
        .size:           4
        .value_kind:     by_value
      - .offset:         224
        .size:           4
        .value_kind:     by_value
      - .offset:         228
        .size:           4
        .value_kind:     by_value
      - .offset:         232
        .size:           216
        .value_kind:     by_value
      - .offset:         448
        .size:           216
        .value_kind:     by_value
      - .offset:         664
        .size:           4
        .value_kind:     hidden_block_count_x
      - .offset:         668
        .size:           4
        .value_kind:     hidden_block_count_y
      - .offset:         672
        .size:           4
        .value_kind:     hidden_block_count_z
      - .offset:         676
        .size:           2
        .value_kind:     hidden_group_size_x
      - .offset:         678
        .size:           2
        .value_kind:     hidden_group_size_y
      - .offset:         680
        .size:           2
        .value_kind:     hidden_group_size_z
      - .offset:         682
        .size:           2
        .value_kind:     hidden_remainder_x
      - .offset:         684
        .size:           2
        .value_kind:     hidden_remainder_y
      - .offset:         686
        .size:           2
        .value_kind:     hidden_remainder_z
      - .offset:         704
        .size:           8
        .value_kind:     hidden_global_offset_x
      - .offset:         712
        .size:           8
        .value_kind:     hidden_global_offset_y
      - .offset:         720
        .size:           8
        .value_kind:     hidden_global_offset_z
      - .offset:         728
        .size:           2
        .value_kind:     hidden_grid_dims
    .group_segment_fixed_size: 4112
    .kernarg_segment_align: 8
    .kernarg_segment_size: 920
    .language:       OpenCL C
    .language_version:
      - 2
      - 0
    .max_flat_workgroup_size: 1024
    .name:           _ZN2at6native12_GLOBAL__N_114gatherKthValueIiiLi3EEEvNS_4cuda6detail10TensorInfoIKT_T0_EES8_S8_S8_S8_NS5_IS6_S8_EENS5_IlS8_EE
    .private_segment_fixed_size: 0
    .sgpr_count:     100
    .sgpr_spill_count: 57
    .symbol:         _ZN2at6native12_GLOBAL__N_114gatherKthValueIiiLi3EEEvNS_4cuda6detail10TensorInfoIKT_T0_EES8_S8_S8_S8_NS5_IS6_S8_EENS5_IlS8_EE.kd
    .uniform_work_group_size: 1
    .uses_dynamic_stack: false
    .vgpr_count:     51
    .vgpr_spill_count: 0
    .wavefront_size: 64
  - .agpr_count:     0
    .args:
      - .offset:         0
        .size:           216
        .value_kind:     by_value
      - .offset:         216
        .size:           4
        .value_kind:     by_value
      - .offset:         220
        .size:           4
        .value_kind:     by_value
      - .offset:         224
        .size:           4
        .value_kind:     by_value
      - .offset:         228
        .size:           4
        .value_kind:     by_value
      - .offset:         232
        .size:           216
        .value_kind:     by_value
      - .offset:         448
        .size:           216
        .value_kind:     by_value
      - .offset:         664
        .size:           4
        .value_kind:     hidden_block_count_x
      - .offset:         668
        .size:           4
        .value_kind:     hidden_block_count_y
      - .offset:         672
        .size:           4
        .value_kind:     hidden_block_count_z
      - .offset:         676
        .size:           2
        .value_kind:     hidden_group_size_x
      - .offset:         678
        .size:           2
        .value_kind:     hidden_group_size_y
      - .offset:         680
        .size:           2
        .value_kind:     hidden_group_size_z
      - .offset:         682
        .size:           2
        .value_kind:     hidden_remainder_x
      - .offset:         684
        .size:           2
        .value_kind:     hidden_remainder_y
      - .offset:         686
        .size:           2
        .value_kind:     hidden_remainder_z
      - .offset:         704
        .size:           8
        .value_kind:     hidden_global_offset_x
      - .offset:         712
        .size:           8
        .value_kind:     hidden_global_offset_y
      - .offset:         720
        .size:           8
        .value_kind:     hidden_global_offset_z
      - .offset:         728
        .size:           2
        .value_kind:     hidden_grid_dims
    .group_segment_fixed_size: 4112
    .kernarg_segment_align: 8
    .kernarg_segment_size: 920
    .language:       OpenCL C
    .language_version:
      - 2
      - 0
    .max_flat_workgroup_size: 1024
    .name:           _ZN2at6native12_GLOBAL__N_114gatherKthValueIiiLin1EEEvNS_4cuda6detail10TensorInfoIKT_T0_EES8_S8_S8_S8_NS5_IS6_S8_EENS5_IlS8_EE
    .private_segment_fixed_size: 0
    .sgpr_count:     100
    .sgpr_spill_count: 38
    .symbol:         _ZN2at6native12_GLOBAL__N_114gatherKthValueIiiLin1EEEvNS_4cuda6detail10TensorInfoIKT_T0_EES8_S8_S8_S8_NS5_IS6_S8_EENS5_IlS8_EE.kd
    .uniform_work_group_size: 1
    .uses_dynamic_stack: false
    .vgpr_count:     51
    .vgpr_spill_count: 0
    .wavefront_size: 64
  - .agpr_count:     0
    .args:
      - .offset:         0
        .size:           416
        .value_kind:     by_value
      - .offset:         416
        .size:           8
        .value_kind:     by_value
      - .offset:         424
        .size:           8
        .value_kind:     by_value
      - .offset:         432
        .size:           8
        .value_kind:     by_value
      - .offset:         440
        .size:           8
        .value_kind:     by_value
      - .offset:         448
        .size:           416
        .value_kind:     by_value
      - .offset:         864
        .size:           416
        .value_kind:     by_value
      - .offset:         1280
        .size:           4
        .value_kind:     hidden_block_count_x
      - .offset:         1284
        .size:           4
        .value_kind:     hidden_block_count_y
      - .offset:         1288
        .size:           4
        .value_kind:     hidden_block_count_z
      - .offset:         1292
        .size:           2
        .value_kind:     hidden_group_size_x
      - .offset:         1294
        .size:           2
        .value_kind:     hidden_group_size_y
      - .offset:         1296
        .size:           2
        .value_kind:     hidden_group_size_z
      - .offset:         1298
        .size:           2
        .value_kind:     hidden_remainder_x
      - .offset:         1300
        .size:           2
        .value_kind:     hidden_remainder_y
      - .offset:         1302
        .size:           2
        .value_kind:     hidden_remainder_z
      - .offset:         1320
        .size:           8
        .value_kind:     hidden_global_offset_x
      - .offset:         1328
        .size:           8
        .value_kind:     hidden_global_offset_y
      - .offset:         1336
        .size:           8
        .value_kind:     hidden_global_offset_z
      - .offset:         1344
        .size:           2
        .value_kind:     hidden_grid_dims
    .group_segment_fixed_size: 5144
    .kernarg_segment_align: 8
    .kernarg_segment_size: 1536
    .language:       OpenCL C
    .language_version:
      - 2
      - 0
    .max_flat_workgroup_size: 1024
    .name:           _ZN2at6native12_GLOBAL__N_114gatherKthValueIilLi1EEEvNS_4cuda6detail10TensorInfoIKT_T0_EES8_S8_S8_S8_NS5_IS6_S8_EENS5_IlS8_EE
    .private_segment_fixed_size: 0
    .sgpr_count:     100
    .sgpr_spill_count: 39
    .symbol:         _ZN2at6native12_GLOBAL__N_114gatherKthValueIilLi1EEEvNS_4cuda6detail10TensorInfoIKT_T0_EES8_S8_S8_S8_NS5_IS6_S8_EENS5_IlS8_EE.kd
    .uniform_work_group_size: 1
    .uses_dynamic_stack: false
    .vgpr_count:     54
    .vgpr_spill_count: 0
    .wavefront_size: 64
  - .agpr_count:     0
    .args:
      - .offset:         0
        .size:           416
        .value_kind:     by_value
      - .offset:         416
        .size:           8
        .value_kind:     by_value
      - .offset:         424
        .size:           8
        .value_kind:     by_value
      - .offset:         432
        .size:           8
        .value_kind:     by_value
      - .offset:         440
        .size:           8
        .value_kind:     by_value
      - .offset:         448
        .size:           416
        .value_kind:     by_value
      - .offset:         864
        .size:           416
        .value_kind:     by_value
      - .offset:         1280
        .size:           4
        .value_kind:     hidden_block_count_x
      - .offset:         1284
        .size:           4
        .value_kind:     hidden_block_count_y
      - .offset:         1288
        .size:           4
        .value_kind:     hidden_block_count_z
      - .offset:         1292
        .size:           2
        .value_kind:     hidden_group_size_x
      - .offset:         1294
        .size:           2
        .value_kind:     hidden_group_size_y
      - .offset:         1296
        .size:           2
        .value_kind:     hidden_group_size_z
      - .offset:         1298
        .size:           2
        .value_kind:     hidden_remainder_x
      - .offset:         1300
        .size:           2
        .value_kind:     hidden_remainder_y
      - .offset:         1302
        .size:           2
        .value_kind:     hidden_remainder_z
      - .offset:         1320
        .size:           8
        .value_kind:     hidden_global_offset_x
      - .offset:         1328
        .size:           8
        .value_kind:     hidden_global_offset_y
      - .offset:         1336
        .size:           8
        .value_kind:     hidden_global_offset_z
      - .offset:         1344
        .size:           2
        .value_kind:     hidden_grid_dims
    .group_segment_fixed_size: 5144
    .kernarg_segment_align: 8
    .kernarg_segment_size: 1536
    .language:       OpenCL C
    .language_version:
      - 2
      - 0
    .max_flat_workgroup_size: 1024
    .name:           _ZN2at6native12_GLOBAL__N_114gatherKthValueIilLi2EEEvNS_4cuda6detail10TensorInfoIKT_T0_EES8_S8_S8_S8_NS5_IS6_S8_EENS5_IlS8_EE
    .private_segment_fixed_size: 0
    .sgpr_count:     100
    .sgpr_spill_count: 49
    .symbol:         _ZN2at6native12_GLOBAL__N_114gatherKthValueIilLi2EEEvNS_4cuda6detail10TensorInfoIKT_T0_EES8_S8_S8_S8_NS5_IS6_S8_EENS5_IlS8_EE.kd
    .uniform_work_group_size: 1
    .uses_dynamic_stack: false
    .vgpr_count:     53
    .vgpr_spill_count: 0
    .wavefront_size: 64
  - .agpr_count:     0
    .args:
      - .offset:         0
        .size:           416
        .value_kind:     by_value
      - .offset:         416
        .size:           8
        .value_kind:     by_value
      - .offset:         424
        .size:           8
        .value_kind:     by_value
      - .offset:         432
        .size:           8
        .value_kind:     by_value
      - .offset:         440
        .size:           8
        .value_kind:     by_value
      - .offset:         448
        .size:           416
        .value_kind:     by_value
      - .offset:         864
        .size:           416
        .value_kind:     by_value
      - .offset:         1280
        .size:           4
        .value_kind:     hidden_block_count_x
      - .offset:         1284
        .size:           4
        .value_kind:     hidden_block_count_y
      - .offset:         1288
        .size:           4
        .value_kind:     hidden_block_count_z
      - .offset:         1292
        .size:           2
        .value_kind:     hidden_group_size_x
      - .offset:         1294
        .size:           2
        .value_kind:     hidden_group_size_y
      - .offset:         1296
        .size:           2
        .value_kind:     hidden_group_size_z
      - .offset:         1298
        .size:           2
        .value_kind:     hidden_remainder_x
      - .offset:         1300
        .size:           2
        .value_kind:     hidden_remainder_y
      - .offset:         1302
        .size:           2
        .value_kind:     hidden_remainder_z
      - .offset:         1320
        .size:           8
        .value_kind:     hidden_global_offset_x
      - .offset:         1328
        .size:           8
        .value_kind:     hidden_global_offset_y
      - .offset:         1336
        .size:           8
        .value_kind:     hidden_global_offset_z
      - .offset:         1344
        .size:           2
        .value_kind:     hidden_grid_dims
    .group_segment_fixed_size: 5144
    .kernarg_segment_align: 8
    .kernarg_segment_size: 1536
    .language:       OpenCL C
    .language_version:
      - 2
      - 0
    .max_flat_workgroup_size: 1024
    .name:           _ZN2at6native12_GLOBAL__N_114gatherKthValueIilLi3EEEvNS_4cuda6detail10TensorInfoIKT_T0_EES8_S8_S8_S8_NS5_IS6_S8_EENS5_IlS8_EE
    .private_segment_fixed_size: 0
    .sgpr_count:     100
    .sgpr_spill_count: 63
    .symbol:         _ZN2at6native12_GLOBAL__N_114gatherKthValueIilLi3EEEvNS_4cuda6detail10TensorInfoIKT_T0_EES8_S8_S8_S8_NS5_IS6_S8_EENS5_IlS8_EE.kd
    .uniform_work_group_size: 1
    .uses_dynamic_stack: false
    .vgpr_count:     55
    .vgpr_spill_count: 0
    .wavefront_size: 64
  - .agpr_count:     0
    .args:
      - .offset:         0
        .size:           416
        .value_kind:     by_value
      - .offset:         416
        .size:           8
        .value_kind:     by_value
      - .offset:         424
        .size:           8
        .value_kind:     by_value
      - .offset:         432
        .size:           8
        .value_kind:     by_value
      - .offset:         440
        .size:           8
        .value_kind:     by_value
      - .offset:         448
        .size:           416
        .value_kind:     by_value
      - .offset:         864
        .size:           416
        .value_kind:     by_value
      - .offset:         1280
        .size:           4
        .value_kind:     hidden_block_count_x
      - .offset:         1284
        .size:           4
        .value_kind:     hidden_block_count_y
      - .offset:         1288
        .size:           4
        .value_kind:     hidden_block_count_z
      - .offset:         1292
        .size:           2
        .value_kind:     hidden_group_size_x
      - .offset:         1294
        .size:           2
        .value_kind:     hidden_group_size_y
      - .offset:         1296
        .size:           2
        .value_kind:     hidden_group_size_z
      - .offset:         1298
        .size:           2
        .value_kind:     hidden_remainder_x
      - .offset:         1300
        .size:           2
        .value_kind:     hidden_remainder_y
      - .offset:         1302
        .size:           2
        .value_kind:     hidden_remainder_z
      - .offset:         1320
        .size:           8
        .value_kind:     hidden_global_offset_x
      - .offset:         1328
        .size:           8
        .value_kind:     hidden_global_offset_y
      - .offset:         1336
        .size:           8
        .value_kind:     hidden_global_offset_z
      - .offset:         1344
        .size:           2
        .value_kind:     hidden_grid_dims
    .group_segment_fixed_size: 5144
    .kernarg_segment_align: 8
    .kernarg_segment_size: 1536
    .language:       OpenCL C
    .language_version:
      - 2
      - 0
    .max_flat_workgroup_size: 1024
    .name:           _ZN2at6native12_GLOBAL__N_114gatherKthValueIilLin1EEEvNS_4cuda6detail10TensorInfoIKT_T0_EES8_S8_S8_S8_NS5_IS6_S8_EENS5_IlS8_EE
    .private_segment_fixed_size: 0
    .sgpr_count:     100
    .sgpr_spill_count: 48
    .symbol:         _ZN2at6native12_GLOBAL__N_114gatherKthValueIilLin1EEEvNS_4cuda6detail10TensorInfoIKT_T0_EES8_S8_S8_S8_NS5_IS6_S8_EENS5_IlS8_EE.kd
    .uniform_work_group_size: 1
    .uses_dynamic_stack: false
    .vgpr_count:     56
    .vgpr_spill_count: 0
    .wavefront_size: 64
  - .agpr_count:     0
    .args:
      - .offset:         0
        .size:           216
        .value_kind:     by_value
      - .offset:         216
        .size:           4
        .value_kind:     by_value
      - .offset:         220
        .size:           4
        .value_kind:     by_value
      - .offset:         224
        .size:           4
        .value_kind:     by_value
      - .offset:         228
        .size:           4
        .value_kind:     by_value
      - .offset:         232
        .size:           216
        .value_kind:     by_value
      - .offset:         448
        .size:           216
        .value_kind:     by_value
      - .offset:         664
        .size:           4
        .value_kind:     hidden_block_count_x
      - .offset:         668
        .size:           4
        .value_kind:     hidden_block_count_y
      - .offset:         672
        .size:           4
        .value_kind:     hidden_block_count_z
      - .offset:         676
        .size:           2
        .value_kind:     hidden_group_size_x
      - .offset:         678
        .size:           2
        .value_kind:     hidden_group_size_y
      - .offset:         680
        .size:           2
        .value_kind:     hidden_group_size_z
      - .offset:         682
        .size:           2
        .value_kind:     hidden_remainder_x
      - .offset:         684
        .size:           2
        .value_kind:     hidden_remainder_y
      - .offset:         686
        .size:           2
        .value_kind:     hidden_remainder_z
      - .offset:         704
        .size:           8
        .value_kind:     hidden_global_offset_x
      - .offset:         712
        .size:           8
        .value_kind:     hidden_global_offset_y
      - .offset:         720
        .size:           8
        .value_kind:     hidden_global_offset_z
      - .offset:         728
        .size:           2
        .value_kind:     hidden_grid_dims
    .group_segment_fixed_size: 4112
    .kernarg_segment_align: 8
    .kernarg_segment_size: 920
    .language:       OpenCL C
    .language_version:
      - 2
      - 0
    .max_flat_workgroup_size: 1024
    .name:           _ZN2at6native12_GLOBAL__N_114gatherKthValueIliLi1EEEvNS_4cuda6detail10TensorInfoIKT_T0_EES8_S8_S8_S8_NS5_IS6_S8_EENS5_IlS8_EE
    .private_segment_fixed_size: 0
    .sgpr_count:     100
    .sgpr_spill_count: 41
    .symbol:         _ZN2at6native12_GLOBAL__N_114gatherKthValueIliLi1EEEvNS_4cuda6detail10TensorInfoIKT_T0_EES8_S8_S8_S8_NS5_IS6_S8_EENS5_IlS8_EE.kd
    .uniform_work_group_size: 1
    .uses_dynamic_stack: false
    .vgpr_count:     55
    .vgpr_spill_count: 0
    .wavefront_size: 64
  - .agpr_count:     0
    .args:
      - .offset:         0
        .size:           216
        .value_kind:     by_value
      - .offset:         216
        .size:           4
        .value_kind:     by_value
      - .offset:         220
        .size:           4
        .value_kind:     by_value
      - .offset:         224
        .size:           4
        .value_kind:     by_value
      - .offset:         228
        .size:           4
        .value_kind:     by_value
      - .offset:         232
        .size:           216
        .value_kind:     by_value
      - .offset:         448
        .size:           216
        .value_kind:     by_value
      - .offset:         664
        .size:           4
        .value_kind:     hidden_block_count_x
      - .offset:         668
        .size:           4
        .value_kind:     hidden_block_count_y
      - .offset:         672
        .size:           4
        .value_kind:     hidden_block_count_z
      - .offset:         676
        .size:           2
        .value_kind:     hidden_group_size_x
      - .offset:         678
        .size:           2
        .value_kind:     hidden_group_size_y
      - .offset:         680
        .size:           2
        .value_kind:     hidden_group_size_z
      - .offset:         682
        .size:           2
        .value_kind:     hidden_remainder_x
      - .offset:         684
        .size:           2
        .value_kind:     hidden_remainder_y
      - .offset:         686
        .size:           2
        .value_kind:     hidden_remainder_z
      - .offset:         704
        .size:           8
        .value_kind:     hidden_global_offset_x
      - .offset:         712
        .size:           8
        .value_kind:     hidden_global_offset_y
      - .offset:         720
        .size:           8
        .value_kind:     hidden_global_offset_z
      - .offset:         728
        .size:           2
        .value_kind:     hidden_grid_dims
    .group_segment_fixed_size: 4112
    .kernarg_segment_align: 8
    .kernarg_segment_size: 920
    .language:       OpenCL C
    .language_version:
      - 2
      - 0
    .max_flat_workgroup_size: 1024
    .name:           _ZN2at6native12_GLOBAL__N_114gatherKthValueIliLi2EEEvNS_4cuda6detail10TensorInfoIKT_T0_EES8_S8_S8_S8_NS5_IS6_S8_EENS5_IlS8_EE
    .private_segment_fixed_size: 0
    .sgpr_count:     100
    .sgpr_spill_count: 53
    .symbol:         _ZN2at6native12_GLOBAL__N_114gatherKthValueIliLi2EEEvNS_4cuda6detail10TensorInfoIKT_T0_EES8_S8_S8_S8_NS5_IS6_S8_EENS5_IlS8_EE.kd
    .uniform_work_group_size: 1
    .uses_dynamic_stack: false
    .vgpr_count:     55
    .vgpr_spill_count: 0
    .wavefront_size: 64
  - .agpr_count:     0
    .args:
      - .offset:         0
        .size:           216
        .value_kind:     by_value
      - .offset:         216
        .size:           4
        .value_kind:     by_value
      - .offset:         220
        .size:           4
        .value_kind:     by_value
      - .offset:         224
        .size:           4
        .value_kind:     by_value
      - .offset:         228
        .size:           4
        .value_kind:     by_value
      - .offset:         232
        .size:           216
        .value_kind:     by_value
      - .offset:         448
        .size:           216
        .value_kind:     by_value
      - .offset:         664
        .size:           4
        .value_kind:     hidden_block_count_x
      - .offset:         668
        .size:           4
        .value_kind:     hidden_block_count_y
      - .offset:         672
        .size:           4
        .value_kind:     hidden_block_count_z
      - .offset:         676
        .size:           2
        .value_kind:     hidden_group_size_x
      - .offset:         678
        .size:           2
        .value_kind:     hidden_group_size_y
      - .offset:         680
        .size:           2
        .value_kind:     hidden_group_size_z
      - .offset:         682
        .size:           2
        .value_kind:     hidden_remainder_x
      - .offset:         684
        .size:           2
        .value_kind:     hidden_remainder_y
      - .offset:         686
        .size:           2
        .value_kind:     hidden_remainder_z
      - .offset:         704
        .size:           8
        .value_kind:     hidden_global_offset_x
      - .offset:         712
        .size:           8
        .value_kind:     hidden_global_offset_y
      - .offset:         720
        .size:           8
        .value_kind:     hidden_global_offset_z
      - .offset:         728
        .size:           2
        .value_kind:     hidden_grid_dims
    .group_segment_fixed_size: 4112
    .kernarg_segment_align: 8
    .kernarg_segment_size: 920
    .language:       OpenCL C
    .language_version:
      - 2
      - 0
    .max_flat_workgroup_size: 1024
    .name:           _ZN2at6native12_GLOBAL__N_114gatherKthValueIliLi3EEEvNS_4cuda6detail10TensorInfoIKT_T0_EES8_S8_S8_S8_NS5_IS6_S8_EENS5_IlS8_EE
    .private_segment_fixed_size: 0
    .sgpr_count:     100
    .sgpr_spill_count: 63
    .symbol:         _ZN2at6native12_GLOBAL__N_114gatherKthValueIliLi3EEEvNS_4cuda6detail10TensorInfoIKT_T0_EES8_S8_S8_S8_NS5_IS6_S8_EENS5_IlS8_EE.kd
    .uniform_work_group_size: 1
    .uses_dynamic_stack: false
    .vgpr_count:     55
    .vgpr_spill_count: 0
    .wavefront_size: 64
  - .agpr_count:     0
    .args:
      - .offset:         0
        .size:           216
        .value_kind:     by_value
      - .offset:         216
        .size:           4
        .value_kind:     by_value
      - .offset:         220
        .size:           4
        .value_kind:     by_value
      - .offset:         224
        .size:           4
        .value_kind:     by_value
      - .offset:         228
        .size:           4
        .value_kind:     by_value
      - .offset:         232
        .size:           216
        .value_kind:     by_value
      - .offset:         448
        .size:           216
        .value_kind:     by_value
      - .offset:         664
        .size:           4
        .value_kind:     hidden_block_count_x
      - .offset:         668
        .size:           4
        .value_kind:     hidden_block_count_y
      - .offset:         672
        .size:           4
        .value_kind:     hidden_block_count_z
      - .offset:         676
        .size:           2
        .value_kind:     hidden_group_size_x
      - .offset:         678
        .size:           2
        .value_kind:     hidden_group_size_y
      - .offset:         680
        .size:           2
        .value_kind:     hidden_group_size_z
      - .offset:         682
        .size:           2
        .value_kind:     hidden_remainder_x
      - .offset:         684
        .size:           2
        .value_kind:     hidden_remainder_y
      - .offset:         686
        .size:           2
        .value_kind:     hidden_remainder_z
      - .offset:         704
        .size:           8
        .value_kind:     hidden_global_offset_x
      - .offset:         712
        .size:           8
        .value_kind:     hidden_global_offset_y
      - .offset:         720
        .size:           8
        .value_kind:     hidden_global_offset_z
      - .offset:         728
        .size:           2
        .value_kind:     hidden_grid_dims
    .group_segment_fixed_size: 4112
    .kernarg_segment_align: 8
    .kernarg_segment_size: 920
    .language:       OpenCL C
    .language_version:
      - 2
      - 0
    .max_flat_workgroup_size: 1024
    .name:           _ZN2at6native12_GLOBAL__N_114gatherKthValueIliLin1EEEvNS_4cuda6detail10TensorInfoIKT_T0_EES8_S8_S8_S8_NS5_IS6_S8_EENS5_IlS8_EE
    .private_segment_fixed_size: 0
    .sgpr_count:     100
    .sgpr_spill_count: 44
    .symbol:         _ZN2at6native12_GLOBAL__N_114gatherKthValueIliLin1EEEvNS_4cuda6detail10TensorInfoIKT_T0_EES8_S8_S8_S8_NS5_IS6_S8_EENS5_IlS8_EE.kd
    .uniform_work_group_size: 1
    .uses_dynamic_stack: false
    .vgpr_count:     55
    .vgpr_spill_count: 0
    .wavefront_size: 64
  - .agpr_count:     0
    .args:
      - .offset:         0
        .size:           416
        .value_kind:     by_value
      - .offset:         416
        .size:           8
        .value_kind:     by_value
      - .offset:         424
        .size:           8
        .value_kind:     by_value
      - .offset:         432
        .size:           8
        .value_kind:     by_value
      - .offset:         440
        .size:           8
        .value_kind:     by_value
      - .offset:         448
        .size:           416
        .value_kind:     by_value
      - .offset:         864
        .size:           416
        .value_kind:     by_value
      - .offset:         1280
        .size:           4
        .value_kind:     hidden_block_count_x
      - .offset:         1284
        .size:           4
        .value_kind:     hidden_block_count_y
      - .offset:         1288
        .size:           4
        .value_kind:     hidden_block_count_z
      - .offset:         1292
        .size:           2
        .value_kind:     hidden_group_size_x
      - .offset:         1294
        .size:           2
        .value_kind:     hidden_group_size_y
      - .offset:         1296
        .size:           2
        .value_kind:     hidden_group_size_z
      - .offset:         1298
        .size:           2
        .value_kind:     hidden_remainder_x
      - .offset:         1300
        .size:           2
        .value_kind:     hidden_remainder_y
      - .offset:         1302
        .size:           2
        .value_kind:     hidden_remainder_z
      - .offset:         1320
        .size:           8
        .value_kind:     hidden_global_offset_x
      - .offset:         1328
        .size:           8
        .value_kind:     hidden_global_offset_y
      - .offset:         1336
        .size:           8
        .value_kind:     hidden_global_offset_z
      - .offset:         1344
        .size:           2
        .value_kind:     hidden_grid_dims
    .group_segment_fixed_size: 5144
    .kernarg_segment_align: 8
    .kernarg_segment_size: 1536
    .language:       OpenCL C
    .language_version:
      - 2
      - 0
    .max_flat_workgroup_size: 1024
    .name:           _ZN2at6native12_GLOBAL__N_114gatherKthValueIllLi1EEEvNS_4cuda6detail10TensorInfoIKT_T0_EES8_S8_S8_S8_NS5_IS6_S8_EENS5_IlS8_EE
    .private_segment_fixed_size: 0
    .sgpr_count:     100
    .sgpr_spill_count: 41
    .symbol:         _ZN2at6native12_GLOBAL__N_114gatherKthValueIllLi1EEEvNS_4cuda6detail10TensorInfoIKT_T0_EES8_S8_S8_S8_NS5_IS6_S8_EENS5_IlS8_EE.kd
    .uniform_work_group_size: 1
    .uses_dynamic_stack: false
    .vgpr_count:     61
    .vgpr_spill_count: 0
    .wavefront_size: 64
  - .agpr_count:     0
    .args:
      - .offset:         0
        .size:           416
        .value_kind:     by_value
      - .offset:         416
        .size:           8
        .value_kind:     by_value
      - .offset:         424
        .size:           8
        .value_kind:     by_value
      - .offset:         432
        .size:           8
        .value_kind:     by_value
      - .offset:         440
        .size:           8
        .value_kind:     by_value
      - .offset:         448
        .size:           416
        .value_kind:     by_value
      - .offset:         864
        .size:           416
        .value_kind:     by_value
      - .offset:         1280
        .size:           4
        .value_kind:     hidden_block_count_x
      - .offset:         1284
        .size:           4
        .value_kind:     hidden_block_count_y
      - .offset:         1288
        .size:           4
        .value_kind:     hidden_block_count_z
      - .offset:         1292
        .size:           2
        .value_kind:     hidden_group_size_x
      - .offset:         1294
        .size:           2
        .value_kind:     hidden_group_size_y
      - .offset:         1296
        .size:           2
        .value_kind:     hidden_group_size_z
      - .offset:         1298
        .size:           2
        .value_kind:     hidden_remainder_x
      - .offset:         1300
        .size:           2
        .value_kind:     hidden_remainder_y
      - .offset:         1302
        .size:           2
        .value_kind:     hidden_remainder_z
      - .offset:         1320
        .size:           8
        .value_kind:     hidden_global_offset_x
      - .offset:         1328
        .size:           8
        .value_kind:     hidden_global_offset_y
      - .offset:         1336
        .size:           8
        .value_kind:     hidden_global_offset_z
      - .offset:         1344
        .size:           2
        .value_kind:     hidden_grid_dims
    .group_segment_fixed_size: 5144
    .kernarg_segment_align: 8
    .kernarg_segment_size: 1536
    .language:       OpenCL C
    .language_version:
      - 2
      - 0
    .max_flat_workgroup_size: 1024
    .name:           _ZN2at6native12_GLOBAL__N_114gatherKthValueIllLi2EEEvNS_4cuda6detail10TensorInfoIKT_T0_EES8_S8_S8_S8_NS5_IS6_S8_EENS5_IlS8_EE
    .private_segment_fixed_size: 0
    .sgpr_count:     100
    .sgpr_spill_count: 51
    .symbol:         _ZN2at6native12_GLOBAL__N_114gatherKthValueIllLi2EEEvNS_4cuda6detail10TensorInfoIKT_T0_EES8_S8_S8_S8_NS5_IS6_S8_EENS5_IlS8_EE.kd
    .uniform_work_group_size: 1
    .uses_dynamic_stack: false
    .vgpr_count:     65
    .vgpr_spill_count: 0
    .wavefront_size: 64
  - .agpr_count:     0
    .args:
      - .offset:         0
        .size:           416
        .value_kind:     by_value
      - .offset:         416
        .size:           8
        .value_kind:     by_value
      - .offset:         424
        .size:           8
        .value_kind:     by_value
      - .offset:         432
        .size:           8
        .value_kind:     by_value
      - .offset:         440
        .size:           8
        .value_kind:     by_value
      - .offset:         448
        .size:           416
        .value_kind:     by_value
      - .offset:         864
        .size:           416
        .value_kind:     by_value
      - .offset:         1280
        .size:           4
        .value_kind:     hidden_block_count_x
      - .offset:         1284
        .size:           4
        .value_kind:     hidden_block_count_y
      - .offset:         1288
        .size:           4
        .value_kind:     hidden_block_count_z
      - .offset:         1292
        .size:           2
        .value_kind:     hidden_group_size_x
      - .offset:         1294
        .size:           2
        .value_kind:     hidden_group_size_y
      - .offset:         1296
        .size:           2
        .value_kind:     hidden_group_size_z
      - .offset:         1298
        .size:           2
        .value_kind:     hidden_remainder_x
      - .offset:         1300
        .size:           2
        .value_kind:     hidden_remainder_y
      - .offset:         1302
        .size:           2
        .value_kind:     hidden_remainder_z
      - .offset:         1320
        .size:           8
        .value_kind:     hidden_global_offset_x
      - .offset:         1328
        .size:           8
        .value_kind:     hidden_global_offset_y
      - .offset:         1336
        .size:           8
        .value_kind:     hidden_global_offset_z
      - .offset:         1344
        .size:           2
        .value_kind:     hidden_grid_dims
    .group_segment_fixed_size: 5144
    .kernarg_segment_align: 8
    .kernarg_segment_size: 1536
    .language:       OpenCL C
    .language_version:
      - 2
      - 0
    .max_flat_workgroup_size: 1024
    .name:           _ZN2at6native12_GLOBAL__N_114gatherKthValueIllLi3EEEvNS_4cuda6detail10TensorInfoIKT_T0_EES8_S8_S8_S8_NS5_IS6_S8_EENS5_IlS8_EE
    .private_segment_fixed_size: 0
    .sgpr_count:     100
    .sgpr_spill_count: 65
    .symbol:         _ZN2at6native12_GLOBAL__N_114gatherKthValueIllLi3EEEvNS_4cuda6detail10TensorInfoIKT_T0_EES8_S8_S8_S8_NS5_IS6_S8_EENS5_IlS8_EE.kd
    .uniform_work_group_size: 1
    .uses_dynamic_stack: false
    .vgpr_count:     67
    .vgpr_spill_count: 0
    .wavefront_size: 64
  - .agpr_count:     0
    .args:
      - .offset:         0
        .size:           416
        .value_kind:     by_value
      - .offset:         416
        .size:           8
        .value_kind:     by_value
      - .offset:         424
        .size:           8
        .value_kind:     by_value
      - .offset:         432
        .size:           8
        .value_kind:     by_value
      - .offset:         440
        .size:           8
        .value_kind:     by_value
      - .offset:         448
        .size:           416
        .value_kind:     by_value
      - .offset:         864
        .size:           416
        .value_kind:     by_value
      - .offset:         1280
        .size:           4
        .value_kind:     hidden_block_count_x
      - .offset:         1284
        .size:           4
        .value_kind:     hidden_block_count_y
      - .offset:         1288
        .size:           4
        .value_kind:     hidden_block_count_z
      - .offset:         1292
        .size:           2
        .value_kind:     hidden_group_size_x
      - .offset:         1294
        .size:           2
        .value_kind:     hidden_group_size_y
      - .offset:         1296
        .size:           2
        .value_kind:     hidden_group_size_z
      - .offset:         1298
        .size:           2
        .value_kind:     hidden_remainder_x
      - .offset:         1300
        .size:           2
        .value_kind:     hidden_remainder_y
      - .offset:         1302
        .size:           2
        .value_kind:     hidden_remainder_z
      - .offset:         1320
        .size:           8
        .value_kind:     hidden_global_offset_x
      - .offset:         1328
        .size:           8
        .value_kind:     hidden_global_offset_y
      - .offset:         1336
        .size:           8
        .value_kind:     hidden_global_offset_z
      - .offset:         1344
        .size:           2
        .value_kind:     hidden_grid_dims
    .group_segment_fixed_size: 5144
    .kernarg_segment_align: 8
    .kernarg_segment_size: 1536
    .language:       OpenCL C
    .language_version:
      - 2
      - 0
    .max_flat_workgroup_size: 1024
    .name:           _ZN2at6native12_GLOBAL__N_114gatherKthValueIllLin1EEEvNS_4cuda6detail10TensorInfoIKT_T0_EES8_S8_S8_S8_NS5_IS6_S8_EENS5_IlS8_EE
    .private_segment_fixed_size: 0
    .sgpr_count:     100
    .sgpr_spill_count: 49
    .symbol:         _ZN2at6native12_GLOBAL__N_114gatherKthValueIllLin1EEEvNS_4cuda6detail10TensorInfoIKT_T0_EES8_S8_S8_S8_NS5_IS6_S8_EENS5_IlS8_EE.kd
    .uniform_work_group_size: 1
    .uses_dynamic_stack: false
    .vgpr_count:     71
    .vgpr_spill_count: 0
    .wavefront_size: 64
  - .agpr_count:     0
    .args:
      - .offset:         0
        .size:           216
        .value_kind:     by_value
      - .offset:         216
        .size:           4
        .value_kind:     by_value
      - .offset:         220
        .size:           4
        .value_kind:     by_value
      - .offset:         224
        .size:           4
        .value_kind:     by_value
      - .offset:         228
        .size:           4
        .value_kind:     by_value
      - .offset:         232
        .size:           216
        .value_kind:     by_value
      - .offset:         448
        .size:           216
        .value_kind:     by_value
      - .offset:         664
        .size:           4
        .value_kind:     hidden_block_count_x
      - .offset:         668
        .size:           4
        .value_kind:     hidden_block_count_y
      - .offset:         672
        .size:           4
        .value_kind:     hidden_block_count_z
      - .offset:         676
        .size:           2
        .value_kind:     hidden_group_size_x
      - .offset:         678
        .size:           2
        .value_kind:     hidden_group_size_y
      - .offset:         680
        .size:           2
        .value_kind:     hidden_group_size_z
      - .offset:         682
        .size:           2
        .value_kind:     hidden_remainder_x
      - .offset:         684
        .size:           2
        .value_kind:     hidden_remainder_y
      - .offset:         686
        .size:           2
        .value_kind:     hidden_remainder_z
      - .offset:         704
        .size:           8
        .value_kind:     hidden_global_offset_x
      - .offset:         712
        .size:           8
        .value_kind:     hidden_global_offset_y
      - .offset:         720
        .size:           8
        .value_kind:     hidden_global_offset_z
      - .offset:         728
        .size:           2
        .value_kind:     hidden_grid_dims
    .group_segment_fixed_size: 4112
    .kernarg_segment_align: 8
    .kernarg_segment_size: 920
    .language:       OpenCL C
    .language_version:
      - 2
      - 0
    .max_flat_workgroup_size: 1024
    .name:           _ZN2at6native12_GLOBAL__N_114gatherKthValueIsiLi1EEEvNS_4cuda6detail10TensorInfoIKT_T0_EES8_S8_S8_S8_NS5_IS6_S8_EENS5_IlS8_EE
    .private_segment_fixed_size: 0
    .sgpr_count:     100
    .sgpr_spill_count: 39
    .symbol:         _ZN2at6native12_GLOBAL__N_114gatherKthValueIsiLi1EEEvNS_4cuda6detail10TensorInfoIKT_T0_EES8_S8_S8_S8_NS5_IS6_S8_EENS5_IlS8_EE.kd
    .uniform_work_group_size: 1
    .uses_dynamic_stack: false
    .vgpr_count:     49
    .vgpr_spill_count: 0
    .wavefront_size: 64
  - .agpr_count:     0
    .args:
      - .offset:         0
        .size:           216
        .value_kind:     by_value
      - .offset:         216
        .size:           4
        .value_kind:     by_value
      - .offset:         220
        .size:           4
        .value_kind:     by_value
      - .offset:         224
        .size:           4
        .value_kind:     by_value
      - .offset:         228
        .size:           4
        .value_kind:     by_value
      - .offset:         232
        .size:           216
        .value_kind:     by_value
      - .offset:         448
        .size:           216
        .value_kind:     by_value
      - .offset:         664
        .size:           4
        .value_kind:     hidden_block_count_x
      - .offset:         668
        .size:           4
        .value_kind:     hidden_block_count_y
      - .offset:         672
        .size:           4
        .value_kind:     hidden_block_count_z
      - .offset:         676
        .size:           2
        .value_kind:     hidden_group_size_x
      - .offset:         678
        .size:           2
        .value_kind:     hidden_group_size_y
      - .offset:         680
        .size:           2
        .value_kind:     hidden_group_size_z
      - .offset:         682
        .size:           2
        .value_kind:     hidden_remainder_x
      - .offset:         684
        .size:           2
        .value_kind:     hidden_remainder_y
      - .offset:         686
        .size:           2
        .value_kind:     hidden_remainder_z
      - .offset:         704
        .size:           8
        .value_kind:     hidden_global_offset_x
      - .offset:         712
        .size:           8
        .value_kind:     hidden_global_offset_y
      - .offset:         720
        .size:           8
        .value_kind:     hidden_global_offset_z
      - .offset:         728
        .size:           2
        .value_kind:     hidden_grid_dims
    .group_segment_fixed_size: 4112
    .kernarg_segment_align: 8
    .kernarg_segment_size: 920
    .language:       OpenCL C
    .language_version:
      - 2
      - 0
    .max_flat_workgroup_size: 1024
    .name:           _ZN2at6native12_GLOBAL__N_114gatherKthValueIsiLi2EEEvNS_4cuda6detail10TensorInfoIKT_T0_EES8_S8_S8_S8_NS5_IS6_S8_EENS5_IlS8_EE
    .private_segment_fixed_size: 0
    .sgpr_count:     100
    .sgpr_spill_count: 51
    .symbol:         _ZN2at6native12_GLOBAL__N_114gatherKthValueIsiLi2EEEvNS_4cuda6detail10TensorInfoIKT_T0_EES8_S8_S8_S8_NS5_IS6_S8_EENS5_IlS8_EE.kd
    .uniform_work_group_size: 1
    .uses_dynamic_stack: false
    .vgpr_count:     49
    .vgpr_spill_count: 0
    .wavefront_size: 64
  - .agpr_count:     0
    .args:
      - .offset:         0
        .size:           216
        .value_kind:     by_value
      - .offset:         216
        .size:           4
        .value_kind:     by_value
      - .offset:         220
        .size:           4
        .value_kind:     by_value
      - .offset:         224
        .size:           4
        .value_kind:     by_value
      - .offset:         228
        .size:           4
        .value_kind:     by_value
      - .offset:         232
        .size:           216
        .value_kind:     by_value
      - .offset:         448
        .size:           216
        .value_kind:     by_value
      - .offset:         664
        .size:           4
        .value_kind:     hidden_block_count_x
      - .offset:         668
        .size:           4
        .value_kind:     hidden_block_count_y
      - .offset:         672
        .size:           4
        .value_kind:     hidden_block_count_z
      - .offset:         676
        .size:           2
        .value_kind:     hidden_group_size_x
      - .offset:         678
        .size:           2
        .value_kind:     hidden_group_size_y
      - .offset:         680
        .size:           2
        .value_kind:     hidden_group_size_z
      - .offset:         682
        .size:           2
        .value_kind:     hidden_remainder_x
      - .offset:         684
        .size:           2
        .value_kind:     hidden_remainder_y
      - .offset:         686
        .size:           2
        .value_kind:     hidden_remainder_z
      - .offset:         704
        .size:           8
        .value_kind:     hidden_global_offset_x
      - .offset:         712
        .size:           8
        .value_kind:     hidden_global_offset_y
      - .offset:         720
        .size:           8
        .value_kind:     hidden_global_offset_z
      - .offset:         728
        .size:           2
        .value_kind:     hidden_grid_dims
    .group_segment_fixed_size: 4112
    .kernarg_segment_align: 8
    .kernarg_segment_size: 920
    .language:       OpenCL C
    .language_version:
      - 2
      - 0
    .max_flat_workgroup_size: 1024
    .name:           _ZN2at6native12_GLOBAL__N_114gatherKthValueIsiLi3EEEvNS_4cuda6detail10TensorInfoIKT_T0_EES8_S8_S8_S8_NS5_IS6_S8_EENS5_IlS8_EE
    .private_segment_fixed_size: 0
    .sgpr_count:     100
    .sgpr_spill_count: 61
    .symbol:         _ZN2at6native12_GLOBAL__N_114gatherKthValueIsiLi3EEEvNS_4cuda6detail10TensorInfoIKT_T0_EES8_S8_S8_S8_NS5_IS6_S8_EENS5_IlS8_EE.kd
    .uniform_work_group_size: 1
    .uses_dynamic_stack: false
    .vgpr_count:     49
    .vgpr_spill_count: 0
    .wavefront_size: 64
  - .agpr_count:     0
    .args:
      - .offset:         0
        .size:           216
        .value_kind:     by_value
      - .offset:         216
        .size:           4
        .value_kind:     by_value
      - .offset:         220
        .size:           4
        .value_kind:     by_value
      - .offset:         224
        .size:           4
        .value_kind:     by_value
      - .offset:         228
        .size:           4
        .value_kind:     by_value
      - .offset:         232
        .size:           216
        .value_kind:     by_value
      - .offset:         448
        .size:           216
        .value_kind:     by_value
      - .offset:         664
        .size:           4
        .value_kind:     hidden_block_count_x
      - .offset:         668
        .size:           4
        .value_kind:     hidden_block_count_y
      - .offset:         672
        .size:           4
        .value_kind:     hidden_block_count_z
      - .offset:         676
        .size:           2
        .value_kind:     hidden_group_size_x
      - .offset:         678
        .size:           2
        .value_kind:     hidden_group_size_y
      - .offset:         680
        .size:           2
        .value_kind:     hidden_group_size_z
      - .offset:         682
        .size:           2
        .value_kind:     hidden_remainder_x
      - .offset:         684
        .size:           2
        .value_kind:     hidden_remainder_y
      - .offset:         686
        .size:           2
        .value_kind:     hidden_remainder_z
      - .offset:         704
        .size:           8
        .value_kind:     hidden_global_offset_x
      - .offset:         712
        .size:           8
        .value_kind:     hidden_global_offset_y
      - .offset:         720
        .size:           8
        .value_kind:     hidden_global_offset_z
      - .offset:         728
        .size:           2
        .value_kind:     hidden_grid_dims
    .group_segment_fixed_size: 4112
    .kernarg_segment_align: 8
    .kernarg_segment_size: 920
    .language:       OpenCL C
    .language_version:
      - 2
      - 0
    .max_flat_workgroup_size: 1024
    .name:           _ZN2at6native12_GLOBAL__N_114gatherKthValueIsiLin1EEEvNS_4cuda6detail10TensorInfoIKT_T0_EES8_S8_S8_S8_NS5_IS6_S8_EENS5_IlS8_EE
    .private_segment_fixed_size: 0
    .sgpr_count:     100
    .sgpr_spill_count: 48
    .symbol:         _ZN2at6native12_GLOBAL__N_114gatherKthValueIsiLin1EEEvNS_4cuda6detail10TensorInfoIKT_T0_EES8_S8_S8_S8_NS5_IS6_S8_EENS5_IlS8_EE.kd
    .uniform_work_group_size: 1
    .uses_dynamic_stack: false
    .vgpr_count:     49
    .vgpr_spill_count: 0
    .wavefront_size: 64
  - .agpr_count:     0
    .args:
      - .offset:         0
        .size:           416
        .value_kind:     by_value
      - .offset:         416
        .size:           8
        .value_kind:     by_value
      - .offset:         424
        .size:           8
        .value_kind:     by_value
      - .offset:         432
        .size:           8
        .value_kind:     by_value
      - .offset:         440
        .size:           8
        .value_kind:     by_value
      - .offset:         448
        .size:           416
        .value_kind:     by_value
      - .offset:         864
        .size:           416
        .value_kind:     by_value
      - .offset:         1280
        .size:           4
        .value_kind:     hidden_block_count_x
      - .offset:         1284
        .size:           4
        .value_kind:     hidden_block_count_y
      - .offset:         1288
        .size:           4
        .value_kind:     hidden_block_count_z
      - .offset:         1292
        .size:           2
        .value_kind:     hidden_group_size_x
      - .offset:         1294
        .size:           2
        .value_kind:     hidden_group_size_y
      - .offset:         1296
        .size:           2
        .value_kind:     hidden_group_size_z
      - .offset:         1298
        .size:           2
        .value_kind:     hidden_remainder_x
      - .offset:         1300
        .size:           2
        .value_kind:     hidden_remainder_y
      - .offset:         1302
        .size:           2
        .value_kind:     hidden_remainder_z
      - .offset:         1320
        .size:           8
        .value_kind:     hidden_global_offset_x
      - .offset:         1328
        .size:           8
        .value_kind:     hidden_global_offset_y
      - .offset:         1336
        .size:           8
        .value_kind:     hidden_global_offset_z
      - .offset:         1344
        .size:           2
        .value_kind:     hidden_grid_dims
    .group_segment_fixed_size: 5144
    .kernarg_segment_align: 8
    .kernarg_segment_size: 1536
    .language:       OpenCL C
    .language_version:
      - 2
      - 0
    .max_flat_workgroup_size: 1024
    .name:           _ZN2at6native12_GLOBAL__N_114gatherKthValueIslLi1EEEvNS_4cuda6detail10TensorInfoIKT_T0_EES8_S8_S8_S8_NS5_IS6_S8_EENS5_IlS8_EE
    .private_segment_fixed_size: 0
    .sgpr_count:     100
    .sgpr_spill_count: 39
    .symbol:         _ZN2at6native12_GLOBAL__N_114gatherKthValueIslLi1EEEvNS_4cuda6detail10TensorInfoIKT_T0_EES8_S8_S8_S8_NS5_IS6_S8_EENS5_IlS8_EE.kd
    .uniform_work_group_size: 1
    .uses_dynamic_stack: false
    .vgpr_count:     53
    .vgpr_spill_count: 0
    .wavefront_size: 64
  - .agpr_count:     0
    .args:
      - .offset:         0
        .size:           416
        .value_kind:     by_value
      - .offset:         416
        .size:           8
        .value_kind:     by_value
      - .offset:         424
        .size:           8
        .value_kind:     by_value
      - .offset:         432
        .size:           8
        .value_kind:     by_value
      - .offset:         440
        .size:           8
        .value_kind:     by_value
      - .offset:         448
        .size:           416
        .value_kind:     by_value
      - .offset:         864
        .size:           416
        .value_kind:     by_value
      - .offset:         1280
        .size:           4
        .value_kind:     hidden_block_count_x
      - .offset:         1284
        .size:           4
        .value_kind:     hidden_block_count_y
      - .offset:         1288
        .size:           4
        .value_kind:     hidden_block_count_z
      - .offset:         1292
        .size:           2
        .value_kind:     hidden_group_size_x
      - .offset:         1294
        .size:           2
        .value_kind:     hidden_group_size_y
      - .offset:         1296
        .size:           2
        .value_kind:     hidden_group_size_z
      - .offset:         1298
        .size:           2
        .value_kind:     hidden_remainder_x
      - .offset:         1300
        .size:           2
        .value_kind:     hidden_remainder_y
      - .offset:         1302
        .size:           2
        .value_kind:     hidden_remainder_z
      - .offset:         1320
        .size:           8
        .value_kind:     hidden_global_offset_x
      - .offset:         1328
        .size:           8
        .value_kind:     hidden_global_offset_y
      - .offset:         1336
        .size:           8
        .value_kind:     hidden_global_offset_z
      - .offset:         1344
        .size:           2
        .value_kind:     hidden_grid_dims
    .group_segment_fixed_size: 5144
    .kernarg_segment_align: 8
    .kernarg_segment_size: 1536
    .language:       OpenCL C
    .language_version:
      - 2
      - 0
    .max_flat_workgroup_size: 1024
    .name:           _ZN2at6native12_GLOBAL__N_114gatherKthValueIslLi2EEEvNS_4cuda6detail10TensorInfoIKT_T0_EES8_S8_S8_S8_NS5_IS6_S8_EENS5_IlS8_EE
    .private_segment_fixed_size: 0
    .sgpr_count:     100
    .sgpr_spill_count: 50
    .symbol:         _ZN2at6native12_GLOBAL__N_114gatherKthValueIslLi2EEEvNS_4cuda6detail10TensorInfoIKT_T0_EES8_S8_S8_S8_NS5_IS6_S8_EENS5_IlS8_EE.kd
    .uniform_work_group_size: 1
    .uses_dynamic_stack: false
    .vgpr_count:     51
    .vgpr_spill_count: 0
    .wavefront_size: 64
  - .agpr_count:     0
    .args:
      - .offset:         0
        .size:           416
        .value_kind:     by_value
      - .offset:         416
        .size:           8
        .value_kind:     by_value
      - .offset:         424
        .size:           8
        .value_kind:     by_value
      - .offset:         432
        .size:           8
        .value_kind:     by_value
      - .offset:         440
        .size:           8
        .value_kind:     by_value
      - .offset:         448
        .size:           416
        .value_kind:     by_value
      - .offset:         864
        .size:           416
        .value_kind:     by_value
      - .offset:         1280
        .size:           4
        .value_kind:     hidden_block_count_x
      - .offset:         1284
        .size:           4
        .value_kind:     hidden_block_count_y
      - .offset:         1288
        .size:           4
        .value_kind:     hidden_block_count_z
      - .offset:         1292
        .size:           2
        .value_kind:     hidden_group_size_x
      - .offset:         1294
        .size:           2
        .value_kind:     hidden_group_size_y
      - .offset:         1296
        .size:           2
        .value_kind:     hidden_group_size_z
      - .offset:         1298
        .size:           2
        .value_kind:     hidden_remainder_x
      - .offset:         1300
        .size:           2
        .value_kind:     hidden_remainder_y
      - .offset:         1302
        .size:           2
        .value_kind:     hidden_remainder_z
      - .offset:         1320
        .size:           8
        .value_kind:     hidden_global_offset_x
      - .offset:         1328
        .size:           8
        .value_kind:     hidden_global_offset_y
      - .offset:         1336
        .size:           8
        .value_kind:     hidden_global_offset_z
      - .offset:         1344
        .size:           2
        .value_kind:     hidden_grid_dims
    .group_segment_fixed_size: 5144
    .kernarg_segment_align: 8
    .kernarg_segment_size: 1536
    .language:       OpenCL C
    .language_version:
      - 2
      - 0
    .max_flat_workgroup_size: 1024
    .name:           _ZN2at6native12_GLOBAL__N_114gatherKthValueIslLi3EEEvNS_4cuda6detail10TensorInfoIKT_T0_EES8_S8_S8_S8_NS5_IS6_S8_EENS5_IlS8_EE
    .private_segment_fixed_size: 0
    .sgpr_count:     100
    .sgpr_spill_count: 62
    .symbol:         _ZN2at6native12_GLOBAL__N_114gatherKthValueIslLi3EEEvNS_4cuda6detail10TensorInfoIKT_T0_EES8_S8_S8_S8_NS5_IS6_S8_EENS5_IlS8_EE.kd
    .uniform_work_group_size: 1
    .uses_dynamic_stack: false
    .vgpr_count:     53
    .vgpr_spill_count: 0
    .wavefront_size: 64
  - .agpr_count:     0
    .args:
      - .offset:         0
        .size:           416
        .value_kind:     by_value
      - .offset:         416
        .size:           8
        .value_kind:     by_value
      - .offset:         424
        .size:           8
        .value_kind:     by_value
      - .offset:         432
        .size:           8
        .value_kind:     by_value
      - .offset:         440
        .size:           8
        .value_kind:     by_value
      - .offset:         448
        .size:           416
        .value_kind:     by_value
      - .offset:         864
        .size:           416
        .value_kind:     by_value
      - .offset:         1280
        .size:           4
        .value_kind:     hidden_block_count_x
      - .offset:         1284
        .size:           4
        .value_kind:     hidden_block_count_y
      - .offset:         1288
        .size:           4
        .value_kind:     hidden_block_count_z
      - .offset:         1292
        .size:           2
        .value_kind:     hidden_group_size_x
      - .offset:         1294
        .size:           2
        .value_kind:     hidden_group_size_y
      - .offset:         1296
        .size:           2
        .value_kind:     hidden_group_size_z
      - .offset:         1298
        .size:           2
        .value_kind:     hidden_remainder_x
      - .offset:         1300
        .size:           2
        .value_kind:     hidden_remainder_y
      - .offset:         1302
        .size:           2
        .value_kind:     hidden_remainder_z
      - .offset:         1320
        .size:           8
        .value_kind:     hidden_global_offset_x
      - .offset:         1328
        .size:           8
        .value_kind:     hidden_global_offset_y
      - .offset:         1336
        .size:           8
        .value_kind:     hidden_global_offset_z
      - .offset:         1344
        .size:           2
        .value_kind:     hidden_grid_dims
    .group_segment_fixed_size: 5144
    .kernarg_segment_align: 8
    .kernarg_segment_size: 1536
    .language:       OpenCL C
    .language_version:
      - 2
      - 0
    .max_flat_workgroup_size: 1024
    .name:           _ZN2at6native12_GLOBAL__N_114gatherKthValueIslLin1EEEvNS_4cuda6detail10TensorInfoIKT_T0_EES8_S8_S8_S8_NS5_IS6_S8_EENS5_IlS8_EE
    .private_segment_fixed_size: 0
    .sgpr_count:     100
    .sgpr_spill_count: 51
    .symbol:         _ZN2at6native12_GLOBAL__N_114gatherKthValueIslLin1EEEvNS_4cuda6detail10TensorInfoIKT_T0_EES8_S8_S8_S8_NS5_IS6_S8_EENS5_IlS8_EE.kd
    .uniform_work_group_size: 1
    .uses_dynamic_stack: false
    .vgpr_count:     56
    .vgpr_spill_count: 0
    .wavefront_size: 64
  - .agpr_count:     0
    .args:
      - .offset:         0
        .size:           216
        .value_kind:     by_value
      - .offset:         216
        .size:           4
        .value_kind:     by_value
      - .offset:         220
        .size:           4
        .value_kind:     by_value
      - .offset:         224
        .size:           4
        .value_kind:     by_value
      - .offset:         228
        .size:           4
        .value_kind:     by_value
      - .offset:         232
        .size:           216
        .value_kind:     by_value
      - .offset:         448
        .size:           216
        .value_kind:     by_value
      - .offset:         664
        .size:           4
        .value_kind:     hidden_block_count_x
      - .offset:         668
        .size:           4
        .value_kind:     hidden_block_count_y
      - .offset:         672
        .size:           4
        .value_kind:     hidden_block_count_z
      - .offset:         676
        .size:           2
        .value_kind:     hidden_group_size_x
      - .offset:         678
        .size:           2
        .value_kind:     hidden_group_size_y
      - .offset:         680
        .size:           2
        .value_kind:     hidden_group_size_z
      - .offset:         682
        .size:           2
        .value_kind:     hidden_remainder_x
      - .offset:         684
        .size:           2
        .value_kind:     hidden_remainder_y
      - .offset:         686
        .size:           2
        .value_kind:     hidden_remainder_z
      - .offset:         704
        .size:           8
        .value_kind:     hidden_global_offset_x
      - .offset:         712
        .size:           8
        .value_kind:     hidden_global_offset_y
      - .offset:         720
        .size:           8
        .value_kind:     hidden_global_offset_z
      - .offset:         728
        .size:           2
        .value_kind:     hidden_grid_dims
    .group_segment_fixed_size: 4112
    .kernarg_segment_align: 8
    .kernarg_segment_size: 920
    .language:       OpenCL C
    .language_version:
      - 2
      - 0
    .max_flat_workgroup_size: 1024
    .name:           _ZN2at6native12_GLOBAL__N_114gatherKthValueIdiLi1EEEvNS_4cuda6detail10TensorInfoIKT_T0_EES8_S8_S8_S8_NS5_IS6_S8_EENS5_IlS8_EE
    .private_segment_fixed_size: 0
    .sgpr_count:     100
    .sgpr_spill_count: 41
    .symbol:         _ZN2at6native12_GLOBAL__N_114gatherKthValueIdiLi1EEEvNS_4cuda6detail10TensorInfoIKT_T0_EES8_S8_S8_S8_NS5_IS6_S8_EENS5_IlS8_EE.kd
    .uniform_work_group_size: 1
    .uses_dynamic_stack: false
    .vgpr_count:     55
    .vgpr_spill_count: 0
    .wavefront_size: 64
  - .agpr_count:     0
    .args:
      - .offset:         0
        .size:           216
        .value_kind:     by_value
      - .offset:         216
        .size:           4
        .value_kind:     by_value
      - .offset:         220
        .size:           4
        .value_kind:     by_value
      - .offset:         224
        .size:           4
        .value_kind:     by_value
      - .offset:         228
        .size:           4
        .value_kind:     by_value
      - .offset:         232
        .size:           216
        .value_kind:     by_value
      - .offset:         448
        .size:           216
        .value_kind:     by_value
      - .offset:         664
        .size:           4
        .value_kind:     hidden_block_count_x
      - .offset:         668
        .size:           4
        .value_kind:     hidden_block_count_y
      - .offset:         672
        .size:           4
        .value_kind:     hidden_block_count_z
      - .offset:         676
        .size:           2
        .value_kind:     hidden_group_size_x
      - .offset:         678
        .size:           2
        .value_kind:     hidden_group_size_y
      - .offset:         680
        .size:           2
        .value_kind:     hidden_group_size_z
      - .offset:         682
        .size:           2
        .value_kind:     hidden_remainder_x
      - .offset:         684
        .size:           2
        .value_kind:     hidden_remainder_y
      - .offset:         686
        .size:           2
        .value_kind:     hidden_remainder_z
      - .offset:         704
        .size:           8
        .value_kind:     hidden_global_offset_x
      - .offset:         712
        .size:           8
        .value_kind:     hidden_global_offset_y
      - .offset:         720
        .size:           8
        .value_kind:     hidden_global_offset_z
      - .offset:         728
        .size:           2
        .value_kind:     hidden_grid_dims
    .group_segment_fixed_size: 4112
    .kernarg_segment_align: 8
    .kernarg_segment_size: 920
    .language:       OpenCL C
    .language_version:
      - 2
      - 0
    .max_flat_workgroup_size: 1024
    .name:           _ZN2at6native12_GLOBAL__N_114gatherKthValueIdiLi2EEEvNS_4cuda6detail10TensorInfoIKT_T0_EES8_S8_S8_S8_NS5_IS6_S8_EENS5_IlS8_EE
    .private_segment_fixed_size: 0
    .sgpr_count:     100
    .sgpr_spill_count: 53
    .symbol:         _ZN2at6native12_GLOBAL__N_114gatherKthValueIdiLi2EEEvNS_4cuda6detail10TensorInfoIKT_T0_EES8_S8_S8_S8_NS5_IS6_S8_EENS5_IlS8_EE.kd
    .uniform_work_group_size: 1
    .uses_dynamic_stack: false
    .vgpr_count:     55
    .vgpr_spill_count: 0
    .wavefront_size: 64
  - .agpr_count:     0
    .args:
      - .offset:         0
        .size:           216
        .value_kind:     by_value
      - .offset:         216
        .size:           4
        .value_kind:     by_value
      - .offset:         220
        .size:           4
        .value_kind:     by_value
      - .offset:         224
        .size:           4
        .value_kind:     by_value
      - .offset:         228
        .size:           4
        .value_kind:     by_value
      - .offset:         232
        .size:           216
        .value_kind:     by_value
      - .offset:         448
        .size:           216
        .value_kind:     by_value
      - .offset:         664
        .size:           4
        .value_kind:     hidden_block_count_x
      - .offset:         668
        .size:           4
        .value_kind:     hidden_block_count_y
      - .offset:         672
        .size:           4
        .value_kind:     hidden_block_count_z
      - .offset:         676
        .size:           2
        .value_kind:     hidden_group_size_x
      - .offset:         678
        .size:           2
        .value_kind:     hidden_group_size_y
      - .offset:         680
        .size:           2
        .value_kind:     hidden_group_size_z
      - .offset:         682
        .size:           2
        .value_kind:     hidden_remainder_x
      - .offset:         684
        .size:           2
        .value_kind:     hidden_remainder_y
      - .offset:         686
        .size:           2
        .value_kind:     hidden_remainder_z
      - .offset:         704
        .size:           8
        .value_kind:     hidden_global_offset_x
      - .offset:         712
        .size:           8
        .value_kind:     hidden_global_offset_y
      - .offset:         720
        .size:           8
        .value_kind:     hidden_global_offset_z
      - .offset:         728
        .size:           2
        .value_kind:     hidden_grid_dims
    .group_segment_fixed_size: 4112
    .kernarg_segment_align: 8
    .kernarg_segment_size: 920
    .language:       OpenCL C
    .language_version:
      - 2
      - 0
    .max_flat_workgroup_size: 1024
    .name:           _ZN2at6native12_GLOBAL__N_114gatherKthValueIdiLi3EEEvNS_4cuda6detail10TensorInfoIKT_T0_EES8_S8_S8_S8_NS5_IS6_S8_EENS5_IlS8_EE
    .private_segment_fixed_size: 0
    .sgpr_count:     100
    .sgpr_spill_count: 63
    .symbol:         _ZN2at6native12_GLOBAL__N_114gatherKthValueIdiLi3EEEvNS_4cuda6detail10TensorInfoIKT_T0_EES8_S8_S8_S8_NS5_IS6_S8_EENS5_IlS8_EE.kd
    .uniform_work_group_size: 1
    .uses_dynamic_stack: false
    .vgpr_count:     55
    .vgpr_spill_count: 0
    .wavefront_size: 64
  - .agpr_count:     0
    .args:
      - .offset:         0
        .size:           216
        .value_kind:     by_value
      - .offset:         216
        .size:           4
        .value_kind:     by_value
      - .offset:         220
        .size:           4
        .value_kind:     by_value
      - .offset:         224
        .size:           4
        .value_kind:     by_value
      - .offset:         228
        .size:           4
        .value_kind:     by_value
      - .offset:         232
        .size:           216
        .value_kind:     by_value
      - .offset:         448
        .size:           216
        .value_kind:     by_value
      - .offset:         664
        .size:           4
        .value_kind:     hidden_block_count_x
      - .offset:         668
        .size:           4
        .value_kind:     hidden_block_count_y
      - .offset:         672
        .size:           4
        .value_kind:     hidden_block_count_z
      - .offset:         676
        .size:           2
        .value_kind:     hidden_group_size_x
      - .offset:         678
        .size:           2
        .value_kind:     hidden_group_size_y
      - .offset:         680
        .size:           2
        .value_kind:     hidden_group_size_z
      - .offset:         682
        .size:           2
        .value_kind:     hidden_remainder_x
      - .offset:         684
        .size:           2
        .value_kind:     hidden_remainder_y
      - .offset:         686
        .size:           2
        .value_kind:     hidden_remainder_z
      - .offset:         704
        .size:           8
        .value_kind:     hidden_global_offset_x
      - .offset:         712
        .size:           8
        .value_kind:     hidden_global_offset_y
      - .offset:         720
        .size:           8
        .value_kind:     hidden_global_offset_z
      - .offset:         728
        .size:           2
        .value_kind:     hidden_grid_dims
    .group_segment_fixed_size: 4112
    .kernarg_segment_align: 8
    .kernarg_segment_size: 920
    .language:       OpenCL C
    .language_version:
      - 2
      - 0
    .max_flat_workgroup_size: 1024
    .name:           _ZN2at6native12_GLOBAL__N_114gatherKthValueIdiLin1EEEvNS_4cuda6detail10TensorInfoIKT_T0_EES8_S8_S8_S8_NS5_IS6_S8_EENS5_IlS8_EE
    .private_segment_fixed_size: 0
    .sgpr_count:     100
    .sgpr_spill_count: 44
    .symbol:         _ZN2at6native12_GLOBAL__N_114gatherKthValueIdiLin1EEEvNS_4cuda6detail10TensorInfoIKT_T0_EES8_S8_S8_S8_NS5_IS6_S8_EENS5_IlS8_EE.kd
    .uniform_work_group_size: 1
    .uses_dynamic_stack: false
    .vgpr_count:     55
    .vgpr_spill_count: 0
    .wavefront_size: 64
  - .agpr_count:     0
    .args:
      - .offset:         0
        .size:           416
        .value_kind:     by_value
      - .offset:         416
        .size:           8
        .value_kind:     by_value
      - .offset:         424
        .size:           8
        .value_kind:     by_value
      - .offset:         432
        .size:           8
        .value_kind:     by_value
      - .offset:         440
        .size:           8
        .value_kind:     by_value
      - .offset:         448
        .size:           416
        .value_kind:     by_value
      - .offset:         864
        .size:           416
        .value_kind:     by_value
      - .offset:         1280
        .size:           4
        .value_kind:     hidden_block_count_x
      - .offset:         1284
        .size:           4
        .value_kind:     hidden_block_count_y
      - .offset:         1288
        .size:           4
        .value_kind:     hidden_block_count_z
      - .offset:         1292
        .size:           2
        .value_kind:     hidden_group_size_x
      - .offset:         1294
        .size:           2
        .value_kind:     hidden_group_size_y
      - .offset:         1296
        .size:           2
        .value_kind:     hidden_group_size_z
      - .offset:         1298
        .size:           2
        .value_kind:     hidden_remainder_x
      - .offset:         1300
        .size:           2
        .value_kind:     hidden_remainder_y
      - .offset:         1302
        .size:           2
        .value_kind:     hidden_remainder_z
      - .offset:         1320
        .size:           8
        .value_kind:     hidden_global_offset_x
      - .offset:         1328
        .size:           8
        .value_kind:     hidden_global_offset_y
      - .offset:         1336
        .size:           8
        .value_kind:     hidden_global_offset_z
      - .offset:         1344
        .size:           2
        .value_kind:     hidden_grid_dims
    .group_segment_fixed_size: 5144
    .kernarg_segment_align: 8
    .kernarg_segment_size: 1536
    .language:       OpenCL C
    .language_version:
      - 2
      - 0
    .max_flat_workgroup_size: 1024
    .name:           _ZN2at6native12_GLOBAL__N_114gatherKthValueIdlLi1EEEvNS_4cuda6detail10TensorInfoIKT_T0_EES8_S8_S8_S8_NS5_IS6_S8_EENS5_IlS8_EE
    .private_segment_fixed_size: 0
    .sgpr_count:     100
    .sgpr_spill_count: 41
    .symbol:         _ZN2at6native12_GLOBAL__N_114gatherKthValueIdlLi1EEEvNS_4cuda6detail10TensorInfoIKT_T0_EES8_S8_S8_S8_NS5_IS6_S8_EENS5_IlS8_EE.kd
    .uniform_work_group_size: 1
    .uses_dynamic_stack: false
    .vgpr_count:     61
    .vgpr_spill_count: 0
    .wavefront_size: 64
  - .agpr_count:     0
    .args:
      - .offset:         0
        .size:           416
        .value_kind:     by_value
      - .offset:         416
        .size:           8
        .value_kind:     by_value
      - .offset:         424
        .size:           8
        .value_kind:     by_value
      - .offset:         432
        .size:           8
        .value_kind:     by_value
      - .offset:         440
        .size:           8
        .value_kind:     by_value
      - .offset:         448
        .size:           416
        .value_kind:     by_value
      - .offset:         864
        .size:           416
        .value_kind:     by_value
      - .offset:         1280
        .size:           4
        .value_kind:     hidden_block_count_x
      - .offset:         1284
        .size:           4
        .value_kind:     hidden_block_count_y
      - .offset:         1288
        .size:           4
        .value_kind:     hidden_block_count_z
      - .offset:         1292
        .size:           2
        .value_kind:     hidden_group_size_x
      - .offset:         1294
        .size:           2
        .value_kind:     hidden_group_size_y
      - .offset:         1296
        .size:           2
        .value_kind:     hidden_group_size_z
      - .offset:         1298
        .size:           2
        .value_kind:     hidden_remainder_x
      - .offset:         1300
        .size:           2
        .value_kind:     hidden_remainder_y
      - .offset:         1302
        .size:           2
        .value_kind:     hidden_remainder_z
      - .offset:         1320
        .size:           8
        .value_kind:     hidden_global_offset_x
      - .offset:         1328
        .size:           8
        .value_kind:     hidden_global_offset_y
      - .offset:         1336
        .size:           8
        .value_kind:     hidden_global_offset_z
      - .offset:         1344
        .size:           2
        .value_kind:     hidden_grid_dims
    .group_segment_fixed_size: 5144
    .kernarg_segment_align: 8
    .kernarg_segment_size: 1536
    .language:       OpenCL C
    .language_version:
      - 2
      - 0
    .max_flat_workgroup_size: 1024
    .name:           _ZN2at6native12_GLOBAL__N_114gatherKthValueIdlLi2EEEvNS_4cuda6detail10TensorInfoIKT_T0_EES8_S8_S8_S8_NS5_IS6_S8_EENS5_IlS8_EE
    .private_segment_fixed_size: 0
    .sgpr_count:     100
    .sgpr_spill_count: 53
    .symbol:         _ZN2at6native12_GLOBAL__N_114gatherKthValueIdlLi2EEEvNS_4cuda6detail10TensorInfoIKT_T0_EES8_S8_S8_S8_NS5_IS6_S8_EENS5_IlS8_EE.kd
    .uniform_work_group_size: 1
    .uses_dynamic_stack: false
    .vgpr_count:     65
    .vgpr_spill_count: 0
    .wavefront_size: 64
  - .agpr_count:     0
    .args:
      - .offset:         0
        .size:           416
        .value_kind:     by_value
      - .offset:         416
        .size:           8
        .value_kind:     by_value
      - .offset:         424
        .size:           8
        .value_kind:     by_value
      - .offset:         432
        .size:           8
        .value_kind:     by_value
      - .offset:         440
        .size:           8
        .value_kind:     by_value
      - .offset:         448
        .size:           416
        .value_kind:     by_value
      - .offset:         864
        .size:           416
        .value_kind:     by_value
      - .offset:         1280
        .size:           4
        .value_kind:     hidden_block_count_x
      - .offset:         1284
        .size:           4
        .value_kind:     hidden_block_count_y
      - .offset:         1288
        .size:           4
        .value_kind:     hidden_block_count_z
      - .offset:         1292
        .size:           2
        .value_kind:     hidden_group_size_x
      - .offset:         1294
        .size:           2
        .value_kind:     hidden_group_size_y
      - .offset:         1296
        .size:           2
        .value_kind:     hidden_group_size_z
      - .offset:         1298
        .size:           2
        .value_kind:     hidden_remainder_x
      - .offset:         1300
        .size:           2
        .value_kind:     hidden_remainder_y
      - .offset:         1302
        .size:           2
        .value_kind:     hidden_remainder_z
      - .offset:         1320
        .size:           8
        .value_kind:     hidden_global_offset_x
      - .offset:         1328
        .size:           8
        .value_kind:     hidden_global_offset_y
      - .offset:         1336
        .size:           8
        .value_kind:     hidden_global_offset_z
      - .offset:         1344
        .size:           2
        .value_kind:     hidden_grid_dims
    .group_segment_fixed_size: 5144
    .kernarg_segment_align: 8
    .kernarg_segment_size: 1536
    .language:       OpenCL C
    .language_version:
      - 2
      - 0
    .max_flat_workgroup_size: 1024
    .name:           _ZN2at6native12_GLOBAL__N_114gatherKthValueIdlLi3EEEvNS_4cuda6detail10TensorInfoIKT_T0_EES8_S8_S8_S8_NS5_IS6_S8_EENS5_IlS8_EE
    .private_segment_fixed_size: 0
    .sgpr_count:     100
    .sgpr_spill_count: 65
    .symbol:         _ZN2at6native12_GLOBAL__N_114gatherKthValueIdlLi3EEEvNS_4cuda6detail10TensorInfoIKT_T0_EES8_S8_S8_S8_NS5_IS6_S8_EENS5_IlS8_EE.kd
    .uniform_work_group_size: 1
    .uses_dynamic_stack: false
    .vgpr_count:     67
    .vgpr_spill_count: 0
    .wavefront_size: 64
  - .agpr_count:     0
    .args:
      - .offset:         0
        .size:           416
        .value_kind:     by_value
      - .offset:         416
        .size:           8
        .value_kind:     by_value
      - .offset:         424
        .size:           8
        .value_kind:     by_value
      - .offset:         432
        .size:           8
        .value_kind:     by_value
      - .offset:         440
        .size:           8
        .value_kind:     by_value
      - .offset:         448
        .size:           416
        .value_kind:     by_value
      - .offset:         864
        .size:           416
        .value_kind:     by_value
      - .offset:         1280
        .size:           4
        .value_kind:     hidden_block_count_x
      - .offset:         1284
        .size:           4
        .value_kind:     hidden_block_count_y
      - .offset:         1288
        .size:           4
        .value_kind:     hidden_block_count_z
      - .offset:         1292
        .size:           2
        .value_kind:     hidden_group_size_x
      - .offset:         1294
        .size:           2
        .value_kind:     hidden_group_size_y
      - .offset:         1296
        .size:           2
        .value_kind:     hidden_group_size_z
      - .offset:         1298
        .size:           2
        .value_kind:     hidden_remainder_x
      - .offset:         1300
        .size:           2
        .value_kind:     hidden_remainder_y
      - .offset:         1302
        .size:           2
        .value_kind:     hidden_remainder_z
      - .offset:         1320
        .size:           8
        .value_kind:     hidden_global_offset_x
      - .offset:         1328
        .size:           8
        .value_kind:     hidden_global_offset_y
      - .offset:         1336
        .size:           8
        .value_kind:     hidden_global_offset_z
      - .offset:         1344
        .size:           2
        .value_kind:     hidden_grid_dims
    .group_segment_fixed_size: 5144
    .kernarg_segment_align: 8
    .kernarg_segment_size: 1536
    .language:       OpenCL C
    .language_version:
      - 2
      - 0
    .max_flat_workgroup_size: 1024
    .name:           _ZN2at6native12_GLOBAL__N_114gatherKthValueIdlLin1EEEvNS_4cuda6detail10TensorInfoIKT_T0_EES8_S8_S8_S8_NS5_IS6_S8_EENS5_IlS8_EE
    .private_segment_fixed_size: 0
    .sgpr_count:     100
    .sgpr_spill_count: 54
    .symbol:         _ZN2at6native12_GLOBAL__N_114gatherKthValueIdlLin1EEEvNS_4cuda6detail10TensorInfoIKT_T0_EES8_S8_S8_S8_NS5_IS6_S8_EENS5_IlS8_EE.kd
    .uniform_work_group_size: 1
    .uses_dynamic_stack: false
    .vgpr_count:     71
    .vgpr_spill_count: 0
    .wavefront_size: 64
  - .agpr_count:     0
    .args:
      - .offset:         0
        .size:           216
        .value_kind:     by_value
      - .offset:         216
        .size:           4
        .value_kind:     by_value
      - .offset:         220
        .size:           4
        .value_kind:     by_value
      - .offset:         224
        .size:           4
        .value_kind:     by_value
      - .offset:         228
        .size:           4
        .value_kind:     by_value
      - .offset:         232
        .size:           216
        .value_kind:     by_value
      - .offset:         448
        .size:           216
        .value_kind:     by_value
      - .offset:         664
        .size:           4
        .value_kind:     hidden_block_count_x
      - .offset:         668
        .size:           4
        .value_kind:     hidden_block_count_y
      - .offset:         672
        .size:           4
        .value_kind:     hidden_block_count_z
      - .offset:         676
        .size:           2
        .value_kind:     hidden_group_size_x
      - .offset:         678
        .size:           2
        .value_kind:     hidden_group_size_y
      - .offset:         680
        .size:           2
        .value_kind:     hidden_group_size_z
      - .offset:         682
        .size:           2
        .value_kind:     hidden_remainder_x
      - .offset:         684
        .size:           2
        .value_kind:     hidden_remainder_y
      - .offset:         686
        .size:           2
        .value_kind:     hidden_remainder_z
      - .offset:         704
        .size:           8
        .value_kind:     hidden_global_offset_x
      - .offset:         712
        .size:           8
        .value_kind:     hidden_global_offset_y
      - .offset:         720
        .size:           8
        .value_kind:     hidden_global_offset_z
      - .offset:         728
        .size:           2
        .value_kind:     hidden_grid_dims
    .group_segment_fixed_size: 4112
    .kernarg_segment_align: 8
    .kernarg_segment_size: 920
    .language:       OpenCL C
    .language_version:
      - 2
      - 0
    .max_flat_workgroup_size: 1024
    .name:           _ZN2at6native12_GLOBAL__N_114gatherKthValueIfiLi1EEEvNS_4cuda6detail10TensorInfoIKT_T0_EES8_S8_S8_S8_NS5_IS6_S8_EENS5_IlS8_EE
    .private_segment_fixed_size: 0
    .sgpr_count:     100
    .sgpr_spill_count: 37
    .symbol:         _ZN2at6native12_GLOBAL__N_114gatherKthValueIfiLi1EEEvNS_4cuda6detail10TensorInfoIKT_T0_EES8_S8_S8_S8_NS5_IS6_S8_EENS5_IlS8_EE.kd
    .uniform_work_group_size: 1
    .uses_dynamic_stack: false
    .vgpr_count:     51
    .vgpr_spill_count: 0
    .wavefront_size: 64
  - .agpr_count:     0
    .args:
      - .offset:         0
        .size:           216
        .value_kind:     by_value
      - .offset:         216
        .size:           4
        .value_kind:     by_value
      - .offset:         220
        .size:           4
        .value_kind:     by_value
      - .offset:         224
        .size:           4
        .value_kind:     by_value
      - .offset:         228
        .size:           4
        .value_kind:     by_value
      - .offset:         232
        .size:           216
        .value_kind:     by_value
      - .offset:         448
        .size:           216
        .value_kind:     by_value
      - .offset:         664
        .size:           4
        .value_kind:     hidden_block_count_x
      - .offset:         668
        .size:           4
        .value_kind:     hidden_block_count_y
      - .offset:         672
        .size:           4
        .value_kind:     hidden_block_count_z
      - .offset:         676
        .size:           2
        .value_kind:     hidden_group_size_x
      - .offset:         678
        .size:           2
        .value_kind:     hidden_group_size_y
      - .offset:         680
        .size:           2
        .value_kind:     hidden_group_size_z
      - .offset:         682
        .size:           2
        .value_kind:     hidden_remainder_x
      - .offset:         684
        .size:           2
        .value_kind:     hidden_remainder_y
      - .offset:         686
        .size:           2
        .value_kind:     hidden_remainder_z
      - .offset:         704
        .size:           8
        .value_kind:     hidden_global_offset_x
      - .offset:         712
        .size:           8
        .value_kind:     hidden_global_offset_y
      - .offset:         720
        .size:           8
        .value_kind:     hidden_global_offset_z
      - .offset:         728
        .size:           2
        .value_kind:     hidden_grid_dims
    .group_segment_fixed_size: 4112
    .kernarg_segment_align: 8
    .kernarg_segment_size: 920
    .language:       OpenCL C
    .language_version:
      - 2
      - 0
    .max_flat_workgroup_size: 1024
    .name:           _ZN2at6native12_GLOBAL__N_114gatherKthValueIfiLi2EEEvNS_4cuda6detail10TensorInfoIKT_T0_EES8_S8_S8_S8_NS5_IS6_S8_EENS5_IlS8_EE
    .private_segment_fixed_size: 0
    .sgpr_count:     100
    .sgpr_spill_count: 49
    .symbol:         _ZN2at6native12_GLOBAL__N_114gatherKthValueIfiLi2EEEvNS_4cuda6detail10TensorInfoIKT_T0_EES8_S8_S8_S8_NS5_IS6_S8_EENS5_IlS8_EE.kd
    .uniform_work_group_size: 1
    .uses_dynamic_stack: false
    .vgpr_count:     51
    .vgpr_spill_count: 0
    .wavefront_size: 64
  - .agpr_count:     0
    .args:
      - .offset:         0
        .size:           216
        .value_kind:     by_value
      - .offset:         216
        .size:           4
        .value_kind:     by_value
      - .offset:         220
        .size:           4
        .value_kind:     by_value
      - .offset:         224
        .size:           4
        .value_kind:     by_value
      - .offset:         228
        .size:           4
        .value_kind:     by_value
      - .offset:         232
        .size:           216
        .value_kind:     by_value
      - .offset:         448
        .size:           216
        .value_kind:     by_value
      - .offset:         664
        .size:           4
        .value_kind:     hidden_block_count_x
      - .offset:         668
        .size:           4
        .value_kind:     hidden_block_count_y
      - .offset:         672
        .size:           4
        .value_kind:     hidden_block_count_z
      - .offset:         676
        .size:           2
        .value_kind:     hidden_group_size_x
      - .offset:         678
        .size:           2
        .value_kind:     hidden_group_size_y
      - .offset:         680
        .size:           2
        .value_kind:     hidden_group_size_z
      - .offset:         682
        .size:           2
        .value_kind:     hidden_remainder_x
      - .offset:         684
        .size:           2
        .value_kind:     hidden_remainder_y
      - .offset:         686
        .size:           2
        .value_kind:     hidden_remainder_z
      - .offset:         704
        .size:           8
        .value_kind:     hidden_global_offset_x
      - .offset:         712
        .size:           8
        .value_kind:     hidden_global_offset_y
      - .offset:         720
        .size:           8
        .value_kind:     hidden_global_offset_z
      - .offset:         728
        .size:           2
        .value_kind:     hidden_grid_dims
    .group_segment_fixed_size: 4112
    .kernarg_segment_align: 8
    .kernarg_segment_size: 920
    .language:       OpenCL C
    .language_version:
      - 2
      - 0
    .max_flat_workgroup_size: 1024
    .name:           _ZN2at6native12_GLOBAL__N_114gatherKthValueIfiLi3EEEvNS_4cuda6detail10TensorInfoIKT_T0_EES8_S8_S8_S8_NS5_IS6_S8_EENS5_IlS8_EE
    .private_segment_fixed_size: 0
    .sgpr_count:     100
    .sgpr_spill_count: 59
    .symbol:         _ZN2at6native12_GLOBAL__N_114gatherKthValueIfiLi3EEEvNS_4cuda6detail10TensorInfoIKT_T0_EES8_S8_S8_S8_NS5_IS6_S8_EENS5_IlS8_EE.kd
    .uniform_work_group_size: 1
    .uses_dynamic_stack: false
    .vgpr_count:     51
    .vgpr_spill_count: 0
    .wavefront_size: 64
  - .agpr_count:     0
    .args:
      - .offset:         0
        .size:           216
        .value_kind:     by_value
      - .offset:         216
        .size:           4
        .value_kind:     by_value
      - .offset:         220
        .size:           4
        .value_kind:     by_value
      - .offset:         224
        .size:           4
        .value_kind:     by_value
      - .offset:         228
        .size:           4
        .value_kind:     by_value
      - .offset:         232
        .size:           216
        .value_kind:     by_value
      - .offset:         448
        .size:           216
        .value_kind:     by_value
      - .offset:         664
        .size:           4
        .value_kind:     hidden_block_count_x
      - .offset:         668
        .size:           4
        .value_kind:     hidden_block_count_y
      - .offset:         672
        .size:           4
        .value_kind:     hidden_block_count_z
      - .offset:         676
        .size:           2
        .value_kind:     hidden_group_size_x
      - .offset:         678
        .size:           2
        .value_kind:     hidden_group_size_y
      - .offset:         680
        .size:           2
        .value_kind:     hidden_group_size_z
      - .offset:         682
        .size:           2
        .value_kind:     hidden_remainder_x
      - .offset:         684
        .size:           2
        .value_kind:     hidden_remainder_y
      - .offset:         686
        .size:           2
        .value_kind:     hidden_remainder_z
      - .offset:         704
        .size:           8
        .value_kind:     hidden_global_offset_x
      - .offset:         712
        .size:           8
        .value_kind:     hidden_global_offset_y
      - .offset:         720
        .size:           8
        .value_kind:     hidden_global_offset_z
      - .offset:         728
        .size:           2
        .value_kind:     hidden_grid_dims
    .group_segment_fixed_size: 4112
    .kernarg_segment_align: 8
    .kernarg_segment_size: 920
    .language:       OpenCL C
    .language_version:
      - 2
      - 0
    .max_flat_workgroup_size: 1024
    .name:           _ZN2at6native12_GLOBAL__N_114gatherKthValueIfiLin1EEEvNS_4cuda6detail10TensorInfoIKT_T0_EES8_S8_S8_S8_NS5_IS6_S8_EENS5_IlS8_EE
    .private_segment_fixed_size: 0
    .sgpr_count:     100
    .sgpr_spill_count: 40
    .symbol:         _ZN2at6native12_GLOBAL__N_114gatherKthValueIfiLin1EEEvNS_4cuda6detail10TensorInfoIKT_T0_EES8_S8_S8_S8_NS5_IS6_S8_EENS5_IlS8_EE.kd
    .uniform_work_group_size: 1
    .uses_dynamic_stack: false
    .vgpr_count:     51
    .vgpr_spill_count: 0
    .wavefront_size: 64
  - .agpr_count:     0
    .args:
      - .offset:         0
        .size:           416
        .value_kind:     by_value
      - .offset:         416
        .size:           8
        .value_kind:     by_value
      - .offset:         424
        .size:           8
        .value_kind:     by_value
      - .offset:         432
        .size:           8
        .value_kind:     by_value
      - .offset:         440
        .size:           8
        .value_kind:     by_value
      - .offset:         448
        .size:           416
        .value_kind:     by_value
      - .offset:         864
        .size:           416
        .value_kind:     by_value
      - .offset:         1280
        .size:           4
        .value_kind:     hidden_block_count_x
      - .offset:         1284
        .size:           4
        .value_kind:     hidden_block_count_y
      - .offset:         1288
        .size:           4
        .value_kind:     hidden_block_count_z
      - .offset:         1292
        .size:           2
        .value_kind:     hidden_group_size_x
      - .offset:         1294
        .size:           2
        .value_kind:     hidden_group_size_y
      - .offset:         1296
        .size:           2
        .value_kind:     hidden_group_size_z
      - .offset:         1298
        .size:           2
        .value_kind:     hidden_remainder_x
      - .offset:         1300
        .size:           2
        .value_kind:     hidden_remainder_y
      - .offset:         1302
        .size:           2
        .value_kind:     hidden_remainder_z
      - .offset:         1320
        .size:           8
        .value_kind:     hidden_global_offset_x
      - .offset:         1328
        .size:           8
        .value_kind:     hidden_global_offset_y
      - .offset:         1336
        .size:           8
        .value_kind:     hidden_global_offset_z
      - .offset:         1344
        .size:           2
        .value_kind:     hidden_grid_dims
    .group_segment_fixed_size: 5144
    .kernarg_segment_align: 8
    .kernarg_segment_size: 1536
    .language:       OpenCL C
    .language_version:
      - 2
      - 0
    .max_flat_workgroup_size: 1024
    .name:           _ZN2at6native12_GLOBAL__N_114gatherKthValueIflLi1EEEvNS_4cuda6detail10TensorInfoIKT_T0_EES8_S8_S8_S8_NS5_IS6_S8_EENS5_IlS8_EE
    .private_segment_fixed_size: 0
    .sgpr_count:     100
    .sgpr_spill_count: 39
    .symbol:         _ZN2at6native12_GLOBAL__N_114gatherKthValueIflLi1EEEvNS_4cuda6detail10TensorInfoIKT_T0_EES8_S8_S8_S8_NS5_IS6_S8_EENS5_IlS8_EE.kd
    .uniform_work_group_size: 1
    .uses_dynamic_stack: false
    .vgpr_count:     55
    .vgpr_spill_count: 0
    .wavefront_size: 64
  - .agpr_count:     0
    .args:
      - .offset:         0
        .size:           416
        .value_kind:     by_value
      - .offset:         416
        .size:           8
        .value_kind:     by_value
      - .offset:         424
        .size:           8
        .value_kind:     by_value
      - .offset:         432
        .size:           8
        .value_kind:     by_value
      - .offset:         440
        .size:           8
        .value_kind:     by_value
      - .offset:         448
        .size:           416
        .value_kind:     by_value
      - .offset:         864
        .size:           416
        .value_kind:     by_value
      - .offset:         1280
        .size:           4
        .value_kind:     hidden_block_count_x
      - .offset:         1284
        .size:           4
        .value_kind:     hidden_block_count_y
      - .offset:         1288
        .size:           4
        .value_kind:     hidden_block_count_z
      - .offset:         1292
        .size:           2
        .value_kind:     hidden_group_size_x
      - .offset:         1294
        .size:           2
        .value_kind:     hidden_group_size_y
      - .offset:         1296
        .size:           2
        .value_kind:     hidden_group_size_z
      - .offset:         1298
        .size:           2
        .value_kind:     hidden_remainder_x
      - .offset:         1300
        .size:           2
        .value_kind:     hidden_remainder_y
      - .offset:         1302
        .size:           2
        .value_kind:     hidden_remainder_z
      - .offset:         1320
        .size:           8
        .value_kind:     hidden_global_offset_x
      - .offset:         1328
        .size:           8
        .value_kind:     hidden_global_offset_y
      - .offset:         1336
        .size:           8
        .value_kind:     hidden_global_offset_z
      - .offset:         1344
        .size:           2
        .value_kind:     hidden_grid_dims
    .group_segment_fixed_size: 5144
    .kernarg_segment_align: 8
    .kernarg_segment_size: 1536
    .language:       OpenCL C
    .language_version:
      - 2
      - 0
    .max_flat_workgroup_size: 1024
    .name:           _ZN2at6native12_GLOBAL__N_114gatherKthValueIflLi2EEEvNS_4cuda6detail10TensorInfoIKT_T0_EES8_S8_S8_S8_NS5_IS6_S8_EENS5_IlS8_EE
    .private_segment_fixed_size: 0
    .sgpr_count:     100
    .sgpr_spill_count: 51
    .symbol:         _ZN2at6native12_GLOBAL__N_114gatherKthValueIflLi2EEEvNS_4cuda6detail10TensorInfoIKT_T0_EES8_S8_S8_S8_NS5_IS6_S8_EENS5_IlS8_EE.kd
    .uniform_work_group_size: 1
    .uses_dynamic_stack: false
    .vgpr_count:     53
    .vgpr_spill_count: 0
    .wavefront_size: 64
  - .agpr_count:     0
    .args:
      - .offset:         0
        .size:           416
        .value_kind:     by_value
      - .offset:         416
        .size:           8
        .value_kind:     by_value
      - .offset:         424
        .size:           8
        .value_kind:     by_value
      - .offset:         432
        .size:           8
        .value_kind:     by_value
      - .offset:         440
        .size:           8
        .value_kind:     by_value
      - .offset:         448
        .size:           416
        .value_kind:     by_value
      - .offset:         864
        .size:           416
        .value_kind:     by_value
      - .offset:         1280
        .size:           4
        .value_kind:     hidden_block_count_x
      - .offset:         1284
        .size:           4
        .value_kind:     hidden_block_count_y
      - .offset:         1288
        .size:           4
        .value_kind:     hidden_block_count_z
      - .offset:         1292
        .size:           2
        .value_kind:     hidden_group_size_x
      - .offset:         1294
        .size:           2
        .value_kind:     hidden_group_size_y
      - .offset:         1296
        .size:           2
        .value_kind:     hidden_group_size_z
      - .offset:         1298
        .size:           2
        .value_kind:     hidden_remainder_x
      - .offset:         1300
        .size:           2
        .value_kind:     hidden_remainder_y
      - .offset:         1302
        .size:           2
        .value_kind:     hidden_remainder_z
      - .offset:         1320
        .size:           8
        .value_kind:     hidden_global_offset_x
      - .offset:         1328
        .size:           8
        .value_kind:     hidden_global_offset_y
      - .offset:         1336
        .size:           8
        .value_kind:     hidden_global_offset_z
      - .offset:         1344
        .size:           2
        .value_kind:     hidden_grid_dims
    .group_segment_fixed_size: 5144
    .kernarg_segment_align: 8
    .kernarg_segment_size: 1536
    .language:       OpenCL C
    .language_version:
      - 2
      - 0
    .max_flat_workgroup_size: 1024
    .name:           _ZN2at6native12_GLOBAL__N_114gatherKthValueIflLi3EEEvNS_4cuda6detail10TensorInfoIKT_T0_EES8_S8_S8_S8_NS5_IS6_S8_EENS5_IlS8_EE
    .private_segment_fixed_size: 0
    .sgpr_count:     100
    .sgpr_spill_count: 63
    .symbol:         _ZN2at6native12_GLOBAL__N_114gatherKthValueIflLi3EEEvNS_4cuda6detail10TensorInfoIKT_T0_EES8_S8_S8_S8_NS5_IS6_S8_EENS5_IlS8_EE.kd
    .uniform_work_group_size: 1
    .uses_dynamic_stack: false
    .vgpr_count:     55
    .vgpr_spill_count: 0
    .wavefront_size: 64
  - .agpr_count:     0
    .args:
      - .offset:         0
        .size:           416
        .value_kind:     by_value
      - .offset:         416
        .size:           8
        .value_kind:     by_value
      - .offset:         424
        .size:           8
        .value_kind:     by_value
      - .offset:         432
        .size:           8
        .value_kind:     by_value
      - .offset:         440
        .size:           8
        .value_kind:     by_value
      - .offset:         448
        .size:           416
        .value_kind:     by_value
      - .offset:         864
        .size:           416
        .value_kind:     by_value
      - .offset:         1280
        .size:           4
        .value_kind:     hidden_block_count_x
      - .offset:         1284
        .size:           4
        .value_kind:     hidden_block_count_y
      - .offset:         1288
        .size:           4
        .value_kind:     hidden_block_count_z
      - .offset:         1292
        .size:           2
        .value_kind:     hidden_group_size_x
      - .offset:         1294
        .size:           2
        .value_kind:     hidden_group_size_y
      - .offset:         1296
        .size:           2
        .value_kind:     hidden_group_size_z
      - .offset:         1298
        .size:           2
        .value_kind:     hidden_remainder_x
      - .offset:         1300
        .size:           2
        .value_kind:     hidden_remainder_y
      - .offset:         1302
        .size:           2
        .value_kind:     hidden_remainder_z
      - .offset:         1320
        .size:           8
        .value_kind:     hidden_global_offset_x
      - .offset:         1328
        .size:           8
        .value_kind:     hidden_global_offset_y
      - .offset:         1336
        .size:           8
        .value_kind:     hidden_global_offset_z
      - .offset:         1344
        .size:           2
        .value_kind:     hidden_grid_dims
    .group_segment_fixed_size: 5144
    .kernarg_segment_align: 8
    .kernarg_segment_size: 1536
    .language:       OpenCL C
    .language_version:
      - 2
      - 0
    .max_flat_workgroup_size: 1024
    .name:           _ZN2at6native12_GLOBAL__N_114gatherKthValueIflLin1EEEvNS_4cuda6detail10TensorInfoIKT_T0_EES8_S8_S8_S8_NS5_IS6_S8_EENS5_IlS8_EE
    .private_segment_fixed_size: 0
    .sgpr_count:     100
    .sgpr_spill_count: 48
    .symbol:         _ZN2at6native12_GLOBAL__N_114gatherKthValueIflLin1EEEvNS_4cuda6detail10TensorInfoIKT_T0_EES8_S8_S8_S8_NS5_IS6_S8_EENS5_IlS8_EE.kd
    .uniform_work_group_size: 1
    .uses_dynamic_stack: false
    .vgpr_count:     57
    .vgpr_spill_count: 0
    .wavefront_size: 64
  - .agpr_count:     0
    .args:
      - .offset:         0
        .size:           216
        .value_kind:     by_value
      - .offset:         216
        .size:           4
        .value_kind:     by_value
      - .offset:         220
        .size:           4
        .value_kind:     by_value
      - .offset:         224
        .size:           4
        .value_kind:     by_value
      - .offset:         228
        .size:           4
        .value_kind:     by_value
      - .offset:         232
        .size:           216
        .value_kind:     by_value
      - .offset:         448
        .size:           216
        .value_kind:     by_value
      - .offset:         664
        .size:           4
        .value_kind:     hidden_block_count_x
      - .offset:         668
        .size:           4
        .value_kind:     hidden_block_count_y
      - .offset:         672
        .size:           4
        .value_kind:     hidden_block_count_z
      - .offset:         676
        .size:           2
        .value_kind:     hidden_group_size_x
      - .offset:         678
        .size:           2
        .value_kind:     hidden_group_size_y
      - .offset:         680
        .size:           2
        .value_kind:     hidden_group_size_z
      - .offset:         682
        .size:           2
        .value_kind:     hidden_remainder_x
      - .offset:         684
        .size:           2
        .value_kind:     hidden_remainder_y
      - .offset:         686
        .size:           2
        .value_kind:     hidden_remainder_z
      - .offset:         704
        .size:           8
        .value_kind:     hidden_global_offset_x
      - .offset:         712
        .size:           8
        .value_kind:     hidden_global_offset_y
      - .offset:         720
        .size:           8
        .value_kind:     hidden_global_offset_z
      - .offset:         728
        .size:           2
        .value_kind:     hidden_grid_dims
    .group_segment_fixed_size: 4112
    .kernarg_segment_align: 8
    .kernarg_segment_size: 920
    .language:       OpenCL C
    .language_version:
      - 2
      - 0
    .max_flat_workgroup_size: 1024
    .name:           _ZN2at6native12_GLOBAL__N_114gatherKthValueIN3c104HalfEiLi1EEEvNS_4cuda6detail10TensorInfoIKT_T0_EESA_SA_SA_SA_NS7_IS8_SA_EENS7_IlSA_EE
    .private_segment_fixed_size: 0
    .sgpr_count:     100
    .sgpr_spill_count: 39
    .symbol:         _ZN2at6native12_GLOBAL__N_114gatherKthValueIN3c104HalfEiLi1EEEvNS_4cuda6detail10TensorInfoIKT_T0_EESA_SA_SA_SA_NS7_IS8_SA_EENS7_IlSA_EE.kd
    .uniform_work_group_size: 1
    .uses_dynamic_stack: false
    .vgpr_count:     53
    .vgpr_spill_count: 0
    .wavefront_size: 64
  - .agpr_count:     0
    .args:
      - .offset:         0
        .size:           216
        .value_kind:     by_value
      - .offset:         216
        .size:           4
        .value_kind:     by_value
      - .offset:         220
        .size:           4
        .value_kind:     by_value
      - .offset:         224
        .size:           4
        .value_kind:     by_value
      - .offset:         228
        .size:           4
        .value_kind:     by_value
      - .offset:         232
        .size:           216
        .value_kind:     by_value
      - .offset:         448
        .size:           216
        .value_kind:     by_value
      - .offset:         664
        .size:           4
        .value_kind:     hidden_block_count_x
      - .offset:         668
        .size:           4
        .value_kind:     hidden_block_count_y
      - .offset:         672
        .size:           4
        .value_kind:     hidden_block_count_z
      - .offset:         676
        .size:           2
        .value_kind:     hidden_group_size_x
      - .offset:         678
        .size:           2
        .value_kind:     hidden_group_size_y
      - .offset:         680
        .size:           2
        .value_kind:     hidden_group_size_z
      - .offset:         682
        .size:           2
        .value_kind:     hidden_remainder_x
      - .offset:         684
        .size:           2
        .value_kind:     hidden_remainder_y
      - .offset:         686
        .size:           2
        .value_kind:     hidden_remainder_z
      - .offset:         704
        .size:           8
        .value_kind:     hidden_global_offset_x
      - .offset:         712
        .size:           8
        .value_kind:     hidden_global_offset_y
      - .offset:         720
        .size:           8
        .value_kind:     hidden_global_offset_z
      - .offset:         728
        .size:           2
        .value_kind:     hidden_grid_dims
    .group_segment_fixed_size: 4112
    .kernarg_segment_align: 8
    .kernarg_segment_size: 920
    .language:       OpenCL C
    .language_version:
      - 2
      - 0
    .max_flat_workgroup_size: 1024
    .name:           _ZN2at6native12_GLOBAL__N_114gatherKthValueIN3c104HalfEiLi2EEEvNS_4cuda6detail10TensorInfoIKT_T0_EESA_SA_SA_SA_NS7_IS8_SA_EENS7_IlSA_EE
    .private_segment_fixed_size: 0
    .sgpr_count:     100
    .sgpr_spill_count: 51
    .symbol:         _ZN2at6native12_GLOBAL__N_114gatherKthValueIN3c104HalfEiLi2EEEvNS_4cuda6detail10TensorInfoIKT_T0_EESA_SA_SA_SA_NS7_IS8_SA_EENS7_IlSA_EE.kd
    .uniform_work_group_size: 1
    .uses_dynamic_stack: false
    .vgpr_count:     53
    .vgpr_spill_count: 0
    .wavefront_size: 64
  - .agpr_count:     0
    .args:
      - .offset:         0
        .size:           216
        .value_kind:     by_value
      - .offset:         216
        .size:           4
        .value_kind:     by_value
      - .offset:         220
        .size:           4
        .value_kind:     by_value
      - .offset:         224
        .size:           4
        .value_kind:     by_value
      - .offset:         228
        .size:           4
        .value_kind:     by_value
      - .offset:         232
        .size:           216
        .value_kind:     by_value
      - .offset:         448
        .size:           216
        .value_kind:     by_value
      - .offset:         664
        .size:           4
        .value_kind:     hidden_block_count_x
      - .offset:         668
        .size:           4
        .value_kind:     hidden_block_count_y
      - .offset:         672
        .size:           4
        .value_kind:     hidden_block_count_z
      - .offset:         676
        .size:           2
        .value_kind:     hidden_group_size_x
      - .offset:         678
        .size:           2
        .value_kind:     hidden_group_size_y
      - .offset:         680
        .size:           2
        .value_kind:     hidden_group_size_z
      - .offset:         682
        .size:           2
        .value_kind:     hidden_remainder_x
      - .offset:         684
        .size:           2
        .value_kind:     hidden_remainder_y
      - .offset:         686
        .size:           2
        .value_kind:     hidden_remainder_z
      - .offset:         704
        .size:           8
        .value_kind:     hidden_global_offset_x
      - .offset:         712
        .size:           8
        .value_kind:     hidden_global_offset_y
      - .offset:         720
        .size:           8
        .value_kind:     hidden_global_offset_z
      - .offset:         728
        .size:           2
        .value_kind:     hidden_grid_dims
    .group_segment_fixed_size: 4112
    .kernarg_segment_align: 8
    .kernarg_segment_size: 920
    .language:       OpenCL C
    .language_version:
      - 2
      - 0
    .max_flat_workgroup_size: 1024
    .name:           _ZN2at6native12_GLOBAL__N_114gatherKthValueIN3c104HalfEiLi3EEEvNS_4cuda6detail10TensorInfoIKT_T0_EESA_SA_SA_SA_NS7_IS8_SA_EENS7_IlSA_EE
    .private_segment_fixed_size: 0
    .sgpr_count:     100
    .sgpr_spill_count: 61
    .symbol:         _ZN2at6native12_GLOBAL__N_114gatherKthValueIN3c104HalfEiLi3EEEvNS_4cuda6detail10TensorInfoIKT_T0_EESA_SA_SA_SA_NS7_IS8_SA_EENS7_IlSA_EE.kd
    .uniform_work_group_size: 1
    .uses_dynamic_stack: false
    .vgpr_count:     53
    .vgpr_spill_count: 0
    .wavefront_size: 64
  - .agpr_count:     0
    .args:
      - .offset:         0
        .size:           216
        .value_kind:     by_value
      - .offset:         216
        .size:           4
        .value_kind:     by_value
      - .offset:         220
        .size:           4
        .value_kind:     by_value
      - .offset:         224
        .size:           4
        .value_kind:     by_value
      - .offset:         228
        .size:           4
        .value_kind:     by_value
      - .offset:         232
        .size:           216
        .value_kind:     by_value
      - .offset:         448
        .size:           216
        .value_kind:     by_value
      - .offset:         664
        .size:           4
        .value_kind:     hidden_block_count_x
      - .offset:         668
        .size:           4
        .value_kind:     hidden_block_count_y
      - .offset:         672
        .size:           4
        .value_kind:     hidden_block_count_z
      - .offset:         676
        .size:           2
        .value_kind:     hidden_group_size_x
      - .offset:         678
        .size:           2
        .value_kind:     hidden_group_size_y
      - .offset:         680
        .size:           2
        .value_kind:     hidden_group_size_z
      - .offset:         682
        .size:           2
        .value_kind:     hidden_remainder_x
      - .offset:         684
        .size:           2
        .value_kind:     hidden_remainder_y
      - .offset:         686
        .size:           2
        .value_kind:     hidden_remainder_z
      - .offset:         704
        .size:           8
        .value_kind:     hidden_global_offset_x
      - .offset:         712
        .size:           8
        .value_kind:     hidden_global_offset_y
      - .offset:         720
        .size:           8
        .value_kind:     hidden_global_offset_z
      - .offset:         728
        .size:           2
        .value_kind:     hidden_grid_dims
    .group_segment_fixed_size: 4112
    .kernarg_segment_align: 8
    .kernarg_segment_size: 920
    .language:       OpenCL C
    .language_version:
      - 2
      - 0
    .max_flat_workgroup_size: 1024
    .name:           _ZN2at6native12_GLOBAL__N_114gatherKthValueIN3c104HalfEiLin1EEEvNS_4cuda6detail10TensorInfoIKT_T0_EESA_SA_SA_SA_NS7_IS8_SA_EENS7_IlSA_EE
    .private_segment_fixed_size: 0
    .sgpr_count:     100
    .sgpr_spill_count: 42
    .symbol:         _ZN2at6native12_GLOBAL__N_114gatherKthValueIN3c104HalfEiLin1EEEvNS_4cuda6detail10TensorInfoIKT_T0_EESA_SA_SA_SA_NS7_IS8_SA_EENS7_IlSA_EE.kd
    .uniform_work_group_size: 1
    .uses_dynamic_stack: false
    .vgpr_count:     53
    .vgpr_spill_count: 0
    .wavefront_size: 64
  - .agpr_count:     0
    .args:
      - .offset:         0
        .size:           416
        .value_kind:     by_value
      - .offset:         416
        .size:           8
        .value_kind:     by_value
      - .offset:         424
        .size:           8
        .value_kind:     by_value
      - .offset:         432
        .size:           8
        .value_kind:     by_value
      - .offset:         440
        .size:           8
        .value_kind:     by_value
      - .offset:         448
        .size:           416
        .value_kind:     by_value
      - .offset:         864
        .size:           416
        .value_kind:     by_value
      - .offset:         1280
        .size:           4
        .value_kind:     hidden_block_count_x
      - .offset:         1284
        .size:           4
        .value_kind:     hidden_block_count_y
      - .offset:         1288
        .size:           4
        .value_kind:     hidden_block_count_z
      - .offset:         1292
        .size:           2
        .value_kind:     hidden_group_size_x
      - .offset:         1294
        .size:           2
        .value_kind:     hidden_group_size_y
      - .offset:         1296
        .size:           2
        .value_kind:     hidden_group_size_z
      - .offset:         1298
        .size:           2
        .value_kind:     hidden_remainder_x
      - .offset:         1300
        .size:           2
        .value_kind:     hidden_remainder_y
      - .offset:         1302
        .size:           2
        .value_kind:     hidden_remainder_z
      - .offset:         1320
        .size:           8
        .value_kind:     hidden_global_offset_x
      - .offset:         1328
        .size:           8
        .value_kind:     hidden_global_offset_y
      - .offset:         1336
        .size:           8
        .value_kind:     hidden_global_offset_z
      - .offset:         1344
        .size:           2
        .value_kind:     hidden_grid_dims
    .group_segment_fixed_size: 5144
    .kernarg_segment_align: 8
    .kernarg_segment_size: 1536
    .language:       OpenCL C
    .language_version:
      - 2
      - 0
    .max_flat_workgroup_size: 1024
    .name:           _ZN2at6native12_GLOBAL__N_114gatherKthValueIN3c104HalfElLi1EEEvNS_4cuda6detail10TensorInfoIKT_T0_EESA_SA_SA_SA_NS7_IS8_SA_EENS7_IlSA_EE
    .private_segment_fixed_size: 0
    .sgpr_count:     100
    .sgpr_spill_count: 37
    .symbol:         _ZN2at6native12_GLOBAL__N_114gatherKthValueIN3c104HalfElLi1EEEvNS_4cuda6detail10TensorInfoIKT_T0_EESA_SA_SA_SA_NS7_IS8_SA_EENS7_IlSA_EE.kd
    .uniform_work_group_size: 1
    .uses_dynamic_stack: false
    .vgpr_count:     57
    .vgpr_spill_count: 0
    .wavefront_size: 64
  - .agpr_count:     0
    .args:
      - .offset:         0
        .size:           416
        .value_kind:     by_value
      - .offset:         416
        .size:           8
        .value_kind:     by_value
      - .offset:         424
        .size:           8
        .value_kind:     by_value
      - .offset:         432
        .size:           8
        .value_kind:     by_value
      - .offset:         440
        .size:           8
        .value_kind:     by_value
      - .offset:         448
        .size:           416
        .value_kind:     by_value
      - .offset:         864
        .size:           416
        .value_kind:     by_value
      - .offset:         1280
        .size:           4
        .value_kind:     hidden_block_count_x
      - .offset:         1284
        .size:           4
        .value_kind:     hidden_block_count_y
      - .offset:         1288
        .size:           4
        .value_kind:     hidden_block_count_z
      - .offset:         1292
        .size:           2
        .value_kind:     hidden_group_size_x
      - .offset:         1294
        .size:           2
        .value_kind:     hidden_group_size_y
      - .offset:         1296
        .size:           2
        .value_kind:     hidden_group_size_z
      - .offset:         1298
        .size:           2
        .value_kind:     hidden_remainder_x
      - .offset:         1300
        .size:           2
        .value_kind:     hidden_remainder_y
      - .offset:         1302
        .size:           2
        .value_kind:     hidden_remainder_z
      - .offset:         1320
        .size:           8
        .value_kind:     hidden_global_offset_x
      - .offset:         1328
        .size:           8
        .value_kind:     hidden_global_offset_y
      - .offset:         1336
        .size:           8
        .value_kind:     hidden_global_offset_z
      - .offset:         1344
        .size:           2
        .value_kind:     hidden_grid_dims
    .group_segment_fixed_size: 5144
    .kernarg_segment_align: 8
    .kernarg_segment_size: 1536
    .language:       OpenCL C
    .language_version:
      - 2
      - 0
    .max_flat_workgroup_size: 1024
    .name:           _ZN2at6native12_GLOBAL__N_114gatherKthValueIN3c104HalfElLi2EEEvNS_4cuda6detail10TensorInfoIKT_T0_EESA_SA_SA_SA_NS7_IS8_SA_EENS7_IlSA_EE
    .private_segment_fixed_size: 0
    .sgpr_count:     100
    .sgpr_spill_count: 50
    .symbol:         _ZN2at6native12_GLOBAL__N_114gatherKthValueIN3c104HalfElLi2EEEvNS_4cuda6detail10TensorInfoIKT_T0_EESA_SA_SA_SA_NS7_IS8_SA_EENS7_IlSA_EE.kd
    .uniform_work_group_size: 1
    .uses_dynamic_stack: false
    .vgpr_count:     55
    .vgpr_spill_count: 0
    .wavefront_size: 64
  - .agpr_count:     0
    .args:
      - .offset:         0
        .size:           416
        .value_kind:     by_value
      - .offset:         416
        .size:           8
        .value_kind:     by_value
      - .offset:         424
        .size:           8
        .value_kind:     by_value
      - .offset:         432
        .size:           8
        .value_kind:     by_value
      - .offset:         440
        .size:           8
        .value_kind:     by_value
      - .offset:         448
        .size:           416
        .value_kind:     by_value
      - .offset:         864
        .size:           416
        .value_kind:     by_value
      - .offset:         1280
        .size:           4
        .value_kind:     hidden_block_count_x
      - .offset:         1284
        .size:           4
        .value_kind:     hidden_block_count_y
      - .offset:         1288
        .size:           4
        .value_kind:     hidden_block_count_z
      - .offset:         1292
        .size:           2
        .value_kind:     hidden_group_size_x
      - .offset:         1294
        .size:           2
        .value_kind:     hidden_group_size_y
      - .offset:         1296
        .size:           2
        .value_kind:     hidden_group_size_z
      - .offset:         1298
        .size:           2
        .value_kind:     hidden_remainder_x
      - .offset:         1300
        .size:           2
        .value_kind:     hidden_remainder_y
      - .offset:         1302
        .size:           2
        .value_kind:     hidden_remainder_z
      - .offset:         1320
        .size:           8
        .value_kind:     hidden_global_offset_x
      - .offset:         1328
        .size:           8
        .value_kind:     hidden_global_offset_y
      - .offset:         1336
        .size:           8
        .value_kind:     hidden_global_offset_z
      - .offset:         1344
        .size:           2
        .value_kind:     hidden_grid_dims
    .group_segment_fixed_size: 5144
    .kernarg_segment_align: 8
    .kernarg_segment_size: 1536
    .language:       OpenCL C
    .language_version:
      - 2
      - 0
    .max_flat_workgroup_size: 1024
    .name:           _ZN2at6native12_GLOBAL__N_114gatherKthValueIN3c104HalfElLi3EEEvNS_4cuda6detail10TensorInfoIKT_T0_EESA_SA_SA_SA_NS7_IS8_SA_EENS7_IlSA_EE
    .private_segment_fixed_size: 0
    .sgpr_count:     100
    .sgpr_spill_count: 62
    .symbol:         _ZN2at6native12_GLOBAL__N_114gatherKthValueIN3c104HalfElLi3EEEvNS_4cuda6detail10TensorInfoIKT_T0_EESA_SA_SA_SA_NS7_IS8_SA_EENS7_IlSA_EE.kd
    .uniform_work_group_size: 1
    .uses_dynamic_stack: false
    .vgpr_count:     57
    .vgpr_spill_count: 0
    .wavefront_size: 64
  - .agpr_count:     0
    .args:
      - .offset:         0
        .size:           416
        .value_kind:     by_value
      - .offset:         416
        .size:           8
        .value_kind:     by_value
      - .offset:         424
        .size:           8
        .value_kind:     by_value
      - .offset:         432
        .size:           8
        .value_kind:     by_value
      - .offset:         440
        .size:           8
        .value_kind:     by_value
      - .offset:         448
        .size:           416
        .value_kind:     by_value
      - .offset:         864
        .size:           416
        .value_kind:     by_value
      - .offset:         1280
        .size:           4
        .value_kind:     hidden_block_count_x
      - .offset:         1284
        .size:           4
        .value_kind:     hidden_block_count_y
      - .offset:         1288
        .size:           4
        .value_kind:     hidden_block_count_z
      - .offset:         1292
        .size:           2
        .value_kind:     hidden_group_size_x
      - .offset:         1294
        .size:           2
        .value_kind:     hidden_group_size_y
      - .offset:         1296
        .size:           2
        .value_kind:     hidden_group_size_z
      - .offset:         1298
        .size:           2
        .value_kind:     hidden_remainder_x
      - .offset:         1300
        .size:           2
        .value_kind:     hidden_remainder_y
      - .offset:         1302
        .size:           2
        .value_kind:     hidden_remainder_z
      - .offset:         1320
        .size:           8
        .value_kind:     hidden_global_offset_x
      - .offset:         1328
        .size:           8
        .value_kind:     hidden_global_offset_y
      - .offset:         1336
        .size:           8
        .value_kind:     hidden_global_offset_z
      - .offset:         1344
        .size:           2
        .value_kind:     hidden_grid_dims
    .group_segment_fixed_size: 5144
    .kernarg_segment_align: 8
    .kernarg_segment_size: 1536
    .language:       OpenCL C
    .language_version:
      - 2
      - 0
    .max_flat_workgroup_size: 1024
    .name:           _ZN2at6native12_GLOBAL__N_114gatherKthValueIN3c104HalfElLin1EEEvNS_4cuda6detail10TensorInfoIKT_T0_EESA_SA_SA_SA_NS7_IS8_SA_EENS7_IlSA_EE
    .private_segment_fixed_size: 0
    .sgpr_count:     100
    .sgpr_spill_count: 46
    .symbol:         _ZN2at6native12_GLOBAL__N_114gatherKthValueIN3c104HalfElLin1EEEvNS_4cuda6detail10TensorInfoIKT_T0_EESA_SA_SA_SA_NS7_IS8_SA_EENS7_IlSA_EE.kd
    .uniform_work_group_size: 1
    .uses_dynamic_stack: false
    .vgpr_count:     59
    .vgpr_spill_count: 0
    .wavefront_size: 64
  - .agpr_count:     0
    .args:
      - .offset:         0
        .size:           216
        .value_kind:     by_value
      - .offset:         216
        .size:           4
        .value_kind:     by_value
      - .offset:         220
        .size:           4
        .value_kind:     by_value
      - .offset:         224
        .size:           4
        .value_kind:     by_value
      - .offset:         228
        .size:           4
        .value_kind:     by_value
      - .offset:         232
        .size:           216
        .value_kind:     by_value
      - .offset:         448
        .size:           216
        .value_kind:     by_value
      - .offset:         664
        .size:           4
        .value_kind:     hidden_block_count_x
      - .offset:         668
        .size:           4
        .value_kind:     hidden_block_count_y
      - .offset:         672
        .size:           4
        .value_kind:     hidden_block_count_z
      - .offset:         676
        .size:           2
        .value_kind:     hidden_group_size_x
      - .offset:         678
        .size:           2
        .value_kind:     hidden_group_size_y
      - .offset:         680
        .size:           2
        .value_kind:     hidden_group_size_z
      - .offset:         682
        .size:           2
        .value_kind:     hidden_remainder_x
      - .offset:         684
        .size:           2
        .value_kind:     hidden_remainder_y
      - .offset:         686
        .size:           2
        .value_kind:     hidden_remainder_z
      - .offset:         704
        .size:           8
        .value_kind:     hidden_global_offset_x
      - .offset:         712
        .size:           8
        .value_kind:     hidden_global_offset_y
      - .offset:         720
        .size:           8
        .value_kind:     hidden_global_offset_z
      - .offset:         728
        .size:           2
        .value_kind:     hidden_grid_dims
    .group_segment_fixed_size: 4112
    .kernarg_segment_align: 8
    .kernarg_segment_size: 920
    .language:       OpenCL C
    .language_version:
      - 2
      - 0
    .max_flat_workgroup_size: 1024
    .name:           _ZN2at6native12_GLOBAL__N_114gatherKthValueIN3c108BFloat16EiLi1EEEvNS_4cuda6detail10TensorInfoIKT_T0_EESA_SA_SA_SA_NS7_IS8_SA_EENS7_IlSA_EE
    .private_segment_fixed_size: 0
    .sgpr_count:     100
    .sgpr_spill_count: 39
    .symbol:         _ZN2at6native12_GLOBAL__N_114gatherKthValueIN3c108BFloat16EiLi1EEEvNS_4cuda6detail10TensorInfoIKT_T0_EESA_SA_SA_SA_NS7_IS8_SA_EENS7_IlSA_EE.kd
    .uniform_work_group_size: 1
    .uses_dynamic_stack: false
    .vgpr_count:     53
    .vgpr_spill_count: 0
    .wavefront_size: 64
  - .agpr_count:     0
    .args:
      - .offset:         0
        .size:           216
        .value_kind:     by_value
      - .offset:         216
        .size:           4
        .value_kind:     by_value
      - .offset:         220
        .size:           4
        .value_kind:     by_value
      - .offset:         224
        .size:           4
        .value_kind:     by_value
      - .offset:         228
        .size:           4
        .value_kind:     by_value
      - .offset:         232
        .size:           216
        .value_kind:     by_value
      - .offset:         448
        .size:           216
        .value_kind:     by_value
      - .offset:         664
        .size:           4
        .value_kind:     hidden_block_count_x
      - .offset:         668
        .size:           4
        .value_kind:     hidden_block_count_y
      - .offset:         672
        .size:           4
        .value_kind:     hidden_block_count_z
      - .offset:         676
        .size:           2
        .value_kind:     hidden_group_size_x
      - .offset:         678
        .size:           2
        .value_kind:     hidden_group_size_y
      - .offset:         680
        .size:           2
        .value_kind:     hidden_group_size_z
      - .offset:         682
        .size:           2
        .value_kind:     hidden_remainder_x
      - .offset:         684
        .size:           2
        .value_kind:     hidden_remainder_y
      - .offset:         686
        .size:           2
        .value_kind:     hidden_remainder_z
      - .offset:         704
        .size:           8
        .value_kind:     hidden_global_offset_x
      - .offset:         712
        .size:           8
        .value_kind:     hidden_global_offset_y
      - .offset:         720
        .size:           8
        .value_kind:     hidden_global_offset_z
      - .offset:         728
        .size:           2
        .value_kind:     hidden_grid_dims
    .group_segment_fixed_size: 4112
    .kernarg_segment_align: 8
    .kernarg_segment_size: 920
    .language:       OpenCL C
    .language_version:
      - 2
      - 0
    .max_flat_workgroup_size: 1024
    .name:           _ZN2at6native12_GLOBAL__N_114gatherKthValueIN3c108BFloat16EiLi2EEEvNS_4cuda6detail10TensorInfoIKT_T0_EESA_SA_SA_SA_NS7_IS8_SA_EENS7_IlSA_EE
    .private_segment_fixed_size: 0
    .sgpr_count:     100
    .sgpr_spill_count: 51
    .symbol:         _ZN2at6native12_GLOBAL__N_114gatherKthValueIN3c108BFloat16EiLi2EEEvNS_4cuda6detail10TensorInfoIKT_T0_EESA_SA_SA_SA_NS7_IS8_SA_EENS7_IlSA_EE.kd
    .uniform_work_group_size: 1
    .uses_dynamic_stack: false
    .vgpr_count:     53
    .vgpr_spill_count: 0
    .wavefront_size: 64
  - .agpr_count:     0
    .args:
      - .offset:         0
        .size:           216
        .value_kind:     by_value
      - .offset:         216
        .size:           4
        .value_kind:     by_value
      - .offset:         220
        .size:           4
        .value_kind:     by_value
      - .offset:         224
        .size:           4
        .value_kind:     by_value
      - .offset:         228
        .size:           4
        .value_kind:     by_value
      - .offset:         232
        .size:           216
        .value_kind:     by_value
      - .offset:         448
        .size:           216
        .value_kind:     by_value
      - .offset:         664
        .size:           4
        .value_kind:     hidden_block_count_x
      - .offset:         668
        .size:           4
        .value_kind:     hidden_block_count_y
      - .offset:         672
        .size:           4
        .value_kind:     hidden_block_count_z
      - .offset:         676
        .size:           2
        .value_kind:     hidden_group_size_x
      - .offset:         678
        .size:           2
        .value_kind:     hidden_group_size_y
      - .offset:         680
        .size:           2
        .value_kind:     hidden_group_size_z
      - .offset:         682
        .size:           2
        .value_kind:     hidden_remainder_x
      - .offset:         684
        .size:           2
        .value_kind:     hidden_remainder_y
      - .offset:         686
        .size:           2
        .value_kind:     hidden_remainder_z
      - .offset:         704
        .size:           8
        .value_kind:     hidden_global_offset_x
      - .offset:         712
        .size:           8
        .value_kind:     hidden_global_offset_y
      - .offset:         720
        .size:           8
        .value_kind:     hidden_global_offset_z
      - .offset:         728
        .size:           2
        .value_kind:     hidden_grid_dims
    .group_segment_fixed_size: 4112
    .kernarg_segment_align: 8
    .kernarg_segment_size: 920
    .language:       OpenCL C
    .language_version:
      - 2
      - 0
    .max_flat_workgroup_size: 1024
    .name:           _ZN2at6native12_GLOBAL__N_114gatherKthValueIN3c108BFloat16EiLi3EEEvNS_4cuda6detail10TensorInfoIKT_T0_EESA_SA_SA_SA_NS7_IS8_SA_EENS7_IlSA_EE
    .private_segment_fixed_size: 0
    .sgpr_count:     100
    .sgpr_spill_count: 61
    .symbol:         _ZN2at6native12_GLOBAL__N_114gatherKthValueIN3c108BFloat16EiLi3EEEvNS_4cuda6detail10TensorInfoIKT_T0_EESA_SA_SA_SA_NS7_IS8_SA_EENS7_IlSA_EE.kd
    .uniform_work_group_size: 1
    .uses_dynamic_stack: false
    .vgpr_count:     53
    .vgpr_spill_count: 0
    .wavefront_size: 64
  - .agpr_count:     0
    .args:
      - .offset:         0
        .size:           216
        .value_kind:     by_value
      - .offset:         216
        .size:           4
        .value_kind:     by_value
      - .offset:         220
        .size:           4
        .value_kind:     by_value
      - .offset:         224
        .size:           4
        .value_kind:     by_value
      - .offset:         228
        .size:           4
        .value_kind:     by_value
      - .offset:         232
        .size:           216
        .value_kind:     by_value
      - .offset:         448
        .size:           216
        .value_kind:     by_value
      - .offset:         664
        .size:           4
        .value_kind:     hidden_block_count_x
      - .offset:         668
        .size:           4
        .value_kind:     hidden_block_count_y
      - .offset:         672
        .size:           4
        .value_kind:     hidden_block_count_z
      - .offset:         676
        .size:           2
        .value_kind:     hidden_group_size_x
      - .offset:         678
        .size:           2
        .value_kind:     hidden_group_size_y
      - .offset:         680
        .size:           2
        .value_kind:     hidden_group_size_z
      - .offset:         682
        .size:           2
        .value_kind:     hidden_remainder_x
      - .offset:         684
        .size:           2
        .value_kind:     hidden_remainder_y
      - .offset:         686
        .size:           2
        .value_kind:     hidden_remainder_z
      - .offset:         704
        .size:           8
        .value_kind:     hidden_global_offset_x
      - .offset:         712
        .size:           8
        .value_kind:     hidden_global_offset_y
      - .offset:         720
        .size:           8
        .value_kind:     hidden_global_offset_z
      - .offset:         728
        .size:           2
        .value_kind:     hidden_grid_dims
    .group_segment_fixed_size: 4112
    .kernarg_segment_align: 8
    .kernarg_segment_size: 920
    .language:       OpenCL C
    .language_version:
      - 2
      - 0
    .max_flat_workgroup_size: 1024
    .name:           _ZN2at6native12_GLOBAL__N_114gatherKthValueIN3c108BFloat16EiLin1EEEvNS_4cuda6detail10TensorInfoIKT_T0_EESA_SA_SA_SA_NS7_IS8_SA_EENS7_IlSA_EE
    .private_segment_fixed_size: 0
    .sgpr_count:     100
    .sgpr_spill_count: 42
    .symbol:         _ZN2at6native12_GLOBAL__N_114gatherKthValueIN3c108BFloat16EiLin1EEEvNS_4cuda6detail10TensorInfoIKT_T0_EESA_SA_SA_SA_NS7_IS8_SA_EENS7_IlSA_EE.kd
    .uniform_work_group_size: 1
    .uses_dynamic_stack: false
    .vgpr_count:     53
    .vgpr_spill_count: 0
    .wavefront_size: 64
  - .agpr_count:     0
    .args:
      - .offset:         0
        .size:           416
        .value_kind:     by_value
      - .offset:         416
        .size:           8
        .value_kind:     by_value
      - .offset:         424
        .size:           8
        .value_kind:     by_value
      - .offset:         432
        .size:           8
        .value_kind:     by_value
      - .offset:         440
        .size:           8
        .value_kind:     by_value
      - .offset:         448
        .size:           416
        .value_kind:     by_value
      - .offset:         864
        .size:           416
        .value_kind:     by_value
      - .offset:         1280
        .size:           4
        .value_kind:     hidden_block_count_x
      - .offset:         1284
        .size:           4
        .value_kind:     hidden_block_count_y
      - .offset:         1288
        .size:           4
        .value_kind:     hidden_block_count_z
      - .offset:         1292
        .size:           2
        .value_kind:     hidden_group_size_x
      - .offset:         1294
        .size:           2
        .value_kind:     hidden_group_size_y
      - .offset:         1296
        .size:           2
        .value_kind:     hidden_group_size_z
      - .offset:         1298
        .size:           2
        .value_kind:     hidden_remainder_x
      - .offset:         1300
        .size:           2
        .value_kind:     hidden_remainder_y
      - .offset:         1302
        .size:           2
        .value_kind:     hidden_remainder_z
      - .offset:         1320
        .size:           8
        .value_kind:     hidden_global_offset_x
      - .offset:         1328
        .size:           8
        .value_kind:     hidden_global_offset_y
      - .offset:         1336
        .size:           8
        .value_kind:     hidden_global_offset_z
      - .offset:         1344
        .size:           2
        .value_kind:     hidden_grid_dims
    .group_segment_fixed_size: 5144
    .kernarg_segment_align: 8
    .kernarg_segment_size: 1536
    .language:       OpenCL C
    .language_version:
      - 2
      - 0
    .max_flat_workgroup_size: 1024
    .name:           _ZN2at6native12_GLOBAL__N_114gatherKthValueIN3c108BFloat16ElLi1EEEvNS_4cuda6detail10TensorInfoIKT_T0_EESA_SA_SA_SA_NS7_IS8_SA_EENS7_IlSA_EE
    .private_segment_fixed_size: 0
    .sgpr_count:     100
    .sgpr_spill_count: 37
    .symbol:         _ZN2at6native12_GLOBAL__N_114gatherKthValueIN3c108BFloat16ElLi1EEEvNS_4cuda6detail10TensorInfoIKT_T0_EESA_SA_SA_SA_NS7_IS8_SA_EENS7_IlSA_EE.kd
    .uniform_work_group_size: 1
    .uses_dynamic_stack: false
    .vgpr_count:     57
    .vgpr_spill_count: 0
    .wavefront_size: 64
  - .agpr_count:     0
    .args:
      - .offset:         0
        .size:           416
        .value_kind:     by_value
      - .offset:         416
        .size:           8
        .value_kind:     by_value
      - .offset:         424
        .size:           8
        .value_kind:     by_value
      - .offset:         432
        .size:           8
        .value_kind:     by_value
      - .offset:         440
        .size:           8
        .value_kind:     by_value
      - .offset:         448
        .size:           416
        .value_kind:     by_value
      - .offset:         864
        .size:           416
        .value_kind:     by_value
      - .offset:         1280
        .size:           4
        .value_kind:     hidden_block_count_x
      - .offset:         1284
        .size:           4
        .value_kind:     hidden_block_count_y
      - .offset:         1288
        .size:           4
        .value_kind:     hidden_block_count_z
      - .offset:         1292
        .size:           2
        .value_kind:     hidden_group_size_x
      - .offset:         1294
        .size:           2
        .value_kind:     hidden_group_size_y
      - .offset:         1296
        .size:           2
        .value_kind:     hidden_group_size_z
      - .offset:         1298
        .size:           2
        .value_kind:     hidden_remainder_x
      - .offset:         1300
        .size:           2
        .value_kind:     hidden_remainder_y
      - .offset:         1302
        .size:           2
        .value_kind:     hidden_remainder_z
      - .offset:         1320
        .size:           8
        .value_kind:     hidden_global_offset_x
      - .offset:         1328
        .size:           8
        .value_kind:     hidden_global_offset_y
      - .offset:         1336
        .size:           8
        .value_kind:     hidden_global_offset_z
      - .offset:         1344
        .size:           2
        .value_kind:     hidden_grid_dims
    .group_segment_fixed_size: 5144
    .kernarg_segment_align: 8
    .kernarg_segment_size: 1536
    .language:       OpenCL C
    .language_version:
      - 2
      - 0
    .max_flat_workgroup_size: 1024
    .name:           _ZN2at6native12_GLOBAL__N_114gatherKthValueIN3c108BFloat16ElLi2EEEvNS_4cuda6detail10TensorInfoIKT_T0_EESA_SA_SA_SA_NS7_IS8_SA_EENS7_IlSA_EE
    .private_segment_fixed_size: 0
    .sgpr_count:     100
    .sgpr_spill_count: 50
    .symbol:         _ZN2at6native12_GLOBAL__N_114gatherKthValueIN3c108BFloat16ElLi2EEEvNS_4cuda6detail10TensorInfoIKT_T0_EESA_SA_SA_SA_NS7_IS8_SA_EENS7_IlSA_EE.kd
    .uniform_work_group_size: 1
    .uses_dynamic_stack: false
    .vgpr_count:     56
    .vgpr_spill_count: 0
    .wavefront_size: 64
  - .agpr_count:     0
    .args:
      - .offset:         0
        .size:           416
        .value_kind:     by_value
      - .offset:         416
        .size:           8
        .value_kind:     by_value
      - .offset:         424
        .size:           8
        .value_kind:     by_value
      - .offset:         432
        .size:           8
        .value_kind:     by_value
      - .offset:         440
        .size:           8
        .value_kind:     by_value
      - .offset:         448
        .size:           416
        .value_kind:     by_value
      - .offset:         864
        .size:           416
        .value_kind:     by_value
      - .offset:         1280
        .size:           4
        .value_kind:     hidden_block_count_x
      - .offset:         1284
        .size:           4
        .value_kind:     hidden_block_count_y
      - .offset:         1288
        .size:           4
        .value_kind:     hidden_block_count_z
      - .offset:         1292
        .size:           2
        .value_kind:     hidden_group_size_x
      - .offset:         1294
        .size:           2
        .value_kind:     hidden_group_size_y
      - .offset:         1296
        .size:           2
        .value_kind:     hidden_group_size_z
      - .offset:         1298
        .size:           2
        .value_kind:     hidden_remainder_x
      - .offset:         1300
        .size:           2
        .value_kind:     hidden_remainder_y
      - .offset:         1302
        .size:           2
        .value_kind:     hidden_remainder_z
      - .offset:         1320
        .size:           8
        .value_kind:     hidden_global_offset_x
      - .offset:         1328
        .size:           8
        .value_kind:     hidden_global_offset_y
      - .offset:         1336
        .size:           8
        .value_kind:     hidden_global_offset_z
      - .offset:         1344
        .size:           2
        .value_kind:     hidden_grid_dims
    .group_segment_fixed_size: 5144
    .kernarg_segment_align: 8
    .kernarg_segment_size: 1536
    .language:       OpenCL C
    .language_version:
      - 2
      - 0
    .max_flat_workgroup_size: 1024
    .name:           _ZN2at6native12_GLOBAL__N_114gatherKthValueIN3c108BFloat16ElLi3EEEvNS_4cuda6detail10TensorInfoIKT_T0_EESA_SA_SA_SA_NS7_IS8_SA_EENS7_IlSA_EE
    .private_segment_fixed_size: 0
    .sgpr_count:     100
    .sgpr_spill_count: 62
    .symbol:         _ZN2at6native12_GLOBAL__N_114gatherKthValueIN3c108BFloat16ElLi3EEEvNS_4cuda6detail10TensorInfoIKT_T0_EESA_SA_SA_SA_NS7_IS8_SA_EENS7_IlSA_EE.kd
    .uniform_work_group_size: 1
    .uses_dynamic_stack: false
    .vgpr_count:     58
    .vgpr_spill_count: 0
    .wavefront_size: 64
  - .agpr_count:     0
    .args:
      - .offset:         0
        .size:           416
        .value_kind:     by_value
      - .offset:         416
        .size:           8
        .value_kind:     by_value
      - .offset:         424
        .size:           8
        .value_kind:     by_value
      - .offset:         432
        .size:           8
        .value_kind:     by_value
      - .offset:         440
        .size:           8
        .value_kind:     by_value
      - .offset:         448
        .size:           416
        .value_kind:     by_value
      - .offset:         864
        .size:           416
        .value_kind:     by_value
      - .offset:         1280
        .size:           4
        .value_kind:     hidden_block_count_x
      - .offset:         1284
        .size:           4
        .value_kind:     hidden_block_count_y
      - .offset:         1288
        .size:           4
        .value_kind:     hidden_block_count_z
      - .offset:         1292
        .size:           2
        .value_kind:     hidden_group_size_x
      - .offset:         1294
        .size:           2
        .value_kind:     hidden_group_size_y
      - .offset:         1296
        .size:           2
        .value_kind:     hidden_group_size_z
      - .offset:         1298
        .size:           2
        .value_kind:     hidden_remainder_x
      - .offset:         1300
        .size:           2
        .value_kind:     hidden_remainder_y
      - .offset:         1302
        .size:           2
        .value_kind:     hidden_remainder_z
      - .offset:         1320
        .size:           8
        .value_kind:     hidden_global_offset_x
      - .offset:         1328
        .size:           8
        .value_kind:     hidden_global_offset_y
      - .offset:         1336
        .size:           8
        .value_kind:     hidden_global_offset_z
      - .offset:         1344
        .size:           2
        .value_kind:     hidden_grid_dims
    .group_segment_fixed_size: 5144
    .kernarg_segment_align: 8
    .kernarg_segment_size: 1536
    .language:       OpenCL C
    .language_version:
      - 2
      - 0
    .max_flat_workgroup_size: 1024
    .name:           _ZN2at6native12_GLOBAL__N_114gatherKthValueIN3c108BFloat16ElLin1EEEvNS_4cuda6detail10TensorInfoIKT_T0_EESA_SA_SA_SA_NS7_IS8_SA_EENS7_IlSA_EE
    .private_segment_fixed_size: 0
    .sgpr_count:     100
    .sgpr_spill_count: 46
    .symbol:         _ZN2at6native12_GLOBAL__N_114gatherKthValueIN3c108BFloat16ElLin1EEEvNS_4cuda6detail10TensorInfoIKT_T0_EESA_SA_SA_SA_NS7_IS8_SA_EENS7_IlSA_EE.kd
    .uniform_work_group_size: 1
    .uses_dynamic_stack: false
    .vgpr_count:     61
    .vgpr_spill_count: 0
    .wavefront_size: 64
  - .agpr_count:     0
    .args:
      - .offset:         0
        .size:           216
        .value_kind:     by_value
      - .offset:         216
        .size:           216
        .value_kind:     by_value
      - .offset:         432
        .size:           216
        .value_kind:     by_value
      - .offset:         648
        .size:           4
        .value_kind:     by_value
      - .offset:         652
        .size:           4
        .value_kind:     by_value
      - .offset:         656
        .size:           4
        .value_kind:     by_value
      - .offset:         660
        .size:           1
        .value_kind:     by_value
      - .offset:         664
        .size:           4
        .value_kind:     hidden_block_count_x
      - .offset:         668
        .size:           4
        .value_kind:     hidden_block_count_y
      - .offset:         672
        .size:           4
        .value_kind:     hidden_block_count_z
      - .offset:         676
        .size:           2
        .value_kind:     hidden_group_size_x
      - .offset:         678
        .size:           2
        .value_kind:     hidden_group_size_y
      - .offset:         680
        .size:           2
        .value_kind:     hidden_group_size_z
      - .offset:         682
        .size:           2
        .value_kind:     hidden_remainder_x
      - .offset:         684
        .size:           2
        .value_kind:     hidden_remainder_y
      - .offset:         686
        .size:           2
        .value_kind:     hidden_remainder_z
      - .offset:         704
        .size:           8
        .value_kind:     hidden_global_offset_x
      - .offset:         712
        .size:           8
        .value_kind:     hidden_global_offset_y
      - .offset:         720
        .size:           8
        .value_kind:     hidden_global_offset_z
      - .offset:         728
        .size:           2
        .value_kind:     hidden_grid_dims
    .group_segment_fixed_size: 4120
    .kernarg_segment_align: 8
    .kernarg_segment_size: 920
    .language:       OpenCL C
    .language_version:
      - 2
      - 0
    .max_flat_workgroup_size: 1024
    .name:           _ZN2at6native12_GLOBAL__N_112gatherMedianIhjLi1EEEvNS_4cuda6detail10TensorInfoIT_T0_EENS5_IlS7_EENS5_IKS6_S7_EES7_S7_S7_b
    .private_segment_fixed_size: 0
    .sgpr_count:     100
    .sgpr_spill_count: 30
    .symbol:         _ZN2at6native12_GLOBAL__N_112gatherMedianIhjLi1EEEvNS_4cuda6detail10TensorInfoIT_T0_EENS5_IlS7_EENS5_IKS6_S7_EES7_S7_S7_b.kd
    .uniform_work_group_size: 1
    .uses_dynamic_stack: false
    .vgpr_count:     43
    .vgpr_spill_count: 0
    .wavefront_size: 64
  - .agpr_count:     0
    .args:
      - .offset:         0
        .size:           216
        .value_kind:     by_value
      - .offset:         216
        .size:           216
        .value_kind:     by_value
      - .offset:         432
        .size:           216
        .value_kind:     by_value
      - .offset:         648
        .size:           4
        .value_kind:     by_value
      - .offset:         652
        .size:           4
        .value_kind:     by_value
      - .offset:         656
        .size:           4
        .value_kind:     by_value
      - .offset:         660
        .size:           1
        .value_kind:     by_value
      - .offset:         664
        .size:           4
        .value_kind:     hidden_block_count_x
      - .offset:         668
        .size:           4
        .value_kind:     hidden_block_count_y
      - .offset:         672
        .size:           4
        .value_kind:     hidden_block_count_z
      - .offset:         676
        .size:           2
        .value_kind:     hidden_group_size_x
      - .offset:         678
        .size:           2
        .value_kind:     hidden_group_size_y
      - .offset:         680
        .size:           2
        .value_kind:     hidden_group_size_z
      - .offset:         682
        .size:           2
        .value_kind:     hidden_remainder_x
      - .offset:         684
        .size:           2
        .value_kind:     hidden_remainder_y
      - .offset:         686
        .size:           2
        .value_kind:     hidden_remainder_z
      - .offset:         704
        .size:           8
        .value_kind:     hidden_global_offset_x
      - .offset:         712
        .size:           8
        .value_kind:     hidden_global_offset_y
      - .offset:         720
        .size:           8
        .value_kind:     hidden_global_offset_z
      - .offset:         728
        .size:           2
        .value_kind:     hidden_grid_dims
    .group_segment_fixed_size: 4120
    .kernarg_segment_align: 8
    .kernarg_segment_size: 920
    .language:       OpenCL C
    .language_version:
      - 2
      - 0
    .max_flat_workgroup_size: 1024
    .name:           _ZN2at6native12_GLOBAL__N_112gatherMedianIhjLi2EEEvNS_4cuda6detail10TensorInfoIT_T0_EENS5_IlS7_EENS5_IKS6_S7_EES7_S7_S7_b
    .private_segment_fixed_size: 0
    .sgpr_count:     100
    .sgpr_spill_count: 36
    .symbol:         _ZN2at6native12_GLOBAL__N_112gatherMedianIhjLi2EEEvNS_4cuda6detail10TensorInfoIT_T0_EENS5_IlS7_EENS5_IKS6_S7_EES7_S7_S7_b.kd
    .uniform_work_group_size: 1
    .uses_dynamic_stack: false
    .vgpr_count:     43
    .vgpr_spill_count: 0
    .wavefront_size: 64
  - .agpr_count:     0
    .args:
      - .offset:         0
        .size:           216
        .value_kind:     by_value
      - .offset:         216
        .size:           216
        .value_kind:     by_value
      - .offset:         432
        .size:           216
        .value_kind:     by_value
      - .offset:         648
        .size:           4
        .value_kind:     by_value
      - .offset:         652
        .size:           4
        .value_kind:     by_value
      - .offset:         656
        .size:           4
        .value_kind:     by_value
      - .offset:         660
        .size:           1
        .value_kind:     by_value
      - .offset:         664
        .size:           4
        .value_kind:     hidden_block_count_x
      - .offset:         668
        .size:           4
        .value_kind:     hidden_block_count_y
      - .offset:         672
        .size:           4
        .value_kind:     hidden_block_count_z
      - .offset:         676
        .size:           2
        .value_kind:     hidden_group_size_x
      - .offset:         678
        .size:           2
        .value_kind:     hidden_group_size_y
      - .offset:         680
        .size:           2
        .value_kind:     hidden_group_size_z
      - .offset:         682
        .size:           2
        .value_kind:     hidden_remainder_x
      - .offset:         684
        .size:           2
        .value_kind:     hidden_remainder_y
      - .offset:         686
        .size:           2
        .value_kind:     hidden_remainder_z
      - .offset:         704
        .size:           8
        .value_kind:     hidden_global_offset_x
      - .offset:         712
        .size:           8
        .value_kind:     hidden_global_offset_y
      - .offset:         720
        .size:           8
        .value_kind:     hidden_global_offset_z
      - .offset:         728
        .size:           2
        .value_kind:     hidden_grid_dims
    .group_segment_fixed_size: 4120
    .kernarg_segment_align: 8
    .kernarg_segment_size: 920
    .language:       OpenCL C
    .language_version:
      - 2
      - 0
    .max_flat_workgroup_size: 1024
    .name:           _ZN2at6native12_GLOBAL__N_112gatherMedianIhjLi3EEEvNS_4cuda6detail10TensorInfoIT_T0_EENS5_IlS7_EENS5_IKS6_S7_EES7_S7_S7_b
    .private_segment_fixed_size: 0
    .sgpr_count:     100
    .sgpr_spill_count: 44
    .symbol:         _ZN2at6native12_GLOBAL__N_112gatherMedianIhjLi3EEEvNS_4cuda6detail10TensorInfoIT_T0_EENS5_IlS7_EENS5_IKS6_S7_EES7_S7_S7_b.kd
    .uniform_work_group_size: 1
    .uses_dynamic_stack: false
    .vgpr_count:     43
    .vgpr_spill_count: 0
    .wavefront_size: 64
  - .agpr_count:     0
    .args:
      - .offset:         0
        .size:           216
        .value_kind:     by_value
      - .offset:         216
        .size:           216
        .value_kind:     by_value
      - .offset:         432
        .size:           216
        .value_kind:     by_value
      - .offset:         648
        .size:           4
        .value_kind:     by_value
      - .offset:         652
        .size:           4
        .value_kind:     by_value
      - .offset:         656
        .size:           4
        .value_kind:     by_value
      - .offset:         660
        .size:           1
        .value_kind:     by_value
      - .offset:         664
        .size:           4
        .value_kind:     hidden_block_count_x
      - .offset:         668
        .size:           4
        .value_kind:     hidden_block_count_y
      - .offset:         672
        .size:           4
        .value_kind:     hidden_block_count_z
      - .offset:         676
        .size:           2
        .value_kind:     hidden_group_size_x
      - .offset:         678
        .size:           2
        .value_kind:     hidden_group_size_y
      - .offset:         680
        .size:           2
        .value_kind:     hidden_group_size_z
      - .offset:         682
        .size:           2
        .value_kind:     hidden_remainder_x
      - .offset:         684
        .size:           2
        .value_kind:     hidden_remainder_y
      - .offset:         686
        .size:           2
        .value_kind:     hidden_remainder_z
      - .offset:         704
        .size:           8
        .value_kind:     hidden_global_offset_x
      - .offset:         712
        .size:           8
        .value_kind:     hidden_global_offset_y
      - .offset:         720
        .size:           8
        .value_kind:     hidden_global_offset_z
      - .offset:         728
        .size:           2
        .value_kind:     hidden_grid_dims
    .group_segment_fixed_size: 4120
    .kernarg_segment_align: 8
    .kernarg_segment_size: 920
    .language:       OpenCL C
    .language_version:
      - 2
      - 0
    .max_flat_workgroup_size: 1024
    .name:           _ZN2at6native12_GLOBAL__N_112gatherMedianIhjLin1EEEvNS_4cuda6detail10TensorInfoIT_T0_EENS5_IlS7_EENS5_IKS6_S7_EES7_S7_S7_b
    .private_segment_fixed_size: 0
    .sgpr_count:     100
    .sgpr_spill_count: 34
    .symbol:         _ZN2at6native12_GLOBAL__N_112gatherMedianIhjLin1EEEvNS_4cuda6detail10TensorInfoIT_T0_EENS5_IlS7_EENS5_IKS6_S7_EES7_S7_S7_b.kd
    .uniform_work_group_size: 1
    .uses_dynamic_stack: false
    .vgpr_count:     43
    .vgpr_spill_count: 0
    .wavefront_size: 64
  - .agpr_count:     0
    .args:
      - .offset:         0
        .size:           416
        .value_kind:     by_value
      - .offset:         416
        .size:           416
        .value_kind:     by_value
      - .offset:         832
        .size:           416
        .value_kind:     by_value
      - .offset:         1248
        .size:           8
        .value_kind:     by_value
      - .offset:         1256
        .size:           8
        .value_kind:     by_value
      - .offset:         1264
        .size:           8
        .value_kind:     by_value
      - .offset:         1272
        .size:           1
        .value_kind:     by_value
      - .offset:         1280
        .size:           4
        .value_kind:     hidden_block_count_x
      - .offset:         1284
        .size:           4
        .value_kind:     hidden_block_count_y
      - .offset:         1288
        .size:           4
        .value_kind:     hidden_block_count_z
      - .offset:         1292
        .size:           2
        .value_kind:     hidden_group_size_x
      - .offset:         1294
        .size:           2
        .value_kind:     hidden_group_size_y
      - .offset:         1296
        .size:           2
        .value_kind:     hidden_group_size_z
      - .offset:         1298
        .size:           2
        .value_kind:     hidden_remainder_x
      - .offset:         1300
        .size:           2
        .value_kind:     hidden_remainder_y
      - .offset:         1302
        .size:           2
        .value_kind:     hidden_remainder_z
      - .offset:         1320
        .size:           8
        .value_kind:     hidden_global_offset_x
      - .offset:         1328
        .size:           8
        .value_kind:     hidden_global_offset_y
      - .offset:         1336
        .size:           8
        .value_kind:     hidden_global_offset_z
      - .offset:         1344
        .size:           2
        .value_kind:     hidden_grid_dims
    .group_segment_fixed_size: 5152
    .kernarg_segment_align: 8
    .kernarg_segment_size: 1536
    .language:       OpenCL C
    .language_version:
      - 2
      - 0
    .max_flat_workgroup_size: 1024
    .name:           _ZN2at6native12_GLOBAL__N_112gatherMedianIhmLi1EEEvNS_4cuda6detail10TensorInfoIT_T0_EENS5_IlS7_EENS5_IKS6_S7_EES7_S7_S7_b
    .private_segment_fixed_size: 0
    .sgpr_count:     100
    .sgpr_spill_count: 34
    .symbol:         _ZN2at6native12_GLOBAL__N_112gatherMedianIhmLi1EEEvNS_4cuda6detail10TensorInfoIT_T0_EENS5_IlS7_EENS5_IKS6_S7_EES7_S7_S7_b.kd
    .uniform_work_group_size: 1
    .uses_dynamic_stack: false
    .vgpr_count:     45
    .vgpr_spill_count: 0
    .wavefront_size: 64
  - .agpr_count:     0
    .args:
      - .offset:         0
        .size:           416
        .value_kind:     by_value
      - .offset:         416
        .size:           416
        .value_kind:     by_value
      - .offset:         832
        .size:           416
        .value_kind:     by_value
      - .offset:         1248
        .size:           8
        .value_kind:     by_value
      - .offset:         1256
        .size:           8
        .value_kind:     by_value
      - .offset:         1264
        .size:           8
        .value_kind:     by_value
      - .offset:         1272
        .size:           1
        .value_kind:     by_value
      - .offset:         1280
        .size:           4
        .value_kind:     hidden_block_count_x
      - .offset:         1284
        .size:           4
        .value_kind:     hidden_block_count_y
      - .offset:         1288
        .size:           4
        .value_kind:     hidden_block_count_z
      - .offset:         1292
        .size:           2
        .value_kind:     hidden_group_size_x
      - .offset:         1294
        .size:           2
        .value_kind:     hidden_group_size_y
      - .offset:         1296
        .size:           2
        .value_kind:     hidden_group_size_z
      - .offset:         1298
        .size:           2
        .value_kind:     hidden_remainder_x
      - .offset:         1300
        .size:           2
        .value_kind:     hidden_remainder_y
      - .offset:         1302
        .size:           2
        .value_kind:     hidden_remainder_z
      - .offset:         1320
        .size:           8
        .value_kind:     hidden_global_offset_x
      - .offset:         1328
        .size:           8
        .value_kind:     hidden_global_offset_y
      - .offset:         1336
        .size:           8
        .value_kind:     hidden_global_offset_z
      - .offset:         1344
        .size:           2
        .value_kind:     hidden_grid_dims
    .group_segment_fixed_size: 5152
    .kernarg_segment_align: 8
    .kernarg_segment_size: 1536
    .language:       OpenCL C
    .language_version:
      - 2
      - 0
    .max_flat_workgroup_size: 1024
    .name:           _ZN2at6native12_GLOBAL__N_112gatherMedianIhmLi2EEEvNS_4cuda6detail10TensorInfoIT_T0_EENS5_IlS7_EENS5_IKS6_S7_EES7_S7_S7_b
    .private_segment_fixed_size: 0
    .sgpr_count:     100
    .sgpr_spill_count: 39
    .symbol:         _ZN2at6native12_GLOBAL__N_112gatherMedianIhmLi2EEEvNS_4cuda6detail10TensorInfoIT_T0_EENS5_IlS7_EENS5_IKS6_S7_EES7_S7_S7_b.kd
    .uniform_work_group_size: 1
    .uses_dynamic_stack: false
    .vgpr_count:     39
    .vgpr_spill_count: 0
    .wavefront_size: 64
  - .agpr_count:     0
    .args:
      - .offset:         0
        .size:           416
        .value_kind:     by_value
      - .offset:         416
        .size:           416
        .value_kind:     by_value
      - .offset:         832
        .size:           416
        .value_kind:     by_value
      - .offset:         1248
        .size:           8
        .value_kind:     by_value
      - .offset:         1256
        .size:           8
        .value_kind:     by_value
      - .offset:         1264
        .size:           8
        .value_kind:     by_value
      - .offset:         1272
        .size:           1
        .value_kind:     by_value
      - .offset:         1280
        .size:           4
        .value_kind:     hidden_block_count_x
      - .offset:         1284
        .size:           4
        .value_kind:     hidden_block_count_y
      - .offset:         1288
        .size:           4
        .value_kind:     hidden_block_count_z
      - .offset:         1292
        .size:           2
        .value_kind:     hidden_group_size_x
      - .offset:         1294
        .size:           2
        .value_kind:     hidden_group_size_y
      - .offset:         1296
        .size:           2
        .value_kind:     hidden_group_size_z
      - .offset:         1298
        .size:           2
        .value_kind:     hidden_remainder_x
      - .offset:         1300
        .size:           2
        .value_kind:     hidden_remainder_y
      - .offset:         1302
        .size:           2
        .value_kind:     hidden_remainder_z
      - .offset:         1320
        .size:           8
        .value_kind:     hidden_global_offset_x
      - .offset:         1328
        .size:           8
        .value_kind:     hidden_global_offset_y
      - .offset:         1336
        .size:           8
        .value_kind:     hidden_global_offset_z
      - .offset:         1344
        .size:           2
        .value_kind:     hidden_grid_dims
    .group_segment_fixed_size: 5152
    .kernarg_segment_align: 8
    .kernarg_segment_size: 1536
    .language:       OpenCL C
    .language_version:
      - 2
      - 0
    .max_flat_workgroup_size: 1024
    .name:           _ZN2at6native12_GLOBAL__N_112gatherMedianIhmLi3EEEvNS_4cuda6detail10TensorInfoIT_T0_EENS5_IlS7_EENS5_IKS6_S7_EES7_S7_S7_b
    .private_segment_fixed_size: 0
    .sgpr_count:     100
    .sgpr_spill_count: 53
    .symbol:         _ZN2at6native12_GLOBAL__N_112gatherMedianIhmLi3EEEvNS_4cuda6detail10TensorInfoIT_T0_EENS5_IlS7_EENS5_IKS6_S7_EES7_S7_S7_b.kd
    .uniform_work_group_size: 1
    .uses_dynamic_stack: false
    .vgpr_count:     39
    .vgpr_spill_count: 0
    .wavefront_size: 64
  - .agpr_count:     0
    .args:
      - .offset:         0
        .size:           416
        .value_kind:     by_value
      - .offset:         416
        .size:           416
        .value_kind:     by_value
      - .offset:         832
        .size:           416
        .value_kind:     by_value
      - .offset:         1248
        .size:           8
        .value_kind:     by_value
      - .offset:         1256
        .size:           8
        .value_kind:     by_value
      - .offset:         1264
        .size:           8
        .value_kind:     by_value
      - .offset:         1272
        .size:           1
        .value_kind:     by_value
      - .offset:         1280
        .size:           4
        .value_kind:     hidden_block_count_x
      - .offset:         1284
        .size:           4
        .value_kind:     hidden_block_count_y
      - .offset:         1288
        .size:           4
        .value_kind:     hidden_block_count_z
      - .offset:         1292
        .size:           2
        .value_kind:     hidden_group_size_x
      - .offset:         1294
        .size:           2
        .value_kind:     hidden_group_size_y
      - .offset:         1296
        .size:           2
        .value_kind:     hidden_group_size_z
      - .offset:         1298
        .size:           2
        .value_kind:     hidden_remainder_x
      - .offset:         1300
        .size:           2
        .value_kind:     hidden_remainder_y
      - .offset:         1302
        .size:           2
        .value_kind:     hidden_remainder_z
      - .offset:         1320
        .size:           8
        .value_kind:     hidden_global_offset_x
      - .offset:         1328
        .size:           8
        .value_kind:     hidden_global_offset_y
      - .offset:         1336
        .size:           8
        .value_kind:     hidden_global_offset_z
      - .offset:         1344
        .size:           2
        .value_kind:     hidden_grid_dims
    .group_segment_fixed_size: 5152
    .kernarg_segment_align: 8
    .kernarg_segment_size: 1536
    .language:       OpenCL C
    .language_version:
      - 2
      - 0
    .max_flat_workgroup_size: 1024
    .name:           _ZN2at6native12_GLOBAL__N_112gatherMedianIhmLin1EEEvNS_4cuda6detail10TensorInfoIT_T0_EENS5_IlS7_EENS5_IKS6_S7_EES7_S7_S7_b
    .private_segment_fixed_size: 0
    .sgpr_count:     100
    .sgpr_spill_count: 38
    .symbol:         _ZN2at6native12_GLOBAL__N_112gatherMedianIhmLin1EEEvNS_4cuda6detail10TensorInfoIT_T0_EENS5_IlS7_EENS5_IKS6_S7_EES7_S7_S7_b.kd
    .uniform_work_group_size: 1
    .uses_dynamic_stack: false
    .vgpr_count:     49
    .vgpr_spill_count: 0
    .wavefront_size: 64
  - .agpr_count:     0
    .args:
      - .offset:         0
        .size:           216
        .value_kind:     by_value
      - .offset:         216
        .size:           216
        .value_kind:     by_value
      - .offset:         432
        .size:           216
        .value_kind:     by_value
      - .offset:         648
        .size:           4
        .value_kind:     by_value
      - .offset:         652
        .size:           4
        .value_kind:     by_value
      - .offset:         656
        .size:           4
        .value_kind:     by_value
      - .offset:         660
        .size:           1
        .value_kind:     by_value
      - .offset:         664
        .size:           4
        .value_kind:     hidden_block_count_x
      - .offset:         668
        .size:           4
        .value_kind:     hidden_block_count_y
      - .offset:         672
        .size:           4
        .value_kind:     hidden_block_count_z
      - .offset:         676
        .size:           2
        .value_kind:     hidden_group_size_x
      - .offset:         678
        .size:           2
        .value_kind:     hidden_group_size_y
      - .offset:         680
        .size:           2
        .value_kind:     hidden_group_size_z
      - .offset:         682
        .size:           2
        .value_kind:     hidden_remainder_x
      - .offset:         684
        .size:           2
        .value_kind:     hidden_remainder_y
      - .offset:         686
        .size:           2
        .value_kind:     hidden_remainder_z
      - .offset:         704
        .size:           8
        .value_kind:     hidden_global_offset_x
      - .offset:         712
        .size:           8
        .value_kind:     hidden_global_offset_y
      - .offset:         720
        .size:           8
        .value_kind:     hidden_global_offset_z
      - .offset:         728
        .size:           2
        .value_kind:     hidden_grid_dims
    .group_segment_fixed_size: 4120
    .kernarg_segment_align: 8
    .kernarg_segment_size: 920
    .language:       OpenCL C
    .language_version:
      - 2
      - 0
    .max_flat_workgroup_size: 1024
    .name:           _ZN2at6native12_GLOBAL__N_112gatherMedianIajLi1EEEvNS_4cuda6detail10TensorInfoIT_T0_EENS5_IlS7_EENS5_IKS6_S7_EES7_S7_S7_b
    .private_segment_fixed_size: 0
    .sgpr_count:     100
    .sgpr_spill_count: 31
    .symbol:         _ZN2at6native12_GLOBAL__N_112gatherMedianIajLi1EEEvNS_4cuda6detail10TensorInfoIT_T0_EENS5_IlS7_EENS5_IKS6_S7_EES7_S7_S7_b.kd
    .uniform_work_group_size: 1
    .uses_dynamic_stack: false
    .vgpr_count:     43
    .vgpr_spill_count: 0
    .wavefront_size: 64
  - .agpr_count:     0
    .args:
      - .offset:         0
        .size:           216
        .value_kind:     by_value
      - .offset:         216
        .size:           216
        .value_kind:     by_value
      - .offset:         432
        .size:           216
        .value_kind:     by_value
      - .offset:         648
        .size:           4
        .value_kind:     by_value
      - .offset:         652
        .size:           4
        .value_kind:     by_value
      - .offset:         656
        .size:           4
        .value_kind:     by_value
      - .offset:         660
        .size:           1
        .value_kind:     by_value
      - .offset:         664
        .size:           4
        .value_kind:     hidden_block_count_x
      - .offset:         668
        .size:           4
        .value_kind:     hidden_block_count_y
      - .offset:         672
        .size:           4
        .value_kind:     hidden_block_count_z
      - .offset:         676
        .size:           2
        .value_kind:     hidden_group_size_x
      - .offset:         678
        .size:           2
        .value_kind:     hidden_group_size_y
      - .offset:         680
        .size:           2
        .value_kind:     hidden_group_size_z
      - .offset:         682
        .size:           2
        .value_kind:     hidden_remainder_x
      - .offset:         684
        .size:           2
        .value_kind:     hidden_remainder_y
      - .offset:         686
        .size:           2
        .value_kind:     hidden_remainder_z
      - .offset:         704
        .size:           8
        .value_kind:     hidden_global_offset_x
      - .offset:         712
        .size:           8
        .value_kind:     hidden_global_offset_y
      - .offset:         720
        .size:           8
        .value_kind:     hidden_global_offset_z
      - .offset:         728
        .size:           2
        .value_kind:     hidden_grid_dims
    .group_segment_fixed_size: 4120
    .kernarg_segment_align: 8
    .kernarg_segment_size: 920
    .language:       OpenCL C
    .language_version:
      - 2
      - 0
    .max_flat_workgroup_size: 1024
    .name:           _ZN2at6native12_GLOBAL__N_112gatherMedianIajLi2EEEvNS_4cuda6detail10TensorInfoIT_T0_EENS5_IlS7_EENS5_IKS6_S7_EES7_S7_S7_b
    .private_segment_fixed_size: 0
    .sgpr_count:     100
    .sgpr_spill_count: 37
    .symbol:         _ZN2at6native12_GLOBAL__N_112gatherMedianIajLi2EEEvNS_4cuda6detail10TensorInfoIT_T0_EENS5_IlS7_EENS5_IKS6_S7_EES7_S7_S7_b.kd
    .uniform_work_group_size: 1
    .uses_dynamic_stack: false
    .vgpr_count:     43
    .vgpr_spill_count: 0
    .wavefront_size: 64
  - .agpr_count:     0
    .args:
      - .offset:         0
        .size:           216
        .value_kind:     by_value
      - .offset:         216
        .size:           216
        .value_kind:     by_value
      - .offset:         432
        .size:           216
        .value_kind:     by_value
      - .offset:         648
        .size:           4
        .value_kind:     by_value
      - .offset:         652
        .size:           4
        .value_kind:     by_value
      - .offset:         656
        .size:           4
        .value_kind:     by_value
      - .offset:         660
        .size:           1
        .value_kind:     by_value
      - .offset:         664
        .size:           4
        .value_kind:     hidden_block_count_x
      - .offset:         668
        .size:           4
        .value_kind:     hidden_block_count_y
      - .offset:         672
        .size:           4
        .value_kind:     hidden_block_count_z
      - .offset:         676
        .size:           2
        .value_kind:     hidden_group_size_x
      - .offset:         678
        .size:           2
        .value_kind:     hidden_group_size_y
      - .offset:         680
        .size:           2
        .value_kind:     hidden_group_size_z
      - .offset:         682
        .size:           2
        .value_kind:     hidden_remainder_x
      - .offset:         684
        .size:           2
        .value_kind:     hidden_remainder_y
      - .offset:         686
        .size:           2
        .value_kind:     hidden_remainder_z
      - .offset:         704
        .size:           8
        .value_kind:     hidden_global_offset_x
      - .offset:         712
        .size:           8
        .value_kind:     hidden_global_offset_y
      - .offset:         720
        .size:           8
        .value_kind:     hidden_global_offset_z
      - .offset:         728
        .size:           2
        .value_kind:     hidden_grid_dims
    .group_segment_fixed_size: 4120
    .kernarg_segment_align: 8
    .kernarg_segment_size: 920
    .language:       OpenCL C
    .language_version:
      - 2
      - 0
    .max_flat_workgroup_size: 1024
    .name:           _ZN2at6native12_GLOBAL__N_112gatherMedianIajLi3EEEvNS_4cuda6detail10TensorInfoIT_T0_EENS5_IlS7_EENS5_IKS6_S7_EES7_S7_S7_b
    .private_segment_fixed_size: 0
    .sgpr_count:     100
    .sgpr_spill_count: 45
    .symbol:         _ZN2at6native12_GLOBAL__N_112gatherMedianIajLi3EEEvNS_4cuda6detail10TensorInfoIT_T0_EENS5_IlS7_EENS5_IKS6_S7_EES7_S7_S7_b.kd
    .uniform_work_group_size: 1
    .uses_dynamic_stack: false
    .vgpr_count:     43
    .vgpr_spill_count: 0
    .wavefront_size: 64
  - .agpr_count:     0
    .args:
      - .offset:         0
        .size:           216
        .value_kind:     by_value
      - .offset:         216
        .size:           216
        .value_kind:     by_value
      - .offset:         432
        .size:           216
        .value_kind:     by_value
      - .offset:         648
        .size:           4
        .value_kind:     by_value
      - .offset:         652
        .size:           4
        .value_kind:     by_value
      - .offset:         656
        .size:           4
        .value_kind:     by_value
      - .offset:         660
        .size:           1
        .value_kind:     by_value
      - .offset:         664
        .size:           4
        .value_kind:     hidden_block_count_x
      - .offset:         668
        .size:           4
        .value_kind:     hidden_block_count_y
      - .offset:         672
        .size:           4
        .value_kind:     hidden_block_count_z
      - .offset:         676
        .size:           2
        .value_kind:     hidden_group_size_x
      - .offset:         678
        .size:           2
        .value_kind:     hidden_group_size_y
      - .offset:         680
        .size:           2
        .value_kind:     hidden_group_size_z
      - .offset:         682
        .size:           2
        .value_kind:     hidden_remainder_x
      - .offset:         684
        .size:           2
        .value_kind:     hidden_remainder_y
      - .offset:         686
        .size:           2
        .value_kind:     hidden_remainder_z
      - .offset:         704
        .size:           8
        .value_kind:     hidden_global_offset_x
      - .offset:         712
        .size:           8
        .value_kind:     hidden_global_offset_y
      - .offset:         720
        .size:           8
        .value_kind:     hidden_global_offset_z
      - .offset:         728
        .size:           2
        .value_kind:     hidden_grid_dims
    .group_segment_fixed_size: 4120
    .kernarg_segment_align: 8
    .kernarg_segment_size: 920
    .language:       OpenCL C
    .language_version:
      - 2
      - 0
    .max_flat_workgroup_size: 1024
    .name:           _ZN2at6native12_GLOBAL__N_112gatherMedianIajLin1EEEvNS_4cuda6detail10TensorInfoIT_T0_EENS5_IlS7_EENS5_IKS6_S7_EES7_S7_S7_b
    .private_segment_fixed_size: 0
    .sgpr_count:     100
    .sgpr_spill_count: 34
    .symbol:         _ZN2at6native12_GLOBAL__N_112gatherMedianIajLin1EEEvNS_4cuda6detail10TensorInfoIT_T0_EENS5_IlS7_EENS5_IKS6_S7_EES7_S7_S7_b.kd
    .uniform_work_group_size: 1
    .uses_dynamic_stack: false
    .vgpr_count:     43
    .vgpr_spill_count: 0
    .wavefront_size: 64
  - .agpr_count:     0
    .args:
      - .offset:         0
        .size:           416
        .value_kind:     by_value
      - .offset:         416
        .size:           416
        .value_kind:     by_value
      - .offset:         832
        .size:           416
        .value_kind:     by_value
      - .offset:         1248
        .size:           8
        .value_kind:     by_value
      - .offset:         1256
        .size:           8
        .value_kind:     by_value
      - .offset:         1264
        .size:           8
        .value_kind:     by_value
      - .offset:         1272
        .size:           1
        .value_kind:     by_value
      - .offset:         1280
        .size:           4
        .value_kind:     hidden_block_count_x
      - .offset:         1284
        .size:           4
        .value_kind:     hidden_block_count_y
      - .offset:         1288
        .size:           4
        .value_kind:     hidden_block_count_z
      - .offset:         1292
        .size:           2
        .value_kind:     hidden_group_size_x
      - .offset:         1294
        .size:           2
        .value_kind:     hidden_group_size_y
      - .offset:         1296
        .size:           2
        .value_kind:     hidden_group_size_z
      - .offset:         1298
        .size:           2
        .value_kind:     hidden_remainder_x
      - .offset:         1300
        .size:           2
        .value_kind:     hidden_remainder_y
      - .offset:         1302
        .size:           2
        .value_kind:     hidden_remainder_z
      - .offset:         1320
        .size:           8
        .value_kind:     hidden_global_offset_x
      - .offset:         1328
        .size:           8
        .value_kind:     hidden_global_offset_y
      - .offset:         1336
        .size:           8
        .value_kind:     hidden_global_offset_z
      - .offset:         1344
        .size:           2
        .value_kind:     hidden_grid_dims
    .group_segment_fixed_size: 5152
    .kernarg_segment_align: 8
    .kernarg_segment_size: 1536
    .language:       OpenCL C
    .language_version:
      - 2
      - 0
    .max_flat_workgroup_size: 1024
    .name:           _ZN2at6native12_GLOBAL__N_112gatherMedianIamLi1EEEvNS_4cuda6detail10TensorInfoIT_T0_EENS5_IlS7_EENS5_IKS6_S7_EES7_S7_S7_b
    .private_segment_fixed_size: 0
    .sgpr_count:     100
    .sgpr_spill_count: 35
    .symbol:         _ZN2at6native12_GLOBAL__N_112gatherMedianIamLi1EEEvNS_4cuda6detail10TensorInfoIT_T0_EENS5_IlS7_EENS5_IKS6_S7_EES7_S7_S7_b.kd
    .uniform_work_group_size: 1
    .uses_dynamic_stack: false
    .vgpr_count:     45
    .vgpr_spill_count: 0
    .wavefront_size: 64
  - .agpr_count:     0
    .args:
      - .offset:         0
        .size:           416
        .value_kind:     by_value
      - .offset:         416
        .size:           416
        .value_kind:     by_value
      - .offset:         832
        .size:           416
        .value_kind:     by_value
      - .offset:         1248
        .size:           8
        .value_kind:     by_value
      - .offset:         1256
        .size:           8
        .value_kind:     by_value
      - .offset:         1264
        .size:           8
        .value_kind:     by_value
      - .offset:         1272
        .size:           1
        .value_kind:     by_value
      - .offset:         1280
        .size:           4
        .value_kind:     hidden_block_count_x
      - .offset:         1284
        .size:           4
        .value_kind:     hidden_block_count_y
      - .offset:         1288
        .size:           4
        .value_kind:     hidden_block_count_z
      - .offset:         1292
        .size:           2
        .value_kind:     hidden_group_size_x
      - .offset:         1294
        .size:           2
        .value_kind:     hidden_group_size_y
      - .offset:         1296
        .size:           2
        .value_kind:     hidden_group_size_z
      - .offset:         1298
        .size:           2
        .value_kind:     hidden_remainder_x
      - .offset:         1300
        .size:           2
        .value_kind:     hidden_remainder_y
      - .offset:         1302
        .size:           2
        .value_kind:     hidden_remainder_z
      - .offset:         1320
        .size:           8
        .value_kind:     hidden_global_offset_x
      - .offset:         1328
        .size:           8
        .value_kind:     hidden_global_offset_y
      - .offset:         1336
        .size:           8
        .value_kind:     hidden_global_offset_z
      - .offset:         1344
        .size:           2
        .value_kind:     hidden_grid_dims
    .group_segment_fixed_size: 5152
    .kernarg_segment_align: 8
    .kernarg_segment_size: 1536
    .language:       OpenCL C
    .language_version:
      - 2
      - 0
    .max_flat_workgroup_size: 1024
    .name:           _ZN2at6native12_GLOBAL__N_112gatherMedianIamLi2EEEvNS_4cuda6detail10TensorInfoIT_T0_EENS5_IlS7_EENS5_IKS6_S7_EES7_S7_S7_b
    .private_segment_fixed_size: 0
    .sgpr_count:     100
    .sgpr_spill_count: 39
    .symbol:         _ZN2at6native12_GLOBAL__N_112gatherMedianIamLi2EEEvNS_4cuda6detail10TensorInfoIT_T0_EENS5_IlS7_EENS5_IKS6_S7_EES7_S7_S7_b.kd
    .uniform_work_group_size: 1
    .uses_dynamic_stack: false
    .vgpr_count:     39
    .vgpr_spill_count: 0
    .wavefront_size: 64
  - .agpr_count:     0
    .args:
      - .offset:         0
        .size:           416
        .value_kind:     by_value
      - .offset:         416
        .size:           416
        .value_kind:     by_value
      - .offset:         832
        .size:           416
        .value_kind:     by_value
      - .offset:         1248
        .size:           8
        .value_kind:     by_value
      - .offset:         1256
        .size:           8
        .value_kind:     by_value
      - .offset:         1264
        .size:           8
        .value_kind:     by_value
      - .offset:         1272
        .size:           1
        .value_kind:     by_value
      - .offset:         1280
        .size:           4
        .value_kind:     hidden_block_count_x
      - .offset:         1284
        .size:           4
        .value_kind:     hidden_block_count_y
      - .offset:         1288
        .size:           4
        .value_kind:     hidden_block_count_z
      - .offset:         1292
        .size:           2
        .value_kind:     hidden_group_size_x
      - .offset:         1294
        .size:           2
        .value_kind:     hidden_group_size_y
      - .offset:         1296
        .size:           2
        .value_kind:     hidden_group_size_z
      - .offset:         1298
        .size:           2
        .value_kind:     hidden_remainder_x
      - .offset:         1300
        .size:           2
        .value_kind:     hidden_remainder_y
      - .offset:         1302
        .size:           2
        .value_kind:     hidden_remainder_z
      - .offset:         1320
        .size:           8
        .value_kind:     hidden_global_offset_x
      - .offset:         1328
        .size:           8
        .value_kind:     hidden_global_offset_y
      - .offset:         1336
        .size:           8
        .value_kind:     hidden_global_offset_z
      - .offset:         1344
        .size:           2
        .value_kind:     hidden_grid_dims
    .group_segment_fixed_size: 5152
    .kernarg_segment_align: 8
    .kernarg_segment_size: 1536
    .language:       OpenCL C
    .language_version:
      - 2
      - 0
    .max_flat_workgroup_size: 1024
    .name:           _ZN2at6native12_GLOBAL__N_112gatherMedianIamLi3EEEvNS_4cuda6detail10TensorInfoIT_T0_EENS5_IlS7_EENS5_IKS6_S7_EES7_S7_S7_b
    .private_segment_fixed_size: 0
    .sgpr_count:     100
    .sgpr_spill_count: 53
    .symbol:         _ZN2at6native12_GLOBAL__N_112gatherMedianIamLi3EEEvNS_4cuda6detail10TensorInfoIT_T0_EENS5_IlS7_EENS5_IKS6_S7_EES7_S7_S7_b.kd
    .uniform_work_group_size: 1
    .uses_dynamic_stack: false
    .vgpr_count:     39
    .vgpr_spill_count: 0
    .wavefront_size: 64
  - .agpr_count:     0
    .args:
      - .offset:         0
        .size:           416
        .value_kind:     by_value
      - .offset:         416
        .size:           416
        .value_kind:     by_value
      - .offset:         832
        .size:           416
        .value_kind:     by_value
      - .offset:         1248
        .size:           8
        .value_kind:     by_value
      - .offset:         1256
        .size:           8
        .value_kind:     by_value
      - .offset:         1264
        .size:           8
        .value_kind:     by_value
      - .offset:         1272
        .size:           1
        .value_kind:     by_value
      - .offset:         1280
        .size:           4
        .value_kind:     hidden_block_count_x
      - .offset:         1284
        .size:           4
        .value_kind:     hidden_block_count_y
      - .offset:         1288
        .size:           4
        .value_kind:     hidden_block_count_z
      - .offset:         1292
        .size:           2
        .value_kind:     hidden_group_size_x
      - .offset:         1294
        .size:           2
        .value_kind:     hidden_group_size_y
      - .offset:         1296
        .size:           2
        .value_kind:     hidden_group_size_z
      - .offset:         1298
        .size:           2
        .value_kind:     hidden_remainder_x
      - .offset:         1300
        .size:           2
        .value_kind:     hidden_remainder_y
      - .offset:         1302
        .size:           2
        .value_kind:     hidden_remainder_z
      - .offset:         1320
        .size:           8
        .value_kind:     hidden_global_offset_x
      - .offset:         1328
        .size:           8
        .value_kind:     hidden_global_offset_y
      - .offset:         1336
        .size:           8
        .value_kind:     hidden_global_offset_z
      - .offset:         1344
        .size:           2
        .value_kind:     hidden_grid_dims
    .group_segment_fixed_size: 5152
    .kernarg_segment_align: 8
    .kernarg_segment_size: 1536
    .language:       OpenCL C
    .language_version:
      - 2
      - 0
    .max_flat_workgroup_size: 1024
    .name:           _ZN2at6native12_GLOBAL__N_112gatherMedianIamLin1EEEvNS_4cuda6detail10TensorInfoIT_T0_EENS5_IlS7_EENS5_IKS6_S7_EES7_S7_S7_b
    .private_segment_fixed_size: 0
    .sgpr_count:     100
    .sgpr_spill_count: 38
    .symbol:         _ZN2at6native12_GLOBAL__N_112gatherMedianIamLin1EEEvNS_4cuda6detail10TensorInfoIT_T0_EENS5_IlS7_EENS5_IKS6_S7_EES7_S7_S7_b.kd
    .uniform_work_group_size: 1
    .uses_dynamic_stack: false
    .vgpr_count:     49
    .vgpr_spill_count: 0
    .wavefront_size: 64
  - .agpr_count:     0
    .args:
      - .offset:         0
        .size:           216
        .value_kind:     by_value
      - .offset:         216
        .size:           216
        .value_kind:     by_value
      - .offset:         432
        .size:           216
        .value_kind:     by_value
      - .offset:         648
        .size:           4
        .value_kind:     by_value
      - .offset:         652
        .size:           4
        .value_kind:     by_value
      - .offset:         656
        .size:           4
        .value_kind:     by_value
      - .offset:         660
        .size:           1
        .value_kind:     by_value
      - .offset:         664
        .size:           4
        .value_kind:     hidden_block_count_x
      - .offset:         668
        .size:           4
        .value_kind:     hidden_block_count_y
      - .offset:         672
        .size:           4
        .value_kind:     hidden_block_count_z
      - .offset:         676
        .size:           2
        .value_kind:     hidden_group_size_x
      - .offset:         678
        .size:           2
        .value_kind:     hidden_group_size_y
      - .offset:         680
        .size:           2
        .value_kind:     hidden_group_size_z
      - .offset:         682
        .size:           2
        .value_kind:     hidden_remainder_x
      - .offset:         684
        .size:           2
        .value_kind:     hidden_remainder_y
      - .offset:         686
        .size:           2
        .value_kind:     hidden_remainder_z
      - .offset:         704
        .size:           8
        .value_kind:     hidden_global_offset_x
      - .offset:         712
        .size:           8
        .value_kind:     hidden_global_offset_y
      - .offset:         720
        .size:           8
        .value_kind:     hidden_global_offset_z
      - .offset:         728
        .size:           2
        .value_kind:     hidden_grid_dims
    .group_segment_fixed_size: 4120
    .kernarg_segment_align: 8
    .kernarg_segment_size: 920
    .language:       OpenCL C
    .language_version:
      - 2
      - 0
    .max_flat_workgroup_size: 1024
    .name:           _ZN2at6native12_GLOBAL__N_112gatherMedianIijLi1EEEvNS_4cuda6detail10TensorInfoIT_T0_EENS5_IlS7_EENS5_IKS6_S7_EES7_S7_S7_b
    .private_segment_fixed_size: 0
    .sgpr_count:     100
    .sgpr_spill_count: 31
    .symbol:         _ZN2at6native12_GLOBAL__N_112gatherMedianIijLi1EEEvNS_4cuda6detail10TensorInfoIT_T0_EENS5_IlS7_EENS5_IKS6_S7_EES7_S7_S7_b.kd
    .uniform_work_group_size: 1
    .uses_dynamic_stack: false
    .vgpr_count:     51
    .vgpr_spill_count: 0
    .wavefront_size: 64
  - .agpr_count:     0
    .args:
      - .offset:         0
        .size:           216
        .value_kind:     by_value
      - .offset:         216
        .size:           216
        .value_kind:     by_value
      - .offset:         432
        .size:           216
        .value_kind:     by_value
      - .offset:         648
        .size:           4
        .value_kind:     by_value
      - .offset:         652
        .size:           4
        .value_kind:     by_value
      - .offset:         656
        .size:           4
        .value_kind:     by_value
      - .offset:         660
        .size:           1
        .value_kind:     by_value
      - .offset:         664
        .size:           4
        .value_kind:     hidden_block_count_x
      - .offset:         668
        .size:           4
        .value_kind:     hidden_block_count_y
      - .offset:         672
        .size:           4
        .value_kind:     hidden_block_count_z
      - .offset:         676
        .size:           2
        .value_kind:     hidden_group_size_x
      - .offset:         678
        .size:           2
        .value_kind:     hidden_group_size_y
      - .offset:         680
        .size:           2
        .value_kind:     hidden_group_size_z
      - .offset:         682
        .size:           2
        .value_kind:     hidden_remainder_x
      - .offset:         684
        .size:           2
        .value_kind:     hidden_remainder_y
      - .offset:         686
        .size:           2
        .value_kind:     hidden_remainder_z
      - .offset:         704
        .size:           8
        .value_kind:     hidden_global_offset_x
      - .offset:         712
        .size:           8
        .value_kind:     hidden_global_offset_y
      - .offset:         720
        .size:           8
        .value_kind:     hidden_global_offset_z
      - .offset:         728
        .size:           2
        .value_kind:     hidden_grid_dims
    .group_segment_fixed_size: 4120
    .kernarg_segment_align: 8
    .kernarg_segment_size: 920
    .language:       OpenCL C
    .language_version:
      - 2
      - 0
    .max_flat_workgroup_size: 1024
    .name:           _ZN2at6native12_GLOBAL__N_112gatherMedianIijLi2EEEvNS_4cuda6detail10TensorInfoIT_T0_EENS5_IlS7_EENS5_IKS6_S7_EES7_S7_S7_b
    .private_segment_fixed_size: 0
    .sgpr_count:     100
    .sgpr_spill_count: 37
    .symbol:         _ZN2at6native12_GLOBAL__N_112gatherMedianIijLi2EEEvNS_4cuda6detail10TensorInfoIT_T0_EENS5_IlS7_EENS5_IKS6_S7_EES7_S7_S7_b.kd
    .uniform_work_group_size: 1
    .uses_dynamic_stack: false
    .vgpr_count:     51
    .vgpr_spill_count: 0
    .wavefront_size: 64
  - .agpr_count:     0
    .args:
      - .offset:         0
        .size:           216
        .value_kind:     by_value
      - .offset:         216
        .size:           216
        .value_kind:     by_value
      - .offset:         432
        .size:           216
        .value_kind:     by_value
      - .offset:         648
        .size:           4
        .value_kind:     by_value
      - .offset:         652
        .size:           4
        .value_kind:     by_value
      - .offset:         656
        .size:           4
        .value_kind:     by_value
      - .offset:         660
        .size:           1
        .value_kind:     by_value
      - .offset:         664
        .size:           4
        .value_kind:     hidden_block_count_x
      - .offset:         668
        .size:           4
        .value_kind:     hidden_block_count_y
      - .offset:         672
        .size:           4
        .value_kind:     hidden_block_count_z
      - .offset:         676
        .size:           2
        .value_kind:     hidden_group_size_x
      - .offset:         678
        .size:           2
        .value_kind:     hidden_group_size_y
      - .offset:         680
        .size:           2
        .value_kind:     hidden_group_size_z
      - .offset:         682
        .size:           2
        .value_kind:     hidden_remainder_x
      - .offset:         684
        .size:           2
        .value_kind:     hidden_remainder_y
      - .offset:         686
        .size:           2
        .value_kind:     hidden_remainder_z
      - .offset:         704
        .size:           8
        .value_kind:     hidden_global_offset_x
      - .offset:         712
        .size:           8
        .value_kind:     hidden_global_offset_y
      - .offset:         720
        .size:           8
        .value_kind:     hidden_global_offset_z
      - .offset:         728
        .size:           2
        .value_kind:     hidden_grid_dims
    .group_segment_fixed_size: 4120
    .kernarg_segment_align: 8
    .kernarg_segment_size: 920
    .language:       OpenCL C
    .language_version:
      - 2
      - 0
    .max_flat_workgroup_size: 1024
    .name:           _ZN2at6native12_GLOBAL__N_112gatherMedianIijLi3EEEvNS_4cuda6detail10TensorInfoIT_T0_EENS5_IlS7_EENS5_IKS6_S7_EES7_S7_S7_b
    .private_segment_fixed_size: 0
    .sgpr_count:     100
    .sgpr_spill_count: 45
    .symbol:         _ZN2at6native12_GLOBAL__N_112gatherMedianIijLi3EEEvNS_4cuda6detail10TensorInfoIT_T0_EENS5_IlS7_EENS5_IKS6_S7_EES7_S7_S7_b.kd
    .uniform_work_group_size: 1
    .uses_dynamic_stack: false
    .vgpr_count:     51
    .vgpr_spill_count: 0
    .wavefront_size: 64
  - .agpr_count:     0
    .args:
      - .offset:         0
        .size:           216
        .value_kind:     by_value
      - .offset:         216
        .size:           216
        .value_kind:     by_value
      - .offset:         432
        .size:           216
        .value_kind:     by_value
      - .offset:         648
        .size:           4
        .value_kind:     by_value
      - .offset:         652
        .size:           4
        .value_kind:     by_value
      - .offset:         656
        .size:           4
        .value_kind:     by_value
      - .offset:         660
        .size:           1
        .value_kind:     by_value
      - .offset:         664
        .size:           4
        .value_kind:     hidden_block_count_x
      - .offset:         668
        .size:           4
        .value_kind:     hidden_block_count_y
      - .offset:         672
        .size:           4
        .value_kind:     hidden_block_count_z
      - .offset:         676
        .size:           2
        .value_kind:     hidden_group_size_x
      - .offset:         678
        .size:           2
        .value_kind:     hidden_group_size_y
      - .offset:         680
        .size:           2
        .value_kind:     hidden_group_size_z
      - .offset:         682
        .size:           2
        .value_kind:     hidden_remainder_x
      - .offset:         684
        .size:           2
        .value_kind:     hidden_remainder_y
      - .offset:         686
        .size:           2
        .value_kind:     hidden_remainder_z
      - .offset:         704
        .size:           8
        .value_kind:     hidden_global_offset_x
      - .offset:         712
        .size:           8
        .value_kind:     hidden_global_offset_y
      - .offset:         720
        .size:           8
        .value_kind:     hidden_global_offset_z
      - .offset:         728
        .size:           2
        .value_kind:     hidden_grid_dims
    .group_segment_fixed_size: 4120
    .kernarg_segment_align: 8
    .kernarg_segment_size: 920
    .language:       OpenCL C
    .language_version:
      - 2
      - 0
    .max_flat_workgroup_size: 1024
    .name:           _ZN2at6native12_GLOBAL__N_112gatherMedianIijLin1EEEvNS_4cuda6detail10TensorInfoIT_T0_EENS5_IlS7_EENS5_IKS6_S7_EES7_S7_S7_b
    .private_segment_fixed_size: 0
    .sgpr_count:     100
    .sgpr_spill_count: 35
    .symbol:         _ZN2at6native12_GLOBAL__N_112gatherMedianIijLin1EEEvNS_4cuda6detail10TensorInfoIT_T0_EENS5_IlS7_EENS5_IKS6_S7_EES7_S7_S7_b.kd
    .uniform_work_group_size: 1
    .uses_dynamic_stack: false
    .vgpr_count:     51
    .vgpr_spill_count: 0
    .wavefront_size: 64
  - .agpr_count:     0
    .args:
      - .offset:         0
        .size:           416
        .value_kind:     by_value
      - .offset:         416
        .size:           416
        .value_kind:     by_value
      - .offset:         832
        .size:           416
        .value_kind:     by_value
      - .offset:         1248
        .size:           8
        .value_kind:     by_value
      - .offset:         1256
        .size:           8
        .value_kind:     by_value
      - .offset:         1264
        .size:           8
        .value_kind:     by_value
      - .offset:         1272
        .size:           1
        .value_kind:     by_value
      - .offset:         1280
        .size:           4
        .value_kind:     hidden_block_count_x
      - .offset:         1284
        .size:           4
        .value_kind:     hidden_block_count_y
      - .offset:         1288
        .size:           4
        .value_kind:     hidden_block_count_z
      - .offset:         1292
        .size:           2
        .value_kind:     hidden_group_size_x
      - .offset:         1294
        .size:           2
        .value_kind:     hidden_group_size_y
      - .offset:         1296
        .size:           2
        .value_kind:     hidden_group_size_z
      - .offset:         1298
        .size:           2
        .value_kind:     hidden_remainder_x
      - .offset:         1300
        .size:           2
        .value_kind:     hidden_remainder_y
      - .offset:         1302
        .size:           2
        .value_kind:     hidden_remainder_z
      - .offset:         1320
        .size:           8
        .value_kind:     hidden_global_offset_x
      - .offset:         1328
        .size:           8
        .value_kind:     hidden_global_offset_y
      - .offset:         1336
        .size:           8
        .value_kind:     hidden_global_offset_z
      - .offset:         1344
        .size:           2
        .value_kind:     hidden_grid_dims
    .group_segment_fixed_size: 5152
    .kernarg_segment_align: 8
    .kernarg_segment_size: 1536
    .language:       OpenCL C
    .language_version:
      - 2
      - 0
    .max_flat_workgroup_size: 1024
    .name:           _ZN2at6native12_GLOBAL__N_112gatherMedianIimLi1EEEvNS_4cuda6detail10TensorInfoIT_T0_EENS5_IlS7_EENS5_IKS6_S7_EES7_S7_S7_b
    .private_segment_fixed_size: 0
    .sgpr_count:     100
    .sgpr_spill_count: 39
    .symbol:         _ZN2at6native12_GLOBAL__N_112gatherMedianIimLi1EEEvNS_4cuda6detail10TensorInfoIT_T0_EENS5_IlS7_EENS5_IKS6_S7_EES7_S7_S7_b.kd
    .uniform_work_group_size: 1
    .uses_dynamic_stack: false
    .vgpr_count:     51
    .vgpr_spill_count: 0
    .wavefront_size: 64
  - .agpr_count:     0
    .args:
      - .offset:         0
        .size:           416
        .value_kind:     by_value
      - .offset:         416
        .size:           416
        .value_kind:     by_value
      - .offset:         832
        .size:           416
        .value_kind:     by_value
      - .offset:         1248
        .size:           8
        .value_kind:     by_value
      - .offset:         1256
        .size:           8
        .value_kind:     by_value
      - .offset:         1264
        .size:           8
        .value_kind:     by_value
      - .offset:         1272
        .size:           1
        .value_kind:     by_value
      - .offset:         1280
        .size:           4
        .value_kind:     hidden_block_count_x
      - .offset:         1284
        .size:           4
        .value_kind:     hidden_block_count_y
      - .offset:         1288
        .size:           4
        .value_kind:     hidden_block_count_z
      - .offset:         1292
        .size:           2
        .value_kind:     hidden_group_size_x
      - .offset:         1294
        .size:           2
        .value_kind:     hidden_group_size_y
      - .offset:         1296
        .size:           2
        .value_kind:     hidden_group_size_z
      - .offset:         1298
        .size:           2
        .value_kind:     hidden_remainder_x
      - .offset:         1300
        .size:           2
        .value_kind:     hidden_remainder_y
      - .offset:         1302
        .size:           2
        .value_kind:     hidden_remainder_z
      - .offset:         1320
        .size:           8
        .value_kind:     hidden_global_offset_x
      - .offset:         1328
        .size:           8
        .value_kind:     hidden_global_offset_y
      - .offset:         1336
        .size:           8
        .value_kind:     hidden_global_offset_z
      - .offset:         1344
        .size:           2
        .value_kind:     hidden_grid_dims
    .group_segment_fixed_size: 5152
    .kernarg_segment_align: 8
    .kernarg_segment_size: 1536
    .language:       OpenCL C
    .language_version:
      - 2
      - 0
    .max_flat_workgroup_size: 1024
    .name:           _ZN2at6native12_GLOBAL__N_112gatherMedianIimLi2EEEvNS_4cuda6detail10TensorInfoIT_T0_EENS5_IlS7_EENS5_IKS6_S7_EES7_S7_S7_b
    .private_segment_fixed_size: 0
    .sgpr_count:     100
    .sgpr_spill_count: 39
    .symbol:         _ZN2at6native12_GLOBAL__N_112gatherMedianIimLi2EEEvNS_4cuda6detail10TensorInfoIT_T0_EENS5_IlS7_EENS5_IKS6_S7_EES7_S7_S7_b.kd
    .uniform_work_group_size: 1
    .uses_dynamic_stack: false
    .vgpr_count:     43
    .vgpr_spill_count: 0
    .wavefront_size: 64
  - .agpr_count:     0
    .args:
      - .offset:         0
        .size:           416
        .value_kind:     by_value
      - .offset:         416
        .size:           416
        .value_kind:     by_value
      - .offset:         832
        .size:           416
        .value_kind:     by_value
      - .offset:         1248
        .size:           8
        .value_kind:     by_value
      - .offset:         1256
        .size:           8
        .value_kind:     by_value
      - .offset:         1264
        .size:           8
        .value_kind:     by_value
      - .offset:         1272
        .size:           1
        .value_kind:     by_value
      - .offset:         1280
        .size:           4
        .value_kind:     hidden_block_count_x
      - .offset:         1284
        .size:           4
        .value_kind:     hidden_block_count_y
      - .offset:         1288
        .size:           4
        .value_kind:     hidden_block_count_z
      - .offset:         1292
        .size:           2
        .value_kind:     hidden_group_size_x
      - .offset:         1294
        .size:           2
        .value_kind:     hidden_group_size_y
      - .offset:         1296
        .size:           2
        .value_kind:     hidden_group_size_z
      - .offset:         1298
        .size:           2
        .value_kind:     hidden_remainder_x
      - .offset:         1300
        .size:           2
        .value_kind:     hidden_remainder_y
      - .offset:         1302
        .size:           2
        .value_kind:     hidden_remainder_z
      - .offset:         1320
        .size:           8
        .value_kind:     hidden_global_offset_x
      - .offset:         1328
        .size:           8
        .value_kind:     hidden_global_offset_y
      - .offset:         1336
        .size:           8
        .value_kind:     hidden_global_offset_z
      - .offset:         1344
        .size:           2
        .value_kind:     hidden_grid_dims
    .group_segment_fixed_size: 5152
    .kernarg_segment_align: 8
    .kernarg_segment_size: 1536
    .language:       OpenCL C
    .language_version:
      - 2
      - 0
    .max_flat_workgroup_size: 1024
    .name:           _ZN2at6native12_GLOBAL__N_112gatherMedianIimLi3EEEvNS_4cuda6detail10TensorInfoIT_T0_EENS5_IlS7_EENS5_IKS6_S7_EES7_S7_S7_b
    .private_segment_fixed_size: 0
    .sgpr_count:     100
    .sgpr_spill_count: 53
    .symbol:         _ZN2at6native12_GLOBAL__N_112gatherMedianIimLi3EEEvNS_4cuda6detail10TensorInfoIT_T0_EENS5_IlS7_EENS5_IKS6_S7_EES7_S7_S7_b.kd
    .uniform_work_group_size: 1
    .uses_dynamic_stack: false
    .vgpr_count:     43
    .vgpr_spill_count: 0
    .wavefront_size: 64
  - .agpr_count:     0
    .args:
      - .offset:         0
        .size:           416
        .value_kind:     by_value
      - .offset:         416
        .size:           416
        .value_kind:     by_value
      - .offset:         832
        .size:           416
        .value_kind:     by_value
      - .offset:         1248
        .size:           8
        .value_kind:     by_value
      - .offset:         1256
        .size:           8
        .value_kind:     by_value
      - .offset:         1264
        .size:           8
        .value_kind:     by_value
      - .offset:         1272
        .size:           1
        .value_kind:     by_value
      - .offset:         1280
        .size:           4
        .value_kind:     hidden_block_count_x
      - .offset:         1284
        .size:           4
        .value_kind:     hidden_block_count_y
      - .offset:         1288
        .size:           4
        .value_kind:     hidden_block_count_z
      - .offset:         1292
        .size:           2
        .value_kind:     hidden_group_size_x
      - .offset:         1294
        .size:           2
        .value_kind:     hidden_group_size_y
      - .offset:         1296
        .size:           2
        .value_kind:     hidden_group_size_z
      - .offset:         1298
        .size:           2
        .value_kind:     hidden_remainder_x
      - .offset:         1300
        .size:           2
        .value_kind:     hidden_remainder_y
      - .offset:         1302
        .size:           2
        .value_kind:     hidden_remainder_z
      - .offset:         1320
        .size:           8
        .value_kind:     hidden_global_offset_x
      - .offset:         1328
        .size:           8
        .value_kind:     hidden_global_offset_y
      - .offset:         1336
        .size:           8
        .value_kind:     hidden_global_offset_z
      - .offset:         1344
        .size:           2
        .value_kind:     hidden_grid_dims
    .group_segment_fixed_size: 5152
    .kernarg_segment_align: 8
    .kernarg_segment_size: 1536
    .language:       OpenCL C
    .language_version:
      - 2
      - 0
    .max_flat_workgroup_size: 1024
    .name:           _ZN2at6native12_GLOBAL__N_112gatherMedianIimLin1EEEvNS_4cuda6detail10TensorInfoIT_T0_EENS5_IlS7_EENS5_IKS6_S7_EES7_S7_S7_b
    .private_segment_fixed_size: 0
    .sgpr_count:     100
    .sgpr_spill_count: 45
    .symbol:         _ZN2at6native12_GLOBAL__N_112gatherMedianIimLin1EEEvNS_4cuda6detail10TensorInfoIT_T0_EENS5_IlS7_EENS5_IKS6_S7_EES7_S7_S7_b.kd
    .uniform_work_group_size: 1
    .uses_dynamic_stack: false
    .vgpr_count:     52
    .vgpr_spill_count: 0
    .wavefront_size: 64
  - .agpr_count:     0
    .args:
      - .offset:         0
        .size:           216
        .value_kind:     by_value
      - .offset:         216
        .size:           216
        .value_kind:     by_value
      - .offset:         432
        .size:           216
        .value_kind:     by_value
      - .offset:         648
        .size:           4
        .value_kind:     by_value
      - .offset:         652
        .size:           4
        .value_kind:     by_value
      - .offset:         656
        .size:           4
        .value_kind:     by_value
      - .offset:         660
        .size:           1
        .value_kind:     by_value
      - .offset:         664
        .size:           4
        .value_kind:     hidden_block_count_x
      - .offset:         668
        .size:           4
        .value_kind:     hidden_block_count_y
      - .offset:         672
        .size:           4
        .value_kind:     hidden_block_count_z
      - .offset:         676
        .size:           2
        .value_kind:     hidden_group_size_x
      - .offset:         678
        .size:           2
        .value_kind:     hidden_group_size_y
      - .offset:         680
        .size:           2
        .value_kind:     hidden_group_size_z
      - .offset:         682
        .size:           2
        .value_kind:     hidden_remainder_x
      - .offset:         684
        .size:           2
        .value_kind:     hidden_remainder_y
      - .offset:         686
        .size:           2
        .value_kind:     hidden_remainder_z
      - .offset:         704
        .size:           8
        .value_kind:     hidden_global_offset_x
      - .offset:         712
        .size:           8
        .value_kind:     hidden_global_offset_y
      - .offset:         720
        .size:           8
        .value_kind:     hidden_global_offset_z
      - .offset:         728
        .size:           2
        .value_kind:     hidden_grid_dims
    .group_segment_fixed_size: 4120
    .kernarg_segment_align: 8
    .kernarg_segment_size: 920
    .language:       OpenCL C
    .language_version:
      - 2
      - 0
    .max_flat_workgroup_size: 1024
    .name:           _ZN2at6native12_GLOBAL__N_112gatherMedianIljLi1EEEvNS_4cuda6detail10TensorInfoIT_T0_EENS5_IlS7_EENS5_IKS6_S7_EES7_S7_S7_b
    .private_segment_fixed_size: 0
    .sgpr_count:     100
    .sgpr_spill_count: 37
    .symbol:         _ZN2at6native12_GLOBAL__N_112gatherMedianIljLi1EEEvNS_4cuda6detail10TensorInfoIT_T0_EENS5_IlS7_EENS5_IKS6_S7_EES7_S7_S7_b.kd
    .uniform_work_group_size: 1
    .uses_dynamic_stack: false
    .vgpr_count:     55
    .vgpr_spill_count: 0
    .wavefront_size: 64
  - .agpr_count:     0
    .args:
      - .offset:         0
        .size:           216
        .value_kind:     by_value
      - .offset:         216
        .size:           216
        .value_kind:     by_value
      - .offset:         432
        .size:           216
        .value_kind:     by_value
      - .offset:         648
        .size:           4
        .value_kind:     by_value
      - .offset:         652
        .size:           4
        .value_kind:     by_value
      - .offset:         656
        .size:           4
        .value_kind:     by_value
      - .offset:         660
        .size:           1
        .value_kind:     by_value
      - .offset:         664
        .size:           4
        .value_kind:     hidden_block_count_x
      - .offset:         668
        .size:           4
        .value_kind:     hidden_block_count_y
      - .offset:         672
        .size:           4
        .value_kind:     hidden_block_count_z
      - .offset:         676
        .size:           2
        .value_kind:     hidden_group_size_x
      - .offset:         678
        .size:           2
        .value_kind:     hidden_group_size_y
      - .offset:         680
        .size:           2
        .value_kind:     hidden_group_size_z
      - .offset:         682
        .size:           2
        .value_kind:     hidden_remainder_x
      - .offset:         684
        .size:           2
        .value_kind:     hidden_remainder_y
      - .offset:         686
        .size:           2
        .value_kind:     hidden_remainder_z
      - .offset:         704
        .size:           8
        .value_kind:     hidden_global_offset_x
      - .offset:         712
        .size:           8
        .value_kind:     hidden_global_offset_y
      - .offset:         720
        .size:           8
        .value_kind:     hidden_global_offset_z
      - .offset:         728
        .size:           2
        .value_kind:     hidden_grid_dims
    .group_segment_fixed_size: 4120
    .kernarg_segment_align: 8
    .kernarg_segment_size: 920
    .language:       OpenCL C
    .language_version:
      - 2
      - 0
    .max_flat_workgroup_size: 1024
    .name:           _ZN2at6native12_GLOBAL__N_112gatherMedianIljLi2EEEvNS_4cuda6detail10TensorInfoIT_T0_EENS5_IlS7_EENS5_IKS6_S7_EES7_S7_S7_b
    .private_segment_fixed_size: 0
    .sgpr_count:     100
    .sgpr_spill_count: 43
    .symbol:         _ZN2at6native12_GLOBAL__N_112gatherMedianIljLi2EEEvNS_4cuda6detail10TensorInfoIT_T0_EENS5_IlS7_EENS5_IKS6_S7_EES7_S7_S7_b.kd
    .uniform_work_group_size: 1
    .uses_dynamic_stack: false
    .vgpr_count:     55
    .vgpr_spill_count: 0
    .wavefront_size: 64
  - .agpr_count:     0
    .args:
      - .offset:         0
        .size:           216
        .value_kind:     by_value
      - .offset:         216
        .size:           216
        .value_kind:     by_value
      - .offset:         432
        .size:           216
        .value_kind:     by_value
      - .offset:         648
        .size:           4
        .value_kind:     by_value
      - .offset:         652
        .size:           4
        .value_kind:     by_value
      - .offset:         656
        .size:           4
        .value_kind:     by_value
      - .offset:         660
        .size:           1
        .value_kind:     by_value
      - .offset:         664
        .size:           4
        .value_kind:     hidden_block_count_x
      - .offset:         668
        .size:           4
        .value_kind:     hidden_block_count_y
      - .offset:         672
        .size:           4
        .value_kind:     hidden_block_count_z
      - .offset:         676
        .size:           2
        .value_kind:     hidden_group_size_x
      - .offset:         678
        .size:           2
        .value_kind:     hidden_group_size_y
      - .offset:         680
        .size:           2
        .value_kind:     hidden_group_size_z
      - .offset:         682
        .size:           2
        .value_kind:     hidden_remainder_x
      - .offset:         684
        .size:           2
        .value_kind:     hidden_remainder_y
      - .offset:         686
        .size:           2
        .value_kind:     hidden_remainder_z
      - .offset:         704
        .size:           8
        .value_kind:     hidden_global_offset_x
      - .offset:         712
        .size:           8
        .value_kind:     hidden_global_offset_y
      - .offset:         720
        .size:           8
        .value_kind:     hidden_global_offset_z
      - .offset:         728
        .size:           2
        .value_kind:     hidden_grid_dims
    .group_segment_fixed_size: 4120
    .kernarg_segment_align: 8
    .kernarg_segment_size: 920
    .language:       OpenCL C
    .language_version:
      - 2
      - 0
    .max_flat_workgroup_size: 1024
    .name:           _ZN2at6native12_GLOBAL__N_112gatherMedianIljLi3EEEvNS_4cuda6detail10TensorInfoIT_T0_EENS5_IlS7_EENS5_IKS6_S7_EES7_S7_S7_b
    .private_segment_fixed_size: 0
    .sgpr_count:     100
    .sgpr_spill_count: 51
    .symbol:         _ZN2at6native12_GLOBAL__N_112gatherMedianIljLi3EEEvNS_4cuda6detail10TensorInfoIT_T0_EENS5_IlS7_EENS5_IKS6_S7_EES7_S7_S7_b.kd
    .uniform_work_group_size: 1
    .uses_dynamic_stack: false
    .vgpr_count:     55
    .vgpr_spill_count: 0
    .wavefront_size: 64
  - .agpr_count:     0
    .args:
      - .offset:         0
        .size:           216
        .value_kind:     by_value
      - .offset:         216
        .size:           216
        .value_kind:     by_value
      - .offset:         432
        .size:           216
        .value_kind:     by_value
      - .offset:         648
        .size:           4
        .value_kind:     by_value
      - .offset:         652
        .size:           4
        .value_kind:     by_value
      - .offset:         656
        .size:           4
        .value_kind:     by_value
      - .offset:         660
        .size:           1
        .value_kind:     by_value
      - .offset:         664
        .size:           4
        .value_kind:     hidden_block_count_x
      - .offset:         668
        .size:           4
        .value_kind:     hidden_block_count_y
      - .offset:         672
        .size:           4
        .value_kind:     hidden_block_count_z
      - .offset:         676
        .size:           2
        .value_kind:     hidden_group_size_x
      - .offset:         678
        .size:           2
        .value_kind:     hidden_group_size_y
      - .offset:         680
        .size:           2
        .value_kind:     hidden_group_size_z
      - .offset:         682
        .size:           2
        .value_kind:     hidden_remainder_x
      - .offset:         684
        .size:           2
        .value_kind:     hidden_remainder_y
      - .offset:         686
        .size:           2
        .value_kind:     hidden_remainder_z
      - .offset:         704
        .size:           8
        .value_kind:     hidden_global_offset_x
      - .offset:         712
        .size:           8
        .value_kind:     hidden_global_offset_y
      - .offset:         720
        .size:           8
        .value_kind:     hidden_global_offset_z
      - .offset:         728
        .size:           2
        .value_kind:     hidden_grid_dims
    .group_segment_fixed_size: 4120
    .kernarg_segment_align: 8
    .kernarg_segment_size: 920
    .language:       OpenCL C
    .language_version:
      - 2
      - 0
    .max_flat_workgroup_size: 1024
    .name:           _ZN2at6native12_GLOBAL__N_112gatherMedianIljLin1EEEvNS_4cuda6detail10TensorInfoIT_T0_EENS5_IlS7_EENS5_IKS6_S7_EES7_S7_S7_b
    .private_segment_fixed_size: 0
    .sgpr_count:     100
    .sgpr_spill_count: 45
    .symbol:         _ZN2at6native12_GLOBAL__N_112gatherMedianIljLin1EEEvNS_4cuda6detail10TensorInfoIT_T0_EENS5_IlS7_EENS5_IKS6_S7_EES7_S7_S7_b.kd
    .uniform_work_group_size: 1
    .uses_dynamic_stack: false
    .vgpr_count:     55
    .vgpr_spill_count: 0
    .wavefront_size: 64
  - .agpr_count:     0
    .args:
      - .offset:         0
        .size:           416
        .value_kind:     by_value
      - .offset:         416
        .size:           416
        .value_kind:     by_value
      - .offset:         832
        .size:           416
        .value_kind:     by_value
      - .offset:         1248
        .size:           8
        .value_kind:     by_value
      - .offset:         1256
        .size:           8
        .value_kind:     by_value
      - .offset:         1264
        .size:           8
        .value_kind:     by_value
      - .offset:         1272
        .size:           1
        .value_kind:     by_value
      - .offset:         1280
        .size:           4
        .value_kind:     hidden_block_count_x
      - .offset:         1284
        .size:           4
        .value_kind:     hidden_block_count_y
      - .offset:         1288
        .size:           4
        .value_kind:     hidden_block_count_z
      - .offset:         1292
        .size:           2
        .value_kind:     hidden_group_size_x
      - .offset:         1294
        .size:           2
        .value_kind:     hidden_group_size_y
      - .offset:         1296
        .size:           2
        .value_kind:     hidden_group_size_z
      - .offset:         1298
        .size:           2
        .value_kind:     hidden_remainder_x
      - .offset:         1300
        .size:           2
        .value_kind:     hidden_remainder_y
      - .offset:         1302
        .size:           2
        .value_kind:     hidden_remainder_z
      - .offset:         1320
        .size:           8
        .value_kind:     hidden_global_offset_x
      - .offset:         1328
        .size:           8
        .value_kind:     hidden_global_offset_y
      - .offset:         1336
        .size:           8
        .value_kind:     hidden_global_offset_z
      - .offset:         1344
        .size:           2
        .value_kind:     hidden_grid_dims
    .group_segment_fixed_size: 5152
    .kernarg_segment_align: 8
    .kernarg_segment_size: 1536
    .language:       OpenCL C
    .language_version:
      - 2
      - 0
    .max_flat_workgroup_size: 1024
    .name:           _ZN2at6native12_GLOBAL__N_112gatherMedianIlmLi1EEEvNS_4cuda6detail10TensorInfoIT_T0_EENS5_IlS7_EENS5_IKS6_S7_EES7_S7_S7_b
    .private_segment_fixed_size: 0
    .sgpr_count:     100
    .sgpr_spill_count: 44
    .symbol:         _ZN2at6native12_GLOBAL__N_112gatherMedianIlmLi1EEEvNS_4cuda6detail10TensorInfoIT_T0_EENS5_IlS7_EENS5_IKS6_S7_EES7_S7_S7_b.kd
    .uniform_work_group_size: 1
    .uses_dynamic_stack: false
    .vgpr_count:     57
    .vgpr_spill_count: 0
    .wavefront_size: 64
  - .agpr_count:     0
    .args:
      - .offset:         0
        .size:           416
        .value_kind:     by_value
      - .offset:         416
        .size:           416
        .value_kind:     by_value
      - .offset:         832
        .size:           416
        .value_kind:     by_value
      - .offset:         1248
        .size:           8
        .value_kind:     by_value
      - .offset:         1256
        .size:           8
        .value_kind:     by_value
      - .offset:         1264
        .size:           8
        .value_kind:     by_value
      - .offset:         1272
        .size:           1
        .value_kind:     by_value
      - .offset:         1280
        .size:           4
        .value_kind:     hidden_block_count_x
      - .offset:         1284
        .size:           4
        .value_kind:     hidden_block_count_y
      - .offset:         1288
        .size:           4
        .value_kind:     hidden_block_count_z
      - .offset:         1292
        .size:           2
        .value_kind:     hidden_group_size_x
      - .offset:         1294
        .size:           2
        .value_kind:     hidden_group_size_y
      - .offset:         1296
        .size:           2
        .value_kind:     hidden_group_size_z
      - .offset:         1298
        .size:           2
        .value_kind:     hidden_remainder_x
      - .offset:         1300
        .size:           2
        .value_kind:     hidden_remainder_y
      - .offset:         1302
        .size:           2
        .value_kind:     hidden_remainder_z
      - .offset:         1320
        .size:           8
        .value_kind:     hidden_global_offset_x
      - .offset:         1328
        .size:           8
        .value_kind:     hidden_global_offset_y
      - .offset:         1336
        .size:           8
        .value_kind:     hidden_global_offset_z
      - .offset:         1344
        .size:           2
        .value_kind:     hidden_grid_dims
    .group_segment_fixed_size: 5152
    .kernarg_segment_align: 8
    .kernarg_segment_size: 1536
    .language:       OpenCL C
    .language_version:
      - 2
      - 0
    .max_flat_workgroup_size: 1024
    .name:           _ZN2at6native12_GLOBAL__N_112gatherMedianIlmLi2EEEvNS_4cuda6detail10TensorInfoIT_T0_EENS5_IlS7_EENS5_IKS6_S7_EES7_S7_S7_b
    .private_segment_fixed_size: 0
    .sgpr_count:     100
    .sgpr_spill_count: 45
    .symbol:         _ZN2at6native12_GLOBAL__N_112gatherMedianIlmLi2EEEvNS_4cuda6detail10TensorInfoIT_T0_EENS5_IlS7_EENS5_IKS6_S7_EES7_S7_S7_b.kd
    .uniform_work_group_size: 1
    .uses_dynamic_stack: false
    .vgpr_count:     51
    .vgpr_spill_count: 0
    .wavefront_size: 64
  - .agpr_count:     0
    .args:
      - .offset:         0
        .size:           416
        .value_kind:     by_value
      - .offset:         416
        .size:           416
        .value_kind:     by_value
      - .offset:         832
        .size:           416
        .value_kind:     by_value
      - .offset:         1248
        .size:           8
        .value_kind:     by_value
      - .offset:         1256
        .size:           8
        .value_kind:     by_value
      - .offset:         1264
        .size:           8
        .value_kind:     by_value
      - .offset:         1272
        .size:           1
        .value_kind:     by_value
      - .offset:         1280
        .size:           4
        .value_kind:     hidden_block_count_x
      - .offset:         1284
        .size:           4
        .value_kind:     hidden_block_count_y
      - .offset:         1288
        .size:           4
        .value_kind:     hidden_block_count_z
      - .offset:         1292
        .size:           2
        .value_kind:     hidden_group_size_x
      - .offset:         1294
        .size:           2
        .value_kind:     hidden_group_size_y
      - .offset:         1296
        .size:           2
        .value_kind:     hidden_group_size_z
      - .offset:         1298
        .size:           2
        .value_kind:     hidden_remainder_x
      - .offset:         1300
        .size:           2
        .value_kind:     hidden_remainder_y
      - .offset:         1302
        .size:           2
        .value_kind:     hidden_remainder_z
      - .offset:         1320
        .size:           8
        .value_kind:     hidden_global_offset_x
      - .offset:         1328
        .size:           8
        .value_kind:     hidden_global_offset_y
      - .offset:         1336
        .size:           8
        .value_kind:     hidden_global_offset_z
      - .offset:         1344
        .size:           2
        .value_kind:     hidden_grid_dims
    .group_segment_fixed_size: 5152
    .kernarg_segment_align: 8
    .kernarg_segment_size: 1536
    .language:       OpenCL C
    .language_version:
      - 2
      - 0
    .max_flat_workgroup_size: 1024
    .name:           _ZN2at6native12_GLOBAL__N_112gatherMedianIlmLi3EEEvNS_4cuda6detail10TensorInfoIT_T0_EENS5_IlS7_EENS5_IKS6_S7_EES7_S7_S7_b
    .private_segment_fixed_size: 0
    .sgpr_count:     100
    .sgpr_spill_count: 53
    .symbol:         _ZN2at6native12_GLOBAL__N_112gatherMedianIlmLi3EEEvNS_4cuda6detail10TensorInfoIT_T0_EENS5_IlS7_EENS5_IKS6_S7_EES7_S7_S7_b.kd
    .uniform_work_group_size: 1
    .uses_dynamic_stack: false
    .vgpr_count:     51
    .vgpr_spill_count: 0
    .wavefront_size: 64
  - .agpr_count:     0
    .args:
      - .offset:         0
        .size:           416
        .value_kind:     by_value
      - .offset:         416
        .size:           416
        .value_kind:     by_value
      - .offset:         832
        .size:           416
        .value_kind:     by_value
      - .offset:         1248
        .size:           8
        .value_kind:     by_value
      - .offset:         1256
        .size:           8
        .value_kind:     by_value
      - .offset:         1264
        .size:           8
        .value_kind:     by_value
      - .offset:         1272
        .size:           1
        .value_kind:     by_value
      - .offset:         1280
        .size:           4
        .value_kind:     hidden_block_count_x
      - .offset:         1284
        .size:           4
        .value_kind:     hidden_block_count_y
      - .offset:         1288
        .size:           4
        .value_kind:     hidden_block_count_z
      - .offset:         1292
        .size:           2
        .value_kind:     hidden_group_size_x
      - .offset:         1294
        .size:           2
        .value_kind:     hidden_group_size_y
      - .offset:         1296
        .size:           2
        .value_kind:     hidden_group_size_z
      - .offset:         1298
        .size:           2
        .value_kind:     hidden_remainder_x
      - .offset:         1300
        .size:           2
        .value_kind:     hidden_remainder_y
      - .offset:         1302
        .size:           2
        .value_kind:     hidden_remainder_z
      - .offset:         1320
        .size:           8
        .value_kind:     hidden_global_offset_x
      - .offset:         1328
        .size:           8
        .value_kind:     hidden_global_offset_y
      - .offset:         1336
        .size:           8
        .value_kind:     hidden_global_offset_z
      - .offset:         1344
        .size:           2
        .value_kind:     hidden_grid_dims
    .group_segment_fixed_size: 5152
    .kernarg_segment_align: 8
    .kernarg_segment_size: 1536
    .language:       OpenCL C
    .language_version:
      - 2
      - 0
    .max_flat_workgroup_size: 1024
    .name:           _ZN2at6native12_GLOBAL__N_112gatherMedianIlmLin1EEEvNS_4cuda6detail10TensorInfoIT_T0_EENS5_IlS7_EENS5_IKS6_S7_EES7_S7_S7_b
    .private_segment_fixed_size: 0
    .sgpr_count:     100
    .sgpr_spill_count: 52
    .symbol:         _ZN2at6native12_GLOBAL__N_112gatherMedianIlmLin1EEEvNS_4cuda6detail10TensorInfoIT_T0_EENS5_IlS7_EENS5_IKS6_S7_EES7_S7_S7_b.kd
    .uniform_work_group_size: 1
    .uses_dynamic_stack: false
    .vgpr_count:     67
    .vgpr_spill_count: 0
    .wavefront_size: 64
  - .agpr_count:     0
    .args:
      - .offset:         0
        .size:           216
        .value_kind:     by_value
      - .offset:         216
        .size:           216
        .value_kind:     by_value
      - .offset:         432
        .size:           216
        .value_kind:     by_value
      - .offset:         648
        .size:           4
        .value_kind:     by_value
      - .offset:         652
        .size:           4
        .value_kind:     by_value
      - .offset:         656
        .size:           4
        .value_kind:     by_value
      - .offset:         660
        .size:           1
        .value_kind:     by_value
      - .offset:         664
        .size:           4
        .value_kind:     hidden_block_count_x
      - .offset:         668
        .size:           4
        .value_kind:     hidden_block_count_y
      - .offset:         672
        .size:           4
        .value_kind:     hidden_block_count_z
      - .offset:         676
        .size:           2
        .value_kind:     hidden_group_size_x
      - .offset:         678
        .size:           2
        .value_kind:     hidden_group_size_y
      - .offset:         680
        .size:           2
        .value_kind:     hidden_group_size_z
      - .offset:         682
        .size:           2
        .value_kind:     hidden_remainder_x
      - .offset:         684
        .size:           2
        .value_kind:     hidden_remainder_y
      - .offset:         686
        .size:           2
        .value_kind:     hidden_remainder_z
      - .offset:         704
        .size:           8
        .value_kind:     hidden_global_offset_x
      - .offset:         712
        .size:           8
        .value_kind:     hidden_global_offset_y
      - .offset:         720
        .size:           8
        .value_kind:     hidden_global_offset_z
      - .offset:         728
        .size:           2
        .value_kind:     hidden_grid_dims
    .group_segment_fixed_size: 4120
    .kernarg_segment_align: 8
    .kernarg_segment_size: 920
    .language:       OpenCL C
    .language_version:
      - 2
      - 0
    .max_flat_workgroup_size: 1024
    .name:           _ZN2at6native12_GLOBAL__N_112gatherMedianIsjLi1EEEvNS_4cuda6detail10TensorInfoIT_T0_EENS5_IlS7_EENS5_IKS6_S7_EES7_S7_S7_b
    .private_segment_fixed_size: 0
    .sgpr_count:     100
    .sgpr_spill_count: 35
    .symbol:         _ZN2at6native12_GLOBAL__N_112gatherMedianIsjLi1EEEvNS_4cuda6detail10TensorInfoIT_T0_EENS5_IlS7_EENS5_IKS6_S7_EES7_S7_S7_b.kd
    .uniform_work_group_size: 1
    .uses_dynamic_stack: false
    .vgpr_count:     49
    .vgpr_spill_count: 0
    .wavefront_size: 64
  - .agpr_count:     0
    .args:
      - .offset:         0
        .size:           216
        .value_kind:     by_value
      - .offset:         216
        .size:           216
        .value_kind:     by_value
      - .offset:         432
        .size:           216
        .value_kind:     by_value
      - .offset:         648
        .size:           4
        .value_kind:     by_value
      - .offset:         652
        .size:           4
        .value_kind:     by_value
      - .offset:         656
        .size:           4
        .value_kind:     by_value
      - .offset:         660
        .size:           1
        .value_kind:     by_value
      - .offset:         664
        .size:           4
        .value_kind:     hidden_block_count_x
      - .offset:         668
        .size:           4
        .value_kind:     hidden_block_count_y
      - .offset:         672
        .size:           4
        .value_kind:     hidden_block_count_z
      - .offset:         676
        .size:           2
        .value_kind:     hidden_group_size_x
      - .offset:         678
        .size:           2
        .value_kind:     hidden_group_size_y
      - .offset:         680
        .size:           2
        .value_kind:     hidden_group_size_z
      - .offset:         682
        .size:           2
        .value_kind:     hidden_remainder_x
      - .offset:         684
        .size:           2
        .value_kind:     hidden_remainder_y
      - .offset:         686
        .size:           2
        .value_kind:     hidden_remainder_z
      - .offset:         704
        .size:           8
        .value_kind:     hidden_global_offset_x
      - .offset:         712
        .size:           8
        .value_kind:     hidden_global_offset_y
      - .offset:         720
        .size:           8
        .value_kind:     hidden_global_offset_z
      - .offset:         728
        .size:           2
        .value_kind:     hidden_grid_dims
    .group_segment_fixed_size: 4120
    .kernarg_segment_align: 8
    .kernarg_segment_size: 920
    .language:       OpenCL C
    .language_version:
      - 2
      - 0
    .max_flat_workgroup_size: 1024
    .name:           _ZN2at6native12_GLOBAL__N_112gatherMedianIsjLi2EEEvNS_4cuda6detail10TensorInfoIT_T0_EENS5_IlS7_EENS5_IKS6_S7_EES7_S7_S7_b
    .private_segment_fixed_size: 0
    .sgpr_count:     100
    .sgpr_spill_count: 41
    .symbol:         _ZN2at6native12_GLOBAL__N_112gatherMedianIsjLi2EEEvNS_4cuda6detail10TensorInfoIT_T0_EENS5_IlS7_EENS5_IKS6_S7_EES7_S7_S7_b.kd
    .uniform_work_group_size: 1
    .uses_dynamic_stack: false
    .vgpr_count:     49
    .vgpr_spill_count: 0
    .wavefront_size: 64
  - .agpr_count:     0
    .args:
      - .offset:         0
        .size:           216
        .value_kind:     by_value
      - .offset:         216
        .size:           216
        .value_kind:     by_value
      - .offset:         432
        .size:           216
        .value_kind:     by_value
      - .offset:         648
        .size:           4
        .value_kind:     by_value
      - .offset:         652
        .size:           4
        .value_kind:     by_value
      - .offset:         656
        .size:           4
        .value_kind:     by_value
      - .offset:         660
        .size:           1
        .value_kind:     by_value
      - .offset:         664
        .size:           4
        .value_kind:     hidden_block_count_x
      - .offset:         668
        .size:           4
        .value_kind:     hidden_block_count_y
      - .offset:         672
        .size:           4
        .value_kind:     hidden_block_count_z
      - .offset:         676
        .size:           2
        .value_kind:     hidden_group_size_x
      - .offset:         678
        .size:           2
        .value_kind:     hidden_group_size_y
      - .offset:         680
        .size:           2
        .value_kind:     hidden_group_size_z
      - .offset:         682
        .size:           2
        .value_kind:     hidden_remainder_x
      - .offset:         684
        .size:           2
        .value_kind:     hidden_remainder_y
      - .offset:         686
        .size:           2
        .value_kind:     hidden_remainder_z
      - .offset:         704
        .size:           8
        .value_kind:     hidden_global_offset_x
      - .offset:         712
        .size:           8
        .value_kind:     hidden_global_offset_y
      - .offset:         720
        .size:           8
        .value_kind:     hidden_global_offset_z
      - .offset:         728
        .size:           2
        .value_kind:     hidden_grid_dims
    .group_segment_fixed_size: 4120
    .kernarg_segment_align: 8
    .kernarg_segment_size: 920
    .language:       OpenCL C
    .language_version:
      - 2
      - 0
    .max_flat_workgroup_size: 1024
    .name:           _ZN2at6native12_GLOBAL__N_112gatherMedianIsjLi3EEEvNS_4cuda6detail10TensorInfoIT_T0_EENS5_IlS7_EENS5_IKS6_S7_EES7_S7_S7_b
    .private_segment_fixed_size: 0
    .sgpr_count:     100
    .sgpr_spill_count: 49
    .symbol:         _ZN2at6native12_GLOBAL__N_112gatherMedianIsjLi3EEEvNS_4cuda6detail10TensorInfoIT_T0_EENS5_IlS7_EENS5_IKS6_S7_EES7_S7_S7_b.kd
    .uniform_work_group_size: 1
    .uses_dynamic_stack: false
    .vgpr_count:     49
    .vgpr_spill_count: 0
    .wavefront_size: 64
  - .agpr_count:     0
    .args:
      - .offset:         0
        .size:           216
        .value_kind:     by_value
      - .offset:         216
        .size:           216
        .value_kind:     by_value
      - .offset:         432
        .size:           216
        .value_kind:     by_value
      - .offset:         648
        .size:           4
        .value_kind:     by_value
      - .offset:         652
        .size:           4
        .value_kind:     by_value
      - .offset:         656
        .size:           4
        .value_kind:     by_value
      - .offset:         660
        .size:           1
        .value_kind:     by_value
      - .offset:         664
        .size:           4
        .value_kind:     hidden_block_count_x
      - .offset:         668
        .size:           4
        .value_kind:     hidden_block_count_y
      - .offset:         672
        .size:           4
        .value_kind:     hidden_block_count_z
      - .offset:         676
        .size:           2
        .value_kind:     hidden_group_size_x
      - .offset:         678
        .size:           2
        .value_kind:     hidden_group_size_y
      - .offset:         680
        .size:           2
        .value_kind:     hidden_group_size_z
      - .offset:         682
        .size:           2
        .value_kind:     hidden_remainder_x
      - .offset:         684
        .size:           2
        .value_kind:     hidden_remainder_y
      - .offset:         686
        .size:           2
        .value_kind:     hidden_remainder_z
      - .offset:         704
        .size:           8
        .value_kind:     hidden_global_offset_x
      - .offset:         712
        .size:           8
        .value_kind:     hidden_global_offset_y
      - .offset:         720
        .size:           8
        .value_kind:     hidden_global_offset_z
      - .offset:         728
        .size:           2
        .value_kind:     hidden_grid_dims
    .group_segment_fixed_size: 4120
    .kernarg_segment_align: 8
    .kernarg_segment_size: 920
    .language:       OpenCL C
    .language_version:
      - 2
      - 0
    .max_flat_workgroup_size: 1024
    .name:           _ZN2at6native12_GLOBAL__N_112gatherMedianIsjLin1EEEvNS_4cuda6detail10TensorInfoIT_T0_EENS5_IlS7_EENS5_IKS6_S7_EES7_S7_S7_b
    .private_segment_fixed_size: 0
    .sgpr_count:     100
    .sgpr_spill_count: 38
    .symbol:         _ZN2at6native12_GLOBAL__N_112gatherMedianIsjLin1EEEvNS_4cuda6detail10TensorInfoIT_T0_EENS5_IlS7_EENS5_IKS6_S7_EES7_S7_S7_b.kd
    .uniform_work_group_size: 1
    .uses_dynamic_stack: false
    .vgpr_count:     49
    .vgpr_spill_count: 0
    .wavefront_size: 64
  - .agpr_count:     0
    .args:
      - .offset:         0
        .size:           416
        .value_kind:     by_value
      - .offset:         416
        .size:           416
        .value_kind:     by_value
      - .offset:         832
        .size:           416
        .value_kind:     by_value
      - .offset:         1248
        .size:           8
        .value_kind:     by_value
      - .offset:         1256
        .size:           8
        .value_kind:     by_value
      - .offset:         1264
        .size:           8
        .value_kind:     by_value
      - .offset:         1272
        .size:           1
        .value_kind:     by_value
      - .offset:         1280
        .size:           4
        .value_kind:     hidden_block_count_x
      - .offset:         1284
        .size:           4
        .value_kind:     hidden_block_count_y
      - .offset:         1288
        .size:           4
        .value_kind:     hidden_block_count_z
      - .offset:         1292
        .size:           2
        .value_kind:     hidden_group_size_x
      - .offset:         1294
        .size:           2
        .value_kind:     hidden_group_size_y
      - .offset:         1296
        .size:           2
        .value_kind:     hidden_group_size_z
      - .offset:         1298
        .size:           2
        .value_kind:     hidden_remainder_x
      - .offset:         1300
        .size:           2
        .value_kind:     hidden_remainder_y
      - .offset:         1302
        .size:           2
        .value_kind:     hidden_remainder_z
      - .offset:         1320
        .size:           8
        .value_kind:     hidden_global_offset_x
      - .offset:         1328
        .size:           8
        .value_kind:     hidden_global_offset_y
      - .offset:         1336
        .size:           8
        .value_kind:     hidden_global_offset_z
      - .offset:         1344
        .size:           2
        .value_kind:     hidden_grid_dims
    .group_segment_fixed_size: 5152
    .kernarg_segment_align: 8
    .kernarg_segment_size: 1536
    .language:       OpenCL C
    .language_version:
      - 2
      - 0
    .max_flat_workgroup_size: 1024
    .name:           _ZN2at6native12_GLOBAL__N_112gatherMedianIsmLi1EEEvNS_4cuda6detail10TensorInfoIT_T0_EENS5_IlS7_EENS5_IKS6_S7_EES7_S7_S7_b
    .private_segment_fixed_size: 0
    .sgpr_count:     100
    .sgpr_spill_count: 39
    .symbol:         _ZN2at6native12_GLOBAL__N_112gatherMedianIsmLi1EEEvNS_4cuda6detail10TensorInfoIT_T0_EENS5_IlS7_EENS5_IKS6_S7_EES7_S7_S7_b.kd
    .uniform_work_group_size: 1
    .uses_dynamic_stack: false
    .vgpr_count:     49
    .vgpr_spill_count: 0
    .wavefront_size: 64
  - .agpr_count:     0
    .args:
      - .offset:         0
        .size:           416
        .value_kind:     by_value
      - .offset:         416
        .size:           416
        .value_kind:     by_value
      - .offset:         832
        .size:           416
        .value_kind:     by_value
      - .offset:         1248
        .size:           8
        .value_kind:     by_value
      - .offset:         1256
        .size:           8
        .value_kind:     by_value
      - .offset:         1264
        .size:           8
        .value_kind:     by_value
      - .offset:         1272
        .size:           1
        .value_kind:     by_value
      - .offset:         1280
        .size:           4
        .value_kind:     hidden_block_count_x
      - .offset:         1284
        .size:           4
        .value_kind:     hidden_block_count_y
      - .offset:         1288
        .size:           4
        .value_kind:     hidden_block_count_z
      - .offset:         1292
        .size:           2
        .value_kind:     hidden_group_size_x
      - .offset:         1294
        .size:           2
        .value_kind:     hidden_group_size_y
      - .offset:         1296
        .size:           2
        .value_kind:     hidden_group_size_z
      - .offset:         1298
        .size:           2
        .value_kind:     hidden_remainder_x
      - .offset:         1300
        .size:           2
        .value_kind:     hidden_remainder_y
      - .offset:         1302
        .size:           2
        .value_kind:     hidden_remainder_z
      - .offset:         1320
        .size:           8
        .value_kind:     hidden_global_offset_x
      - .offset:         1328
        .size:           8
        .value_kind:     hidden_global_offset_y
      - .offset:         1336
        .size:           8
        .value_kind:     hidden_global_offset_z
      - .offset:         1344
        .size:           2
        .value_kind:     hidden_grid_dims
    .group_segment_fixed_size: 5152
    .kernarg_segment_align: 8
    .kernarg_segment_size: 1536
    .language:       OpenCL C
    .language_version:
      - 2
      - 0
    .max_flat_workgroup_size: 1024
    .name:           _ZN2at6native12_GLOBAL__N_112gatherMedianIsmLi2EEEvNS_4cuda6detail10TensorInfoIT_T0_EENS5_IlS7_EENS5_IKS6_S7_EES7_S7_S7_b
    .private_segment_fixed_size: 0
    .sgpr_count:     100
    .sgpr_spill_count: 41
    .symbol:         _ZN2at6native12_GLOBAL__N_112gatherMedianIsmLi2EEEvNS_4cuda6detail10TensorInfoIT_T0_EENS5_IlS7_EENS5_IKS6_S7_EES7_S7_S7_b.kd
    .uniform_work_group_size: 1
    .uses_dynamic_stack: false
    .vgpr_count:     43
    .vgpr_spill_count: 0
    .wavefront_size: 64
  - .agpr_count:     0
    .args:
      - .offset:         0
        .size:           416
        .value_kind:     by_value
      - .offset:         416
        .size:           416
        .value_kind:     by_value
      - .offset:         832
        .size:           416
        .value_kind:     by_value
      - .offset:         1248
        .size:           8
        .value_kind:     by_value
      - .offset:         1256
        .size:           8
        .value_kind:     by_value
      - .offset:         1264
        .size:           8
        .value_kind:     by_value
      - .offset:         1272
        .size:           1
        .value_kind:     by_value
      - .offset:         1280
        .size:           4
        .value_kind:     hidden_block_count_x
      - .offset:         1284
        .size:           4
        .value_kind:     hidden_block_count_y
      - .offset:         1288
        .size:           4
        .value_kind:     hidden_block_count_z
      - .offset:         1292
        .size:           2
        .value_kind:     hidden_group_size_x
      - .offset:         1294
        .size:           2
        .value_kind:     hidden_group_size_y
      - .offset:         1296
        .size:           2
        .value_kind:     hidden_group_size_z
      - .offset:         1298
        .size:           2
        .value_kind:     hidden_remainder_x
      - .offset:         1300
        .size:           2
        .value_kind:     hidden_remainder_y
      - .offset:         1302
        .size:           2
        .value_kind:     hidden_remainder_z
      - .offset:         1320
        .size:           8
        .value_kind:     hidden_global_offset_x
      - .offset:         1328
        .size:           8
        .value_kind:     hidden_global_offset_y
      - .offset:         1336
        .size:           8
        .value_kind:     hidden_global_offset_z
      - .offset:         1344
        .size:           2
        .value_kind:     hidden_grid_dims
    .group_segment_fixed_size: 5152
    .kernarg_segment_align: 8
    .kernarg_segment_size: 1536
    .language:       OpenCL C
    .language_version:
      - 2
      - 0
    .max_flat_workgroup_size: 1024
    .name:           _ZN2at6native12_GLOBAL__N_112gatherMedianIsmLi3EEEvNS_4cuda6detail10TensorInfoIT_T0_EENS5_IlS7_EENS5_IKS6_S7_EES7_S7_S7_b
    .private_segment_fixed_size: 0
    .sgpr_count:     100
    .sgpr_spill_count: 54
    .symbol:         _ZN2at6native12_GLOBAL__N_112gatherMedianIsmLi3EEEvNS_4cuda6detail10TensorInfoIT_T0_EENS5_IlS7_EENS5_IKS6_S7_EES7_S7_S7_b.kd
    .uniform_work_group_size: 1
    .uses_dynamic_stack: false
    .vgpr_count:     43
    .vgpr_spill_count: 0
    .wavefront_size: 64
  - .agpr_count:     0
    .args:
      - .offset:         0
        .size:           416
        .value_kind:     by_value
      - .offset:         416
        .size:           416
        .value_kind:     by_value
      - .offset:         832
        .size:           416
        .value_kind:     by_value
      - .offset:         1248
        .size:           8
        .value_kind:     by_value
      - .offset:         1256
        .size:           8
        .value_kind:     by_value
      - .offset:         1264
        .size:           8
        .value_kind:     by_value
      - .offset:         1272
        .size:           1
        .value_kind:     by_value
      - .offset:         1280
        .size:           4
        .value_kind:     hidden_block_count_x
      - .offset:         1284
        .size:           4
        .value_kind:     hidden_block_count_y
      - .offset:         1288
        .size:           4
        .value_kind:     hidden_block_count_z
      - .offset:         1292
        .size:           2
        .value_kind:     hidden_group_size_x
      - .offset:         1294
        .size:           2
        .value_kind:     hidden_group_size_y
      - .offset:         1296
        .size:           2
        .value_kind:     hidden_group_size_z
      - .offset:         1298
        .size:           2
        .value_kind:     hidden_remainder_x
      - .offset:         1300
        .size:           2
        .value_kind:     hidden_remainder_y
      - .offset:         1302
        .size:           2
        .value_kind:     hidden_remainder_z
      - .offset:         1320
        .size:           8
        .value_kind:     hidden_global_offset_x
      - .offset:         1328
        .size:           8
        .value_kind:     hidden_global_offset_y
      - .offset:         1336
        .size:           8
        .value_kind:     hidden_global_offset_z
      - .offset:         1344
        .size:           2
        .value_kind:     hidden_grid_dims
    .group_segment_fixed_size: 5152
    .kernarg_segment_align: 8
    .kernarg_segment_size: 1536
    .language:       OpenCL C
    .language_version:
      - 2
      - 0
    .max_flat_workgroup_size: 1024
    .name:           _ZN2at6native12_GLOBAL__N_112gatherMedianIsmLin1EEEvNS_4cuda6detail10TensorInfoIT_T0_EENS5_IlS7_EENS5_IKS6_S7_EES7_S7_S7_b
    .private_segment_fixed_size: 0
    .sgpr_count:     100
    .sgpr_spill_count: 47
    .symbol:         _ZN2at6native12_GLOBAL__N_112gatherMedianIsmLin1EEEvNS_4cuda6detail10TensorInfoIT_T0_EENS5_IlS7_EENS5_IKS6_S7_EES7_S7_S7_b.kd
    .uniform_work_group_size: 1
    .uses_dynamic_stack: false
    .vgpr_count:     52
    .vgpr_spill_count: 0
    .wavefront_size: 64
  - .agpr_count:     0
    .args:
      - .offset:         0
        .size:           216
        .value_kind:     by_value
      - .offset:         216
        .size:           216
        .value_kind:     by_value
      - .offset:         432
        .size:           216
        .value_kind:     by_value
      - .offset:         648
        .size:           4
        .value_kind:     by_value
      - .offset:         652
        .size:           4
        .value_kind:     by_value
      - .offset:         656
        .size:           4
        .value_kind:     by_value
      - .offset:         660
        .size:           1
        .value_kind:     by_value
      - .offset:         664
        .size:           4
        .value_kind:     hidden_block_count_x
      - .offset:         668
        .size:           4
        .value_kind:     hidden_block_count_y
      - .offset:         672
        .size:           4
        .value_kind:     hidden_block_count_z
      - .offset:         676
        .size:           2
        .value_kind:     hidden_group_size_x
      - .offset:         678
        .size:           2
        .value_kind:     hidden_group_size_y
      - .offset:         680
        .size:           2
        .value_kind:     hidden_group_size_z
      - .offset:         682
        .size:           2
        .value_kind:     hidden_remainder_x
      - .offset:         684
        .size:           2
        .value_kind:     hidden_remainder_y
      - .offset:         686
        .size:           2
        .value_kind:     hidden_remainder_z
      - .offset:         704
        .size:           8
        .value_kind:     hidden_global_offset_x
      - .offset:         712
        .size:           8
        .value_kind:     hidden_global_offset_y
      - .offset:         720
        .size:           8
        .value_kind:     hidden_global_offset_z
      - .offset:         728
        .size:           2
        .value_kind:     hidden_grid_dims
    .group_segment_fixed_size: 4120
    .kernarg_segment_align: 8
    .kernarg_segment_size: 920
    .language:       OpenCL C
    .language_version:
      - 2
      - 0
    .max_flat_workgroup_size: 1024
    .name:           _ZN2at6native12_GLOBAL__N_112gatherMedianIdjLi1EEEvNS_4cuda6detail10TensorInfoIT_T0_EENS5_IlS7_EENS5_IKS6_S7_EES7_S7_S7_b
    .private_segment_fixed_size: 0
    .sgpr_count:     100
    .sgpr_spill_count: 41
    .symbol:         _ZN2at6native12_GLOBAL__N_112gatherMedianIdjLi1EEEvNS_4cuda6detail10TensorInfoIT_T0_EENS5_IlS7_EENS5_IKS6_S7_EES7_S7_S7_b.kd
    .uniform_work_group_size: 1
    .uses_dynamic_stack: false
    .vgpr_count:     55
    .vgpr_spill_count: 0
    .wavefront_size: 64
  - .agpr_count:     0
    .args:
      - .offset:         0
        .size:           216
        .value_kind:     by_value
      - .offset:         216
        .size:           216
        .value_kind:     by_value
      - .offset:         432
        .size:           216
        .value_kind:     by_value
      - .offset:         648
        .size:           4
        .value_kind:     by_value
      - .offset:         652
        .size:           4
        .value_kind:     by_value
      - .offset:         656
        .size:           4
        .value_kind:     by_value
      - .offset:         660
        .size:           1
        .value_kind:     by_value
      - .offset:         664
        .size:           4
        .value_kind:     hidden_block_count_x
      - .offset:         668
        .size:           4
        .value_kind:     hidden_block_count_y
      - .offset:         672
        .size:           4
        .value_kind:     hidden_block_count_z
      - .offset:         676
        .size:           2
        .value_kind:     hidden_group_size_x
      - .offset:         678
        .size:           2
        .value_kind:     hidden_group_size_y
      - .offset:         680
        .size:           2
        .value_kind:     hidden_group_size_z
      - .offset:         682
        .size:           2
        .value_kind:     hidden_remainder_x
      - .offset:         684
        .size:           2
        .value_kind:     hidden_remainder_y
      - .offset:         686
        .size:           2
        .value_kind:     hidden_remainder_z
      - .offset:         704
        .size:           8
        .value_kind:     hidden_global_offset_x
      - .offset:         712
        .size:           8
        .value_kind:     hidden_global_offset_y
      - .offset:         720
        .size:           8
        .value_kind:     hidden_global_offset_z
      - .offset:         728
        .size:           2
        .value_kind:     hidden_grid_dims
    .group_segment_fixed_size: 4120
    .kernarg_segment_align: 8
    .kernarg_segment_size: 920
    .language:       OpenCL C
    .language_version:
      - 2
      - 0
    .max_flat_workgroup_size: 1024
    .name:           _ZN2at6native12_GLOBAL__N_112gatherMedianIdjLi2EEEvNS_4cuda6detail10TensorInfoIT_T0_EENS5_IlS7_EENS5_IKS6_S7_EES7_S7_S7_b
    .private_segment_fixed_size: 0
    .sgpr_count:     100
    .sgpr_spill_count: 43
    .symbol:         _ZN2at6native12_GLOBAL__N_112gatherMedianIdjLi2EEEvNS_4cuda6detail10TensorInfoIT_T0_EENS5_IlS7_EENS5_IKS6_S7_EES7_S7_S7_b.kd
    .uniform_work_group_size: 1
    .uses_dynamic_stack: false
    .vgpr_count:     55
    .vgpr_spill_count: 0
    .wavefront_size: 64
  - .agpr_count:     0
    .args:
      - .offset:         0
        .size:           216
        .value_kind:     by_value
      - .offset:         216
        .size:           216
        .value_kind:     by_value
      - .offset:         432
        .size:           216
        .value_kind:     by_value
      - .offset:         648
        .size:           4
        .value_kind:     by_value
      - .offset:         652
        .size:           4
        .value_kind:     by_value
      - .offset:         656
        .size:           4
        .value_kind:     by_value
      - .offset:         660
        .size:           1
        .value_kind:     by_value
      - .offset:         664
        .size:           4
        .value_kind:     hidden_block_count_x
      - .offset:         668
        .size:           4
        .value_kind:     hidden_block_count_y
      - .offset:         672
        .size:           4
        .value_kind:     hidden_block_count_z
      - .offset:         676
        .size:           2
        .value_kind:     hidden_group_size_x
      - .offset:         678
        .size:           2
        .value_kind:     hidden_group_size_y
      - .offset:         680
        .size:           2
        .value_kind:     hidden_group_size_z
      - .offset:         682
        .size:           2
        .value_kind:     hidden_remainder_x
      - .offset:         684
        .size:           2
        .value_kind:     hidden_remainder_y
      - .offset:         686
        .size:           2
        .value_kind:     hidden_remainder_z
      - .offset:         704
        .size:           8
        .value_kind:     hidden_global_offset_x
      - .offset:         712
        .size:           8
        .value_kind:     hidden_global_offset_y
      - .offset:         720
        .size:           8
        .value_kind:     hidden_global_offset_z
      - .offset:         728
        .size:           2
        .value_kind:     hidden_grid_dims
    .group_segment_fixed_size: 4120
    .kernarg_segment_align: 8
    .kernarg_segment_size: 920
    .language:       OpenCL C
    .language_version:
      - 2
      - 0
    .max_flat_workgroup_size: 1024
    .name:           _ZN2at6native12_GLOBAL__N_112gatherMedianIdjLi3EEEvNS_4cuda6detail10TensorInfoIT_T0_EENS5_IlS7_EENS5_IKS6_S7_EES7_S7_S7_b
    .private_segment_fixed_size: 0
    .sgpr_count:     100
    .sgpr_spill_count: 51
    .symbol:         _ZN2at6native12_GLOBAL__N_112gatherMedianIdjLi3EEEvNS_4cuda6detail10TensorInfoIT_T0_EENS5_IlS7_EENS5_IKS6_S7_EES7_S7_S7_b.kd
    .uniform_work_group_size: 1
    .uses_dynamic_stack: false
    .vgpr_count:     55
    .vgpr_spill_count: 0
    .wavefront_size: 64
  - .agpr_count:     0
    .args:
      - .offset:         0
        .size:           216
        .value_kind:     by_value
      - .offset:         216
        .size:           216
        .value_kind:     by_value
      - .offset:         432
        .size:           216
        .value_kind:     by_value
      - .offset:         648
        .size:           4
        .value_kind:     by_value
      - .offset:         652
        .size:           4
        .value_kind:     by_value
      - .offset:         656
        .size:           4
        .value_kind:     by_value
      - .offset:         660
        .size:           1
        .value_kind:     by_value
      - .offset:         664
        .size:           4
        .value_kind:     hidden_block_count_x
      - .offset:         668
        .size:           4
        .value_kind:     hidden_block_count_y
      - .offset:         672
        .size:           4
        .value_kind:     hidden_block_count_z
      - .offset:         676
        .size:           2
        .value_kind:     hidden_group_size_x
      - .offset:         678
        .size:           2
        .value_kind:     hidden_group_size_y
      - .offset:         680
        .size:           2
        .value_kind:     hidden_group_size_z
      - .offset:         682
        .size:           2
        .value_kind:     hidden_remainder_x
      - .offset:         684
        .size:           2
        .value_kind:     hidden_remainder_y
      - .offset:         686
        .size:           2
        .value_kind:     hidden_remainder_z
      - .offset:         704
        .size:           8
        .value_kind:     hidden_global_offset_x
      - .offset:         712
        .size:           8
        .value_kind:     hidden_global_offset_y
      - .offset:         720
        .size:           8
        .value_kind:     hidden_global_offset_z
      - .offset:         728
        .size:           2
        .value_kind:     hidden_grid_dims
    .group_segment_fixed_size: 4120
    .kernarg_segment_align: 8
    .kernarg_segment_size: 920
    .language:       OpenCL C
    .language_version:
      - 2
      - 0
    .max_flat_workgroup_size: 1024
    .name:           _ZN2at6native12_GLOBAL__N_112gatherMedianIdjLin1EEEvNS_4cuda6detail10TensorInfoIT_T0_EENS5_IlS7_EENS5_IKS6_S7_EES7_S7_S7_b
    .private_segment_fixed_size: 0
    .sgpr_count:     100
    .sgpr_spill_count: 42
    .symbol:         _ZN2at6native12_GLOBAL__N_112gatherMedianIdjLin1EEEvNS_4cuda6detail10TensorInfoIT_T0_EENS5_IlS7_EENS5_IKS6_S7_EES7_S7_S7_b.kd
    .uniform_work_group_size: 1
    .uses_dynamic_stack: false
    .vgpr_count:     55
    .vgpr_spill_count: 0
    .wavefront_size: 64
  - .agpr_count:     0
    .args:
      - .offset:         0
        .size:           416
        .value_kind:     by_value
      - .offset:         416
        .size:           416
        .value_kind:     by_value
      - .offset:         832
        .size:           416
        .value_kind:     by_value
      - .offset:         1248
        .size:           8
        .value_kind:     by_value
      - .offset:         1256
        .size:           8
        .value_kind:     by_value
      - .offset:         1264
        .size:           8
        .value_kind:     by_value
      - .offset:         1272
        .size:           1
        .value_kind:     by_value
      - .offset:         1280
        .size:           4
        .value_kind:     hidden_block_count_x
      - .offset:         1284
        .size:           4
        .value_kind:     hidden_block_count_y
      - .offset:         1288
        .size:           4
        .value_kind:     hidden_block_count_z
      - .offset:         1292
        .size:           2
        .value_kind:     hidden_group_size_x
      - .offset:         1294
        .size:           2
        .value_kind:     hidden_group_size_y
      - .offset:         1296
        .size:           2
        .value_kind:     hidden_group_size_z
      - .offset:         1298
        .size:           2
        .value_kind:     hidden_remainder_x
      - .offset:         1300
        .size:           2
        .value_kind:     hidden_remainder_y
      - .offset:         1302
        .size:           2
        .value_kind:     hidden_remainder_z
      - .offset:         1320
        .size:           8
        .value_kind:     hidden_global_offset_x
      - .offset:         1328
        .size:           8
        .value_kind:     hidden_global_offset_y
      - .offset:         1336
        .size:           8
        .value_kind:     hidden_global_offset_z
      - .offset:         1344
        .size:           2
        .value_kind:     hidden_grid_dims
    .group_segment_fixed_size: 5152
    .kernarg_segment_align: 8
    .kernarg_segment_size: 1536
    .language:       OpenCL C
    .language_version:
      - 2
      - 0
    .max_flat_workgroup_size: 1024
    .name:           _ZN2at6native12_GLOBAL__N_112gatherMedianIdmLi1EEEvNS_4cuda6detail10TensorInfoIT_T0_EENS5_IlS7_EENS5_IKS6_S7_EES7_S7_S7_b
    .private_segment_fixed_size: 0
    .sgpr_count:     100
    .sgpr_spill_count: 39
    .symbol:         _ZN2at6native12_GLOBAL__N_112gatherMedianIdmLi1EEEvNS_4cuda6detail10TensorInfoIT_T0_EENS5_IlS7_EENS5_IKS6_S7_EES7_S7_S7_b.kd
    .uniform_work_group_size: 1
    .uses_dynamic_stack: false
    .vgpr_count:     57
    .vgpr_spill_count: 0
    .wavefront_size: 64
  - .agpr_count:     0
    .args:
      - .offset:         0
        .size:           416
        .value_kind:     by_value
      - .offset:         416
        .size:           416
        .value_kind:     by_value
      - .offset:         832
        .size:           416
        .value_kind:     by_value
      - .offset:         1248
        .size:           8
        .value_kind:     by_value
      - .offset:         1256
        .size:           8
        .value_kind:     by_value
      - .offset:         1264
        .size:           8
        .value_kind:     by_value
      - .offset:         1272
        .size:           1
        .value_kind:     by_value
      - .offset:         1280
        .size:           4
        .value_kind:     hidden_block_count_x
      - .offset:         1284
        .size:           4
        .value_kind:     hidden_block_count_y
      - .offset:         1288
        .size:           4
        .value_kind:     hidden_block_count_z
      - .offset:         1292
        .size:           2
        .value_kind:     hidden_group_size_x
      - .offset:         1294
        .size:           2
        .value_kind:     hidden_group_size_y
      - .offset:         1296
        .size:           2
        .value_kind:     hidden_group_size_z
      - .offset:         1298
        .size:           2
        .value_kind:     hidden_remainder_x
      - .offset:         1300
        .size:           2
        .value_kind:     hidden_remainder_y
      - .offset:         1302
        .size:           2
        .value_kind:     hidden_remainder_z
      - .offset:         1320
        .size:           8
        .value_kind:     hidden_global_offset_x
      - .offset:         1328
        .size:           8
        .value_kind:     hidden_global_offset_y
      - .offset:         1336
        .size:           8
        .value_kind:     hidden_global_offset_z
      - .offset:         1344
        .size:           2
        .value_kind:     hidden_grid_dims
    .group_segment_fixed_size: 5152
    .kernarg_segment_align: 8
    .kernarg_segment_size: 1536
    .language:       OpenCL C
    .language_version:
      - 2
      - 0
    .max_flat_workgroup_size: 1024
    .name:           _ZN2at6native12_GLOBAL__N_112gatherMedianIdmLi2EEEvNS_4cuda6detail10TensorInfoIT_T0_EENS5_IlS7_EENS5_IKS6_S7_EES7_S7_S7_b
    .private_segment_fixed_size: 0
    .sgpr_count:     100
    .sgpr_spill_count: 43
    .symbol:         _ZN2at6native12_GLOBAL__N_112gatherMedianIdmLi2EEEvNS_4cuda6detail10TensorInfoIT_T0_EENS5_IlS7_EENS5_IKS6_S7_EES7_S7_S7_b.kd
    .uniform_work_group_size: 1
    .uses_dynamic_stack: false
    .vgpr_count:     51
    .vgpr_spill_count: 0
    .wavefront_size: 64
  - .agpr_count:     0
    .args:
      - .offset:         0
        .size:           416
        .value_kind:     by_value
      - .offset:         416
        .size:           416
        .value_kind:     by_value
      - .offset:         832
        .size:           416
        .value_kind:     by_value
      - .offset:         1248
        .size:           8
        .value_kind:     by_value
      - .offset:         1256
        .size:           8
        .value_kind:     by_value
      - .offset:         1264
        .size:           8
        .value_kind:     by_value
      - .offset:         1272
        .size:           1
        .value_kind:     by_value
      - .offset:         1280
        .size:           4
        .value_kind:     hidden_block_count_x
      - .offset:         1284
        .size:           4
        .value_kind:     hidden_block_count_y
      - .offset:         1288
        .size:           4
        .value_kind:     hidden_block_count_z
      - .offset:         1292
        .size:           2
        .value_kind:     hidden_group_size_x
      - .offset:         1294
        .size:           2
        .value_kind:     hidden_group_size_y
      - .offset:         1296
        .size:           2
        .value_kind:     hidden_group_size_z
      - .offset:         1298
        .size:           2
        .value_kind:     hidden_remainder_x
      - .offset:         1300
        .size:           2
        .value_kind:     hidden_remainder_y
      - .offset:         1302
        .size:           2
        .value_kind:     hidden_remainder_z
      - .offset:         1320
        .size:           8
        .value_kind:     hidden_global_offset_x
      - .offset:         1328
        .size:           8
        .value_kind:     hidden_global_offset_y
      - .offset:         1336
        .size:           8
        .value_kind:     hidden_global_offset_z
      - .offset:         1344
        .size:           2
        .value_kind:     hidden_grid_dims
    .group_segment_fixed_size: 5152
    .kernarg_segment_align: 8
    .kernarg_segment_size: 1536
    .language:       OpenCL C
    .language_version:
      - 2
      - 0
    .max_flat_workgroup_size: 1024
    .name:           _ZN2at6native12_GLOBAL__N_112gatherMedianIdmLi3EEEvNS_4cuda6detail10TensorInfoIT_T0_EENS5_IlS7_EENS5_IKS6_S7_EES7_S7_S7_b
    .private_segment_fixed_size: 0
    .sgpr_count:     100
    .sgpr_spill_count: 55
    .symbol:         _ZN2at6native12_GLOBAL__N_112gatherMedianIdmLi3EEEvNS_4cuda6detail10TensorInfoIT_T0_EENS5_IlS7_EENS5_IKS6_S7_EES7_S7_S7_b.kd
    .uniform_work_group_size: 1
    .uses_dynamic_stack: false
    .vgpr_count:     51
    .vgpr_spill_count: 0
    .wavefront_size: 64
  - .agpr_count:     0
    .args:
      - .offset:         0
        .size:           416
        .value_kind:     by_value
      - .offset:         416
        .size:           416
        .value_kind:     by_value
      - .offset:         832
        .size:           416
        .value_kind:     by_value
      - .offset:         1248
        .size:           8
        .value_kind:     by_value
      - .offset:         1256
        .size:           8
        .value_kind:     by_value
      - .offset:         1264
        .size:           8
        .value_kind:     by_value
      - .offset:         1272
        .size:           1
        .value_kind:     by_value
      - .offset:         1280
        .size:           4
        .value_kind:     hidden_block_count_x
      - .offset:         1284
        .size:           4
        .value_kind:     hidden_block_count_y
      - .offset:         1288
        .size:           4
        .value_kind:     hidden_block_count_z
      - .offset:         1292
        .size:           2
        .value_kind:     hidden_group_size_x
      - .offset:         1294
        .size:           2
        .value_kind:     hidden_group_size_y
      - .offset:         1296
        .size:           2
        .value_kind:     hidden_group_size_z
      - .offset:         1298
        .size:           2
        .value_kind:     hidden_remainder_x
      - .offset:         1300
        .size:           2
        .value_kind:     hidden_remainder_y
      - .offset:         1302
        .size:           2
        .value_kind:     hidden_remainder_z
      - .offset:         1320
        .size:           8
        .value_kind:     hidden_global_offset_x
      - .offset:         1328
        .size:           8
        .value_kind:     hidden_global_offset_y
      - .offset:         1336
        .size:           8
        .value_kind:     hidden_global_offset_z
      - .offset:         1344
        .size:           2
        .value_kind:     hidden_grid_dims
    .group_segment_fixed_size: 5152
    .kernarg_segment_align: 8
    .kernarg_segment_size: 1536
    .language:       OpenCL C
    .language_version:
      - 2
      - 0
    .max_flat_workgroup_size: 1024
    .name:           _ZN2at6native12_GLOBAL__N_112gatherMedianIdmLin1EEEvNS_4cuda6detail10TensorInfoIT_T0_EENS5_IlS7_EENS5_IKS6_S7_EES7_S7_S7_b
    .private_segment_fixed_size: 0
    .sgpr_count:     100
    .sgpr_spill_count: 51
    .symbol:         _ZN2at6native12_GLOBAL__N_112gatherMedianIdmLin1EEEvNS_4cuda6detail10TensorInfoIT_T0_EENS5_IlS7_EENS5_IKS6_S7_EES7_S7_S7_b.kd
    .uniform_work_group_size: 1
    .uses_dynamic_stack: false
    .vgpr_count:     67
    .vgpr_spill_count: 0
    .wavefront_size: 64
  - .agpr_count:     0
    .args:
      - .offset:         0
        .size:           216
        .value_kind:     by_value
      - .offset:         216
        .size:           216
        .value_kind:     by_value
      - .offset:         432
        .size:           216
        .value_kind:     by_value
      - .offset:         648
        .size:           4
        .value_kind:     by_value
      - .offset:         652
        .size:           4
        .value_kind:     by_value
      - .offset:         656
        .size:           4
        .value_kind:     by_value
      - .offset:         660
        .size:           1
        .value_kind:     by_value
      - .offset:         664
        .size:           4
        .value_kind:     hidden_block_count_x
      - .offset:         668
        .size:           4
        .value_kind:     hidden_block_count_y
      - .offset:         672
        .size:           4
        .value_kind:     hidden_block_count_z
      - .offset:         676
        .size:           2
        .value_kind:     hidden_group_size_x
      - .offset:         678
        .size:           2
        .value_kind:     hidden_group_size_y
      - .offset:         680
        .size:           2
        .value_kind:     hidden_group_size_z
      - .offset:         682
        .size:           2
        .value_kind:     hidden_remainder_x
      - .offset:         684
        .size:           2
        .value_kind:     hidden_remainder_y
      - .offset:         686
        .size:           2
        .value_kind:     hidden_remainder_z
      - .offset:         704
        .size:           8
        .value_kind:     hidden_global_offset_x
      - .offset:         712
        .size:           8
        .value_kind:     hidden_global_offset_y
      - .offset:         720
        .size:           8
        .value_kind:     hidden_global_offset_z
      - .offset:         728
        .size:           2
        .value_kind:     hidden_grid_dims
    .group_segment_fixed_size: 4120
    .kernarg_segment_align: 8
    .kernarg_segment_size: 920
    .language:       OpenCL C
    .language_version:
      - 2
      - 0
    .max_flat_workgroup_size: 1024
    .name:           _ZN2at6native12_GLOBAL__N_112gatherMedianIfjLi1EEEvNS_4cuda6detail10TensorInfoIT_T0_EENS5_IlS7_EENS5_IKS6_S7_EES7_S7_S7_b
    .private_segment_fixed_size: 0
    .sgpr_count:     100
    .sgpr_spill_count: 33
    .symbol:         _ZN2at6native12_GLOBAL__N_112gatherMedianIfjLi1EEEvNS_4cuda6detail10TensorInfoIT_T0_EENS5_IlS7_EENS5_IKS6_S7_EES7_S7_S7_b.kd
    .uniform_work_group_size: 1
    .uses_dynamic_stack: false
    .vgpr_count:     51
    .vgpr_spill_count: 0
    .wavefront_size: 64
  - .agpr_count:     0
    .args:
      - .offset:         0
        .size:           216
        .value_kind:     by_value
      - .offset:         216
        .size:           216
        .value_kind:     by_value
      - .offset:         432
        .size:           216
        .value_kind:     by_value
      - .offset:         648
        .size:           4
        .value_kind:     by_value
      - .offset:         652
        .size:           4
        .value_kind:     by_value
      - .offset:         656
        .size:           4
        .value_kind:     by_value
      - .offset:         660
        .size:           1
        .value_kind:     by_value
      - .offset:         664
        .size:           4
        .value_kind:     hidden_block_count_x
      - .offset:         668
        .size:           4
        .value_kind:     hidden_block_count_y
      - .offset:         672
        .size:           4
        .value_kind:     hidden_block_count_z
      - .offset:         676
        .size:           2
        .value_kind:     hidden_group_size_x
      - .offset:         678
        .size:           2
        .value_kind:     hidden_group_size_y
      - .offset:         680
        .size:           2
        .value_kind:     hidden_group_size_z
      - .offset:         682
        .size:           2
        .value_kind:     hidden_remainder_x
      - .offset:         684
        .size:           2
        .value_kind:     hidden_remainder_y
      - .offset:         686
        .size:           2
        .value_kind:     hidden_remainder_z
      - .offset:         704
        .size:           8
        .value_kind:     hidden_global_offset_x
      - .offset:         712
        .size:           8
        .value_kind:     hidden_global_offset_y
      - .offset:         720
        .size:           8
        .value_kind:     hidden_global_offset_z
      - .offset:         728
        .size:           2
        .value_kind:     hidden_grid_dims
    .group_segment_fixed_size: 4120
    .kernarg_segment_align: 8
    .kernarg_segment_size: 920
    .language:       OpenCL C
    .language_version:
      - 2
      - 0
    .max_flat_workgroup_size: 1024
    .name:           _ZN2at6native12_GLOBAL__N_112gatherMedianIfjLi2EEEvNS_4cuda6detail10TensorInfoIT_T0_EENS5_IlS7_EENS5_IKS6_S7_EES7_S7_S7_b
    .private_segment_fixed_size: 0
    .sgpr_count:     100
    .sgpr_spill_count: 39
    .symbol:         _ZN2at6native12_GLOBAL__N_112gatherMedianIfjLi2EEEvNS_4cuda6detail10TensorInfoIT_T0_EENS5_IlS7_EENS5_IKS6_S7_EES7_S7_S7_b.kd
    .uniform_work_group_size: 1
    .uses_dynamic_stack: false
    .vgpr_count:     51
    .vgpr_spill_count: 0
    .wavefront_size: 64
  - .agpr_count:     0
    .args:
      - .offset:         0
        .size:           216
        .value_kind:     by_value
      - .offset:         216
        .size:           216
        .value_kind:     by_value
      - .offset:         432
        .size:           216
        .value_kind:     by_value
      - .offset:         648
        .size:           4
        .value_kind:     by_value
      - .offset:         652
        .size:           4
        .value_kind:     by_value
      - .offset:         656
        .size:           4
        .value_kind:     by_value
      - .offset:         660
        .size:           1
        .value_kind:     by_value
      - .offset:         664
        .size:           4
        .value_kind:     hidden_block_count_x
      - .offset:         668
        .size:           4
        .value_kind:     hidden_block_count_y
      - .offset:         672
        .size:           4
        .value_kind:     hidden_block_count_z
      - .offset:         676
        .size:           2
        .value_kind:     hidden_group_size_x
      - .offset:         678
        .size:           2
        .value_kind:     hidden_group_size_y
      - .offset:         680
        .size:           2
        .value_kind:     hidden_group_size_z
      - .offset:         682
        .size:           2
        .value_kind:     hidden_remainder_x
      - .offset:         684
        .size:           2
        .value_kind:     hidden_remainder_y
      - .offset:         686
        .size:           2
        .value_kind:     hidden_remainder_z
      - .offset:         704
        .size:           8
        .value_kind:     hidden_global_offset_x
      - .offset:         712
        .size:           8
        .value_kind:     hidden_global_offset_y
      - .offset:         720
        .size:           8
        .value_kind:     hidden_global_offset_z
      - .offset:         728
        .size:           2
        .value_kind:     hidden_grid_dims
    .group_segment_fixed_size: 4120
    .kernarg_segment_align: 8
    .kernarg_segment_size: 920
    .language:       OpenCL C
    .language_version:
      - 2
      - 0
    .max_flat_workgroup_size: 1024
    .name:           _ZN2at6native12_GLOBAL__N_112gatherMedianIfjLi3EEEvNS_4cuda6detail10TensorInfoIT_T0_EENS5_IlS7_EENS5_IKS6_S7_EES7_S7_S7_b
    .private_segment_fixed_size: 0
    .sgpr_count:     100
    .sgpr_spill_count: 47
    .symbol:         _ZN2at6native12_GLOBAL__N_112gatherMedianIfjLi3EEEvNS_4cuda6detail10TensorInfoIT_T0_EENS5_IlS7_EENS5_IKS6_S7_EES7_S7_S7_b.kd
    .uniform_work_group_size: 1
    .uses_dynamic_stack: false
    .vgpr_count:     51
    .vgpr_spill_count: 0
    .wavefront_size: 64
  - .agpr_count:     0
    .args:
      - .offset:         0
        .size:           216
        .value_kind:     by_value
      - .offset:         216
        .size:           216
        .value_kind:     by_value
      - .offset:         432
        .size:           216
        .value_kind:     by_value
      - .offset:         648
        .size:           4
        .value_kind:     by_value
      - .offset:         652
        .size:           4
        .value_kind:     by_value
      - .offset:         656
        .size:           4
        .value_kind:     by_value
      - .offset:         660
        .size:           1
        .value_kind:     by_value
      - .offset:         664
        .size:           4
        .value_kind:     hidden_block_count_x
      - .offset:         668
        .size:           4
        .value_kind:     hidden_block_count_y
      - .offset:         672
        .size:           4
        .value_kind:     hidden_block_count_z
      - .offset:         676
        .size:           2
        .value_kind:     hidden_group_size_x
      - .offset:         678
        .size:           2
        .value_kind:     hidden_group_size_y
      - .offset:         680
        .size:           2
        .value_kind:     hidden_group_size_z
      - .offset:         682
        .size:           2
        .value_kind:     hidden_remainder_x
      - .offset:         684
        .size:           2
        .value_kind:     hidden_remainder_y
      - .offset:         686
        .size:           2
        .value_kind:     hidden_remainder_z
      - .offset:         704
        .size:           8
        .value_kind:     hidden_global_offset_x
      - .offset:         712
        .size:           8
        .value_kind:     hidden_global_offset_y
      - .offset:         720
        .size:           8
        .value_kind:     hidden_global_offset_z
      - .offset:         728
        .size:           2
        .value_kind:     hidden_grid_dims
    .group_segment_fixed_size: 4120
    .kernarg_segment_align: 8
    .kernarg_segment_size: 920
    .language:       OpenCL C
    .language_version:
      - 2
      - 0
    .max_flat_workgroup_size: 1024
    .name:           _ZN2at6native12_GLOBAL__N_112gatherMedianIfjLin1EEEvNS_4cuda6detail10TensorInfoIT_T0_EENS5_IlS7_EENS5_IKS6_S7_EES7_S7_S7_b
    .private_segment_fixed_size: 0
    .sgpr_count:     100
    .sgpr_spill_count: 36
    .symbol:         _ZN2at6native12_GLOBAL__N_112gatherMedianIfjLin1EEEvNS_4cuda6detail10TensorInfoIT_T0_EENS5_IlS7_EENS5_IKS6_S7_EES7_S7_S7_b.kd
    .uniform_work_group_size: 1
    .uses_dynamic_stack: false
    .vgpr_count:     51
    .vgpr_spill_count: 0
    .wavefront_size: 64
  - .agpr_count:     0
    .args:
      - .offset:         0
        .size:           416
        .value_kind:     by_value
      - .offset:         416
        .size:           416
        .value_kind:     by_value
      - .offset:         832
        .size:           416
        .value_kind:     by_value
      - .offset:         1248
        .size:           8
        .value_kind:     by_value
      - .offset:         1256
        .size:           8
        .value_kind:     by_value
      - .offset:         1264
        .size:           8
        .value_kind:     by_value
      - .offset:         1272
        .size:           1
        .value_kind:     by_value
      - .offset:         1280
        .size:           4
        .value_kind:     hidden_block_count_x
      - .offset:         1284
        .size:           4
        .value_kind:     hidden_block_count_y
      - .offset:         1288
        .size:           4
        .value_kind:     hidden_block_count_z
      - .offset:         1292
        .size:           2
        .value_kind:     hidden_group_size_x
      - .offset:         1294
        .size:           2
        .value_kind:     hidden_group_size_y
      - .offset:         1296
        .size:           2
        .value_kind:     hidden_group_size_z
      - .offset:         1298
        .size:           2
        .value_kind:     hidden_remainder_x
      - .offset:         1300
        .size:           2
        .value_kind:     hidden_remainder_y
      - .offset:         1302
        .size:           2
        .value_kind:     hidden_remainder_z
      - .offset:         1320
        .size:           8
        .value_kind:     hidden_global_offset_x
      - .offset:         1328
        .size:           8
        .value_kind:     hidden_global_offset_y
      - .offset:         1336
        .size:           8
        .value_kind:     hidden_global_offset_z
      - .offset:         1344
        .size:           2
        .value_kind:     hidden_grid_dims
    .group_segment_fixed_size: 5152
    .kernarg_segment_align: 8
    .kernarg_segment_size: 1536
    .language:       OpenCL C
    .language_version:
      - 2
      - 0
    .max_flat_workgroup_size: 1024
    .name:           _ZN2at6native12_GLOBAL__N_112gatherMedianIfmLi1EEEvNS_4cuda6detail10TensorInfoIT_T0_EENS5_IlS7_EENS5_IKS6_S7_EES7_S7_S7_b
    .private_segment_fixed_size: 0
    .sgpr_count:     100
    .sgpr_spill_count: 39
    .symbol:         _ZN2at6native12_GLOBAL__N_112gatherMedianIfmLi1EEEvNS_4cuda6detail10TensorInfoIT_T0_EENS5_IlS7_EENS5_IKS6_S7_EES7_S7_S7_b.kd
    .uniform_work_group_size: 1
    .uses_dynamic_stack: false
    .vgpr_count:     51
    .vgpr_spill_count: 0
    .wavefront_size: 64
  - .agpr_count:     0
    .args:
      - .offset:         0
        .size:           416
        .value_kind:     by_value
      - .offset:         416
        .size:           416
        .value_kind:     by_value
      - .offset:         832
        .size:           416
        .value_kind:     by_value
      - .offset:         1248
        .size:           8
        .value_kind:     by_value
      - .offset:         1256
        .size:           8
        .value_kind:     by_value
      - .offset:         1264
        .size:           8
        .value_kind:     by_value
      - .offset:         1272
        .size:           1
        .value_kind:     by_value
      - .offset:         1280
        .size:           4
        .value_kind:     hidden_block_count_x
      - .offset:         1284
        .size:           4
        .value_kind:     hidden_block_count_y
      - .offset:         1288
        .size:           4
        .value_kind:     hidden_block_count_z
      - .offset:         1292
        .size:           2
        .value_kind:     hidden_group_size_x
      - .offset:         1294
        .size:           2
        .value_kind:     hidden_group_size_y
      - .offset:         1296
        .size:           2
        .value_kind:     hidden_group_size_z
      - .offset:         1298
        .size:           2
        .value_kind:     hidden_remainder_x
      - .offset:         1300
        .size:           2
        .value_kind:     hidden_remainder_y
      - .offset:         1302
        .size:           2
        .value_kind:     hidden_remainder_z
      - .offset:         1320
        .size:           8
        .value_kind:     hidden_global_offset_x
      - .offset:         1328
        .size:           8
        .value_kind:     hidden_global_offset_y
      - .offset:         1336
        .size:           8
        .value_kind:     hidden_global_offset_z
      - .offset:         1344
        .size:           2
        .value_kind:     hidden_grid_dims
    .group_segment_fixed_size: 5152
    .kernarg_segment_align: 8
    .kernarg_segment_size: 1536
    .language:       OpenCL C
    .language_version:
      - 2
      - 0
    .max_flat_workgroup_size: 1024
    .name:           _ZN2at6native12_GLOBAL__N_112gatherMedianIfmLi2EEEvNS_4cuda6detail10TensorInfoIT_T0_EENS5_IlS7_EENS5_IKS6_S7_EES7_S7_S7_b
    .private_segment_fixed_size: 0
    .sgpr_count:     100
    .sgpr_spill_count: 41
    .symbol:         _ZN2at6native12_GLOBAL__N_112gatherMedianIfmLi2EEEvNS_4cuda6detail10TensorInfoIT_T0_EENS5_IlS7_EENS5_IKS6_S7_EES7_S7_S7_b.kd
    .uniform_work_group_size: 1
    .uses_dynamic_stack: false
    .vgpr_count:     45
    .vgpr_spill_count: 0
    .wavefront_size: 64
  - .agpr_count:     0
    .args:
      - .offset:         0
        .size:           416
        .value_kind:     by_value
      - .offset:         416
        .size:           416
        .value_kind:     by_value
      - .offset:         832
        .size:           416
        .value_kind:     by_value
      - .offset:         1248
        .size:           8
        .value_kind:     by_value
      - .offset:         1256
        .size:           8
        .value_kind:     by_value
      - .offset:         1264
        .size:           8
        .value_kind:     by_value
      - .offset:         1272
        .size:           1
        .value_kind:     by_value
      - .offset:         1280
        .size:           4
        .value_kind:     hidden_block_count_x
      - .offset:         1284
        .size:           4
        .value_kind:     hidden_block_count_y
      - .offset:         1288
        .size:           4
        .value_kind:     hidden_block_count_z
      - .offset:         1292
        .size:           2
        .value_kind:     hidden_group_size_x
      - .offset:         1294
        .size:           2
        .value_kind:     hidden_group_size_y
      - .offset:         1296
        .size:           2
        .value_kind:     hidden_group_size_z
      - .offset:         1298
        .size:           2
        .value_kind:     hidden_remainder_x
      - .offset:         1300
        .size:           2
        .value_kind:     hidden_remainder_y
      - .offset:         1302
        .size:           2
        .value_kind:     hidden_remainder_z
      - .offset:         1320
        .size:           8
        .value_kind:     hidden_global_offset_x
      - .offset:         1328
        .size:           8
        .value_kind:     hidden_global_offset_y
      - .offset:         1336
        .size:           8
        .value_kind:     hidden_global_offset_z
      - .offset:         1344
        .size:           2
        .value_kind:     hidden_grid_dims
    .group_segment_fixed_size: 5152
    .kernarg_segment_align: 8
    .kernarg_segment_size: 1536
    .language:       OpenCL C
    .language_version:
      - 2
      - 0
    .max_flat_workgroup_size: 1024
    .name:           _ZN2at6native12_GLOBAL__N_112gatherMedianIfmLi3EEEvNS_4cuda6detail10TensorInfoIT_T0_EENS5_IlS7_EENS5_IKS6_S7_EES7_S7_S7_b
    .private_segment_fixed_size: 0
    .sgpr_count:     100
    .sgpr_spill_count: 53
    .symbol:         _ZN2at6native12_GLOBAL__N_112gatherMedianIfmLi3EEEvNS_4cuda6detail10TensorInfoIT_T0_EENS5_IlS7_EENS5_IKS6_S7_EES7_S7_S7_b.kd
    .uniform_work_group_size: 1
    .uses_dynamic_stack: false
    .vgpr_count:     45
    .vgpr_spill_count: 0
    .wavefront_size: 64
  - .agpr_count:     0
    .args:
      - .offset:         0
        .size:           416
        .value_kind:     by_value
      - .offset:         416
        .size:           416
        .value_kind:     by_value
      - .offset:         832
        .size:           416
        .value_kind:     by_value
      - .offset:         1248
        .size:           8
        .value_kind:     by_value
      - .offset:         1256
        .size:           8
        .value_kind:     by_value
      - .offset:         1264
        .size:           8
        .value_kind:     by_value
      - .offset:         1272
        .size:           1
        .value_kind:     by_value
      - .offset:         1280
        .size:           4
        .value_kind:     hidden_block_count_x
      - .offset:         1284
        .size:           4
        .value_kind:     hidden_block_count_y
      - .offset:         1288
        .size:           4
        .value_kind:     hidden_block_count_z
      - .offset:         1292
        .size:           2
        .value_kind:     hidden_group_size_x
      - .offset:         1294
        .size:           2
        .value_kind:     hidden_group_size_y
      - .offset:         1296
        .size:           2
        .value_kind:     hidden_group_size_z
      - .offset:         1298
        .size:           2
        .value_kind:     hidden_remainder_x
      - .offset:         1300
        .size:           2
        .value_kind:     hidden_remainder_y
      - .offset:         1302
        .size:           2
        .value_kind:     hidden_remainder_z
      - .offset:         1320
        .size:           8
        .value_kind:     hidden_global_offset_x
      - .offset:         1328
        .size:           8
        .value_kind:     hidden_global_offset_y
      - .offset:         1336
        .size:           8
        .value_kind:     hidden_global_offset_z
      - .offset:         1344
        .size:           2
        .value_kind:     hidden_grid_dims
    .group_segment_fixed_size: 5152
    .kernarg_segment_align: 8
    .kernarg_segment_size: 1536
    .language:       OpenCL C
    .language_version:
      - 2
      - 0
    .max_flat_workgroup_size: 1024
    .name:           _ZN2at6native12_GLOBAL__N_112gatherMedianIfmLin1EEEvNS_4cuda6detail10TensorInfoIT_T0_EENS5_IlS7_EENS5_IKS6_S7_EES7_S7_S7_b
    .private_segment_fixed_size: 0
    .sgpr_count:     100
    .sgpr_spill_count: 45
    .symbol:         _ZN2at6native12_GLOBAL__N_112gatherMedianIfmLin1EEEvNS_4cuda6detail10TensorInfoIT_T0_EENS5_IlS7_EENS5_IKS6_S7_EES7_S7_S7_b.kd
    .uniform_work_group_size: 1
    .uses_dynamic_stack: false
    .vgpr_count:     53
    .vgpr_spill_count: 0
    .wavefront_size: 64
  - .agpr_count:     0
    .args:
      - .offset:         0
        .size:           216
        .value_kind:     by_value
      - .offset:         216
        .size:           216
        .value_kind:     by_value
      - .offset:         432
        .size:           216
        .value_kind:     by_value
      - .offset:         648
        .size:           4
        .value_kind:     by_value
      - .offset:         652
        .size:           4
        .value_kind:     by_value
      - .offset:         656
        .size:           4
        .value_kind:     by_value
      - .offset:         660
        .size:           1
        .value_kind:     by_value
      - .offset:         664
        .size:           4
        .value_kind:     hidden_block_count_x
      - .offset:         668
        .size:           4
        .value_kind:     hidden_block_count_y
      - .offset:         672
        .size:           4
        .value_kind:     hidden_block_count_z
      - .offset:         676
        .size:           2
        .value_kind:     hidden_group_size_x
      - .offset:         678
        .size:           2
        .value_kind:     hidden_group_size_y
      - .offset:         680
        .size:           2
        .value_kind:     hidden_group_size_z
      - .offset:         682
        .size:           2
        .value_kind:     hidden_remainder_x
      - .offset:         684
        .size:           2
        .value_kind:     hidden_remainder_y
      - .offset:         686
        .size:           2
        .value_kind:     hidden_remainder_z
      - .offset:         704
        .size:           8
        .value_kind:     hidden_global_offset_x
      - .offset:         712
        .size:           8
        .value_kind:     hidden_global_offset_y
      - .offset:         720
        .size:           8
        .value_kind:     hidden_global_offset_z
      - .offset:         728
        .size:           2
        .value_kind:     hidden_grid_dims
    .group_segment_fixed_size: 4120
    .kernarg_segment_align: 8
    .kernarg_segment_size: 920
    .language:       OpenCL C
    .language_version:
      - 2
      - 0
    .max_flat_workgroup_size: 1024
    .name:           _ZN2at6native12_GLOBAL__N_112gatherMedianIN3c104HalfEjLi1EEEvNS_4cuda6detail10TensorInfoIT_T0_EENS7_IlS9_EENS7_IKS8_S9_EES9_S9_S9_b
    .private_segment_fixed_size: 0
    .sgpr_count:     100
    .sgpr_spill_count: 35
    .symbol:         _ZN2at6native12_GLOBAL__N_112gatherMedianIN3c104HalfEjLi1EEEvNS_4cuda6detail10TensorInfoIT_T0_EENS7_IlS9_EENS7_IKS8_S9_EES9_S9_S9_b.kd
    .uniform_work_group_size: 1
    .uses_dynamic_stack: false
    .vgpr_count:     53
    .vgpr_spill_count: 0
    .wavefront_size: 64
  - .agpr_count:     0
    .args:
      - .offset:         0
        .size:           216
        .value_kind:     by_value
      - .offset:         216
        .size:           216
        .value_kind:     by_value
      - .offset:         432
        .size:           216
        .value_kind:     by_value
      - .offset:         648
        .size:           4
        .value_kind:     by_value
      - .offset:         652
        .size:           4
        .value_kind:     by_value
      - .offset:         656
        .size:           4
        .value_kind:     by_value
      - .offset:         660
        .size:           1
        .value_kind:     by_value
      - .offset:         664
        .size:           4
        .value_kind:     hidden_block_count_x
      - .offset:         668
        .size:           4
        .value_kind:     hidden_block_count_y
      - .offset:         672
        .size:           4
        .value_kind:     hidden_block_count_z
      - .offset:         676
        .size:           2
        .value_kind:     hidden_group_size_x
      - .offset:         678
        .size:           2
        .value_kind:     hidden_group_size_y
      - .offset:         680
        .size:           2
        .value_kind:     hidden_group_size_z
      - .offset:         682
        .size:           2
        .value_kind:     hidden_remainder_x
      - .offset:         684
        .size:           2
        .value_kind:     hidden_remainder_y
      - .offset:         686
        .size:           2
        .value_kind:     hidden_remainder_z
      - .offset:         704
        .size:           8
        .value_kind:     hidden_global_offset_x
      - .offset:         712
        .size:           8
        .value_kind:     hidden_global_offset_y
      - .offset:         720
        .size:           8
        .value_kind:     hidden_global_offset_z
      - .offset:         728
        .size:           2
        .value_kind:     hidden_grid_dims
    .group_segment_fixed_size: 4120
    .kernarg_segment_align: 8
    .kernarg_segment_size: 920
    .language:       OpenCL C
    .language_version:
      - 2
      - 0
    .max_flat_workgroup_size: 1024
    .name:           _ZN2at6native12_GLOBAL__N_112gatherMedianIN3c104HalfEjLi2EEEvNS_4cuda6detail10TensorInfoIT_T0_EENS7_IlS9_EENS7_IKS8_S9_EES9_S9_S9_b
    .private_segment_fixed_size: 0
    .sgpr_count:     100
    .sgpr_spill_count: 41
    .symbol:         _ZN2at6native12_GLOBAL__N_112gatherMedianIN3c104HalfEjLi2EEEvNS_4cuda6detail10TensorInfoIT_T0_EENS7_IlS9_EENS7_IKS8_S9_EES9_S9_S9_b.kd
    .uniform_work_group_size: 1
    .uses_dynamic_stack: false
    .vgpr_count:     53
    .vgpr_spill_count: 0
    .wavefront_size: 64
  - .agpr_count:     0
    .args:
      - .offset:         0
        .size:           216
        .value_kind:     by_value
      - .offset:         216
        .size:           216
        .value_kind:     by_value
      - .offset:         432
        .size:           216
        .value_kind:     by_value
      - .offset:         648
        .size:           4
        .value_kind:     by_value
      - .offset:         652
        .size:           4
        .value_kind:     by_value
      - .offset:         656
        .size:           4
        .value_kind:     by_value
      - .offset:         660
        .size:           1
        .value_kind:     by_value
      - .offset:         664
        .size:           4
        .value_kind:     hidden_block_count_x
      - .offset:         668
        .size:           4
        .value_kind:     hidden_block_count_y
      - .offset:         672
        .size:           4
        .value_kind:     hidden_block_count_z
      - .offset:         676
        .size:           2
        .value_kind:     hidden_group_size_x
      - .offset:         678
        .size:           2
        .value_kind:     hidden_group_size_y
      - .offset:         680
        .size:           2
        .value_kind:     hidden_group_size_z
      - .offset:         682
        .size:           2
        .value_kind:     hidden_remainder_x
      - .offset:         684
        .size:           2
        .value_kind:     hidden_remainder_y
      - .offset:         686
        .size:           2
        .value_kind:     hidden_remainder_z
      - .offset:         704
        .size:           8
        .value_kind:     hidden_global_offset_x
      - .offset:         712
        .size:           8
        .value_kind:     hidden_global_offset_y
      - .offset:         720
        .size:           8
        .value_kind:     hidden_global_offset_z
      - .offset:         728
        .size:           2
        .value_kind:     hidden_grid_dims
    .group_segment_fixed_size: 4120
    .kernarg_segment_align: 8
    .kernarg_segment_size: 920
    .language:       OpenCL C
    .language_version:
      - 2
      - 0
    .max_flat_workgroup_size: 1024
    .name:           _ZN2at6native12_GLOBAL__N_112gatherMedianIN3c104HalfEjLi3EEEvNS_4cuda6detail10TensorInfoIT_T0_EENS7_IlS9_EENS7_IKS8_S9_EES9_S9_S9_b
    .private_segment_fixed_size: 0
    .sgpr_count:     100
    .sgpr_spill_count: 49
    .symbol:         _ZN2at6native12_GLOBAL__N_112gatherMedianIN3c104HalfEjLi3EEEvNS_4cuda6detail10TensorInfoIT_T0_EENS7_IlS9_EENS7_IKS8_S9_EES9_S9_S9_b.kd
    .uniform_work_group_size: 1
    .uses_dynamic_stack: false
    .vgpr_count:     53
    .vgpr_spill_count: 0
    .wavefront_size: 64
  - .agpr_count:     0
    .args:
      - .offset:         0
        .size:           216
        .value_kind:     by_value
      - .offset:         216
        .size:           216
        .value_kind:     by_value
      - .offset:         432
        .size:           216
        .value_kind:     by_value
      - .offset:         648
        .size:           4
        .value_kind:     by_value
      - .offset:         652
        .size:           4
        .value_kind:     by_value
      - .offset:         656
        .size:           4
        .value_kind:     by_value
      - .offset:         660
        .size:           1
        .value_kind:     by_value
      - .offset:         664
        .size:           4
        .value_kind:     hidden_block_count_x
      - .offset:         668
        .size:           4
        .value_kind:     hidden_block_count_y
      - .offset:         672
        .size:           4
        .value_kind:     hidden_block_count_z
      - .offset:         676
        .size:           2
        .value_kind:     hidden_group_size_x
      - .offset:         678
        .size:           2
        .value_kind:     hidden_group_size_y
      - .offset:         680
        .size:           2
        .value_kind:     hidden_group_size_z
      - .offset:         682
        .size:           2
        .value_kind:     hidden_remainder_x
      - .offset:         684
        .size:           2
        .value_kind:     hidden_remainder_y
      - .offset:         686
        .size:           2
        .value_kind:     hidden_remainder_z
      - .offset:         704
        .size:           8
        .value_kind:     hidden_global_offset_x
      - .offset:         712
        .size:           8
        .value_kind:     hidden_global_offset_y
      - .offset:         720
        .size:           8
        .value_kind:     hidden_global_offset_z
      - .offset:         728
        .size:           2
        .value_kind:     hidden_grid_dims
    .group_segment_fixed_size: 4120
    .kernarg_segment_align: 8
    .kernarg_segment_size: 920
    .language:       OpenCL C
    .language_version:
      - 2
      - 0
    .max_flat_workgroup_size: 1024
    .name:           _ZN2at6native12_GLOBAL__N_112gatherMedianIN3c104HalfEjLin1EEEvNS_4cuda6detail10TensorInfoIT_T0_EENS7_IlS9_EENS7_IKS8_S9_EES9_S9_S9_b
    .private_segment_fixed_size: 0
    .sgpr_count:     100
    .sgpr_spill_count: 38
    .symbol:         _ZN2at6native12_GLOBAL__N_112gatherMedianIN3c104HalfEjLin1EEEvNS_4cuda6detail10TensorInfoIT_T0_EENS7_IlS9_EENS7_IKS8_S9_EES9_S9_S9_b.kd
    .uniform_work_group_size: 1
    .uses_dynamic_stack: false
    .vgpr_count:     53
    .vgpr_spill_count: 0
    .wavefront_size: 64
  - .agpr_count:     0
    .args:
      - .offset:         0
        .size:           416
        .value_kind:     by_value
      - .offset:         416
        .size:           416
        .value_kind:     by_value
      - .offset:         832
        .size:           416
        .value_kind:     by_value
      - .offset:         1248
        .size:           8
        .value_kind:     by_value
      - .offset:         1256
        .size:           8
        .value_kind:     by_value
      - .offset:         1264
        .size:           8
        .value_kind:     by_value
      - .offset:         1272
        .size:           1
        .value_kind:     by_value
      - .offset:         1280
        .size:           4
        .value_kind:     hidden_block_count_x
      - .offset:         1284
        .size:           4
        .value_kind:     hidden_block_count_y
      - .offset:         1288
        .size:           4
        .value_kind:     hidden_block_count_z
      - .offset:         1292
        .size:           2
        .value_kind:     hidden_group_size_x
      - .offset:         1294
        .size:           2
        .value_kind:     hidden_group_size_y
      - .offset:         1296
        .size:           2
        .value_kind:     hidden_group_size_z
      - .offset:         1298
        .size:           2
        .value_kind:     hidden_remainder_x
      - .offset:         1300
        .size:           2
        .value_kind:     hidden_remainder_y
      - .offset:         1302
        .size:           2
        .value_kind:     hidden_remainder_z
      - .offset:         1320
        .size:           8
        .value_kind:     hidden_global_offset_x
      - .offset:         1328
        .size:           8
        .value_kind:     hidden_global_offset_y
      - .offset:         1336
        .size:           8
        .value_kind:     hidden_global_offset_z
      - .offset:         1344
        .size:           2
        .value_kind:     hidden_grid_dims
    .group_segment_fixed_size: 5152
    .kernarg_segment_align: 8
    .kernarg_segment_size: 1536
    .language:       OpenCL C
    .language_version:
      - 2
      - 0
    .max_flat_workgroup_size: 1024
    .name:           _ZN2at6native12_GLOBAL__N_112gatherMedianIN3c104HalfEmLi1EEEvNS_4cuda6detail10TensorInfoIT_T0_EENS7_IlS9_EENS7_IKS8_S9_EES9_S9_S9_b
    .private_segment_fixed_size: 0
    .sgpr_count:     100
    .sgpr_spill_count: 37
    .symbol:         _ZN2at6native12_GLOBAL__N_112gatherMedianIN3c104HalfEmLi1EEEvNS_4cuda6detail10TensorInfoIT_T0_EENS7_IlS9_EENS7_IKS8_S9_EES9_S9_S9_b.kd
    .uniform_work_group_size: 1
    .uses_dynamic_stack: false
    .vgpr_count:     53
    .vgpr_spill_count: 0
    .wavefront_size: 64
  - .agpr_count:     0
    .args:
      - .offset:         0
        .size:           416
        .value_kind:     by_value
      - .offset:         416
        .size:           416
        .value_kind:     by_value
      - .offset:         832
        .size:           416
        .value_kind:     by_value
      - .offset:         1248
        .size:           8
        .value_kind:     by_value
      - .offset:         1256
        .size:           8
        .value_kind:     by_value
      - .offset:         1264
        .size:           8
        .value_kind:     by_value
      - .offset:         1272
        .size:           1
        .value_kind:     by_value
      - .offset:         1280
        .size:           4
        .value_kind:     hidden_block_count_x
      - .offset:         1284
        .size:           4
        .value_kind:     hidden_block_count_y
      - .offset:         1288
        .size:           4
        .value_kind:     hidden_block_count_z
      - .offset:         1292
        .size:           2
        .value_kind:     hidden_group_size_x
      - .offset:         1294
        .size:           2
        .value_kind:     hidden_group_size_y
      - .offset:         1296
        .size:           2
        .value_kind:     hidden_group_size_z
      - .offset:         1298
        .size:           2
        .value_kind:     hidden_remainder_x
      - .offset:         1300
        .size:           2
        .value_kind:     hidden_remainder_y
      - .offset:         1302
        .size:           2
        .value_kind:     hidden_remainder_z
      - .offset:         1320
        .size:           8
        .value_kind:     hidden_global_offset_x
      - .offset:         1328
        .size:           8
        .value_kind:     hidden_global_offset_y
      - .offset:         1336
        .size:           8
        .value_kind:     hidden_global_offset_z
      - .offset:         1344
        .size:           2
        .value_kind:     hidden_grid_dims
    .group_segment_fixed_size: 5152
    .kernarg_segment_align: 8
    .kernarg_segment_size: 1536
    .language:       OpenCL C
    .language_version:
      - 2
      - 0
    .max_flat_workgroup_size: 1024
    .name:           _ZN2at6native12_GLOBAL__N_112gatherMedianIN3c104HalfEmLi2EEEvNS_4cuda6detail10TensorInfoIT_T0_EENS7_IlS9_EENS7_IKS8_S9_EES9_S9_S9_b
    .private_segment_fixed_size: 0
    .sgpr_count:     100
    .sgpr_spill_count: 43
    .symbol:         _ZN2at6native12_GLOBAL__N_112gatherMedianIN3c104HalfEmLi2EEEvNS_4cuda6detail10TensorInfoIT_T0_EENS7_IlS9_EENS7_IKS8_S9_EES9_S9_S9_b.kd
    .uniform_work_group_size: 1
    .uses_dynamic_stack: false
    .vgpr_count:     45
    .vgpr_spill_count: 0
    .wavefront_size: 64
  - .agpr_count:     0
    .args:
      - .offset:         0
        .size:           416
        .value_kind:     by_value
      - .offset:         416
        .size:           416
        .value_kind:     by_value
      - .offset:         832
        .size:           416
        .value_kind:     by_value
      - .offset:         1248
        .size:           8
        .value_kind:     by_value
      - .offset:         1256
        .size:           8
        .value_kind:     by_value
      - .offset:         1264
        .size:           8
        .value_kind:     by_value
      - .offset:         1272
        .size:           1
        .value_kind:     by_value
      - .offset:         1280
        .size:           4
        .value_kind:     hidden_block_count_x
      - .offset:         1284
        .size:           4
        .value_kind:     hidden_block_count_y
      - .offset:         1288
        .size:           4
        .value_kind:     hidden_block_count_z
      - .offset:         1292
        .size:           2
        .value_kind:     hidden_group_size_x
      - .offset:         1294
        .size:           2
        .value_kind:     hidden_group_size_y
      - .offset:         1296
        .size:           2
        .value_kind:     hidden_group_size_z
      - .offset:         1298
        .size:           2
        .value_kind:     hidden_remainder_x
      - .offset:         1300
        .size:           2
        .value_kind:     hidden_remainder_y
      - .offset:         1302
        .size:           2
        .value_kind:     hidden_remainder_z
      - .offset:         1320
        .size:           8
        .value_kind:     hidden_global_offset_x
      - .offset:         1328
        .size:           8
        .value_kind:     hidden_global_offset_y
      - .offset:         1336
        .size:           8
        .value_kind:     hidden_global_offset_z
      - .offset:         1344
        .size:           2
        .value_kind:     hidden_grid_dims
    .group_segment_fixed_size: 5152
    .kernarg_segment_align: 8
    .kernarg_segment_size: 1536
    .language:       OpenCL C
    .language_version:
      - 2
      - 0
    .max_flat_workgroup_size: 1024
    .name:           _ZN2at6native12_GLOBAL__N_112gatherMedianIN3c104HalfEmLi3EEEvNS_4cuda6detail10TensorInfoIT_T0_EENS7_IlS9_EENS7_IKS8_S9_EES9_S9_S9_b
    .private_segment_fixed_size: 0
    .sgpr_count:     100
    .sgpr_spill_count: 54
    .symbol:         _ZN2at6native12_GLOBAL__N_112gatherMedianIN3c104HalfEmLi3EEEvNS_4cuda6detail10TensorInfoIT_T0_EENS7_IlS9_EENS7_IKS8_S9_EES9_S9_S9_b.kd
    .uniform_work_group_size: 1
    .uses_dynamic_stack: false
    .vgpr_count:     45
    .vgpr_spill_count: 0
    .wavefront_size: 64
  - .agpr_count:     0
    .args:
      - .offset:         0
        .size:           416
        .value_kind:     by_value
      - .offset:         416
        .size:           416
        .value_kind:     by_value
      - .offset:         832
        .size:           416
        .value_kind:     by_value
      - .offset:         1248
        .size:           8
        .value_kind:     by_value
      - .offset:         1256
        .size:           8
        .value_kind:     by_value
      - .offset:         1264
        .size:           8
        .value_kind:     by_value
      - .offset:         1272
        .size:           1
        .value_kind:     by_value
      - .offset:         1280
        .size:           4
        .value_kind:     hidden_block_count_x
      - .offset:         1284
        .size:           4
        .value_kind:     hidden_block_count_y
      - .offset:         1288
        .size:           4
        .value_kind:     hidden_block_count_z
      - .offset:         1292
        .size:           2
        .value_kind:     hidden_group_size_x
      - .offset:         1294
        .size:           2
        .value_kind:     hidden_group_size_y
      - .offset:         1296
        .size:           2
        .value_kind:     hidden_group_size_z
      - .offset:         1298
        .size:           2
        .value_kind:     hidden_remainder_x
      - .offset:         1300
        .size:           2
        .value_kind:     hidden_remainder_y
      - .offset:         1302
        .size:           2
        .value_kind:     hidden_remainder_z
      - .offset:         1320
        .size:           8
        .value_kind:     hidden_global_offset_x
      - .offset:         1328
        .size:           8
        .value_kind:     hidden_global_offset_y
      - .offset:         1336
        .size:           8
        .value_kind:     hidden_global_offset_z
      - .offset:         1344
        .size:           2
        .value_kind:     hidden_grid_dims
    .group_segment_fixed_size: 5152
    .kernarg_segment_align: 8
    .kernarg_segment_size: 1536
    .language:       OpenCL C
    .language_version:
      - 2
      - 0
    .max_flat_workgroup_size: 1024
    .name:           _ZN2at6native12_GLOBAL__N_112gatherMedianIN3c104HalfEmLin1EEEvNS_4cuda6detail10TensorInfoIT_T0_EENS7_IlS9_EENS7_IKS8_S9_EES9_S9_S9_b
    .private_segment_fixed_size: 0
    .sgpr_count:     100
    .sgpr_spill_count: 45
    .symbol:         _ZN2at6native12_GLOBAL__N_112gatherMedianIN3c104HalfEmLin1EEEvNS_4cuda6detail10TensorInfoIT_T0_EENS7_IlS9_EENS7_IKS8_S9_EES9_S9_S9_b.kd
    .uniform_work_group_size: 1
    .uses_dynamic_stack: false
    .vgpr_count:     55
    .vgpr_spill_count: 0
    .wavefront_size: 64
  - .agpr_count:     0
    .args:
      - .offset:         0
        .size:           216
        .value_kind:     by_value
      - .offset:         216
        .size:           216
        .value_kind:     by_value
      - .offset:         432
        .size:           216
        .value_kind:     by_value
      - .offset:         648
        .size:           4
        .value_kind:     by_value
      - .offset:         652
        .size:           4
        .value_kind:     by_value
      - .offset:         656
        .size:           4
        .value_kind:     by_value
      - .offset:         660
        .size:           1
        .value_kind:     by_value
      - .offset:         664
        .size:           4
        .value_kind:     hidden_block_count_x
      - .offset:         668
        .size:           4
        .value_kind:     hidden_block_count_y
      - .offset:         672
        .size:           4
        .value_kind:     hidden_block_count_z
      - .offset:         676
        .size:           2
        .value_kind:     hidden_group_size_x
      - .offset:         678
        .size:           2
        .value_kind:     hidden_group_size_y
      - .offset:         680
        .size:           2
        .value_kind:     hidden_group_size_z
      - .offset:         682
        .size:           2
        .value_kind:     hidden_remainder_x
      - .offset:         684
        .size:           2
        .value_kind:     hidden_remainder_y
      - .offset:         686
        .size:           2
        .value_kind:     hidden_remainder_z
      - .offset:         704
        .size:           8
        .value_kind:     hidden_global_offset_x
      - .offset:         712
        .size:           8
        .value_kind:     hidden_global_offset_y
      - .offset:         720
        .size:           8
        .value_kind:     hidden_global_offset_z
      - .offset:         728
        .size:           2
        .value_kind:     hidden_grid_dims
    .group_segment_fixed_size: 4120
    .kernarg_segment_align: 8
    .kernarg_segment_size: 920
    .language:       OpenCL C
    .language_version:
      - 2
      - 0
    .max_flat_workgroup_size: 1024
    .name:           _ZN2at6native12_GLOBAL__N_112gatherMedianIN3c108BFloat16EjLi1EEEvNS_4cuda6detail10TensorInfoIT_T0_EENS7_IlS9_EENS7_IKS8_S9_EES9_S9_S9_b
    .private_segment_fixed_size: 0
    .sgpr_count:     100
    .sgpr_spill_count: 35
    .symbol:         _ZN2at6native12_GLOBAL__N_112gatherMedianIN3c108BFloat16EjLi1EEEvNS_4cuda6detail10TensorInfoIT_T0_EENS7_IlS9_EENS7_IKS8_S9_EES9_S9_S9_b.kd
    .uniform_work_group_size: 1
    .uses_dynamic_stack: false
    .vgpr_count:     53
    .vgpr_spill_count: 0
    .wavefront_size: 64
  - .agpr_count:     0
    .args:
      - .offset:         0
        .size:           216
        .value_kind:     by_value
      - .offset:         216
        .size:           216
        .value_kind:     by_value
      - .offset:         432
        .size:           216
        .value_kind:     by_value
      - .offset:         648
        .size:           4
        .value_kind:     by_value
      - .offset:         652
        .size:           4
        .value_kind:     by_value
      - .offset:         656
        .size:           4
        .value_kind:     by_value
      - .offset:         660
        .size:           1
        .value_kind:     by_value
      - .offset:         664
        .size:           4
        .value_kind:     hidden_block_count_x
      - .offset:         668
        .size:           4
        .value_kind:     hidden_block_count_y
      - .offset:         672
        .size:           4
        .value_kind:     hidden_block_count_z
      - .offset:         676
        .size:           2
        .value_kind:     hidden_group_size_x
      - .offset:         678
        .size:           2
        .value_kind:     hidden_group_size_y
      - .offset:         680
        .size:           2
        .value_kind:     hidden_group_size_z
      - .offset:         682
        .size:           2
        .value_kind:     hidden_remainder_x
      - .offset:         684
        .size:           2
        .value_kind:     hidden_remainder_y
      - .offset:         686
        .size:           2
        .value_kind:     hidden_remainder_z
      - .offset:         704
        .size:           8
        .value_kind:     hidden_global_offset_x
      - .offset:         712
        .size:           8
        .value_kind:     hidden_global_offset_y
      - .offset:         720
        .size:           8
        .value_kind:     hidden_global_offset_z
      - .offset:         728
        .size:           2
        .value_kind:     hidden_grid_dims
    .group_segment_fixed_size: 4120
    .kernarg_segment_align: 8
    .kernarg_segment_size: 920
    .language:       OpenCL C
    .language_version:
      - 2
      - 0
    .max_flat_workgroup_size: 1024
    .name:           _ZN2at6native12_GLOBAL__N_112gatherMedianIN3c108BFloat16EjLi2EEEvNS_4cuda6detail10TensorInfoIT_T0_EENS7_IlS9_EENS7_IKS8_S9_EES9_S9_S9_b
    .private_segment_fixed_size: 0
    .sgpr_count:     100
    .sgpr_spill_count: 41
    .symbol:         _ZN2at6native12_GLOBAL__N_112gatherMedianIN3c108BFloat16EjLi2EEEvNS_4cuda6detail10TensorInfoIT_T0_EENS7_IlS9_EENS7_IKS8_S9_EES9_S9_S9_b.kd
    .uniform_work_group_size: 1
    .uses_dynamic_stack: false
    .vgpr_count:     53
    .vgpr_spill_count: 0
    .wavefront_size: 64
  - .agpr_count:     0
    .args:
      - .offset:         0
        .size:           216
        .value_kind:     by_value
      - .offset:         216
        .size:           216
        .value_kind:     by_value
      - .offset:         432
        .size:           216
        .value_kind:     by_value
      - .offset:         648
        .size:           4
        .value_kind:     by_value
      - .offset:         652
        .size:           4
        .value_kind:     by_value
      - .offset:         656
        .size:           4
        .value_kind:     by_value
      - .offset:         660
        .size:           1
        .value_kind:     by_value
      - .offset:         664
        .size:           4
        .value_kind:     hidden_block_count_x
      - .offset:         668
        .size:           4
        .value_kind:     hidden_block_count_y
      - .offset:         672
        .size:           4
        .value_kind:     hidden_block_count_z
      - .offset:         676
        .size:           2
        .value_kind:     hidden_group_size_x
      - .offset:         678
        .size:           2
        .value_kind:     hidden_group_size_y
      - .offset:         680
        .size:           2
        .value_kind:     hidden_group_size_z
      - .offset:         682
        .size:           2
        .value_kind:     hidden_remainder_x
      - .offset:         684
        .size:           2
        .value_kind:     hidden_remainder_y
      - .offset:         686
        .size:           2
        .value_kind:     hidden_remainder_z
      - .offset:         704
        .size:           8
        .value_kind:     hidden_global_offset_x
      - .offset:         712
        .size:           8
        .value_kind:     hidden_global_offset_y
      - .offset:         720
        .size:           8
        .value_kind:     hidden_global_offset_z
      - .offset:         728
        .size:           2
        .value_kind:     hidden_grid_dims
    .group_segment_fixed_size: 4120
    .kernarg_segment_align: 8
    .kernarg_segment_size: 920
    .language:       OpenCL C
    .language_version:
      - 2
      - 0
    .max_flat_workgroup_size: 1024
    .name:           _ZN2at6native12_GLOBAL__N_112gatherMedianIN3c108BFloat16EjLi3EEEvNS_4cuda6detail10TensorInfoIT_T0_EENS7_IlS9_EENS7_IKS8_S9_EES9_S9_S9_b
    .private_segment_fixed_size: 0
    .sgpr_count:     100
    .sgpr_spill_count: 49
    .symbol:         _ZN2at6native12_GLOBAL__N_112gatherMedianIN3c108BFloat16EjLi3EEEvNS_4cuda6detail10TensorInfoIT_T0_EENS7_IlS9_EENS7_IKS8_S9_EES9_S9_S9_b.kd
    .uniform_work_group_size: 1
    .uses_dynamic_stack: false
    .vgpr_count:     53
    .vgpr_spill_count: 0
    .wavefront_size: 64
  - .agpr_count:     0
    .args:
      - .offset:         0
        .size:           216
        .value_kind:     by_value
      - .offset:         216
        .size:           216
        .value_kind:     by_value
      - .offset:         432
        .size:           216
        .value_kind:     by_value
      - .offset:         648
        .size:           4
        .value_kind:     by_value
      - .offset:         652
        .size:           4
        .value_kind:     by_value
      - .offset:         656
        .size:           4
        .value_kind:     by_value
      - .offset:         660
        .size:           1
        .value_kind:     by_value
      - .offset:         664
        .size:           4
        .value_kind:     hidden_block_count_x
      - .offset:         668
        .size:           4
        .value_kind:     hidden_block_count_y
      - .offset:         672
        .size:           4
        .value_kind:     hidden_block_count_z
      - .offset:         676
        .size:           2
        .value_kind:     hidden_group_size_x
      - .offset:         678
        .size:           2
        .value_kind:     hidden_group_size_y
      - .offset:         680
        .size:           2
        .value_kind:     hidden_group_size_z
      - .offset:         682
        .size:           2
        .value_kind:     hidden_remainder_x
      - .offset:         684
        .size:           2
        .value_kind:     hidden_remainder_y
      - .offset:         686
        .size:           2
        .value_kind:     hidden_remainder_z
      - .offset:         704
        .size:           8
        .value_kind:     hidden_global_offset_x
      - .offset:         712
        .size:           8
        .value_kind:     hidden_global_offset_y
      - .offset:         720
        .size:           8
        .value_kind:     hidden_global_offset_z
      - .offset:         728
        .size:           2
        .value_kind:     hidden_grid_dims
    .group_segment_fixed_size: 4120
    .kernarg_segment_align: 8
    .kernarg_segment_size: 920
    .language:       OpenCL C
    .language_version:
      - 2
      - 0
    .max_flat_workgroup_size: 1024
    .name:           _ZN2at6native12_GLOBAL__N_112gatherMedianIN3c108BFloat16EjLin1EEEvNS_4cuda6detail10TensorInfoIT_T0_EENS7_IlS9_EENS7_IKS8_S9_EES9_S9_S9_b
    .private_segment_fixed_size: 0
    .sgpr_count:     100
    .sgpr_spill_count: 38
    .symbol:         _ZN2at6native12_GLOBAL__N_112gatherMedianIN3c108BFloat16EjLin1EEEvNS_4cuda6detail10TensorInfoIT_T0_EENS7_IlS9_EENS7_IKS8_S9_EES9_S9_S9_b.kd
    .uniform_work_group_size: 1
    .uses_dynamic_stack: false
    .vgpr_count:     53
    .vgpr_spill_count: 0
    .wavefront_size: 64
  - .agpr_count:     0
    .args:
      - .offset:         0
        .size:           416
        .value_kind:     by_value
      - .offset:         416
        .size:           416
        .value_kind:     by_value
      - .offset:         832
        .size:           416
        .value_kind:     by_value
      - .offset:         1248
        .size:           8
        .value_kind:     by_value
      - .offset:         1256
        .size:           8
        .value_kind:     by_value
      - .offset:         1264
        .size:           8
        .value_kind:     by_value
      - .offset:         1272
        .size:           1
        .value_kind:     by_value
      - .offset:         1280
        .size:           4
        .value_kind:     hidden_block_count_x
      - .offset:         1284
        .size:           4
        .value_kind:     hidden_block_count_y
      - .offset:         1288
        .size:           4
        .value_kind:     hidden_block_count_z
      - .offset:         1292
        .size:           2
        .value_kind:     hidden_group_size_x
      - .offset:         1294
        .size:           2
        .value_kind:     hidden_group_size_y
      - .offset:         1296
        .size:           2
        .value_kind:     hidden_group_size_z
      - .offset:         1298
        .size:           2
        .value_kind:     hidden_remainder_x
      - .offset:         1300
        .size:           2
        .value_kind:     hidden_remainder_y
      - .offset:         1302
        .size:           2
        .value_kind:     hidden_remainder_z
      - .offset:         1320
        .size:           8
        .value_kind:     hidden_global_offset_x
      - .offset:         1328
        .size:           8
        .value_kind:     hidden_global_offset_y
      - .offset:         1336
        .size:           8
        .value_kind:     hidden_global_offset_z
      - .offset:         1344
        .size:           2
        .value_kind:     hidden_grid_dims
    .group_segment_fixed_size: 5152
    .kernarg_segment_align: 8
    .kernarg_segment_size: 1536
    .language:       OpenCL C
    .language_version:
      - 2
      - 0
    .max_flat_workgroup_size: 1024
    .name:           _ZN2at6native12_GLOBAL__N_112gatherMedianIN3c108BFloat16EmLi1EEEvNS_4cuda6detail10TensorInfoIT_T0_EENS7_IlS9_EENS7_IKS8_S9_EES9_S9_S9_b
    .private_segment_fixed_size: 0
    .sgpr_count:     100
    .sgpr_spill_count: 37
    .symbol:         _ZN2at6native12_GLOBAL__N_112gatherMedianIN3c108BFloat16EmLi1EEEvNS_4cuda6detail10TensorInfoIT_T0_EENS7_IlS9_EENS7_IKS8_S9_EES9_S9_S9_b.kd
    .uniform_work_group_size: 1
    .uses_dynamic_stack: false
    .vgpr_count:     53
    .vgpr_spill_count: 0
    .wavefront_size: 64
  - .agpr_count:     0
    .args:
      - .offset:         0
        .size:           416
        .value_kind:     by_value
      - .offset:         416
        .size:           416
        .value_kind:     by_value
      - .offset:         832
        .size:           416
        .value_kind:     by_value
      - .offset:         1248
        .size:           8
        .value_kind:     by_value
      - .offset:         1256
        .size:           8
        .value_kind:     by_value
      - .offset:         1264
        .size:           8
        .value_kind:     by_value
      - .offset:         1272
        .size:           1
        .value_kind:     by_value
      - .offset:         1280
        .size:           4
        .value_kind:     hidden_block_count_x
      - .offset:         1284
        .size:           4
        .value_kind:     hidden_block_count_y
      - .offset:         1288
        .size:           4
        .value_kind:     hidden_block_count_z
      - .offset:         1292
        .size:           2
        .value_kind:     hidden_group_size_x
      - .offset:         1294
        .size:           2
        .value_kind:     hidden_group_size_y
      - .offset:         1296
        .size:           2
        .value_kind:     hidden_group_size_z
      - .offset:         1298
        .size:           2
        .value_kind:     hidden_remainder_x
      - .offset:         1300
        .size:           2
        .value_kind:     hidden_remainder_y
      - .offset:         1302
        .size:           2
        .value_kind:     hidden_remainder_z
      - .offset:         1320
        .size:           8
        .value_kind:     hidden_global_offset_x
      - .offset:         1328
        .size:           8
        .value_kind:     hidden_global_offset_y
      - .offset:         1336
        .size:           8
        .value_kind:     hidden_global_offset_z
      - .offset:         1344
        .size:           2
        .value_kind:     hidden_grid_dims
    .group_segment_fixed_size: 5152
    .kernarg_segment_align: 8
    .kernarg_segment_size: 1536
    .language:       OpenCL C
    .language_version:
      - 2
      - 0
    .max_flat_workgroup_size: 1024
    .name:           _ZN2at6native12_GLOBAL__N_112gatherMedianIN3c108BFloat16EmLi2EEEvNS_4cuda6detail10TensorInfoIT_T0_EENS7_IlS9_EENS7_IKS8_S9_EES9_S9_S9_b
    .private_segment_fixed_size: 0
    .sgpr_count:     100
    .sgpr_spill_count: 43
    .symbol:         _ZN2at6native12_GLOBAL__N_112gatherMedianIN3c108BFloat16EmLi2EEEvNS_4cuda6detail10TensorInfoIT_T0_EENS7_IlS9_EENS7_IKS8_S9_EES9_S9_S9_b.kd
    .uniform_work_group_size: 1
    .uses_dynamic_stack: false
    .vgpr_count:     45
    .vgpr_spill_count: 0
    .wavefront_size: 64
  - .agpr_count:     0
    .args:
      - .offset:         0
        .size:           416
        .value_kind:     by_value
      - .offset:         416
        .size:           416
        .value_kind:     by_value
      - .offset:         832
        .size:           416
        .value_kind:     by_value
      - .offset:         1248
        .size:           8
        .value_kind:     by_value
      - .offset:         1256
        .size:           8
        .value_kind:     by_value
      - .offset:         1264
        .size:           8
        .value_kind:     by_value
      - .offset:         1272
        .size:           1
        .value_kind:     by_value
      - .offset:         1280
        .size:           4
        .value_kind:     hidden_block_count_x
      - .offset:         1284
        .size:           4
        .value_kind:     hidden_block_count_y
      - .offset:         1288
        .size:           4
        .value_kind:     hidden_block_count_z
      - .offset:         1292
        .size:           2
        .value_kind:     hidden_group_size_x
      - .offset:         1294
        .size:           2
        .value_kind:     hidden_group_size_y
      - .offset:         1296
        .size:           2
        .value_kind:     hidden_group_size_z
      - .offset:         1298
        .size:           2
        .value_kind:     hidden_remainder_x
      - .offset:         1300
        .size:           2
        .value_kind:     hidden_remainder_y
      - .offset:         1302
        .size:           2
        .value_kind:     hidden_remainder_z
      - .offset:         1320
        .size:           8
        .value_kind:     hidden_global_offset_x
      - .offset:         1328
        .size:           8
        .value_kind:     hidden_global_offset_y
      - .offset:         1336
        .size:           8
        .value_kind:     hidden_global_offset_z
      - .offset:         1344
        .size:           2
        .value_kind:     hidden_grid_dims
    .group_segment_fixed_size: 5152
    .kernarg_segment_align: 8
    .kernarg_segment_size: 1536
    .language:       OpenCL C
    .language_version:
      - 2
      - 0
    .max_flat_workgroup_size: 1024
    .name:           _ZN2at6native12_GLOBAL__N_112gatherMedianIN3c108BFloat16EmLi3EEEvNS_4cuda6detail10TensorInfoIT_T0_EENS7_IlS9_EENS7_IKS8_S9_EES9_S9_S9_b
    .private_segment_fixed_size: 0
    .sgpr_count:     100
    .sgpr_spill_count: 54
    .symbol:         _ZN2at6native12_GLOBAL__N_112gatherMedianIN3c108BFloat16EmLi3EEEvNS_4cuda6detail10TensorInfoIT_T0_EENS7_IlS9_EENS7_IKS8_S9_EES9_S9_S9_b.kd
    .uniform_work_group_size: 1
    .uses_dynamic_stack: false
    .vgpr_count:     45
    .vgpr_spill_count: 0
    .wavefront_size: 64
  - .agpr_count:     0
    .args:
      - .offset:         0
        .size:           416
        .value_kind:     by_value
      - .offset:         416
        .size:           416
        .value_kind:     by_value
      - .offset:         832
        .size:           416
        .value_kind:     by_value
      - .offset:         1248
        .size:           8
        .value_kind:     by_value
      - .offset:         1256
        .size:           8
        .value_kind:     by_value
      - .offset:         1264
        .size:           8
        .value_kind:     by_value
      - .offset:         1272
        .size:           1
        .value_kind:     by_value
      - .offset:         1280
        .size:           4
        .value_kind:     hidden_block_count_x
      - .offset:         1284
        .size:           4
        .value_kind:     hidden_block_count_y
      - .offset:         1288
        .size:           4
        .value_kind:     hidden_block_count_z
      - .offset:         1292
        .size:           2
        .value_kind:     hidden_group_size_x
      - .offset:         1294
        .size:           2
        .value_kind:     hidden_group_size_y
      - .offset:         1296
        .size:           2
        .value_kind:     hidden_group_size_z
      - .offset:         1298
        .size:           2
        .value_kind:     hidden_remainder_x
      - .offset:         1300
        .size:           2
        .value_kind:     hidden_remainder_y
      - .offset:         1302
        .size:           2
        .value_kind:     hidden_remainder_z
      - .offset:         1320
        .size:           8
        .value_kind:     hidden_global_offset_x
      - .offset:         1328
        .size:           8
        .value_kind:     hidden_global_offset_y
      - .offset:         1336
        .size:           8
        .value_kind:     hidden_global_offset_z
      - .offset:         1344
        .size:           2
        .value_kind:     hidden_grid_dims
    .group_segment_fixed_size: 5152
    .kernarg_segment_align: 8
    .kernarg_segment_size: 1536
    .language:       OpenCL C
    .language_version:
      - 2
      - 0
    .max_flat_workgroup_size: 1024
    .name:           _ZN2at6native12_GLOBAL__N_112gatherMedianIN3c108BFloat16EmLin1EEEvNS_4cuda6detail10TensorInfoIT_T0_EENS7_IlS9_EENS7_IKS8_S9_EES9_S9_S9_b
    .private_segment_fixed_size: 0
    .sgpr_count:     100
    .sgpr_spill_count: 45
    .symbol:         _ZN2at6native12_GLOBAL__N_112gatherMedianIN3c108BFloat16EmLin1EEEvNS_4cuda6detail10TensorInfoIT_T0_EENS7_IlS9_EENS7_IKS8_S9_EES9_S9_S9_b.kd
    .uniform_work_group_size: 1
    .uses_dynamic_stack: false
    .vgpr_count:     57
    .vgpr_spill_count: 0
    .wavefront_size: 64
amdhsa.target:   amdgcn-amd-amdhsa--gfx90a
amdhsa.version:
  - 1
  - 2
...

	.end_amdgpu_metadata
